;; amdgpu-corpus repo=vllm-project/vllm kind=compiled arch=gfx1201 opt=O3
	.amdgcn_target "amdgcn-amd-amdhsa--gfx1201"
	.amdhsa_code_object_version 6
	.section	.text._ZL16dequantize_blockILi32ELi2EXadL_ZL15dequantize_q4_0PKviiR7__half2EEfEvS1_PT2_l,"axG",@progbits,_ZL16dequantize_blockILi32ELi2EXadL_ZL15dequantize_q4_0PKviiR7__half2EEfEvS1_PT2_l,comdat
	.globl	_ZL16dequantize_blockILi32ELi2EXadL_ZL15dequantize_q4_0PKviiR7__half2EEfEvS1_PT2_l ; -- Begin function _ZL16dequantize_blockILi32ELi2EXadL_ZL15dequantize_q4_0PKviiR7__half2EEfEvS1_PT2_l
	.p2align	8
	.type	_ZL16dequantize_blockILi32ELi2EXadL_ZL15dequantize_q4_0PKviiR7__half2EEfEvS1_PT2_l,@function
_ZL16dequantize_blockILi32ELi2EXadL_ZL15dequantize_q4_0PKviiR7__half2EEfEvS1_PT2_l: ; @_ZL16dequantize_blockILi32ELi2EXadL_ZL15dequantize_q4_0PKviiR7__half2EEfEvS1_PT2_l
; %bb.0:
	s_clause 0x1
	s_load_b32 s4, s[0:1], 0x24
	s_load_b64 s[2:3], s[0:1], 0x10
	v_mov_b32_e32 v1, 0
	s_wait_kmcnt 0x0
	s_and_b32 s4, s4, 0xffff
	s_delay_alu instid0(VALU_DEP_1) | instid1(SALU_CYCLE_1)
	v_mad_co_u64_u32 v[4:5], null, s4, ttmp9, v[0:1]
	s_delay_alu instid0(VALU_DEP_1) | instskip(NEXT) | instid1(VALU_DEP_1)
	v_lshlrev_b64_e32 v[2:3], 1, v[4:5]
	v_cmp_gt_i64_e32 vcc_lo, s[2:3], v[2:3]
	s_and_saveexec_b32 s2, vcc_lo
	s_cbranch_execz .LBB0_2
; %bb.1:
	s_load_b128 s[0:3], s[0:1], 0x0
	v_alignbit_b32 v0, v5, v4, 4
	v_and_b32_e32 v7, 15, v4
	s_wait_kmcnt 0x0
	s_delay_alu instid0(VALU_DEP_2) | instskip(NEXT) | instid1(VALU_DEP_1)
	v_mad_co_i64_i32 v[5:6], null, v0, 18, s[0:1]
	v_add_co_u32 v3, vcc_lo, v5, v7
	s_delay_alu instid0(VALU_DEP_1)
	v_add_co_ci_u32_e64 v4, null, 0, v6, vcc_lo
	s_clause 0x1
	global_load_u8 v0, v[3:4], off offset:2
	global_load_u16 v3, v[5:6], off
	s_wait_loadcnt 0x1
	v_and_b32_e32 v4, 15, v0
	v_lshrrev_b32_e32 v0, 4, v0
	s_wait_loadcnt 0x0
	v_lshl_or_b32 v3, v3, 16, v3
	s_delay_alu instid0(VALU_DEP_3) | instskip(NEXT) | instid1(VALU_DEP_3)
	v_cvt_f32_ubyte0_e32 v4, v4
	v_cvt_f32_ubyte0_e32 v0, v0
	s_delay_alu instid0(VALU_DEP_2) | instskip(NEXT) | instid1(VALU_DEP_2)
	v_cvt_f16_f32_e32 v4, v4
	v_cvt_f16_f32_e32 v0, v0
	s_delay_alu instid0(VALU_DEP_1) | instskip(NEXT) | instid1(VALU_DEP_1)
	v_pack_b32_f16 v0, v4, v0
	v_pk_add_f16 v4, 0xc800, v0 op_sel_hi:[0,1]
	v_mov_b32_e32 v0, v1
	v_and_or_b32 v1, 0xffffffe0, v2, v7
	s_delay_alu instid0(VALU_DEP_3) | instskip(NEXT) | instid1(VALU_DEP_2)
	v_pk_mul_f16 v2, v4, v3
	v_ashrrev_i64 v[0:1], 30, v[0:1]
	s_delay_alu instid0(VALU_DEP_2) | instskip(SKIP_1) | instid1(VALU_DEP_3)
	v_cvt_f32_f16_e32 v3, v2
	v_lshrrev_b32_e32 v2, 16, v2
	v_add_co_u32 v0, vcc_lo, s2, v0
	s_wait_alu 0xfffd
	s_delay_alu instid0(VALU_DEP_4) | instskip(NEXT) | instid1(VALU_DEP_3)
	v_add_co_ci_u32_e64 v1, null, s3, v1, vcc_lo
	v_cvt_f32_f16_e32 v2, v2
	s_clause 0x1
	global_store_b32 v[0:1], v3, off
	global_store_b32 v[0:1], v2, off offset:64
.LBB0_2:
	s_endpgm
	.section	.rodata,"a",@progbits
	.p2align	6, 0x0
	.amdhsa_kernel _ZL16dequantize_blockILi32ELi2EXadL_ZL15dequantize_q4_0PKviiR7__half2EEfEvS1_PT2_l
		.amdhsa_group_segment_fixed_size 0
		.amdhsa_private_segment_fixed_size 0
		.amdhsa_kernarg_size 280
		.amdhsa_user_sgpr_count 2
		.amdhsa_user_sgpr_dispatch_ptr 0
		.amdhsa_user_sgpr_queue_ptr 0
		.amdhsa_user_sgpr_kernarg_segment_ptr 1
		.amdhsa_user_sgpr_dispatch_id 0
		.amdhsa_user_sgpr_private_segment_size 0
		.amdhsa_wavefront_size32 1
		.amdhsa_uses_dynamic_stack 0
		.amdhsa_enable_private_segment 0
		.amdhsa_system_sgpr_workgroup_id_x 1
		.amdhsa_system_sgpr_workgroup_id_y 0
		.amdhsa_system_sgpr_workgroup_id_z 0
		.amdhsa_system_sgpr_workgroup_info 0
		.amdhsa_system_vgpr_workitem_id 0
		.amdhsa_next_free_vgpr 8
		.amdhsa_next_free_sgpr 5
		.amdhsa_reserve_vcc 1
		.amdhsa_float_round_mode_32 0
		.amdhsa_float_round_mode_16_64 0
		.amdhsa_float_denorm_mode_32 3
		.amdhsa_float_denorm_mode_16_64 3
		.amdhsa_fp16_overflow 0
		.amdhsa_workgroup_processor_mode 1
		.amdhsa_memory_ordered 1
		.amdhsa_forward_progress 1
		.amdhsa_inst_pref_size 3
		.amdhsa_round_robin_scheduling 0
		.amdhsa_exception_fp_ieee_invalid_op 0
		.amdhsa_exception_fp_denorm_src 0
		.amdhsa_exception_fp_ieee_div_zero 0
		.amdhsa_exception_fp_ieee_overflow 0
		.amdhsa_exception_fp_ieee_underflow 0
		.amdhsa_exception_fp_ieee_inexact 0
		.amdhsa_exception_int_div_zero 0
	.end_amdhsa_kernel
	.section	.text._ZL16dequantize_blockILi32ELi2EXadL_ZL15dequantize_q4_0PKviiR7__half2EEfEvS1_PT2_l,"axG",@progbits,_ZL16dequantize_blockILi32ELi2EXadL_ZL15dequantize_q4_0PKviiR7__half2EEfEvS1_PT2_l,comdat
.Lfunc_end0:
	.size	_ZL16dequantize_blockILi32ELi2EXadL_ZL15dequantize_q4_0PKviiR7__half2EEfEvS1_PT2_l, .Lfunc_end0-_ZL16dequantize_blockILi32ELi2EXadL_ZL15dequantize_q4_0PKviiR7__half2EEfEvS1_PT2_l
                                        ; -- End function
	.set _ZL16dequantize_blockILi32ELi2EXadL_ZL15dequantize_q4_0PKviiR7__half2EEfEvS1_PT2_l.num_vgpr, 8
	.set _ZL16dequantize_blockILi32ELi2EXadL_ZL15dequantize_q4_0PKviiR7__half2EEfEvS1_PT2_l.num_agpr, 0
	.set _ZL16dequantize_blockILi32ELi2EXadL_ZL15dequantize_q4_0PKviiR7__half2EEfEvS1_PT2_l.numbered_sgpr, 5
	.set _ZL16dequantize_blockILi32ELi2EXadL_ZL15dequantize_q4_0PKviiR7__half2EEfEvS1_PT2_l.num_named_barrier, 0
	.set _ZL16dequantize_blockILi32ELi2EXadL_ZL15dequantize_q4_0PKviiR7__half2EEfEvS1_PT2_l.private_seg_size, 0
	.set _ZL16dequantize_blockILi32ELi2EXadL_ZL15dequantize_q4_0PKviiR7__half2EEfEvS1_PT2_l.uses_vcc, 1
	.set _ZL16dequantize_blockILi32ELi2EXadL_ZL15dequantize_q4_0PKviiR7__half2EEfEvS1_PT2_l.uses_flat_scratch, 0
	.set _ZL16dequantize_blockILi32ELi2EXadL_ZL15dequantize_q4_0PKviiR7__half2EEfEvS1_PT2_l.has_dyn_sized_stack, 0
	.set _ZL16dequantize_blockILi32ELi2EXadL_ZL15dequantize_q4_0PKviiR7__half2EEfEvS1_PT2_l.has_recursion, 0
	.set _ZL16dequantize_blockILi32ELi2EXadL_ZL15dequantize_q4_0PKviiR7__half2EEfEvS1_PT2_l.has_indirect_call, 0
	.section	.AMDGPU.csdata,"",@progbits
; Kernel info:
; codeLenInByte = 332
; TotalNumSgprs: 7
; NumVgprs: 8
; ScratchSize: 0
; MemoryBound: 0
; FloatMode: 240
; IeeeMode: 1
; LDSByteSize: 0 bytes/workgroup (compile time only)
; SGPRBlocks: 0
; VGPRBlocks: 0
; NumSGPRsForWavesPerEU: 7
; NumVGPRsForWavesPerEU: 8
; Occupancy: 16
; WaveLimiterHint : 0
; COMPUTE_PGM_RSRC2:SCRATCH_EN: 0
; COMPUTE_PGM_RSRC2:USER_SGPR: 2
; COMPUTE_PGM_RSRC2:TRAP_HANDLER: 0
; COMPUTE_PGM_RSRC2:TGID_X_EN: 1
; COMPUTE_PGM_RSRC2:TGID_Y_EN: 0
; COMPUTE_PGM_RSRC2:TGID_Z_EN: 0
; COMPUTE_PGM_RSRC2:TIDIG_COMP_CNT: 0
	.section	.text._ZL16dequantize_blockILi32ELi2EXadL_ZL15dequantize_q4_1PKviiR7__half2EEfEvS1_PT2_l,"axG",@progbits,_ZL16dequantize_blockILi32ELi2EXadL_ZL15dequantize_q4_1PKviiR7__half2EEfEvS1_PT2_l,comdat
	.globl	_ZL16dequantize_blockILi32ELi2EXadL_ZL15dequantize_q4_1PKviiR7__half2EEfEvS1_PT2_l ; -- Begin function _ZL16dequantize_blockILi32ELi2EXadL_ZL15dequantize_q4_1PKviiR7__half2EEfEvS1_PT2_l
	.p2align	8
	.type	_ZL16dequantize_blockILi32ELi2EXadL_ZL15dequantize_q4_1PKviiR7__half2EEfEvS1_PT2_l,@function
_ZL16dequantize_blockILi32ELi2EXadL_ZL15dequantize_q4_1PKviiR7__half2EEfEvS1_PT2_l: ; @_ZL16dequantize_blockILi32ELi2EXadL_ZL15dequantize_q4_1PKviiR7__half2EEfEvS1_PT2_l
; %bb.0:
	s_clause 0x1
	s_load_b32 s4, s[0:1], 0x24
	s_load_b64 s[2:3], s[0:1], 0x10
	v_mov_b32_e32 v1, 0
	s_wait_kmcnt 0x0
	s_and_b32 s4, s4, 0xffff
	s_delay_alu instid0(VALU_DEP_1) | instid1(SALU_CYCLE_1)
	v_mad_co_u64_u32 v[4:5], null, s4, ttmp9, v[0:1]
	s_delay_alu instid0(VALU_DEP_1) | instskip(NEXT) | instid1(VALU_DEP_1)
	v_lshlrev_b64_e32 v[2:3], 1, v[4:5]
	v_cmp_gt_i64_e32 vcc_lo, s[2:3], v[2:3]
	s_and_saveexec_b32 s2, vcc_lo
	s_cbranch_execz .LBB1_2
; %bb.1:
	s_load_b128 s[0:3], s[0:1], 0x0
	v_alignbit_b32 v0, v5, v4, 4
	v_and_b32_e32 v7, 15, v4
	s_wait_kmcnt 0x0
	s_delay_alu instid0(VALU_DEP_2) | instskip(NEXT) | instid1(VALU_DEP_1)
	v_mad_co_i64_i32 v[5:6], null, v0, 20, s[0:1]
	v_add_co_u32 v3, vcc_lo, v5, v7
	s_delay_alu instid0(VALU_DEP_1)
	v_add_co_ci_u32_e64 v4, null, 0, v6, vcc_lo
	s_clause 0x1
	global_load_u8 v0, v[3:4], off offset:4
	global_load_b32 v3, v[5:6], off
	s_wait_loadcnt 0x1
	v_and_b32_e32 v4, 15, v0
	v_lshrrev_b32_e32 v0, 4, v0
	s_wait_loadcnt 0x0
	v_lshrrev_b32_e32 v5, 16, v3
	v_and_b32_e32 v6, 0xffff, v3
	v_cvt_f32_ubyte0_e32 v4, v4
	v_cvt_f32_ubyte0_e32 v0, v0
	s_delay_alu instid0(VALU_DEP_4) | instskip(NEXT) | instid1(VALU_DEP_4)
	v_and_or_b32 v3, 0xffff0000, v3, v5
	v_mul_u32_u24_e32 v6, 0x10001, v6
	s_delay_alu instid0(VALU_DEP_4) | instskip(NEXT) | instid1(VALU_DEP_4)
	v_cvt_f16_f32_e32 v4, v4
	v_cvt_f16_f32_e32 v0, v0
	s_delay_alu instid0(VALU_DEP_1) | instskip(SKIP_2) | instid1(VALU_DEP_3)
	v_pack_b32_f16 v4, v4, v0
	v_mov_b32_e32 v0, v1
	v_and_or_b32 v1, 0xffffffe0, v2, v7
	v_pk_fma_f16 v2, v4, v6, v3
	s_delay_alu instid0(VALU_DEP_2) | instskip(NEXT) | instid1(VALU_DEP_2)
	v_ashrrev_i64 v[0:1], 30, v[0:1]
	v_cvt_f32_f16_e32 v3, v2
	v_lshrrev_b32_e32 v2, 16, v2
	s_delay_alu instid0(VALU_DEP_3) | instskip(SKIP_1) | instid1(VALU_DEP_4)
	v_add_co_u32 v0, vcc_lo, s2, v0
	s_wait_alu 0xfffd
	v_add_co_ci_u32_e64 v1, null, s3, v1, vcc_lo
	s_delay_alu instid0(VALU_DEP_3)
	v_cvt_f32_f16_e32 v2, v2
	s_clause 0x1
	global_store_b32 v[0:1], v3, off
	global_store_b32 v[0:1], v2, off offset:64
.LBB1_2:
	s_endpgm
	.section	.rodata,"a",@progbits
	.p2align	6, 0x0
	.amdhsa_kernel _ZL16dequantize_blockILi32ELi2EXadL_ZL15dequantize_q4_1PKviiR7__half2EEfEvS1_PT2_l
		.amdhsa_group_segment_fixed_size 0
		.amdhsa_private_segment_fixed_size 0
		.amdhsa_kernarg_size 280
		.amdhsa_user_sgpr_count 2
		.amdhsa_user_sgpr_dispatch_ptr 0
		.amdhsa_user_sgpr_queue_ptr 0
		.amdhsa_user_sgpr_kernarg_segment_ptr 1
		.amdhsa_user_sgpr_dispatch_id 0
		.amdhsa_user_sgpr_private_segment_size 0
		.amdhsa_wavefront_size32 1
		.amdhsa_uses_dynamic_stack 0
		.amdhsa_enable_private_segment 0
		.amdhsa_system_sgpr_workgroup_id_x 1
		.amdhsa_system_sgpr_workgroup_id_y 0
		.amdhsa_system_sgpr_workgroup_id_z 0
		.amdhsa_system_sgpr_workgroup_info 0
		.amdhsa_system_vgpr_workitem_id 0
		.amdhsa_next_free_vgpr 8
		.amdhsa_next_free_sgpr 5
		.amdhsa_reserve_vcc 1
		.amdhsa_float_round_mode_32 0
		.amdhsa_float_round_mode_16_64 0
		.amdhsa_float_denorm_mode_32 3
		.amdhsa_float_denorm_mode_16_64 3
		.amdhsa_fp16_overflow 0
		.amdhsa_workgroup_processor_mode 1
		.amdhsa_memory_ordered 1
		.amdhsa_forward_progress 1
		.amdhsa_inst_pref_size 3
		.amdhsa_round_robin_scheduling 0
		.amdhsa_exception_fp_ieee_invalid_op 0
		.amdhsa_exception_fp_denorm_src 0
		.amdhsa_exception_fp_ieee_div_zero 0
		.amdhsa_exception_fp_ieee_overflow 0
		.amdhsa_exception_fp_ieee_underflow 0
		.amdhsa_exception_fp_ieee_inexact 0
		.amdhsa_exception_int_div_zero 0
	.end_amdhsa_kernel
	.section	.text._ZL16dequantize_blockILi32ELi2EXadL_ZL15dequantize_q4_1PKviiR7__half2EEfEvS1_PT2_l,"axG",@progbits,_ZL16dequantize_blockILi32ELi2EXadL_ZL15dequantize_q4_1PKviiR7__half2EEfEvS1_PT2_l,comdat
.Lfunc_end1:
	.size	_ZL16dequantize_blockILi32ELi2EXadL_ZL15dequantize_q4_1PKviiR7__half2EEfEvS1_PT2_l, .Lfunc_end1-_ZL16dequantize_blockILi32ELi2EXadL_ZL15dequantize_q4_1PKviiR7__half2EEfEvS1_PT2_l
                                        ; -- End function
	.set _ZL16dequantize_blockILi32ELi2EXadL_ZL15dequantize_q4_1PKviiR7__half2EEfEvS1_PT2_l.num_vgpr, 8
	.set _ZL16dequantize_blockILi32ELi2EXadL_ZL15dequantize_q4_1PKviiR7__half2EEfEvS1_PT2_l.num_agpr, 0
	.set _ZL16dequantize_blockILi32ELi2EXadL_ZL15dequantize_q4_1PKviiR7__half2EEfEvS1_PT2_l.numbered_sgpr, 5
	.set _ZL16dequantize_blockILi32ELi2EXadL_ZL15dequantize_q4_1PKviiR7__half2EEfEvS1_PT2_l.num_named_barrier, 0
	.set _ZL16dequantize_blockILi32ELi2EXadL_ZL15dequantize_q4_1PKviiR7__half2EEfEvS1_PT2_l.private_seg_size, 0
	.set _ZL16dequantize_blockILi32ELi2EXadL_ZL15dequantize_q4_1PKviiR7__half2EEfEvS1_PT2_l.uses_vcc, 1
	.set _ZL16dequantize_blockILi32ELi2EXadL_ZL15dequantize_q4_1PKviiR7__half2EEfEvS1_PT2_l.uses_flat_scratch, 0
	.set _ZL16dequantize_blockILi32ELi2EXadL_ZL15dequantize_q4_1PKviiR7__half2EEfEvS1_PT2_l.has_dyn_sized_stack, 0
	.set _ZL16dequantize_blockILi32ELi2EXadL_ZL15dequantize_q4_1PKviiR7__half2EEfEvS1_PT2_l.has_recursion, 0
	.set _ZL16dequantize_blockILi32ELi2EXadL_ZL15dequantize_q4_1PKviiR7__half2EEfEvS1_PT2_l.has_indirect_call, 0
	.section	.AMDGPU.csdata,"",@progbits
; Kernel info:
; codeLenInByte = 344
; TotalNumSgprs: 7
; NumVgprs: 8
; ScratchSize: 0
; MemoryBound: 0
; FloatMode: 240
; IeeeMode: 1
; LDSByteSize: 0 bytes/workgroup (compile time only)
; SGPRBlocks: 0
; VGPRBlocks: 0
; NumSGPRsForWavesPerEU: 7
; NumVGPRsForWavesPerEU: 8
; Occupancy: 16
; WaveLimiterHint : 0
; COMPUTE_PGM_RSRC2:SCRATCH_EN: 0
; COMPUTE_PGM_RSRC2:USER_SGPR: 2
; COMPUTE_PGM_RSRC2:TRAP_HANDLER: 0
; COMPUTE_PGM_RSRC2:TGID_X_EN: 1
; COMPUTE_PGM_RSRC2:TGID_Y_EN: 0
; COMPUTE_PGM_RSRC2:TGID_Z_EN: 0
; COMPUTE_PGM_RSRC2:TIDIG_COMP_CNT: 0
	.section	.text._ZL16dequantize_blockILi32ELi2EXadL_ZL15dequantize_q5_0PKviiR7__half2EEfEvS1_PT2_l,"axG",@progbits,_ZL16dequantize_blockILi32ELi2EXadL_ZL15dequantize_q5_0PKviiR7__half2EEfEvS1_PT2_l,comdat
	.globl	_ZL16dequantize_blockILi32ELi2EXadL_ZL15dequantize_q5_0PKviiR7__half2EEfEvS1_PT2_l ; -- Begin function _ZL16dequantize_blockILi32ELi2EXadL_ZL15dequantize_q5_0PKviiR7__half2EEfEvS1_PT2_l
	.p2align	8
	.type	_ZL16dequantize_blockILi32ELi2EXadL_ZL15dequantize_q5_0PKviiR7__half2EEfEvS1_PT2_l,@function
_ZL16dequantize_blockILi32ELi2EXadL_ZL15dequantize_q5_0PKviiR7__half2EEfEvS1_PT2_l: ; @_ZL16dequantize_blockILi32ELi2EXadL_ZL15dequantize_q5_0PKviiR7__half2EEfEvS1_PT2_l
; %bb.0:
	s_clause 0x1
	s_load_b32 s4, s[0:1], 0x24
	s_load_b64 s[2:3], s[0:1], 0x10
	v_mov_b32_e32 v1, 0
	s_wait_kmcnt 0x0
	s_and_b32 s4, s4, 0xffff
	s_delay_alu instid0(VALU_DEP_1) | instid1(SALU_CYCLE_1)
	v_mad_co_u64_u32 v[2:3], null, s4, ttmp9, v[0:1]
	s_delay_alu instid0(VALU_DEP_1) | instskip(NEXT) | instid1(VALU_DEP_1)
	v_lshlrev_b64_e32 v[0:1], 1, v[2:3]
	v_cmp_gt_i64_e32 vcc_lo, s[2:3], v[0:1]
	s_and_saveexec_b32 s2, vcc_lo
	s_cbranch_execz .LBB2_2
; %bb.1:
	s_load_b128 s[0:3], s[0:1], 0x0
	v_alignbit_b32 v1, v3, v2, 4
	v_and_b32_e32 v5, 15, v2
	s_delay_alu instid0(VALU_DEP_1) | instskip(SKIP_1) | instid1(VALU_DEP_3)
	v_and_or_b32 v0, 0xffffffe0, v0, v5
	s_wait_kmcnt 0x0
	v_mad_co_i64_i32 v[3:4], null, v1, 22, s[0:1]
	s_clause 0x1
	global_load_b32 v6, v[3:4], off
	global_load_u16 v7, v[3:4], off offset:4
	v_add_co_u32 v1, vcc_lo, v3, v5
	s_delay_alu instid0(VALU_DEP_1) | instskip(SKIP_4) | instid1(VALU_DEP_1)
	v_add_co_ci_u32_e64 v2, null, 0, v4, vcc_lo
	v_add_nc_u32_e32 v3, 12, v5
	global_load_u8 v1, v[1:2], off offset:6
	s_wait_loadcnt 0x1
	v_perm_b32 v2, v6, v7, 0x1000706
	v_lshrrev_b32_e32 v4, v5, v2
	v_lshrrev_b32_e32 v2, v3, v2
	s_wait_loadcnt 0x0
	v_and_b32_e32 v3, 15, v1
	v_lshrrev_b16 v1, 4, v1
	v_lshlrev_b32_e32 v4, 4, v4
	s_delay_alu instid0(VALU_DEP_2) | instskip(NEXT) | instid1(VALU_DEP_2)
	v_and_or_b32 v1, v2, 16, v1
	v_and_or_b32 v2, v4, 16, v3
	v_and_b32_e32 v3, 0xffff, v6
	s_delay_alu instid0(VALU_DEP_3) | instskip(NEXT) | instid1(VALU_DEP_3)
	v_cvt_f32_ubyte0_e32 v1, v1
	v_cvt_f32_ubyte0_e32 v2, v2
	s_delay_alu instid0(VALU_DEP_2) | instskip(NEXT) | instid1(VALU_DEP_2)
	v_cvt_f16_f32_e32 v1, v1
	v_cvt_f16_f32_e32 v2, v2
	s_delay_alu instid0(VALU_DEP_1) | instskip(SKIP_1) | instid1(VALU_DEP_2)
	v_pack_b32_f16 v1, v2, v1
	v_lshl_or_b32 v2, v6, 16, v3
	v_pk_add_f16 v3, 0xcc00, v1 op_sel_hi:[0,1]
	v_ashrrev_i32_e32 v1, 31, v0
	s_delay_alu instid0(VALU_DEP_2) | instskip(NEXT) | instid1(VALU_DEP_2)
	v_pk_mul_f16 v2, v3, v2
	v_lshlrev_b64_e32 v[0:1], 2, v[0:1]
	s_delay_alu instid0(VALU_DEP_2) | instskip(SKIP_1) | instid1(VALU_DEP_3)
	v_cvt_f32_f16_e32 v3, v2
	v_lshrrev_b32_e32 v2, 16, v2
	v_add_co_u32 v0, vcc_lo, s2, v0
	s_wait_alu 0xfffd
	s_delay_alu instid0(VALU_DEP_4) | instskip(NEXT) | instid1(VALU_DEP_3)
	v_add_co_ci_u32_e64 v1, null, s3, v1, vcc_lo
	v_cvt_f32_f16_e32 v2, v2
	s_clause 0x1
	global_store_b32 v[0:1], v3, off
	global_store_b32 v[0:1], v2, off offset:64
.LBB2_2:
	s_endpgm
	.section	.rodata,"a",@progbits
	.p2align	6, 0x0
	.amdhsa_kernel _ZL16dequantize_blockILi32ELi2EXadL_ZL15dequantize_q5_0PKviiR7__half2EEfEvS1_PT2_l
		.amdhsa_group_segment_fixed_size 0
		.amdhsa_private_segment_fixed_size 0
		.amdhsa_kernarg_size 280
		.amdhsa_user_sgpr_count 2
		.amdhsa_user_sgpr_dispatch_ptr 0
		.amdhsa_user_sgpr_queue_ptr 0
		.amdhsa_user_sgpr_kernarg_segment_ptr 1
		.amdhsa_user_sgpr_dispatch_id 0
		.amdhsa_user_sgpr_private_segment_size 0
		.amdhsa_wavefront_size32 1
		.amdhsa_uses_dynamic_stack 0
		.amdhsa_enable_private_segment 0
		.amdhsa_system_sgpr_workgroup_id_x 1
		.amdhsa_system_sgpr_workgroup_id_y 0
		.amdhsa_system_sgpr_workgroup_id_z 0
		.amdhsa_system_sgpr_workgroup_info 0
		.amdhsa_system_vgpr_workitem_id 0
		.amdhsa_next_free_vgpr 8
		.amdhsa_next_free_sgpr 5
		.amdhsa_reserve_vcc 1
		.amdhsa_float_round_mode_32 0
		.amdhsa_float_round_mode_16_64 0
		.amdhsa_float_denorm_mode_32 3
		.amdhsa_float_denorm_mode_16_64 3
		.amdhsa_fp16_overflow 0
		.amdhsa_workgroup_processor_mode 1
		.amdhsa_memory_ordered 1
		.amdhsa_forward_progress 1
		.amdhsa_inst_pref_size 4
		.amdhsa_round_robin_scheduling 0
		.amdhsa_exception_fp_ieee_invalid_op 0
		.amdhsa_exception_fp_denorm_src 0
		.amdhsa_exception_fp_ieee_div_zero 0
		.amdhsa_exception_fp_ieee_overflow 0
		.amdhsa_exception_fp_ieee_underflow 0
		.amdhsa_exception_fp_ieee_inexact 0
		.amdhsa_exception_int_div_zero 0
	.end_amdhsa_kernel
	.section	.text._ZL16dequantize_blockILi32ELi2EXadL_ZL15dequantize_q5_0PKviiR7__half2EEfEvS1_PT2_l,"axG",@progbits,_ZL16dequantize_blockILi32ELi2EXadL_ZL15dequantize_q5_0PKviiR7__half2EEfEvS1_PT2_l,comdat
.Lfunc_end2:
	.size	_ZL16dequantize_blockILi32ELi2EXadL_ZL15dequantize_q5_0PKviiR7__half2EEfEvS1_PT2_l, .Lfunc_end2-_ZL16dequantize_blockILi32ELi2EXadL_ZL15dequantize_q5_0PKviiR7__half2EEfEvS1_PT2_l
                                        ; -- End function
	.set _ZL16dequantize_blockILi32ELi2EXadL_ZL15dequantize_q5_0PKviiR7__half2EEfEvS1_PT2_l.num_vgpr, 8
	.set _ZL16dequantize_blockILi32ELi2EXadL_ZL15dequantize_q5_0PKviiR7__half2EEfEvS1_PT2_l.num_agpr, 0
	.set _ZL16dequantize_blockILi32ELi2EXadL_ZL15dequantize_q5_0PKviiR7__half2EEfEvS1_PT2_l.numbered_sgpr, 5
	.set _ZL16dequantize_blockILi32ELi2EXadL_ZL15dequantize_q5_0PKviiR7__half2EEfEvS1_PT2_l.num_named_barrier, 0
	.set _ZL16dequantize_blockILi32ELi2EXadL_ZL15dequantize_q5_0PKviiR7__half2EEfEvS1_PT2_l.private_seg_size, 0
	.set _ZL16dequantize_blockILi32ELi2EXadL_ZL15dequantize_q5_0PKviiR7__half2EEfEvS1_PT2_l.uses_vcc, 1
	.set _ZL16dequantize_blockILi32ELi2EXadL_ZL15dequantize_q5_0PKviiR7__half2EEfEvS1_PT2_l.uses_flat_scratch, 0
	.set _ZL16dequantize_blockILi32ELi2EXadL_ZL15dequantize_q5_0PKviiR7__half2EEfEvS1_PT2_l.has_dyn_sized_stack, 0
	.set _ZL16dequantize_blockILi32ELi2EXadL_ZL15dequantize_q5_0PKviiR7__half2EEfEvS1_PT2_l.has_recursion, 0
	.set _ZL16dequantize_blockILi32ELi2EXadL_ZL15dequantize_q5_0PKviiR7__half2EEfEvS1_PT2_l.has_indirect_call, 0
	.section	.AMDGPU.csdata,"",@progbits
; Kernel info:
; codeLenInByte = 400
; TotalNumSgprs: 7
; NumVgprs: 8
; ScratchSize: 0
; MemoryBound: 0
; FloatMode: 240
; IeeeMode: 1
; LDSByteSize: 0 bytes/workgroup (compile time only)
; SGPRBlocks: 0
; VGPRBlocks: 0
; NumSGPRsForWavesPerEU: 7
; NumVGPRsForWavesPerEU: 8
; Occupancy: 16
; WaveLimiterHint : 0
; COMPUTE_PGM_RSRC2:SCRATCH_EN: 0
; COMPUTE_PGM_RSRC2:USER_SGPR: 2
; COMPUTE_PGM_RSRC2:TRAP_HANDLER: 0
; COMPUTE_PGM_RSRC2:TGID_X_EN: 1
; COMPUTE_PGM_RSRC2:TGID_Y_EN: 0
; COMPUTE_PGM_RSRC2:TGID_Z_EN: 0
; COMPUTE_PGM_RSRC2:TIDIG_COMP_CNT: 0
	.section	.text._ZL16dequantize_blockILi32ELi2EXadL_ZL15dequantize_q5_1PKviiR7__half2EEfEvS1_PT2_l,"axG",@progbits,_ZL16dequantize_blockILi32ELi2EXadL_ZL15dequantize_q5_1PKviiR7__half2EEfEvS1_PT2_l,comdat
	.globl	_ZL16dequantize_blockILi32ELi2EXadL_ZL15dequantize_q5_1PKviiR7__half2EEfEvS1_PT2_l ; -- Begin function _ZL16dequantize_blockILi32ELi2EXadL_ZL15dequantize_q5_1PKviiR7__half2EEfEvS1_PT2_l
	.p2align	8
	.type	_ZL16dequantize_blockILi32ELi2EXadL_ZL15dequantize_q5_1PKviiR7__half2EEfEvS1_PT2_l,@function
_ZL16dequantize_blockILi32ELi2EXadL_ZL15dequantize_q5_1PKviiR7__half2EEfEvS1_PT2_l: ; @_ZL16dequantize_blockILi32ELi2EXadL_ZL15dequantize_q5_1PKviiR7__half2EEfEvS1_PT2_l
; %bb.0:
	s_clause 0x1
	s_load_b32 s4, s[0:1], 0x24
	s_load_b64 s[2:3], s[0:1], 0x10
	v_mov_b32_e32 v1, 0
	s_wait_kmcnt 0x0
	s_and_b32 s4, s4, 0xffff
	s_delay_alu instid0(VALU_DEP_1) | instid1(SALU_CYCLE_1)
	v_mad_co_u64_u32 v[2:3], null, s4, ttmp9, v[0:1]
	s_delay_alu instid0(VALU_DEP_1) | instskip(NEXT) | instid1(VALU_DEP_1)
	v_lshlrev_b64_e32 v[0:1], 1, v[2:3]
	v_cmp_gt_i64_e32 vcc_lo, s[2:3], v[0:1]
	s_and_saveexec_b32 s2, vcc_lo
	s_cbranch_execz .LBB3_2
; %bb.1:
	s_load_b128 s[0:3], s[0:1], 0x0
	v_alignbit_b32 v1, v3, v2, 4
	v_and_b32_e32 v5, 15, v2
	s_delay_alu instid0(VALU_DEP_1) | instskip(SKIP_1) | instid1(VALU_DEP_3)
	v_and_or_b32 v0, 0xffffffe0, v0, v5
	s_wait_kmcnt 0x0
	v_mad_co_i64_i32 v[3:4], null, v1, 24, s[0:1]
	global_load_b64 v[1:2], v[3:4], off
	v_add_co_u32 v3, vcc_lo, v3, v5
	s_delay_alu instid0(VALU_DEP_1) | instskip(SKIP_4) | instid1(VALU_DEP_2)
	v_add_co_ci_u32_e64 v4, null, 0, v4, vcc_lo
	global_load_u8 v3, v[3:4], off offset:8
	v_add_nc_u32_e32 v4, 12, v5
	s_wait_loadcnt 0x1
	v_lshrrev_b32_e32 v6, v5, v2
	v_lshrrev_b32_e32 v2, v4, v2
	s_delay_alu instid0(VALU_DEP_2) | instskip(SKIP_3) | instid1(VALU_DEP_2)
	v_lshlrev_b32_e32 v4, 4, v6
	s_wait_loadcnt 0x0
	v_and_b32_e32 v6, 15, v3
	v_lshrrev_b16 v3, 4, v3
	v_and_or_b32 v4, v4, 16, v6
	s_delay_alu instid0(VALU_DEP_2) | instskip(SKIP_1) | instid1(VALU_DEP_3)
	v_and_or_b32 v2, v2, 16, v3
	v_and_b32_e32 v6, 0xffff, v1
	v_cvt_f32_ubyte0_e32 v3, v4
	s_delay_alu instid0(VALU_DEP_3) | instskip(SKIP_1) | instid1(VALU_DEP_4)
	v_cvt_f32_ubyte0_e32 v2, v2
	v_lshrrev_b32_e32 v4, 16, v1
	v_mul_u32_u24_e32 v5, 0x10001, v6
	s_delay_alu instid0(VALU_DEP_4) | instskip(NEXT) | instid1(VALU_DEP_4)
	v_cvt_f16_f32_e32 v3, v3
	v_cvt_f16_f32_e32 v2, v2
	s_delay_alu instid0(VALU_DEP_4) | instskip(SKIP_1) | instid1(VALU_DEP_3)
	v_and_or_b32 v4, 0xffff0000, v1, v4
	v_ashrrev_i32_e32 v1, 31, v0
	v_pack_b32_f16 v2, v3, v2
	s_delay_alu instid0(VALU_DEP_2) | instskip(NEXT) | instid1(VALU_DEP_2)
	v_lshlrev_b64_e32 v[0:1], 2, v[0:1]
	v_pk_fma_f16 v2, v2, v5, v4
	s_delay_alu instid0(VALU_DEP_2) | instskip(NEXT) | instid1(VALU_DEP_2)
	v_add_co_u32 v0, vcc_lo, s2, v0
	v_cvt_f32_f16_e32 v3, v2
	v_lshrrev_b32_e32 v2, 16, v2
	s_wait_alu 0xfffd
	v_add_co_ci_u32_e64 v1, null, s3, v1, vcc_lo
	s_delay_alu instid0(VALU_DEP_2)
	v_cvt_f32_f16_e32 v2, v2
	s_clause 0x1
	global_store_b32 v[0:1], v3, off
	global_store_b32 v[0:1], v2, off offset:64
.LBB3_2:
	s_endpgm
	.section	.rodata,"a",@progbits
	.p2align	6, 0x0
	.amdhsa_kernel _ZL16dequantize_blockILi32ELi2EXadL_ZL15dequantize_q5_1PKviiR7__half2EEfEvS1_PT2_l
		.amdhsa_group_segment_fixed_size 0
		.amdhsa_private_segment_fixed_size 0
		.amdhsa_kernarg_size 280
		.amdhsa_user_sgpr_count 2
		.amdhsa_user_sgpr_dispatch_ptr 0
		.amdhsa_user_sgpr_queue_ptr 0
		.amdhsa_user_sgpr_kernarg_segment_ptr 1
		.amdhsa_user_sgpr_dispatch_id 0
		.amdhsa_user_sgpr_private_segment_size 0
		.amdhsa_wavefront_size32 1
		.amdhsa_uses_dynamic_stack 0
		.amdhsa_enable_private_segment 0
		.amdhsa_system_sgpr_workgroup_id_x 1
		.amdhsa_system_sgpr_workgroup_id_y 0
		.amdhsa_system_sgpr_workgroup_id_z 0
		.amdhsa_system_sgpr_workgroup_info 0
		.amdhsa_system_vgpr_workitem_id 0
		.amdhsa_next_free_vgpr 7
		.amdhsa_next_free_sgpr 5
		.amdhsa_reserve_vcc 1
		.amdhsa_float_round_mode_32 0
		.amdhsa_float_round_mode_16_64 0
		.amdhsa_float_denorm_mode_32 3
		.amdhsa_float_denorm_mode_16_64 3
		.amdhsa_fp16_overflow 0
		.amdhsa_workgroup_processor_mode 1
		.amdhsa_memory_ordered 1
		.amdhsa_forward_progress 1
		.amdhsa_inst_pref_size 3
		.amdhsa_round_robin_scheduling 0
		.amdhsa_exception_fp_ieee_invalid_op 0
		.amdhsa_exception_fp_denorm_src 0
		.amdhsa_exception_fp_ieee_div_zero 0
		.amdhsa_exception_fp_ieee_overflow 0
		.amdhsa_exception_fp_ieee_underflow 0
		.amdhsa_exception_fp_ieee_inexact 0
		.amdhsa_exception_int_div_zero 0
	.end_amdhsa_kernel
	.section	.text._ZL16dequantize_blockILi32ELi2EXadL_ZL15dequantize_q5_1PKviiR7__half2EEfEvS1_PT2_l,"axG",@progbits,_ZL16dequantize_blockILi32ELi2EXadL_ZL15dequantize_q5_1PKviiR7__half2EEfEvS1_PT2_l,comdat
.Lfunc_end3:
	.size	_ZL16dequantize_blockILi32ELi2EXadL_ZL15dequantize_q5_1PKviiR7__half2EEfEvS1_PT2_l, .Lfunc_end3-_ZL16dequantize_blockILi32ELi2EXadL_ZL15dequantize_q5_1PKviiR7__half2EEfEvS1_PT2_l
                                        ; -- End function
	.set _ZL16dequantize_blockILi32ELi2EXadL_ZL15dequantize_q5_1PKviiR7__half2EEfEvS1_PT2_l.num_vgpr, 7
	.set _ZL16dequantize_blockILi32ELi2EXadL_ZL15dequantize_q5_1PKviiR7__half2EEfEvS1_PT2_l.num_agpr, 0
	.set _ZL16dequantize_blockILi32ELi2EXadL_ZL15dequantize_q5_1PKviiR7__half2EEfEvS1_PT2_l.numbered_sgpr, 5
	.set _ZL16dequantize_blockILi32ELi2EXadL_ZL15dequantize_q5_1PKviiR7__half2EEfEvS1_PT2_l.num_named_barrier, 0
	.set _ZL16dequantize_blockILi32ELi2EXadL_ZL15dequantize_q5_1PKviiR7__half2EEfEvS1_PT2_l.private_seg_size, 0
	.set _ZL16dequantize_blockILi32ELi2EXadL_ZL15dequantize_q5_1PKviiR7__half2EEfEvS1_PT2_l.uses_vcc, 1
	.set _ZL16dequantize_blockILi32ELi2EXadL_ZL15dequantize_q5_1PKviiR7__half2EEfEvS1_PT2_l.uses_flat_scratch, 0
	.set _ZL16dequantize_blockILi32ELi2EXadL_ZL15dequantize_q5_1PKviiR7__half2EEfEvS1_PT2_l.has_dyn_sized_stack, 0
	.set _ZL16dequantize_blockILi32ELi2EXadL_ZL15dequantize_q5_1PKviiR7__half2EEfEvS1_PT2_l.has_recursion, 0
	.set _ZL16dequantize_blockILi32ELi2EXadL_ZL15dequantize_q5_1PKviiR7__half2EEfEvS1_PT2_l.has_indirect_call, 0
	.section	.AMDGPU.csdata,"",@progbits
; Kernel info:
; codeLenInByte = 380
; TotalNumSgprs: 7
; NumVgprs: 7
; ScratchSize: 0
; MemoryBound: 0
; FloatMode: 240
; IeeeMode: 1
; LDSByteSize: 0 bytes/workgroup (compile time only)
; SGPRBlocks: 0
; VGPRBlocks: 0
; NumSGPRsForWavesPerEU: 7
; NumVGPRsForWavesPerEU: 7
; Occupancy: 16
; WaveLimiterHint : 0
; COMPUTE_PGM_RSRC2:SCRATCH_EN: 0
; COMPUTE_PGM_RSRC2:USER_SGPR: 2
; COMPUTE_PGM_RSRC2:TRAP_HANDLER: 0
; COMPUTE_PGM_RSRC2:TGID_X_EN: 1
; COMPUTE_PGM_RSRC2:TGID_Y_EN: 0
; COMPUTE_PGM_RSRC2:TGID_Z_EN: 0
; COMPUTE_PGM_RSRC2:TIDIG_COMP_CNT: 0
	.section	.text._ZL16dequantize_blockILi32ELi1EXadL_ZL15dequantize_q8_0PKviiR7__half2EEfEvS1_PT2_l,"axG",@progbits,_ZL16dequantize_blockILi32ELi1EXadL_ZL15dequantize_q8_0PKviiR7__half2EEfEvS1_PT2_l,comdat
	.globl	_ZL16dequantize_blockILi32ELi1EXadL_ZL15dequantize_q8_0PKviiR7__half2EEfEvS1_PT2_l ; -- Begin function _ZL16dequantize_blockILi32ELi1EXadL_ZL15dequantize_q8_0PKviiR7__half2EEfEvS1_PT2_l
	.p2align	8
	.type	_ZL16dequantize_blockILi32ELi1EXadL_ZL15dequantize_q8_0PKviiR7__half2EEfEvS1_PT2_l,@function
_ZL16dequantize_blockILi32ELi1EXadL_ZL15dequantize_q8_0PKviiR7__half2EEfEvS1_PT2_l: ; @_ZL16dequantize_blockILi32ELi1EXadL_ZL15dequantize_q8_0PKviiR7__half2EEfEvS1_PT2_l
; %bb.0:
	s_clause 0x1
	s_load_b32 s4, s[0:1], 0x24
	s_load_b64 s[2:3], s[0:1], 0x10
	v_mov_b32_e32 v1, 0
	s_wait_kmcnt 0x0
	s_and_b32 s4, s4, 0xffff
	s_delay_alu instid0(VALU_DEP_1) | instid1(SALU_CYCLE_1)
	v_mad_co_u64_u32 v[2:3], null, s4, ttmp9, v[0:1]
	s_delay_alu instid0(VALU_DEP_1) | instskip(NEXT) | instid1(VALU_DEP_1)
	v_lshlrev_b64_e32 v[4:5], 1, v[2:3]
	v_cmp_gt_i64_e32 vcc_lo, s[2:3], v[4:5]
	s_and_saveexec_b32 s2, vcc_lo
	s_cbranch_execz .LBB4_2
; %bb.1:
	s_load_b128 s[0:3], s[0:1], 0x0
	v_alignbit_b32 v0, v3, v2, 4
	v_lshlrev_b32_e32 v2, 1, v2
	s_wait_kmcnt 0x0
	s_delay_alu instid0(VALU_DEP_2) | instskip(SKIP_1) | instid1(VALU_DEP_1)
	v_mad_co_i64_i32 v[5:6], null, v0, 34, s[0:1]
	v_and_b32_e32 v0, 30, v4
	v_add_co_u32 v3, vcc_lo, v5, v0
	s_delay_alu instid0(VALU_DEP_1)
	v_add_co_ci_u32_e64 v4, null, 0, v6, vcc_lo
	s_clause 0x1
	global_load_u16 v0, v[3:4], off offset:2
	global_load_u16 v3, v[5:6], off
	s_wait_loadcnt 0x1
	v_ashrrev_i16 v4, 8, v0
	v_bfe_i32 v0, v0, 0, 8
	s_wait_loadcnt 0x0
	v_lshl_or_b32 v3, v3, 16, v3
	s_delay_alu instid0(VALU_DEP_3) | instskip(NEXT) | instid1(VALU_DEP_3)
	v_cvt_f16_i16_e32 v4, v4
	v_cvt_f16_i16_e32 v0, v0
	s_delay_alu instid0(VALU_DEP_1) | instskip(NEXT) | instid1(VALU_DEP_1)
	v_pack_b32_f16 v0, v0, v4
	v_pk_mul_f16 v3, v0, v3
	v_ashrrev_i64 v[0:1], 30, v[1:2]
	s_delay_alu instid0(VALU_DEP_2) | instskip(SKIP_1) | instid1(VALU_DEP_3)
	v_cvt_f32_f16_e32 v2, v3
	v_lshrrev_b32_e32 v3, 16, v3
	v_add_co_u32 v0, vcc_lo, s2, v0
	s_wait_alu 0xfffd
	s_delay_alu instid0(VALU_DEP_4) | instskip(NEXT) | instid1(VALU_DEP_3)
	v_add_co_ci_u32_e64 v1, null, s3, v1, vcc_lo
	v_cvt_f32_f16_e32 v3, v3
	global_store_b64 v[0:1], v[2:3], off
.LBB4_2:
	s_endpgm
	.section	.rodata,"a",@progbits
	.p2align	6, 0x0
	.amdhsa_kernel _ZL16dequantize_blockILi32ELi1EXadL_ZL15dequantize_q8_0PKviiR7__half2EEfEvS1_PT2_l
		.amdhsa_group_segment_fixed_size 0
		.amdhsa_private_segment_fixed_size 0
		.amdhsa_kernarg_size 280
		.amdhsa_user_sgpr_count 2
		.amdhsa_user_sgpr_dispatch_ptr 0
		.amdhsa_user_sgpr_queue_ptr 0
		.amdhsa_user_sgpr_kernarg_segment_ptr 1
		.amdhsa_user_sgpr_dispatch_id 0
		.amdhsa_user_sgpr_private_segment_size 0
		.amdhsa_wavefront_size32 1
		.amdhsa_uses_dynamic_stack 0
		.amdhsa_enable_private_segment 0
		.amdhsa_system_sgpr_workgroup_id_x 1
		.amdhsa_system_sgpr_workgroup_id_y 0
		.amdhsa_system_sgpr_workgroup_id_z 0
		.amdhsa_system_sgpr_workgroup_info 0
		.amdhsa_system_vgpr_workitem_id 0
		.amdhsa_next_free_vgpr 7
		.amdhsa_next_free_sgpr 5
		.amdhsa_reserve_vcc 1
		.amdhsa_float_round_mode_32 0
		.amdhsa_float_round_mode_16_64 0
		.amdhsa_float_denorm_mode_32 3
		.amdhsa_float_denorm_mode_16_64 3
		.amdhsa_fp16_overflow 0
		.amdhsa_workgroup_processor_mode 1
		.amdhsa_memory_ordered 1
		.amdhsa_forward_progress 1
		.amdhsa_inst_pref_size 3
		.amdhsa_round_robin_scheduling 0
		.amdhsa_exception_fp_ieee_invalid_op 0
		.amdhsa_exception_fp_denorm_src 0
		.amdhsa_exception_fp_ieee_div_zero 0
		.amdhsa_exception_fp_ieee_overflow 0
		.amdhsa_exception_fp_ieee_underflow 0
		.amdhsa_exception_fp_ieee_inexact 0
		.amdhsa_exception_int_div_zero 0
	.end_amdhsa_kernel
	.section	.text._ZL16dequantize_blockILi32ELi1EXadL_ZL15dequantize_q8_0PKviiR7__half2EEfEvS1_PT2_l,"axG",@progbits,_ZL16dequantize_blockILi32ELi1EXadL_ZL15dequantize_q8_0PKviiR7__half2EEfEvS1_PT2_l,comdat
.Lfunc_end4:
	.size	_ZL16dequantize_blockILi32ELi1EXadL_ZL15dequantize_q8_0PKviiR7__half2EEfEvS1_PT2_l, .Lfunc_end4-_ZL16dequantize_blockILi32ELi1EXadL_ZL15dequantize_q8_0PKviiR7__half2EEfEvS1_PT2_l
                                        ; -- End function
	.set _ZL16dequantize_blockILi32ELi1EXadL_ZL15dequantize_q8_0PKviiR7__half2EEfEvS1_PT2_l.num_vgpr, 7
	.set _ZL16dequantize_blockILi32ELi1EXadL_ZL15dequantize_q8_0PKviiR7__half2EEfEvS1_PT2_l.num_agpr, 0
	.set _ZL16dequantize_blockILi32ELi1EXadL_ZL15dequantize_q8_0PKviiR7__half2EEfEvS1_PT2_l.numbered_sgpr, 5
	.set _ZL16dequantize_blockILi32ELi1EXadL_ZL15dequantize_q8_0PKviiR7__half2EEfEvS1_PT2_l.num_named_barrier, 0
	.set _ZL16dequantize_blockILi32ELi1EXadL_ZL15dequantize_q8_0PKviiR7__half2EEfEvS1_PT2_l.private_seg_size, 0
	.set _ZL16dequantize_blockILi32ELi1EXadL_ZL15dequantize_q8_0PKviiR7__half2EEfEvS1_PT2_l.uses_vcc, 1
	.set _ZL16dequantize_blockILi32ELi1EXadL_ZL15dequantize_q8_0PKviiR7__half2EEfEvS1_PT2_l.uses_flat_scratch, 0
	.set _ZL16dequantize_blockILi32ELi1EXadL_ZL15dequantize_q8_0PKviiR7__half2EEfEvS1_PT2_l.has_dyn_sized_stack, 0
	.set _ZL16dequantize_blockILi32ELi1EXadL_ZL15dequantize_q8_0PKviiR7__half2EEfEvS1_PT2_l.has_recursion, 0
	.set _ZL16dequantize_blockILi32ELi1EXadL_ZL15dequantize_q8_0PKviiR7__half2EEfEvS1_PT2_l.has_indirect_call, 0
	.section	.AMDGPU.csdata,"",@progbits
; Kernel info:
; codeLenInByte = 284
; TotalNumSgprs: 7
; NumVgprs: 7
; ScratchSize: 0
; MemoryBound: 0
; FloatMode: 240
; IeeeMode: 1
; LDSByteSize: 0 bytes/workgroup (compile time only)
; SGPRBlocks: 0
; VGPRBlocks: 0
; NumSGPRsForWavesPerEU: 7
; NumVGPRsForWavesPerEU: 7
; Occupancy: 16
; WaveLimiterHint : 0
; COMPUTE_PGM_RSRC2:SCRATCH_EN: 0
; COMPUTE_PGM_RSRC2:USER_SGPR: 2
; COMPUTE_PGM_RSRC2:TRAP_HANDLER: 0
; COMPUTE_PGM_RSRC2:TGID_X_EN: 1
; COMPUTE_PGM_RSRC2:TGID_Y_EN: 0
; COMPUTE_PGM_RSRC2:TGID_Z_EN: 0
; COMPUTE_PGM_RSRC2:TIDIG_COMP_CNT: 0
	.section	.text._ZL21dequantize_block_q2_KIfEvPKvPT_,"axG",@progbits,_ZL21dequantize_block_q2_KIfEvPKvPT_,comdat
	.globl	_ZL21dequantize_block_q2_KIfEvPKvPT_ ; -- Begin function _ZL21dequantize_block_q2_KIfEvPKvPT_
	.p2align	8
	.type	_ZL21dequantize_block_q2_KIfEvPKvPT_,@function
_ZL21dequantize_block_q2_KIfEvPKvPT_:   ; @_ZL21dequantize_block_q2_KIfEvPKvPT_
; %bb.0:
	s_load_b128 s[0:3], s[0:1], 0x0
	v_lshrrev_b32_e32 v1, 5, v0
	v_bfe_u32 v2, v0, 4, 1
	s_mov_b32 s4, ttmp9
	s_mov_b32 s5, 0
	s_delay_alu instid0(SALU_CYCLE_1) | instskip(NEXT) | instid1(VALU_DEP_1)
	s_mul_u64 s[6:7], s[4:5], 0x54
	v_lshl_or_b32 v2, v1, 3, v2
	s_lshl_b32 s4, ttmp9, 8
	v_lshlrev_b32_e32 v1, 9, v1
	s_wait_kmcnt 0x0
	s_add_nc_u64 s[0:1], s[0:1], s[6:7]
	s_clause 0x4
	global_load_u8 v3, v2, s[0:1]
	global_load_u8 v4, v0, s[0:1] offset:16
	global_load_u8 v5, v2, s[0:1] offset:2
	global_load_u8 v6, v2, s[0:1] offset:4
	global_load_u8 v2, v2, s[0:1] offset:6
	s_load_b32 s6, s[0:1], 0x50
	s_lshl_b64 s[0:1], s[4:5], 2
	v_and_b32_e32 v0, 31, v0
	s_add_nc_u64 s[0:1], s[2:3], s[0:1]
	s_delay_alu instid0(SALU_CYCLE_1) | instskip(NEXT) | instid1(VALU_DEP_2)
	v_add_co_u32 v1, s0, s0, v1
	v_lshlrev_b32_e32 v0, 2, v0
	s_delay_alu instid0(VALU_DEP_1)
	v_add_co_u32 v0, vcc_lo, v1, v0
	s_wait_kmcnt 0x0
	s_lshr_b32 s2, s6, 16
	s_wait_loadcnt 0x4
	v_and_b32_e32 v7, 15, v3
	s_wait_loadcnt 0x3
	v_and_b32_e32 v8, 3, v4
	;; [unrolled: 2-line block ×5, first 2 shown]
	v_and_b32_e32 v7, 0xffff, v7
	v_bfe_u32 v10, v4, 2, 2
	v_and_b32_e32 v9, 0xffff, v9
	v_bfe_u32 v12, v4, 4, 2
	v_and_b32_e32 v11, 0xffff, v11
	v_lshrrev_b32_e32 v4, 6, v4
	v_and_b32_e32 v13, 0xffff, v13
	v_lshrrev_b16 v3, 4, v3
	v_mul_u32_u24_e32 v7, v8, v7
	v_lshrrev_b16 v5, 4, v5
	v_mul_u32_u24_e32 v8, v10, v9
	;; [unrolled: 2-line block ×4, first 2 shown]
	v_cvt_f16_u16_e32 v3, v3
	v_cvt_f32_ubyte0_e32 v7, v7
	v_cvt_f16_u16_e32 v5, v5
	v_cvt_f32_ubyte0_e32 v8, v8
	;; [unrolled: 2-line block ×4, first 2 shown]
	v_mul_f16_e32 v3, s2, v3
	v_cvt_f16_f32_e32 v7, v7
	v_mul_f16_e32 v5, s2, v5
	v_cvt_f16_f32_e32 v8, v8
	;; [unrolled: 2-line block ×4, first 2 shown]
	s_wait_alu 0xf1ff
	v_add_co_ci_u32_e64 v10, null, s1, 0, s0
	v_fma_f16 v3, s6, v7, -v3
	v_fma_f16 v5, s6, v8, -v5
	;; [unrolled: 1-line block ×4, first 2 shown]
	v_add_co_ci_u32_e64 v1, null, 0, v10, vcc_lo
	v_cvt_f32_f16_e32 v3, v3
	v_cvt_f32_f16_e32 v4, v5
	;; [unrolled: 1-line block ×4, first 2 shown]
	s_clause 0x3
	global_store_b32 v[0:1], v3, off
	global_store_b32 v[0:1], v4, off offset:128
	global_store_b32 v[0:1], v5, off offset:256
	global_store_b32 v[0:1], v2, off offset:384
	s_endpgm
	.section	.rodata,"a",@progbits
	.p2align	6, 0x0
	.amdhsa_kernel _ZL21dequantize_block_q2_KIfEvPKvPT_
		.amdhsa_group_segment_fixed_size 0
		.amdhsa_private_segment_fixed_size 0
		.amdhsa_kernarg_size 16
		.amdhsa_user_sgpr_count 2
		.amdhsa_user_sgpr_dispatch_ptr 0
		.amdhsa_user_sgpr_queue_ptr 0
		.amdhsa_user_sgpr_kernarg_segment_ptr 1
		.amdhsa_user_sgpr_dispatch_id 0
		.amdhsa_user_sgpr_private_segment_size 0
		.amdhsa_wavefront_size32 1
		.amdhsa_uses_dynamic_stack 0
		.amdhsa_enable_private_segment 0
		.amdhsa_system_sgpr_workgroup_id_x 1
		.amdhsa_system_sgpr_workgroup_id_y 0
		.amdhsa_system_sgpr_workgroup_id_z 0
		.amdhsa_system_sgpr_workgroup_info 0
		.amdhsa_system_vgpr_workitem_id 0
		.amdhsa_next_free_vgpr 14
		.amdhsa_next_free_sgpr 8
		.amdhsa_reserve_vcc 1
		.amdhsa_float_round_mode_32 0
		.amdhsa_float_round_mode_16_64 0
		.amdhsa_float_denorm_mode_32 3
		.amdhsa_float_denorm_mode_16_64 3
		.amdhsa_fp16_overflow 0
		.amdhsa_workgroup_processor_mode 1
		.amdhsa_memory_ordered 1
		.amdhsa_forward_progress 1
		.amdhsa_inst_pref_size 4
		.amdhsa_round_robin_scheduling 0
		.amdhsa_exception_fp_ieee_invalid_op 0
		.amdhsa_exception_fp_denorm_src 0
		.amdhsa_exception_fp_ieee_div_zero 0
		.amdhsa_exception_fp_ieee_overflow 0
		.amdhsa_exception_fp_ieee_underflow 0
		.amdhsa_exception_fp_ieee_inexact 0
		.amdhsa_exception_int_div_zero 0
	.end_amdhsa_kernel
	.section	.text._ZL21dequantize_block_q2_KIfEvPKvPT_,"axG",@progbits,_ZL21dequantize_block_q2_KIfEvPKvPT_,comdat
.Lfunc_end5:
	.size	_ZL21dequantize_block_q2_KIfEvPKvPT_, .Lfunc_end5-_ZL21dequantize_block_q2_KIfEvPKvPT_
                                        ; -- End function
	.set _ZL21dequantize_block_q2_KIfEvPKvPT_.num_vgpr, 14
	.set _ZL21dequantize_block_q2_KIfEvPKvPT_.num_agpr, 0
	.set _ZL21dequantize_block_q2_KIfEvPKvPT_.numbered_sgpr, 8
	.set _ZL21dequantize_block_q2_KIfEvPKvPT_.num_named_barrier, 0
	.set _ZL21dequantize_block_q2_KIfEvPKvPT_.private_seg_size, 0
	.set _ZL21dequantize_block_q2_KIfEvPKvPT_.uses_vcc, 1
	.set _ZL21dequantize_block_q2_KIfEvPKvPT_.uses_flat_scratch, 0
	.set _ZL21dequantize_block_q2_KIfEvPKvPT_.has_dyn_sized_stack, 0
	.set _ZL21dequantize_block_q2_KIfEvPKvPT_.has_recursion, 0
	.set _ZL21dequantize_block_q2_KIfEvPKvPT_.has_indirect_call, 0
	.section	.AMDGPU.csdata,"",@progbits
; Kernel info:
; codeLenInByte = 512
; TotalNumSgprs: 10
; NumVgprs: 14
; ScratchSize: 0
; MemoryBound: 0
; FloatMode: 240
; IeeeMode: 1
; LDSByteSize: 0 bytes/workgroup (compile time only)
; SGPRBlocks: 0
; VGPRBlocks: 1
; NumSGPRsForWavesPerEU: 10
; NumVGPRsForWavesPerEU: 14
; Occupancy: 16
; WaveLimiterHint : 0
; COMPUTE_PGM_RSRC2:SCRATCH_EN: 0
; COMPUTE_PGM_RSRC2:USER_SGPR: 2
; COMPUTE_PGM_RSRC2:TRAP_HANDLER: 0
; COMPUTE_PGM_RSRC2:TGID_X_EN: 1
; COMPUTE_PGM_RSRC2:TGID_Y_EN: 0
; COMPUTE_PGM_RSRC2:TGID_Z_EN: 0
; COMPUTE_PGM_RSRC2:TIDIG_COMP_CNT: 0
	.section	.text._ZL21dequantize_block_q3_KIfEvPKvPT_,"axG",@progbits,_ZL21dequantize_block_q3_KIfEvPKvPT_,comdat
	.globl	_ZL21dequantize_block_q3_KIfEvPKvPT_ ; -- Begin function _ZL21dequantize_block_q3_KIfEvPKvPT_
	.p2align	8
	.type	_ZL21dequantize_block_q3_KIfEvPKvPT_,@function
_ZL21dequantize_block_q3_KIfEvPKvPT_:   ; @_ZL21dequantize_block_q3_KIfEvPKvPT_
; %bb.0:
	v_lshrrev_b32_e32 v4, 5, v0
	v_lshrrev_b32_e32 v6, 3, v0
	s_mov_b32 s7, 0
	s_mov_b32 s6, ttmp9
	s_load_b64 s[4:5], s[0:1], 0x0
	v_lshlrev_b32_e32 v1, 2, v4
	v_bfe_u32 v7, v0, 2, 1
	s_mov_b32 s2, ttmp9
                                        ; implicit-def: $vgpr9
                                        ; implicit-def: $vgpr8
	s_mov_b32 s3, exec_lo
	s_delay_alu instid0(VALU_DEP_2) | instskip(SKIP_1) | instid1(VALU_DEP_2)
	v_sub_nc_u32_e32 v5, v6, v1
	v_dual_mov_b32 v1, s6 :: v_dual_mov_b32 v2, s7
	v_lshlrev_b32_e32 v3, 1, v5
	s_delay_alu instid0(VALU_DEP_1) | instskip(NEXT) | instid1(VALU_DEP_1)
	v_lshl_add_u32 v11, v4, 3, v3
	v_or_b32_e32 v10, v11, v7
	s_delay_alu instid0(VALU_DEP_1)
	v_cmpx_lt_i32_e32 3, v10
	s_xor_b32 s8, exec_lo, s3
	s_cbranch_execz .LBB6_10
; %bb.1:
	v_dual_mov_b32 v1, s6 :: v_dual_mov_b32 v2, s7
                                        ; implicit-def: $vgpr9
                                        ; implicit-def: $vgpr8
	s_mov_b32 s3, exec_lo
	v_cmpx_lt_u32_e32 7, v11
	s_xor_b32 s9, exec_lo, s3
	s_cbranch_execz .LBB6_7
; %bb.2:
	s_mov_b32 s3, 0
                                        ; implicit-def: $vgpr8
	s_delay_alu instid0(SALU_CYCLE_1)
	s_mul_u64 s[10:11], s[2:3], 0x6e
	s_wait_kmcnt 0x0
	s_add_nc_u64 s[10:11], s[4:5], s[10:11]
	global_load_u8 v9, v10, s[10:11] offset:88
	v_add_co_u32 v1, s10, s10, v10
	s_wait_alu 0xf1ff
	v_add_co_ci_u32_e64 v2, null, s11, 0, s10
	s_mov_b32 s10, exec_lo
	v_cmpx_lt_u32_e32 11, v11
	s_wait_alu 0xfffe
	s_xor_b32 s10, exec_lo, s10
	s_cbranch_execz .LBB6_4
; %bb.3:
	global_load_u8 v1, v[1:2], off offset:92
	s_wait_loadcnt 0x0
	v_lshrrev_b16 v8, 2, v1
                                        ; implicit-def: $vgpr1_vgpr2
.LBB6_4:
	s_wait_alu 0xfffe
	s_and_not1_saveexec_b32 s10, s10
	s_cbranch_execz .LBB6_6
; %bb.5:
	global_load_u8 v8, v[1:2], off offset:96
.LBB6_6:
	s_wait_alu 0xfffe
	s_or_b32 exec_lo, exec_lo, s10
	s_wait_loadcnt 0x0
	v_lshrrev_b16 v9, 4, v9
	v_dual_mov_b32 v1, s2 :: v_dual_mov_b32 v2, s3
                                        ; implicit-def: $vgpr10
.LBB6_7:
	s_and_not1_saveexec_b32 s3, s9
	s_cbranch_execz .LBB6_9
; %bb.8:
	s_mul_u64 s[10:11], s[6:7], 0x6e
	s_wait_kmcnt 0x0
	s_wait_alu 0xfffe
	s_add_nc_u64 s[10:11], s[4:5], s[10:11]
	s_clause 0x1
	global_load_u8 v2, v10, s[10:11] offset:96
	global_load_u8 v8, v10, s[10:11] offset:100
	s_wait_loadcnt 0x1
	v_and_b32_e32 v9, 15, v2
	s_wait_loadcnt 0x0
	v_lshlrev_b16 v8, 2, v8
.LBB6_9:
	s_wait_alu 0xfffe
	s_or_b32 exec_lo, exec_lo, s3
                                        ; implicit-def: $vgpr10
.LBB6_10:
	s_or_saveexec_b32 s3, s8
	s_load_b64 s[0:1], s[0:1], 0x8
	s_xor_b32 exec_lo, exec_lo, s3
	s_cbranch_execz .LBB6_12
; %bb.11:
	s_mul_u64 s[6:7], s[6:7], 0x6e
	v_ashrrev_i32_e32 v2, 31, v10
	s_wait_kmcnt 0x0
	s_wait_alu 0xfffe
	s_add_nc_u64 s[6:7], s[4:5], s[6:7]
	s_wait_alu 0xfffe
	v_add_co_u32 v8, vcc_lo, s6, v10
	s_delay_alu instid0(VALU_DEP_1)
	v_add_co_ci_u32_e64 v9, null, s7, v2, vcc_lo
	s_clause 0x1
	global_load_u8 v2, v[8:9], off offset:96
	global_load_u8 v8, v[8:9], off offset:104
	s_wait_loadcnt 0x1
	v_and_b32_e32 v9, 15, v2
	s_wait_loadcnt 0x0
	v_lshlrev_b16 v8, 4, v8
.LBB6_12:
	s_or_b32 exec_lo, exec_lo, s3
	v_lshlrev_b32_e32 v10, 2, v0
	s_wait_kmcnt 0x0
	v_mad_co_u64_u32 v[1:2], null, 0x6e, v1, s[4:5]
	v_and_b32_e32 v0, 0x3e0, v0
	v_lshlrev_b32_e64 v6, v6, 1
	v_and_b32_e32 v10, 12, v10
	s_lshl_b32 s2, s2, 8
	s_mov_b32 s3, 0
	v_lshlrev_b32_e32 v4, 9, v4
	v_add_co_u32 v0, vcc_lo, v1, v0
	v_lshl_or_b32 v7, v7, 4, v10
	s_wait_alu 0xfffd
	v_add_co_ci_u32_e64 v11, null, 0, v2, vcc_lo
	s_wait_alu 0xfffe
	s_lshl_b64 s[2:3], s[2:3], 2
	v_add_co_u32 v10, vcc_lo, v0, v7
	s_wait_alu 0xfffd
	v_add_co_ci_u32_e64 v11, null, 0, v11, vcc_lo
	v_add_co_u32 v12, vcc_lo, v1, v7
	s_wait_alu 0xfffd
	v_add_co_ci_u32_e64 v13, null, 0, v2, vcc_lo
	s_clause 0x2
	global_load_b32 v10, v[10:11], off offset:32
	global_load_b32 v11, v[12:13], off
	global_load_u16 v2, v[1:2], off offset:108
	v_and_b32_e32 v1, 48, v8
	v_lshlrev_b32_e32 v0, 5, v5
	s_wait_alu 0xfffe
	s_add_nc_u64 s[0:1], s[0:1], s[2:3]
	v_lshlrev_b32_e32 v7, 2, v7
	v_add_co_u32 v4, s0, s0, v4
	v_or_b32_e32 v5, v1, v9
	v_ashrrev_i32_e32 v1, 31, v0
	s_wait_alu 0xf1ff
	v_add_co_ci_u32_e64 v8, null, s1, 0, s0
	s_delay_alu instid0(VALU_DEP_3) | instskip(NEXT) | instid1(VALU_DEP_3)
	v_and_b32_e32 v5, 0xff, v5
	v_lshlrev_b64_e32 v[0:1], 2, v[0:1]
	s_delay_alu instid0(VALU_DEP_2) | instskip(NEXT) | instid1(VALU_DEP_1)
	v_subrev_nc_u32_e32 v5, 32, v5
	v_cvt_f32_i32_e32 v5, v5
	s_delay_alu instid0(VALU_DEP_1)
	v_cvt_f16_f32_e32 v5, v5
	s_wait_loadcnt 0x2
	v_lshrrev_b32_e32 v9, 24, v10
	s_wait_loadcnt 0x1
	v_and_b32_e32 v16, 0xff, v11
	v_and_b32_e32 v12, 0xff, v10
	v_bfe_u32 v13, v10, 8, 8
	v_bfe_u32 v10, v10, 16, 8
	v_lshrrev_b32_e32 v14, 24, v11
	v_lshrrev_b16 v15, 8, v11
	v_bfe_u32 v11, v11, 16, 8
	v_and_b32_e32 v16, v6, v16
	v_lshrrev_b32_e32 v12, v3, v12
	v_lshrrev_b32_e32 v13, v3, v13
	;; [unrolled: 1-line block ×4, first 2 shown]
	v_and_b32_e32 v9, v6, v11
	v_cmp_eq_u32_e32 vcc_lo, 0, v16
	v_and_b32_e32 v15, 0xffff, v15
	v_and_b32_e32 v11, v6, v14
	s_wait_loadcnt 0x0
	v_mul_f16_e32 v2, v2, v5
	s_wait_alu 0xfffd
	v_cndmask_b32_e64 v14, 0, -4, vcc_lo
	v_cmp_eq_u32_e32 vcc_lo, 0, v9
	v_and_b32_e32 v6, v6, v15
	s_delay_alu instid0(VALU_DEP_3) | instskip(SKIP_3) | instid1(VALU_DEP_2)
	v_and_or_b32 v12, v12, 3, v14
	s_wait_alu 0xfffd
	v_cndmask_b32_e64 v9, 0, -4, vcc_lo
	v_cmp_eq_u32_e32 vcc_lo, 0, v11
	v_and_or_b32 v9, v10, 3, v9
	s_wait_alu 0xfffd
	v_cndmask_b32_e64 v11, 0, -4, vcc_lo
	v_cmp_eq_u32_e32 vcc_lo, 0, v6
	v_cvt_f32_i32_e32 v10, v12
	v_cvt_f32_i32_e32 v9, v9
	s_delay_alu instid0(VALU_DEP_4)
	v_and_or_b32 v3, v3, 3, v11
	s_wait_alu 0xfffd
	v_cndmask_b32_e64 v6, 0, -4, vcc_lo
	v_cvt_f16_f32_e32 v5, v10
	v_add_co_u32 v0, vcc_lo, v4, v0
	v_cvt_f32_i32_e32 v3, v3
	s_delay_alu instid0(VALU_DEP_4)
	v_and_or_b32 v6, v13, 3, v6
	v_cvt_f16_f32_e32 v9, v9
	s_wait_alu 0xfffd
	v_add_co_ci_u32_e64 v1, null, v8, v1, vcc_lo
	v_cvt_f16_f32_e32 v3, v3
	v_cvt_f32_i32_e32 v6, v6
	v_mul_f16_e32 v8, v2, v5
	v_mul_f16_e32 v9, v2, v9
	v_add_co_u32 v4, vcc_lo, v0, v7
	s_delay_alu instid0(VALU_DEP_4)
	v_cvt_f16_f32_e32 v6, v6
	v_mul_f16_e32 v3, v2, v3
	s_wait_alu 0xfffd
	v_add_co_ci_u32_e64 v5, null, 0, v1, vcc_lo
	v_cvt_f32_f16_e32 v0, v8
	v_mul_f16_e32 v6, v2, v6
	v_cvt_f32_f16_e32 v2, v9
	v_cvt_f32_f16_e32 v3, v3
	s_delay_alu instid0(VALU_DEP_3)
	v_cvt_f32_f16_e32 v1, v6
	global_store_b128 v[4:5], v[0:3], off
	s_endpgm
	.section	.rodata,"a",@progbits
	.p2align	6, 0x0
	.amdhsa_kernel _ZL21dequantize_block_q3_KIfEvPKvPT_
		.amdhsa_group_segment_fixed_size 0
		.amdhsa_private_segment_fixed_size 0
		.amdhsa_kernarg_size 16
		.amdhsa_user_sgpr_count 2
		.amdhsa_user_sgpr_dispatch_ptr 0
		.amdhsa_user_sgpr_queue_ptr 0
		.amdhsa_user_sgpr_kernarg_segment_ptr 1
		.amdhsa_user_sgpr_dispatch_id 0
		.amdhsa_user_sgpr_private_segment_size 0
		.amdhsa_wavefront_size32 1
		.amdhsa_uses_dynamic_stack 0
		.amdhsa_enable_private_segment 0
		.amdhsa_system_sgpr_workgroup_id_x 1
		.amdhsa_system_sgpr_workgroup_id_y 0
		.amdhsa_system_sgpr_workgroup_id_z 0
		.amdhsa_system_sgpr_workgroup_info 0
		.amdhsa_system_vgpr_workitem_id 0
		.amdhsa_next_free_vgpr 17
		.amdhsa_next_free_sgpr 12
		.amdhsa_reserve_vcc 1
		.amdhsa_float_round_mode_32 0
		.amdhsa_float_round_mode_16_64 0
		.amdhsa_float_denorm_mode_32 3
		.amdhsa_float_denorm_mode_16_64 3
		.amdhsa_fp16_overflow 0
		.amdhsa_workgroup_processor_mode 1
		.amdhsa_memory_ordered 1
		.amdhsa_forward_progress 1
		.amdhsa_inst_pref_size 9
		.amdhsa_round_robin_scheduling 0
		.amdhsa_exception_fp_ieee_invalid_op 0
		.amdhsa_exception_fp_denorm_src 0
		.amdhsa_exception_fp_ieee_div_zero 0
		.amdhsa_exception_fp_ieee_overflow 0
		.amdhsa_exception_fp_ieee_underflow 0
		.amdhsa_exception_fp_ieee_inexact 0
		.amdhsa_exception_int_div_zero 0
	.end_amdhsa_kernel
	.section	.text._ZL21dequantize_block_q3_KIfEvPKvPT_,"axG",@progbits,_ZL21dequantize_block_q3_KIfEvPKvPT_,comdat
.Lfunc_end6:
	.size	_ZL21dequantize_block_q3_KIfEvPKvPT_, .Lfunc_end6-_ZL21dequantize_block_q3_KIfEvPKvPT_
                                        ; -- End function
	.set _ZL21dequantize_block_q3_KIfEvPKvPT_.num_vgpr, 17
	.set _ZL21dequantize_block_q3_KIfEvPKvPT_.num_agpr, 0
	.set _ZL21dequantize_block_q3_KIfEvPKvPT_.numbered_sgpr, 12
	.set _ZL21dequantize_block_q3_KIfEvPKvPT_.num_named_barrier, 0
	.set _ZL21dequantize_block_q3_KIfEvPKvPT_.private_seg_size, 0
	.set _ZL21dequantize_block_q3_KIfEvPKvPT_.uses_vcc, 1
	.set _ZL21dequantize_block_q3_KIfEvPKvPT_.uses_flat_scratch, 0
	.set _ZL21dequantize_block_q3_KIfEvPKvPT_.has_dyn_sized_stack, 0
	.set _ZL21dequantize_block_q3_KIfEvPKvPT_.has_recursion, 0
	.set _ZL21dequantize_block_q3_KIfEvPKvPT_.has_indirect_call, 0
	.section	.AMDGPU.csdata,"",@progbits
; Kernel info:
; codeLenInByte = 1076
; TotalNumSgprs: 14
; NumVgprs: 17
; ScratchSize: 0
; MemoryBound: 0
; FloatMode: 240
; IeeeMode: 1
; LDSByteSize: 0 bytes/workgroup (compile time only)
; SGPRBlocks: 0
; VGPRBlocks: 2
; NumSGPRsForWavesPerEU: 14
; NumVGPRsForWavesPerEU: 17
; Occupancy: 16
; WaveLimiterHint : 0
; COMPUTE_PGM_RSRC2:SCRATCH_EN: 0
; COMPUTE_PGM_RSRC2:USER_SGPR: 2
; COMPUTE_PGM_RSRC2:TRAP_HANDLER: 0
; COMPUTE_PGM_RSRC2:TGID_X_EN: 1
; COMPUTE_PGM_RSRC2:TGID_Y_EN: 0
; COMPUTE_PGM_RSRC2:TGID_Z_EN: 0
; COMPUTE_PGM_RSRC2:TIDIG_COMP_CNT: 0
	.section	.text._ZL21dequantize_block_q4_KIfEvPKvPT_,"axG",@progbits,_ZL21dequantize_block_q4_KIfEvPKvPT_,comdat
	.globl	_ZL21dequantize_block_q4_KIfEvPKvPT_ ; -- Begin function _ZL21dequantize_block_q4_KIfEvPKvPT_
	.p2align	8
	.type	_ZL21dequantize_block_q4_KIfEvPKvPT_,@function
_ZL21dequantize_block_q4_KIfEvPKvPT_:   ; @_ZL21dequantize_block_q4_KIfEvPKvPT_
; %bb.0:
	s_load_b64 s[4:5], s[0:1], 0x0
	v_lshrrev_b32_e32 v3, 3, v0
	s_mov_b32 s2, ttmp9
	s_mov_b32 s3, 0
	v_cmp_lt_u32_e32 vcc_lo, 15, v0
	s_mul_u64 s[2:3], s[2:3], 0x90
	v_lshlrev_b32_e32 v1, 1, v3
                                        ; implicit-def: $vgpr5
                                        ; implicit-def: $vgpr4
	s_wait_kmcnt 0x0
	s_add_nc_u64 s[2:3], s[4:5], s[2:3]
	s_delay_alu instid0(VALU_DEP_1) | instid1(SALU_CYCLE_1)
	v_add_co_u32 v1, s4, s2, v1
	s_delay_alu instid0(VALU_DEP_1)
	v_add_co_ci_u32_e64 v2, null, s3, 0, s4
	s_and_saveexec_b32 s4, vcc_lo
	s_wait_alu 0xfffe
	s_xor_b32 s4, exec_lo, s4
	s_cbranch_execz .LBB7_2
; %bb.1:
	s_clause 0x2
	global_load_u8 v4, v[1:2], off
	global_load_u8 v5, v[1:2], off offset:4
	global_load_u8 v6, v[1:2], off offset:8
	s_wait_loadcnt 0x2
	v_lshrrev_b16 v4, 2, v4
	s_wait_loadcnt 0x1
	v_lshrrev_b16 v5, 2, v5
	s_wait_loadcnt 0x0
	v_and_b32_e32 v7, 15, v6
	v_lshrrev_b16 v6, 4, v6
	v_and_b32_e32 v4, 48, v4
	v_and_b32_e32 v5, 48, v5
	s_delay_alu instid0(VALU_DEP_2) | instskip(NEXT) | instid1(VALU_DEP_2)
	v_or_b32_e32 v4, v4, v7
	v_or_b32_e32 v5, v5, v6
.LBB7_2:
	s_wait_alu 0xfffe
	s_and_not1_saveexec_b32 s4, s4
	s_cbranch_execz .LBB7_4
; %bb.3:
	s_clause 0x1
	global_load_u8 v4, v[1:2], off offset:4
	global_load_u8 v5, v[1:2], off offset:8
	s_wait_loadcnt 0x1
	v_and_b32_e32 v4, 63, v4
	s_wait_loadcnt 0x0
	v_and_b32_e32 v5, 63, v5
.LBB7_4:
	s_wait_alu 0xfffe
	s_or_b32 exec_lo, exec_lo, s4
	s_load_b32 s4, s[2:3], 0x0
                                        ; implicit-def: $vgpr6
                                        ; implicit-def: $vgpr7
	s_and_saveexec_b32 s5, vcc_lo
	s_wait_alu 0xfffe
	s_xor_b32 s5, exec_lo, s5
	s_cbranch_execz .LBB7_6
; %bb.5:
	s_clause 0x2
	global_load_u8 v6, v[1:2], off offset:1
	global_load_u8 v7, v[1:2], off offset:5
	global_load_u8 v1, v[1:2], off offset:9
	s_wait_loadcnt 0x2
	v_lshrrev_b16 v2, 2, v6
	s_wait_loadcnt 0x1
	v_lshrrev_b16 v6, 2, v7
	s_wait_loadcnt 0x0
	v_and_b32_e32 v7, 15, v1
	v_lshrrev_b16 v1, 4, v1
	v_and_b32_e32 v2, 48, v2
	v_and_b32_e32 v6, 48, v6
	s_delay_alu instid0(VALU_DEP_2) | instskip(NEXT) | instid1(VALU_DEP_2)
	v_or_b32_e32 v7, v2, v7
	v_or_b32_e32 v6, v6, v1
                                        ; implicit-def: $vgpr1_vgpr2
.LBB7_6:
	s_wait_alu 0xfffe
	s_or_saveexec_b32 s5, s5
	s_load_b64 s[0:1], s[0:1], 0x8
	s_xor_b32 exec_lo, exec_lo, s5
	s_cbranch_execz .LBB7_8
; %bb.7:
	s_clause 0x1
	global_load_u8 v6, v[1:2], off offset:5
	global_load_u8 v1, v[1:2], off offset:9
	s_wait_loadcnt 0x1
	v_and_b32_e32 v7, 63, v6
	s_wait_loadcnt 0x0
	v_and_b32_e32 v6, 63, v1
.LBB7_8:
	s_or_b32 exec_lo, exec_lo, s5
	v_lshlrev_b32_e32 v0, 2, v0
	v_lshlrev_b32_e32 v1, 5, v3
	;; [unrolled: 1-line block ×3, first 2 shown]
	v_and_b32_e32 v4, 0xff, v4
	v_and_b32_e32 v6, 0xff, v6
	;; [unrolled: 1-line block ×3, first 2 shown]
	v_add_co_u32 v0, s2, s2, v1
	s_wait_alu 0xf1ff
	v_add_co_ci_u32_e64 v1, null, s3, 0, s2
	s_mov_b32 s3, 0
	v_add_co_u32 v0, vcc_lo, v0, v2
	s_delay_alu instid0(VALU_DEP_1)
	v_add_co_ci_u32_e64 v1, null, 0, v1, vcc_lo
	s_lshl_b32 s2, ttmp9, 8
	v_lshlrev_b32_e32 v2, 2, v2
	s_wait_alu 0xfffe
	s_lshl_b64 s[2:3], s[2:3], 2
	global_load_b32 v0, v[0:1], off offset:16
	s_wait_kmcnt 0x0
	s_wait_alu 0xfffe
	s_add_nc_u64 s[0:1], s[0:1], s[2:3]
	v_and_b32_e32 v1, 0xff, v5
	v_add_co_u32 v3, s0, s0, v3
	v_and_b32_e32 v5, 0xff, v7
	s_wait_alu 0xf1ff
	v_add_co_ci_u32_e64 v7, null, s1, 0, s0
	s_delay_alu instid0(VALU_DEP_3)
	v_add_co_u32 v8, vcc_lo, v3, v2
	v_cvt_f16_u16_e32 v1, v1
	v_cvt_f16_u16_e32 v4, v4
	s_wait_alu 0xfffd
	v_add_co_ci_u32_e64 v9, null, 0, v7, vcc_lo
	s_lshr_b32 s5, s4, 16
	v_cvt_f16_u16_e32 v5, v5
	v_cvt_f16_u16_e32 v6, v6
	s_wait_alu 0xfffe
	v_mul_f16_e32 v1, s5, v1
	v_mul_f16_e32 v4, s4, v4
	;; [unrolled: 1-line block ×4, first 2 shown]
	s_wait_loadcnt 0x0
	v_lshrrev_b32_e32 v10, 8, v0
	v_lshrrev_b32_e32 v2, 16, v0
	v_and_b32_e32 v3, 15, v0
	v_lshrrev_b16 v7, 4, v0
	v_lshrrev_b32_e32 v11, 24, v0
	v_lshrrev_b32_e32 v0, 20, v0
	v_and_b32_e32 v12, 15, v10
	v_lshrrev_b16 v10, 4, v10
	v_cvt_f16_u16_e32 v3, v3
	v_and_b32_e32 v7, 15, v7
	v_and_b32_e32 v2, 15, v2
	;; [unrolled: 1-line block ×4, first 2 shown]
	v_lshrrev_b16 v11, 4, v11
	v_and_b32_e32 v10, 15, v10
	v_fma_f16 v3, v4, v3, -v1
	v_cvt_f16_u16_e32 v7, v7
	v_cvt_f16_u16_e32 v12, v12
	;; [unrolled: 1-line block ×7, first 2 shown]
	v_cvt_f32_f16_e32 v0, v3
	v_fma_f16 v3, v5, v7, -v6
	v_fma_f16 v7, v4, v12, -v1
	;; [unrolled: 1-line block ×7, first 2 shown]
	v_cvt_f32_f16_e32 v4, v3
	v_cvt_f32_f16_e32 v1, v7
	;; [unrolled: 1-line block ×7, first 2 shown]
	s_clause 0x1
	global_store_b128 v[8:9], v[0:3], off
	global_store_b128 v[8:9], v[4:7], off offset:128
	s_endpgm
	.section	.rodata,"a",@progbits
	.p2align	6, 0x0
	.amdhsa_kernel _ZL21dequantize_block_q4_KIfEvPKvPT_
		.amdhsa_group_segment_fixed_size 0
		.amdhsa_private_segment_fixed_size 0
		.amdhsa_kernarg_size 16
		.amdhsa_user_sgpr_count 2
		.amdhsa_user_sgpr_dispatch_ptr 0
		.amdhsa_user_sgpr_queue_ptr 0
		.amdhsa_user_sgpr_kernarg_segment_ptr 1
		.amdhsa_user_sgpr_dispatch_id 0
		.amdhsa_user_sgpr_private_segment_size 0
		.amdhsa_wavefront_size32 1
		.amdhsa_uses_dynamic_stack 0
		.amdhsa_enable_private_segment 0
		.amdhsa_system_sgpr_workgroup_id_x 1
		.amdhsa_system_sgpr_workgroup_id_y 0
		.amdhsa_system_sgpr_workgroup_id_z 0
		.amdhsa_system_sgpr_workgroup_info 0
		.amdhsa_system_vgpr_workitem_id 0
		.amdhsa_next_free_vgpr 15
		.amdhsa_next_free_sgpr 6
		.amdhsa_reserve_vcc 1
		.amdhsa_float_round_mode_32 0
		.amdhsa_float_round_mode_16_64 0
		.amdhsa_float_denorm_mode_32 3
		.amdhsa_float_denorm_mode_16_64 3
		.amdhsa_fp16_overflow 0
		.amdhsa_workgroup_processor_mode 1
		.amdhsa_memory_ordered 1
		.amdhsa_forward_progress 1
		.amdhsa_inst_pref_size 7
		.amdhsa_round_robin_scheduling 0
		.amdhsa_exception_fp_ieee_invalid_op 0
		.amdhsa_exception_fp_denorm_src 0
		.amdhsa_exception_fp_ieee_div_zero 0
		.amdhsa_exception_fp_ieee_overflow 0
		.amdhsa_exception_fp_ieee_underflow 0
		.amdhsa_exception_fp_ieee_inexact 0
		.amdhsa_exception_int_div_zero 0
	.end_amdhsa_kernel
	.section	.text._ZL21dequantize_block_q4_KIfEvPKvPT_,"axG",@progbits,_ZL21dequantize_block_q4_KIfEvPKvPT_,comdat
.Lfunc_end7:
	.size	_ZL21dequantize_block_q4_KIfEvPKvPT_, .Lfunc_end7-_ZL21dequantize_block_q4_KIfEvPKvPT_
                                        ; -- End function
	.set _ZL21dequantize_block_q4_KIfEvPKvPT_.num_vgpr, 15
	.set _ZL21dequantize_block_q4_KIfEvPKvPT_.num_agpr, 0
	.set _ZL21dequantize_block_q4_KIfEvPKvPT_.numbered_sgpr, 6
	.set _ZL21dequantize_block_q4_KIfEvPKvPT_.num_named_barrier, 0
	.set _ZL21dequantize_block_q4_KIfEvPKvPT_.private_seg_size, 0
	.set _ZL21dequantize_block_q4_KIfEvPKvPT_.uses_vcc, 1
	.set _ZL21dequantize_block_q4_KIfEvPKvPT_.uses_flat_scratch, 0
	.set _ZL21dequantize_block_q4_KIfEvPKvPT_.has_dyn_sized_stack, 0
	.set _ZL21dequantize_block_q4_KIfEvPKvPT_.has_recursion, 0
	.set _ZL21dequantize_block_q4_KIfEvPKvPT_.has_indirect_call, 0
	.section	.AMDGPU.csdata,"",@progbits
; Kernel info:
; codeLenInByte = 892
; TotalNumSgprs: 8
; NumVgprs: 15
; ScratchSize: 0
; MemoryBound: 0
; FloatMode: 240
; IeeeMode: 1
; LDSByteSize: 0 bytes/workgroup (compile time only)
; SGPRBlocks: 0
; VGPRBlocks: 1
; NumSGPRsForWavesPerEU: 8
; NumVGPRsForWavesPerEU: 15
; Occupancy: 16
; WaveLimiterHint : 1
; COMPUTE_PGM_RSRC2:SCRATCH_EN: 0
; COMPUTE_PGM_RSRC2:USER_SGPR: 2
; COMPUTE_PGM_RSRC2:TRAP_HANDLER: 0
; COMPUTE_PGM_RSRC2:TGID_X_EN: 1
; COMPUTE_PGM_RSRC2:TGID_Y_EN: 0
; COMPUTE_PGM_RSRC2:TGID_Z_EN: 0
; COMPUTE_PGM_RSRC2:TIDIG_COMP_CNT: 0
	.section	.text._ZL21dequantize_block_q5_KIfEvPKvPT_,"axG",@progbits,_ZL21dequantize_block_q5_KIfEvPKvPT_,comdat
	.globl	_ZL21dequantize_block_q5_KIfEvPKvPT_ ; -- Begin function _ZL21dequantize_block_q5_KIfEvPKvPT_
	.p2align	8
	.type	_ZL21dequantize_block_q5_KIfEvPKvPT_,@function
_ZL21dequantize_block_q5_KIfEvPKvPT_:   ; @_ZL21dequantize_block_q5_KIfEvPKvPT_
; %bb.0:
	s_load_b64 s[4:5], s[0:1], 0x0
	v_lshrrev_b32_e32 v4, 4, v0
	s_mov_b32 s2, ttmp9
	s_mov_b32 s3, 0
	v_cmp_lt_u32_e32 vcc_lo, 31, v0
	s_mul_u64 s[2:3], s[2:3], 0xb0
	v_lshlrev_b32_e32 v3, 1, v4
                                        ; implicit-def: $vgpr6
                                        ; implicit-def: $vgpr5
	s_wait_kmcnt 0x0
	s_add_nc_u64 s[2:3], s[4:5], s[2:3]
	s_delay_alu instid0(VALU_DEP_1) | instid1(SALU_CYCLE_1)
	v_add_co_u32 v1, s4, s2, v3
	s_delay_alu instid0(VALU_DEP_1)
	v_add_co_ci_u32_e64 v2, null, s3, 0, s4
	s_and_saveexec_b32 s4, vcc_lo
	s_wait_alu 0xfffe
	s_xor_b32 s4, exec_lo, s4
	s_cbranch_execz .LBB8_2
; %bb.1:
	s_clause 0x2
	global_load_u8 v5, v[1:2], off
	global_load_u8 v6, v[1:2], off offset:4
	global_load_u8 v7, v[1:2], off offset:8
	s_wait_loadcnt 0x2
	v_lshrrev_b16 v5, 2, v5
	s_wait_loadcnt 0x1
	v_lshrrev_b16 v6, 2, v6
	s_wait_loadcnt 0x0
	v_and_b32_e32 v8, 15, v7
	v_lshrrev_b16 v7, 4, v7
	v_and_b32_e32 v5, 48, v5
	v_and_b32_e32 v6, 48, v6
	s_delay_alu instid0(VALU_DEP_2) | instskip(NEXT) | instid1(VALU_DEP_2)
	v_or_b32_e32 v5, v5, v8
	v_or_b32_e32 v6, v6, v7
.LBB8_2:
	s_wait_alu 0xfffe
	s_and_not1_saveexec_b32 s4, s4
	s_cbranch_execz .LBB8_4
; %bb.3:
	s_clause 0x1
	global_load_u8 v5, v[1:2], off offset:4
	global_load_u8 v6, v[1:2], off offset:8
	s_wait_loadcnt 0x1
	v_and_b32_e32 v5, 63, v5
	s_wait_loadcnt 0x0
	v_and_b32_e32 v6, 63, v6
.LBB8_4:
	s_wait_alu 0xfffe
	s_or_b32 exec_lo, exec_lo, s4
	s_load_b32 s4, s[2:3], 0x0
                                        ; implicit-def: $vgpr8
                                        ; implicit-def: $vgpr7
	s_and_saveexec_b32 s5, vcc_lo
	s_wait_alu 0xfffe
	s_xor_b32 s5, exec_lo, s5
	s_cbranch_execz .LBB8_6
; %bb.5:
	s_clause 0x2
	global_load_u8 v7, v[1:2], off offset:1
	global_load_u8 v8, v[1:2], off offset:5
	;; [unrolled: 1-line block ×3, first 2 shown]
	s_wait_loadcnt 0x2
	v_lshrrev_b16 v2, 2, v7
	s_wait_loadcnt 0x1
	v_lshrrev_b16 v7, 2, v8
	s_wait_loadcnt 0x0
	v_and_b32_e32 v8, 15, v1
	v_lshrrev_b16 v1, 4, v1
	v_and_b32_e32 v2, 48, v2
	v_and_b32_e32 v9, 48, v7
	s_delay_alu instid0(VALU_DEP_2) | instskip(NEXT) | instid1(VALU_DEP_2)
	v_or_b32_e32 v7, v2, v8
	v_or_b32_e32 v8, v9, v1
                                        ; implicit-def: $vgpr1_vgpr2
.LBB8_6:
	s_wait_alu 0xfffe
	s_or_saveexec_b32 s5, s5
	s_load_b64 s[0:1], s[0:1], 0x8
	s_xor_b32 exec_lo, exec_lo, s5
	s_cbranch_execz .LBB8_8
; %bb.7:
	s_clause 0x1
	global_load_u8 v7, v[1:2], off offset:5
	global_load_u8 v1, v[1:2], off offset:9
	s_wait_loadcnt 0x1
	v_and_b32_e32 v7, 63, v7
	s_wait_loadcnt 0x0
	v_and_b32_e32 v8, 63, v1
.LBB8_8:
	s_or_b32 exec_lo, exec_lo, s5
	v_lshlrev_b32_e32 v0, 1, v0
	v_lshlrev_b32_e32 v1, 5, v4
	v_lshlrev_b32_e64 v9, v3, 1
	v_lshlrev_b32_e64 v3, v3, 2
	v_and_b32_e32 v7, 0xff, v7
	v_and_b32_e32 v2, 30, v0
	v_add_co_u32 v0, s5, s2, v1
	s_wait_alu 0xf1ff
	v_add_co_ci_u32_e64 v1, null, s3, 0, s5
	v_and_b32_e32 v6, 0xff, v6
	s_delay_alu instid0(VALU_DEP_3) | instskip(NEXT) | instid1(VALU_DEP_1)
	v_add_co_u32 v0, vcc_lo, v0, v2
	v_add_co_ci_u32_e64 v1, null, 0, v1, vcc_lo
	v_and_b32_e32 v5, 0xff, v5
	v_cvt_f16_u16_e32 v7, v7
	s_clause 0x1
	global_load_u16 v0, v[0:1], off offset:48
	global_load_u16 v1, v2, s[2:3] offset:16
	v_and_b32_e32 v8, 0xff, v8
	v_cvt_f16_u16_e32 v6, v6
	v_cvt_f16_u16_e32 v5, v5
	s_mov_b32 s3, 0
	s_lshl_b32 s2, ttmp9, 8
	v_cvt_f16_u16_e32 v8, v8
	s_wait_kmcnt 0x0
	s_lshr_b32 s5, s4, 16
	v_lshlrev_b32_e32 v4, 8, v4
	s_wait_alu 0xfffe
	s_lshl_b64 s[2:3], s[2:3], 2
	v_mul_f16_e32 v6, s5, v6
	v_mul_f16_e32 v5, s4, v5
	s_wait_alu 0xfffe
	s_add_nc_u64 s[0:1], s[0:1], s[2:3]
	v_mul_f16_e32 v8, s5, v8
	v_add_co_u32 v4, s0, s0, v4
	v_lshlrev_b32_e32 v2, 2, v2
	s_wait_alu 0xf1ff
	v_add_co_ci_u32_e64 v10, null, s1, 0, s0
	s_wait_loadcnt 0x1
	v_lshrrev_b16 v11, 8, v0
	s_wait_loadcnt 0x0
	v_lshrrev_b16 v12, 8, v1
	v_and_b32_e32 v1, 0xff, v1
	v_lshrrev_b16 v14, 4, v0
	v_and_b32_e32 v13, 15, v0
	v_and_b32_e32 v11, 15, v11
	;; [unrolled: 1-line block ×5, first 2 shown]
	v_lshrrev_b16 v0, 12, v0
	v_and_b32_e32 v14, 15, v14
	v_and_b32_e32 v9, v9, v12
	v_cmp_eq_u32_e32 vcc_lo, 0, v15
	v_and_b32_e32 v3, v3, v12
	s_wait_alu 0xfffd
	v_cndmask_b32_e64 v15, 16, 0, vcc_lo
	v_cmp_eq_u32_e32 vcc_lo, 0, v1
	s_delay_alu instid0(VALU_DEP_2) | instskip(SKIP_3) | instid1(VALU_DEP_2)
	v_or_b32_e32 v12, v15, v13
	s_wait_alu 0xfffd
	v_cndmask_b32_e64 v1, 16, 0, vcc_lo
	v_cmp_eq_u32_e32 vcc_lo, 0, v9
	v_or_b32_e32 v1, v1, v14
	s_wait_alu 0xfffd
	v_cndmask_b32_e64 v9, 16, 0, vcc_lo
	v_cmp_eq_u32_e32 vcc_lo, 0, v3
	s_delay_alu instid0(VALU_DEP_3) | instskip(NEXT) | instid1(VALU_DEP_3)
	v_cvt_f32_ubyte0_e32 v1, v1
	v_or_b32_e32 v9, v9, v11
	s_wait_alu 0xfffd
	v_cndmask_b32_e64 v3, 16, 0, vcc_lo
	s_delay_alu instid0(VALU_DEP_3) | instskip(NEXT) | instid1(VALU_DEP_3)
	v_cvt_f16_f32_e32 v1, v1
	v_cvt_f32_ubyte0_e32 v9, v9
	s_delay_alu instid0(VALU_DEP_3) | instskip(SKIP_2) | instid1(VALU_DEP_4)
	v_or_b32_e32 v0, v3, v0
	v_mul_f16_e32 v3, s4, v7
	v_cvt_f32_ubyte0_e32 v7, v12
	v_cvt_f16_f32_e32 v9, v9
	s_delay_alu instid0(VALU_DEP_4) | instskip(NEXT) | instid1(VALU_DEP_4)
	v_cvt_f32_ubyte0_e32 v0, v0
	v_fma_f16 v11, v3, v1, -v8
	s_delay_alu instid0(VALU_DEP_4) | instskip(NEXT) | instid1(VALU_DEP_3)
	v_cvt_f16_f32_e32 v7, v7
	v_cvt_f16_f32_e32 v0, v0
	s_delay_alu instid0(VALU_DEP_2) | instskip(SKIP_1) | instid1(VALU_DEP_3)
	v_fma_f16 v7, v5, v7, -v6
	v_fma_f16 v5, v5, v9, -v6
	;; [unrolled: 1-line block ×3, first 2 shown]
	v_add_co_u32 v0, vcc_lo, v4, v2
	s_wait_alu 0xfffd
	v_add_co_ci_u32_e64 v1, null, 0, v10, vcc_lo
	v_cvt_f32_f16_e32 v2, v7
	v_cvt_f32_f16_e32 v3, v5
	;; [unrolled: 1-line block ×4, first 2 shown]
	s_clause 0x1
	global_store_b64 v[0:1], v[2:3], off
	global_store_b64 v[0:1], v[4:5], off offset:128
	s_endpgm
	.section	.rodata,"a",@progbits
	.p2align	6, 0x0
	.amdhsa_kernel _ZL21dequantize_block_q5_KIfEvPKvPT_
		.amdhsa_group_segment_fixed_size 0
		.amdhsa_private_segment_fixed_size 0
		.amdhsa_kernarg_size 16
		.amdhsa_user_sgpr_count 2
		.amdhsa_user_sgpr_dispatch_ptr 0
		.amdhsa_user_sgpr_queue_ptr 0
		.amdhsa_user_sgpr_kernarg_segment_ptr 1
		.amdhsa_user_sgpr_dispatch_id 0
		.amdhsa_user_sgpr_private_segment_size 0
		.amdhsa_wavefront_size32 1
		.amdhsa_uses_dynamic_stack 0
		.amdhsa_enable_private_segment 0
		.amdhsa_system_sgpr_workgroup_id_x 1
		.amdhsa_system_sgpr_workgroup_id_y 0
		.amdhsa_system_sgpr_workgroup_id_z 0
		.amdhsa_system_sgpr_workgroup_info 0
		.amdhsa_system_vgpr_workitem_id 0
		.amdhsa_next_free_vgpr 16
		.amdhsa_next_free_sgpr 6
		.amdhsa_reserve_vcc 1
		.amdhsa_float_round_mode_32 0
		.amdhsa_float_round_mode_16_64 0
		.amdhsa_float_denorm_mode_32 3
		.amdhsa_float_denorm_mode_16_64 3
		.amdhsa_fp16_overflow 0
		.amdhsa_workgroup_processor_mode 1
		.amdhsa_memory_ordered 1
		.amdhsa_forward_progress 1
		.amdhsa_inst_pref_size 8
		.amdhsa_round_robin_scheduling 0
		.amdhsa_exception_fp_ieee_invalid_op 0
		.amdhsa_exception_fp_denorm_src 0
		.amdhsa_exception_fp_ieee_div_zero 0
		.amdhsa_exception_fp_ieee_overflow 0
		.amdhsa_exception_fp_ieee_underflow 0
		.amdhsa_exception_fp_ieee_inexact 0
		.amdhsa_exception_int_div_zero 0
	.end_amdhsa_kernel
	.section	.text._ZL21dequantize_block_q5_KIfEvPKvPT_,"axG",@progbits,_ZL21dequantize_block_q5_KIfEvPKvPT_,comdat
.Lfunc_end8:
	.size	_ZL21dequantize_block_q5_KIfEvPKvPT_, .Lfunc_end8-_ZL21dequantize_block_q5_KIfEvPKvPT_
                                        ; -- End function
	.set _ZL21dequantize_block_q5_KIfEvPKvPT_.num_vgpr, 16
	.set _ZL21dequantize_block_q5_KIfEvPKvPT_.num_agpr, 0
	.set _ZL21dequantize_block_q5_KIfEvPKvPT_.numbered_sgpr, 6
	.set _ZL21dequantize_block_q5_KIfEvPKvPT_.num_named_barrier, 0
	.set _ZL21dequantize_block_q5_KIfEvPKvPT_.private_seg_size, 0
	.set _ZL21dequantize_block_q5_KIfEvPKvPT_.uses_vcc, 1
	.set _ZL21dequantize_block_q5_KIfEvPKvPT_.uses_flat_scratch, 0
	.set _ZL21dequantize_block_q5_KIfEvPKvPT_.has_dyn_sized_stack, 0
	.set _ZL21dequantize_block_q5_KIfEvPKvPT_.has_recursion, 0
	.set _ZL21dequantize_block_q5_KIfEvPKvPT_.has_indirect_call, 0
	.section	.AMDGPU.csdata,"",@progbits
; Kernel info:
; codeLenInByte = 988
; TotalNumSgprs: 8
; NumVgprs: 16
; ScratchSize: 0
; MemoryBound: 0
; FloatMode: 240
; IeeeMode: 1
; LDSByteSize: 0 bytes/workgroup (compile time only)
; SGPRBlocks: 0
; VGPRBlocks: 1
; NumSGPRsForWavesPerEU: 8
; NumVGPRsForWavesPerEU: 16
; Occupancy: 16
; WaveLimiterHint : 1
; COMPUTE_PGM_RSRC2:SCRATCH_EN: 0
; COMPUTE_PGM_RSRC2:USER_SGPR: 2
; COMPUTE_PGM_RSRC2:TRAP_HANDLER: 0
; COMPUTE_PGM_RSRC2:TGID_X_EN: 1
; COMPUTE_PGM_RSRC2:TGID_Y_EN: 0
; COMPUTE_PGM_RSRC2:TGID_Z_EN: 0
; COMPUTE_PGM_RSRC2:TIDIG_COMP_CNT: 0
	.section	.text._ZL21dequantize_block_q6_KIfEvPKvPT_,"axG",@progbits,_ZL21dequantize_block_q6_KIfEvPKvPT_,comdat
	.globl	_ZL21dequantize_block_q6_KIfEvPKvPT_ ; -- Begin function _ZL21dequantize_block_q6_KIfEvPKvPT_
	.p2align	8
	.type	_ZL21dequantize_block_q6_KIfEvPKvPT_,@function
_ZL21dequantize_block_q6_KIfEvPKvPT_:   ; @_ZL21dequantize_block_q6_KIfEvPKvPT_
; %bb.0:
	s_load_b128 s[0:3], s[0:1], 0x0
	v_lshrrev_b32_e32 v3, 5, v0
	s_lshl_b32 s6, ttmp9, 8
	s_mov_b32 s7, 0
	v_dual_mov_b32 v9, 0 :: v_dual_and_b32 v4, 31, v0
	s_lshl_b64 s[4:5], s[6:7], 2
	s_mov_b32 s6, ttmp9
	v_lshlrev_b32_e32 v1, 6, v3
	s_mul_u64 s[6:7], s[6:7], 0xd2
	s_wait_kmcnt 0x0
	s_add_nc_u64 s[0:1], s[0:1], s[6:7]
	s_delay_alu instid0(VALU_DEP_1) | instid1(SALU_CYCLE_1)
	v_add_co_u32 v1, s6, s0, v1
	s_delay_alu instid0(VALU_DEP_1) | instskip(SKIP_2) | instid1(VALU_DEP_1)
	v_add_co_ci_u32_e64 v2, null, s1, 0, s6
	global_load_u8 v5, v0, s[0:1] offset:128
	v_add_co_u32 v1, vcc_lo, v1, v4
	v_add_co_ci_u32_e64 v2, null, 0, v2, vcc_lo
	v_bfe_u32 v0, v0, 4, 1
	s_clause 0x1
	global_load_u8 v6, v[1:2], off
	global_load_u8 v1, v[1:2], off offset:32
	v_lshl_or_b32 v0, v3, 3, v0
	s_clause 0x4
	global_load_i8 v2, v0, s[0:1] offset:192
	global_load_i8 v7, v0, s[0:1] offset:194
	;; [unrolled: 1-line block ×4, first 2 shown]
	global_load_u16 v9, v9, s[0:1] offset:208
	v_lshlrev_b32_e32 v3, 9, v3
	s_add_nc_u64 s[0:1], s[2:3], s[4:5]
	s_wait_alu 0xfffe
	s_delay_alu instid0(VALU_DEP_1)
	v_add_co_u32 v3, s0, s0, v3
	s_wait_loadcnt 0x7
	v_lshlrev_b16 v10, 4, v5
	v_lshlrev_b16 v11, 2, v5
	v_lshrrev_b16 v12, 2, v5
	v_and_b32_e32 v5, 48, v5
	s_delay_alu instid0(VALU_DEP_4) | instskip(NEXT) | instid1(VALU_DEP_4)
	v_and_b32_e32 v10, 48, v10
	v_and_b32_e32 v11, 48, v11
	s_wait_loadcnt 0x6
	v_and_b32_e32 v13, 15, v6
	s_wait_loadcnt 0x5
	v_and_b32_e32 v14, 15, v1
	v_lshrrev_b16 v6, 4, v6
	v_and_b32_e32 v12, 48, v12
	v_lshrrev_b16 v1, 4, v1
	v_or_b32_e32 v10, v13, v10
	v_or_b32_e32 v11, v14, v11
	v_or_b32_e32 v5, v6, v5
	s_delay_alu instid0(VALU_DEP_4) | instskip(NEXT) | instid1(VALU_DEP_4)
	v_or_b32_e32 v1, v1, v12
	v_and_b32_e32 v6, 0xffff, v10
	s_delay_alu instid0(VALU_DEP_4) | instskip(NEXT) | instid1(VALU_DEP_4)
	v_and_b32_e32 v10, 0xffff, v11
	v_and_b32_e32 v5, 0xffff, v5
	s_delay_alu instid0(VALU_DEP_4) | instskip(NEXT) | instid1(VALU_DEP_4)
	v_and_b32_e32 v1, 0xffff, v1
	v_subrev_nc_u32_e32 v6, 32, v6
	s_delay_alu instid0(VALU_DEP_4) | instskip(NEXT) | instid1(VALU_DEP_4)
	v_subrev_nc_u32_e32 v10, 32, v10
	v_subrev_nc_u32_e32 v5, 32, v5
	s_delay_alu instid0(VALU_DEP_4)
	v_subrev_nc_u32_e32 v1, 32, v1
	s_wait_loadcnt 0x4
	v_mul_i32_i24_e32 v2, v6, v2
	s_wait_loadcnt 0x3
	v_mul_i32_i24_e32 v6, v10, v7
	s_wait_loadcnt 0x2
	v_mul_i32_i24_e32 v5, v5, v8
	s_wait_loadcnt 0x1
	v_mul_i32_i24_e32 v0, v1, v0
	v_cvt_f32_i32_e32 v2, v2
	v_lshlrev_b32_e32 v1, 2, v4
	v_cvt_f32_i32_e32 v4, v6
	v_cvt_f32_i32_e32 v5, v5
	;; [unrolled: 1-line block ×3, first 2 shown]
	v_cvt_f16_f32_e32 v2, v2
	s_wait_alu 0xf1ff
	v_add_co_ci_u32_e64 v6, null, s1, 0, s0
	v_cvt_f16_f32_e32 v4, v4
	v_cvt_f16_f32_e32 v5, v5
	;; [unrolled: 1-line block ×3, first 2 shown]
	s_wait_loadcnt 0x0
	v_mul_f16_e32 v2, v9, v2
	v_mul_f16_e32 v4, v9, v4
	;; [unrolled: 1-line block ×4, first 2 shown]
	v_add_co_u32 v0, vcc_lo, v3, v1
	s_wait_alu 0xfffd
	v_add_co_ci_u32_e64 v1, null, 0, v6, vcc_lo
	v_cvt_f32_f16_e32 v2, v2
	v_cvt_f32_f16_e32 v3, v4
	;; [unrolled: 1-line block ×4, first 2 shown]
	s_clause 0x3
	global_store_b32 v[0:1], v2, off
	global_store_b32 v[0:1], v3, off offset:128
	global_store_b32 v[0:1], v4, off offset:256
	;; [unrolled: 1-line block ×3, first 2 shown]
	s_endpgm
	.section	.rodata,"a",@progbits
	.p2align	6, 0x0
	.amdhsa_kernel _ZL21dequantize_block_q6_KIfEvPKvPT_
		.amdhsa_group_segment_fixed_size 0
		.amdhsa_private_segment_fixed_size 0
		.amdhsa_kernarg_size 16
		.amdhsa_user_sgpr_count 2
		.amdhsa_user_sgpr_dispatch_ptr 0
		.amdhsa_user_sgpr_queue_ptr 0
		.amdhsa_user_sgpr_kernarg_segment_ptr 1
		.amdhsa_user_sgpr_dispatch_id 0
		.amdhsa_user_sgpr_private_segment_size 0
		.amdhsa_wavefront_size32 1
		.amdhsa_uses_dynamic_stack 0
		.amdhsa_enable_private_segment 0
		.amdhsa_system_sgpr_workgroup_id_x 1
		.amdhsa_system_sgpr_workgroup_id_y 0
		.amdhsa_system_sgpr_workgroup_id_z 0
		.amdhsa_system_sgpr_workgroup_info 0
		.amdhsa_system_vgpr_workitem_id 0
		.amdhsa_next_free_vgpr 15
		.amdhsa_next_free_sgpr 8
		.amdhsa_reserve_vcc 1
		.amdhsa_float_round_mode_32 0
		.amdhsa_float_round_mode_16_64 0
		.amdhsa_float_denorm_mode_32 3
		.amdhsa_float_denorm_mode_16_64 3
		.amdhsa_fp16_overflow 0
		.amdhsa_workgroup_processor_mode 1
		.amdhsa_memory_ordered 1
		.amdhsa_forward_progress 1
		.amdhsa_inst_pref_size 5
		.amdhsa_round_robin_scheduling 0
		.amdhsa_exception_fp_ieee_invalid_op 0
		.amdhsa_exception_fp_denorm_src 0
		.amdhsa_exception_fp_ieee_div_zero 0
		.amdhsa_exception_fp_ieee_overflow 0
		.amdhsa_exception_fp_ieee_underflow 0
		.amdhsa_exception_fp_ieee_inexact 0
		.amdhsa_exception_int_div_zero 0
	.end_amdhsa_kernel
	.section	.text._ZL21dequantize_block_q6_KIfEvPKvPT_,"axG",@progbits,_ZL21dequantize_block_q6_KIfEvPKvPT_,comdat
.Lfunc_end9:
	.size	_ZL21dequantize_block_q6_KIfEvPKvPT_, .Lfunc_end9-_ZL21dequantize_block_q6_KIfEvPKvPT_
                                        ; -- End function
	.set _ZL21dequantize_block_q6_KIfEvPKvPT_.num_vgpr, 15
	.set _ZL21dequantize_block_q6_KIfEvPKvPT_.num_agpr, 0
	.set _ZL21dequantize_block_q6_KIfEvPKvPT_.numbered_sgpr, 8
	.set _ZL21dequantize_block_q6_KIfEvPKvPT_.num_named_barrier, 0
	.set _ZL21dequantize_block_q6_KIfEvPKvPT_.private_seg_size, 0
	.set _ZL21dequantize_block_q6_KIfEvPKvPT_.uses_vcc, 1
	.set _ZL21dequantize_block_q6_KIfEvPKvPT_.uses_flat_scratch, 0
	.set _ZL21dequantize_block_q6_KIfEvPKvPT_.has_dyn_sized_stack, 0
	.set _ZL21dequantize_block_q6_KIfEvPKvPT_.has_recursion, 0
	.set _ZL21dequantize_block_q6_KIfEvPKvPT_.has_indirect_call, 0
	.section	.AMDGPU.csdata,"",@progbits
; Kernel info:
; codeLenInByte = 596
; TotalNumSgprs: 10
; NumVgprs: 15
; ScratchSize: 0
; MemoryBound: 0
; FloatMode: 240
; IeeeMode: 1
; LDSByteSize: 0 bytes/workgroup (compile time only)
; SGPRBlocks: 0
; VGPRBlocks: 1
; NumSGPRsForWavesPerEU: 10
; NumVGPRsForWavesPerEU: 15
; Occupancy: 16
; WaveLimiterHint : 0
; COMPUTE_PGM_RSRC2:SCRATCH_EN: 0
; COMPUTE_PGM_RSRC2:USER_SGPR: 2
; COMPUTE_PGM_RSRC2:TRAP_HANDLER: 0
; COMPUTE_PGM_RSRC2:TGID_X_EN: 1
; COMPUTE_PGM_RSRC2:TGID_Y_EN: 0
; COMPUTE_PGM_RSRC2:TGID_Z_EN: 0
; COMPUTE_PGM_RSRC2:TIDIG_COMP_CNT: 0
	.section	.text._ZL24dequantize_block_iq2_xxsIfEvPKvPT_,"axG",@progbits,_ZL24dequantize_block_iq2_xxsIfEvPKvPT_,comdat
	.globl	_ZL24dequantize_block_iq2_xxsIfEvPKvPT_ ; -- Begin function _ZL24dequantize_block_iq2_xxsIfEvPKvPT_
	.p2align	8
	.type	_ZL24dequantize_block_iq2_xxsIfEvPKvPT_,@function
_ZL24dequantize_block_iq2_xxsIfEvPKvPT_: ; @_ZL24dequantize_block_iq2_xxsIfEvPKvPT_
; %bb.0:
	s_load_b128 s[0:3], s[0:1], 0x0
	v_dual_mov_b32 v6, 0 :: v_dual_and_b32 v3, 7, v0
	s_lshl_b32 s4, ttmp9, 8
	s_mov_b32 s5, 0
	v_lshrrev_b32_e32 v5, 3, v0
	s_lshl_b64 s[6:7], s[4:5], 2
	s_mov_b32 s4, ttmp9
	v_lshlrev_b32_e32 v4, 3, v3
	s_mul_u64 s[4:5], s[4:5], 0x42
	v_and_b32_e32 v0, 0x3f8, v0
	s_delay_alu instid0(VALU_DEP_1) | instskip(SKIP_2) | instid1(SALU_CYCLE_1)
	v_lshlrev_b32_e32 v0, 2, v0
	s_wait_kmcnt 0x0
	s_add_nc_u64 s[0:1], s[0:1], s[4:5]
	v_add_co_u32 v1, s4, s0, v4
	s_delay_alu instid0(VALU_DEP_1) | instskip(NEXT) | instid1(VALU_DEP_2)
	v_add_co_ci_u32_e64 v2, null, s1, 0, s4
	v_add_co_u32 v1, vcc_lo, v1, v5
	s_delay_alu instid0(VALU_DEP_1)
	v_add_co_ci_u32_e64 v2, null, 0, v2, vcc_lo
	s_clause 0x2
	global_load_u8 v1, v[1:2], off offset:2
	global_load_u16 v6, v6, s[0:1]
	global_load_b32 v4, v4, s[0:1] offset:6
	v_mul_u32_u24_e32 v2, 7, v5
	s_getpc_b64 s[0:1]
	s_wait_alu 0xfffe
	s_sext_i32_i16 s1, s1
	s_add_co_u32 s0, s0, _ZL11iq2xxs_grid@rel32@lo+12
	s_wait_alu 0xfffe
	s_add_co_ci_u32 s1, s1, _ZL11iq2xxs_grid@rel32@hi+24
	s_getpc_b64 s[4:5]
	s_wait_alu 0xfffe
	s_sext_i32_i16 s5, s5
	s_add_co_u32 s4, s4, _ZL12ksigns_iq2xs@rel32@lo+12
	s_wait_alu 0xfffe
	s_add_co_ci_u32 s5, s5, _ZL12ksigns_iq2xs@rel32@hi+24
	s_wait_loadcnt 0x1
	v_cvt_f32_f16_e32 v5, v6
	s_wait_loadcnt 0x0
	v_bfe_u32 v7, v4, v2, 7
	v_lshrrev_b32_e32 v4, 28, v4
	s_delay_alu instid0(VALU_DEP_1) | instskip(NEXT) | instid1(VALU_DEP_1)
	v_cvt_f32_ubyte0_e32 v4, v4
	v_dual_add_f32 v4, 0.5, v4 :: v_dual_lshlrev_b32 v1, 3, v1
	global_load_b64 v[1:2], v1, s[0:1]
	global_load_i8 v10, v7, s[4:5]
	v_lshlrev_b32_e32 v3, 7, v3
	s_add_nc_u64 s[0:1], s[2:3], s[6:7]
	v_mul_f32_e32 v4, v4, v5
	s_wait_alu 0xfffe
	s_delay_alu instid0(VALU_DEP_2) | instskip(SKIP_2) | instid1(VALU_DEP_2)
	v_add_co_u32 v3, s0, s0, v3
	s_wait_alu 0xf1ff
	v_add_co_ci_u32_e64 v6, null, s1, 0, s0
	v_add_co_u32 v8, vcc_lo, v3, v0
	v_mul_f32_e32 v0, 0x3e800000, v4
	s_wait_alu 0xfffd
	s_delay_alu instid0(VALU_DEP_3)
	v_add_co_ci_u32_e64 v9, null, 0, v6, vcc_lo
	s_wait_loadcnt 0x1
	v_cvt_f32_ubyte0_e32 v3, v1
	s_wait_loadcnt 0x0
	v_and_b32_e32 v13, 8, v10
	v_and_b32_e32 v4, 1, v10
	v_cvt_f32_ubyte1_e32 v5, v1
	v_cvt_f32_ubyte2_e32 v11, v1
	v_and_b32_e32 v6, 2, v10
	v_cvt_f32_ubyte3_e32 v1, v1
	v_cvt_f32_ubyte0_e32 v14, v2
	v_cvt_f32_ubyte1_e32 v16, v2
	v_cvt_f32_ubyte2_e32 v18, v2
	v_cvt_f32_ubyte3_e32 v2, v2
	v_mul_f32_e32 v3, v0, v3
	v_cmp_eq_u16_e32 vcc_lo, 0, v4
	v_dual_mul_f32 v19, v0, v1 :: v_dual_and_b32 v12, 4, v10
	v_dual_mul_f32 v16, v0, v16 :: v_dual_and_b32 v15, 16, v10
	v_mul_f32_e32 v5, v0, v5
	v_mul_f32_e32 v11, v0, v11
	;; [unrolled: 1-line block ×5, first 2 shown]
	s_wait_alu 0xfffd
	v_cndmask_b32_e64 v0, -v3, v3, vcc_lo
	v_cmp_eq_u16_e32 vcc_lo, 0, v6
	v_and_b32_e32 v17, 32, v10
	s_wait_alu 0xfffd
	v_cndmask_b32_e64 v1, -v5, v5, vcc_lo
	v_cmp_eq_u16_e32 vcc_lo, 0, v12
	s_wait_alu 0xfffd
	v_cndmask_b32_e64 v2, -v11, v11, vcc_lo
	v_cmp_eq_u16_e32 vcc_lo, 0, v13
	;; [unrolled: 3-line block ×4, first 2 shown]
	s_wait_alu 0xfffd
	v_cndmask_b32_e64 v5, -v16, v16, vcc_lo
	v_cmp_gt_u32_e32 vcc_lo, 64, v7
	s_wait_alu 0xfffd
	v_cndmask_b32_e64 v6, -v18, v18, vcc_lo
	v_cmp_gt_i16_e32 vcc_lo, 0, v10
	s_wait_alu 0xfffd
	v_cndmask_b32_e64 v7, v20, -v20, vcc_lo
	s_clause 0x1
	global_store_b128 v[8:9], v[0:3], off
	global_store_b128 v[8:9], v[4:7], off offset:16
	s_endpgm
	.section	.rodata,"a",@progbits
	.p2align	6, 0x0
	.amdhsa_kernel _ZL24dequantize_block_iq2_xxsIfEvPKvPT_
		.amdhsa_group_segment_fixed_size 0
		.amdhsa_private_segment_fixed_size 0
		.amdhsa_kernarg_size 16
		.amdhsa_user_sgpr_count 2
		.amdhsa_user_sgpr_dispatch_ptr 0
		.amdhsa_user_sgpr_queue_ptr 0
		.amdhsa_user_sgpr_kernarg_segment_ptr 1
		.amdhsa_user_sgpr_dispatch_id 0
		.amdhsa_user_sgpr_private_segment_size 0
		.amdhsa_wavefront_size32 1
		.amdhsa_uses_dynamic_stack 0
		.amdhsa_enable_private_segment 0
		.amdhsa_system_sgpr_workgroup_id_x 1
		.amdhsa_system_sgpr_workgroup_id_y 0
		.amdhsa_system_sgpr_workgroup_id_z 0
		.amdhsa_system_sgpr_workgroup_info 0
		.amdhsa_system_vgpr_workitem_id 0
		.amdhsa_next_free_vgpr 21
		.amdhsa_next_free_sgpr 8
		.amdhsa_reserve_vcc 1
		.amdhsa_float_round_mode_32 0
		.amdhsa_float_round_mode_16_64 0
		.amdhsa_float_denorm_mode_32 3
		.amdhsa_float_denorm_mode_16_64 3
		.amdhsa_fp16_overflow 0
		.amdhsa_workgroup_processor_mode 1
		.amdhsa_memory_ordered 1
		.amdhsa_forward_progress 1
		.amdhsa_inst_pref_size 5
		.amdhsa_round_robin_scheduling 0
		.amdhsa_exception_fp_ieee_invalid_op 0
		.amdhsa_exception_fp_denorm_src 0
		.amdhsa_exception_fp_ieee_div_zero 0
		.amdhsa_exception_fp_ieee_overflow 0
		.amdhsa_exception_fp_ieee_underflow 0
		.amdhsa_exception_fp_ieee_inexact 0
		.amdhsa_exception_int_div_zero 0
	.end_amdhsa_kernel
	.section	.text._ZL24dequantize_block_iq2_xxsIfEvPKvPT_,"axG",@progbits,_ZL24dequantize_block_iq2_xxsIfEvPKvPT_,comdat
.Lfunc_end10:
	.size	_ZL24dequantize_block_iq2_xxsIfEvPKvPT_, .Lfunc_end10-_ZL24dequantize_block_iq2_xxsIfEvPKvPT_
                                        ; -- End function
	.set _ZL24dequantize_block_iq2_xxsIfEvPKvPT_.num_vgpr, 21
	.set _ZL24dequantize_block_iq2_xxsIfEvPKvPT_.num_agpr, 0
	.set _ZL24dequantize_block_iq2_xxsIfEvPKvPT_.numbered_sgpr, 8
	.set _ZL24dequantize_block_iq2_xxsIfEvPKvPT_.num_named_barrier, 0
	.set _ZL24dequantize_block_iq2_xxsIfEvPKvPT_.private_seg_size, 0
	.set _ZL24dequantize_block_iq2_xxsIfEvPKvPT_.uses_vcc, 1
	.set _ZL24dequantize_block_iq2_xxsIfEvPKvPT_.uses_flat_scratch, 0
	.set _ZL24dequantize_block_iq2_xxsIfEvPKvPT_.has_dyn_sized_stack, 0
	.set _ZL24dequantize_block_iq2_xxsIfEvPKvPT_.has_recursion, 0
	.set _ZL24dequantize_block_iq2_xxsIfEvPKvPT_.has_indirect_call, 0
	.section	.AMDGPU.csdata,"",@progbits
; Kernel info:
; codeLenInByte = 612
; TotalNumSgprs: 10
; NumVgprs: 21
; ScratchSize: 0
; MemoryBound: 0
; FloatMode: 240
; IeeeMode: 1
; LDSByteSize: 0 bytes/workgroup (compile time only)
; SGPRBlocks: 0
; VGPRBlocks: 2
; NumSGPRsForWavesPerEU: 10
; NumVGPRsForWavesPerEU: 21
; Occupancy: 16
; WaveLimiterHint : 0
; COMPUTE_PGM_RSRC2:SCRATCH_EN: 0
; COMPUTE_PGM_RSRC2:USER_SGPR: 2
; COMPUTE_PGM_RSRC2:TRAP_HANDLER: 0
; COMPUTE_PGM_RSRC2:TGID_X_EN: 1
; COMPUTE_PGM_RSRC2:TGID_Y_EN: 0
; COMPUTE_PGM_RSRC2:TGID_Z_EN: 0
; COMPUTE_PGM_RSRC2:TIDIG_COMP_CNT: 0
	.section	.text._ZL23dequantize_block_iq2_xsIfEvPKvPT_,"axG",@progbits,_ZL23dequantize_block_iq2_xsIfEvPKvPT_,comdat
	.globl	_ZL23dequantize_block_iq2_xsIfEvPKvPT_ ; -- Begin function _ZL23dequantize_block_iq2_xsIfEvPKvPT_
	.p2align	8
	.type	_ZL23dequantize_block_iq2_xsIfEvPKvPT_,@function
_ZL23dequantize_block_iq2_xsIfEvPKvPT_: ; @_ZL23dequantize_block_iq2_xsIfEvPKvPT_
; %bb.0:
	s_load_b128 s[0:3], s[0:1], 0x0
	v_and_b32_e32 v3, 7, v0
	s_lshl_b32 s4, ttmp9, 8
	s_mov_b32 s5, 0
	v_lshrrev_b32_e32 v4, 2, v0
	s_lshl_b64 s[6:7], s[4:5], 2
	s_mov_b32 s4, ttmp9
	v_lshlrev_b32_e32 v1, 3, v3
	s_mul_u64 s[4:5], s[4:5], 0x4a
	v_and_b32_e32 v2, 0xfe, v4
	v_and_b32_e32 v4, 0xfc, v4
	;; [unrolled: 1-line block ×3, first 2 shown]
	s_delay_alu instid0(VALU_DEP_1) | instskip(SKIP_2) | instid1(SALU_CYCLE_1)
	v_lshlrev_b32_e32 v0, 2, v0
	s_wait_kmcnt 0x0
	s_add_nc_u64 s[0:1], s[0:1], s[4:5]
	v_add_co_u32 v1, s4, s0, v1
	s_delay_alu instid0(VALU_DEP_1) | instskip(NEXT) | instid1(VALU_DEP_2)
	v_add_co_ci_u32_e64 v5, null, s1, 0, s4
	v_add_co_u32 v1, vcc_lo, v1, v2
	s_delay_alu instid0(VALU_DEP_1)
	v_add_co_ci_u32_e64 v2, null, 0, v5, vcc_lo
	global_load_u16 v6, v[1:2], off offset:2
	v_mov_b32_e32 v1, 0
	s_clause 0x1
	global_load_u16 v5, v1, s[0:1]
	global_load_u8 v7, v3, s[0:1] offset:66
	s_getpc_b64 s[0:1]
	s_wait_alu 0xfffe
	s_sext_i32_i16 s1, s1
	s_add_co_u32 s0, s0, _ZL12ksigns_iq2xs@rel32@lo+12
	s_wait_alu 0xfffe
	s_add_co_ci_u32 s1, s1, _ZL12ksigns_iq2xs@rel32@hi+24
	s_getpc_b64 s[4:5]
	s_wait_alu 0xfffe
	s_sext_i32_i16 s5, s5
	s_add_co_u32 s4, s4, _ZL10iq2xs_grid@rel32@lo+12
	s_wait_alu 0xfffe
	s_add_co_ci_u32 s5, s5, _ZL10iq2xs_grid@rel32@hi+24
	s_wait_loadcnt 0x2
	v_and_b32_e32 v1, 0xffff, v6
	s_wait_loadcnt 0x1
	v_cvt_f32_f16_e32 v5, v5
	s_wait_loadcnt 0x0
	v_bfe_u32 v4, v7, v4, 4
	v_lshrrev_b32_e32 v1, 9, v1
	s_delay_alu instid0(VALU_DEP_2) | instskip(SKIP_3) | instid1(VALU_DEP_1)
	v_cvt_f32_ubyte0_e32 v4, v4
	global_load_i8 v10, v1, s[0:1]
	s_add_nc_u64 s[0:1], s[2:3], s[6:7]
	v_add_f32_e32 v4, 0.5, v4
	v_dual_mul_f32 v4, v4, v5 :: v_dual_lshlrev_b32 v3, 7, v3
	s_wait_alu 0xfffe
	s_delay_alu instid0(VALU_DEP_1) | instskip(SKIP_2) | instid1(VALU_DEP_2)
	v_add_co_u32 v3, s0, s0, v3
	s_wait_alu 0xf1ff
	v_add_co_ci_u32_e64 v7, null, s1, 0, s0
	v_add_co_u32 v8, vcc_lo, v3, v0
	v_mul_f32_e32 v0, 0x3e800000, v4
	v_and_b32_e32 v2, 0x1ff, v6
	s_wait_alu 0xfffd
	v_add_co_ci_u32_e64 v9, null, 0, v7, vcc_lo
	s_delay_alu instid0(VALU_DEP_2) | instskip(NEXT) | instid1(VALU_DEP_1)
	v_and_b32_e32 v2, 0xffff, v2
	v_lshlrev_b32_e32 v1, 3, v2
	global_load_b64 v[1:2], v1, s[4:5]
	s_wait_loadcnt 0x1
	v_and_b32_e32 v3, 1, v10
	v_and_b32_e32 v5, 4, v10
	;; [unrolled: 1-line block ×5, first 2 shown]
	v_cmp_eq_u16_e32 vcc_lo, 0, v3
	s_wait_loadcnt 0x0
	v_cvt_f32_ubyte0_e32 v13, v1
	v_cvt_f32_ubyte1_e32 v14, v1
	v_cvt_f32_ubyte2_e32 v15, v1
	v_cvt_f32_ubyte3_e32 v1, v1
	v_cvt_f32_ubyte0_e32 v16, v2
	v_cvt_f32_ubyte1_e32 v17, v2
	v_and_b32_e32 v4, 2, v10
	v_cvt_f32_ubyte2_e32 v18, v2
	v_cvt_f32_ubyte3_e32 v2, v2
	v_mul_f32_e32 v13, v0, v13
	v_mul_f32_e32 v14, v0, v14
	;; [unrolled: 1-line block ×8, first 2 shown]
	s_wait_alu 0xfffd
	v_cndmask_b32_e64 v0, -v13, v13, vcc_lo
	v_cmp_eq_u16_e32 vcc_lo, 0, v4
	s_wait_alu 0xfffd
	v_cndmask_b32_e64 v1, -v14, v14, vcc_lo
	v_cmp_eq_u16_e32 vcc_lo, 0, v5
	;; [unrolled: 3-line block ×5, first 2 shown]
	s_wait_alu 0xfffd
	v_cndmask_b32_e64 v5, -v17, v17, vcc_lo
	v_cmp_gt_i16_e32 vcc_lo, 0, v6
	s_wait_alu 0xfffd
	v_cndmask_b32_e64 v6, v18, -v18, vcc_lo
	v_cmp_gt_i16_e32 vcc_lo, 0, v10
	s_wait_alu 0xfffd
	v_cndmask_b32_e64 v7, v20, -v20, vcc_lo
	s_clause 0x1
	global_store_b128 v[8:9], v[0:3], off
	global_store_b128 v[8:9], v[4:7], off offset:16
	s_endpgm
	.section	.rodata,"a",@progbits
	.p2align	6, 0x0
	.amdhsa_kernel _ZL23dequantize_block_iq2_xsIfEvPKvPT_
		.amdhsa_group_segment_fixed_size 0
		.amdhsa_private_segment_fixed_size 0
		.amdhsa_kernarg_size 16
		.amdhsa_user_sgpr_count 2
		.amdhsa_user_sgpr_dispatch_ptr 0
		.amdhsa_user_sgpr_queue_ptr 0
		.amdhsa_user_sgpr_kernarg_segment_ptr 1
		.amdhsa_user_sgpr_dispatch_id 0
		.amdhsa_user_sgpr_private_segment_size 0
		.amdhsa_wavefront_size32 1
		.amdhsa_uses_dynamic_stack 0
		.amdhsa_enable_private_segment 0
		.amdhsa_system_sgpr_workgroup_id_x 1
		.amdhsa_system_sgpr_workgroup_id_y 0
		.amdhsa_system_sgpr_workgroup_id_z 0
		.amdhsa_system_sgpr_workgroup_info 0
		.amdhsa_system_vgpr_workitem_id 0
		.amdhsa_next_free_vgpr 21
		.amdhsa_next_free_sgpr 8
		.amdhsa_reserve_vcc 1
		.amdhsa_float_round_mode_32 0
		.amdhsa_float_round_mode_16_64 0
		.amdhsa_float_denorm_mode_32 3
		.amdhsa_float_denorm_mode_16_64 3
		.amdhsa_fp16_overflow 0
		.amdhsa_workgroup_processor_mode 1
		.amdhsa_memory_ordered 1
		.amdhsa_forward_progress 1
		.amdhsa_inst_pref_size 6
		.amdhsa_round_robin_scheduling 0
		.amdhsa_exception_fp_ieee_invalid_op 0
		.amdhsa_exception_fp_denorm_src 0
		.amdhsa_exception_fp_ieee_div_zero 0
		.amdhsa_exception_fp_ieee_overflow 0
		.amdhsa_exception_fp_ieee_underflow 0
		.amdhsa_exception_fp_ieee_inexact 0
		.amdhsa_exception_int_div_zero 0
	.end_amdhsa_kernel
	.section	.text._ZL23dequantize_block_iq2_xsIfEvPKvPT_,"axG",@progbits,_ZL23dequantize_block_iq2_xsIfEvPKvPT_,comdat
.Lfunc_end11:
	.size	_ZL23dequantize_block_iq2_xsIfEvPKvPT_, .Lfunc_end11-_ZL23dequantize_block_iq2_xsIfEvPKvPT_
                                        ; -- End function
	.set _ZL23dequantize_block_iq2_xsIfEvPKvPT_.num_vgpr, 21
	.set _ZL23dequantize_block_iq2_xsIfEvPKvPT_.num_agpr, 0
	.set _ZL23dequantize_block_iq2_xsIfEvPKvPT_.numbered_sgpr, 8
	.set _ZL23dequantize_block_iq2_xsIfEvPKvPT_.num_named_barrier, 0
	.set _ZL23dequantize_block_iq2_xsIfEvPKvPT_.private_seg_size, 0
	.set _ZL23dequantize_block_iq2_xsIfEvPKvPT_.uses_vcc, 1
	.set _ZL23dequantize_block_iq2_xsIfEvPKvPT_.uses_flat_scratch, 0
	.set _ZL23dequantize_block_iq2_xsIfEvPKvPT_.has_dyn_sized_stack, 0
	.set _ZL23dequantize_block_iq2_xsIfEvPKvPT_.has_recursion, 0
	.set _ZL23dequantize_block_iq2_xsIfEvPKvPT_.has_indirect_call, 0
	.section	.AMDGPU.csdata,"",@progbits
; Kernel info:
; codeLenInByte = 652
; TotalNumSgprs: 10
; NumVgprs: 21
; ScratchSize: 0
; MemoryBound: 0
; FloatMode: 240
; IeeeMode: 1
; LDSByteSize: 0 bytes/workgroup (compile time only)
; SGPRBlocks: 0
; VGPRBlocks: 2
; NumSGPRsForWavesPerEU: 10
; NumVGPRsForWavesPerEU: 21
; Occupancy: 16
; WaveLimiterHint : 0
; COMPUTE_PGM_RSRC2:SCRATCH_EN: 0
; COMPUTE_PGM_RSRC2:USER_SGPR: 2
; COMPUTE_PGM_RSRC2:TRAP_HANDLER: 0
; COMPUTE_PGM_RSRC2:TGID_X_EN: 1
; COMPUTE_PGM_RSRC2:TGID_Y_EN: 0
; COMPUTE_PGM_RSRC2:TGID_Z_EN: 0
; COMPUTE_PGM_RSRC2:TIDIG_COMP_CNT: 0
	.section	.text._ZL24dequantize_block_iq3_xxsIfEvPKvPT_,"axG",@progbits,_ZL24dequantize_block_iq3_xxsIfEvPKvPT_,comdat
	.globl	_ZL24dequantize_block_iq3_xxsIfEvPKvPT_ ; -- Begin function _ZL24dequantize_block_iq3_xxsIfEvPKvPT_
	.p2align	8
	.type	_ZL24dequantize_block_iq3_xxsIfEvPKvPT_,@function
_ZL24dequantize_block_iq3_xxsIfEvPKvPT_: ; @_ZL24dequantize_block_iq3_xxsIfEvPKvPT_
; %bb.0:
	s_load_b128 s[0:3], s[0:1], 0x0
	v_and_b32_e32 v4, 7, v0
	s_lshl_b32 s4, ttmp9, 8
	s_mov_b32 s5, 0
	v_lshrrev_b32_e32 v3, 3, v0
	s_lshl_b64 s[6:7], s[4:5], 2
	s_mov_b32 s4, ttmp9
	v_lshlrev_b32_e32 v1, 3, v4
	s_mul_u64 s[4:5], s[4:5], 0x62
	v_lshlrev_b32_e32 v2, 1, v3
	v_mul_u32_u24_e32 v3, 7, v3
	v_and_b32_e32 v0, 0x3f8, v0
	s_delay_alu instid0(VALU_DEP_1) | instskip(SKIP_2) | instid1(SALU_CYCLE_1)
	v_lshlrev_b32_e32 v0, 2, v0
	s_wait_kmcnt 0x0
	s_add_nc_u64 s[0:1], s[0:1], s[4:5]
	v_add_co_u32 v1, s4, s0, v1
	s_delay_alu instid0(VALU_DEP_1) | instskip(NEXT) | instid1(VALU_DEP_2)
	v_add_co_ci_u32_e64 v5, null, s1, 0, s4
	v_add_co_u32 v1, vcc_lo, v1, v2
	s_delay_alu instid0(VALU_DEP_1)
	v_add_co_ci_u32_e64 v2, null, 0, v5, vcc_lo
	v_dual_mov_b32 v5, 0 :: v_dual_lshlrev_b32 v6, 2, v4
	v_lshlrev_b32_e32 v4, 7, v4
	s_clause 0x2
	global_load_u16 v1, v[1:2], off offset:2
	global_load_u16 v2, v5, s[0:1]
	global_load_b32 v5, v6, s[0:1] offset:66
	s_getpc_b64 s[0:1]
	s_wait_alu 0xfffe
	s_sext_i32_i16 s1, s1
	s_add_co_u32 s0, s0, _ZL12ksigns_iq2xs@rel32@lo+12
	s_wait_alu 0xfffe
	s_add_co_ci_u32 s1, s1, _ZL12ksigns_iq2xs@rel32@hi+24
	s_getpc_b64 s[4:5]
	s_wait_alu 0xfffe
	s_sext_i32_i16 s5, s5
	s_add_co_u32 s4, s4, _ZL11iq3xxs_grid@rel32@lo+12
	s_wait_alu 0xfffe
	s_add_co_ci_u32 s5, s5, _ZL11iq3xxs_grid@rel32@hi+24
	s_wait_loadcnt 0x1
	v_cvt_f32_f16_e32 v2, v2
	s_wait_loadcnt 0x0
	v_bfe_u32 v7, v5, v3, 7
	v_lshrrev_b32_e32 v5, 28, v5
	global_load_i8 v10, v7, s[0:1]
	v_cvt_f32_ubyte0_e32 v5, v5
	s_add_nc_u64 s[0:1], s[2:3], s[6:7]
	s_wait_alu 0xfffe
	v_add_co_u32 v4, s0, s0, v4
	s_delay_alu instid0(VALU_DEP_2) | instskip(NEXT) | instid1(VALU_DEP_2)
	v_add_f32_e32 v5, 0.5, v5
	v_add_co_u32 v8, vcc_lo, v4, v0
	s_delay_alu instid0(VALU_DEP_2) | instskip(NEXT) | instid1(VALU_DEP_1)
	v_mul_f32_e32 v2, v5, v2
	v_mul_f32_e32 v4, 0.5, v2
	v_and_b32_e32 v6, 0xff, v1
	v_lshrrev_b16 v1, 8, v1
	s_delay_alu instid0(VALU_DEP_2) | instskip(NEXT) | instid1(VALU_DEP_2)
	v_lshlrev_b32_e32 v3, 2, v6
	v_and_b32_e32 v1, 0xffff, v1
	s_wait_alu 0xf1ff
	v_add_co_ci_u32_e64 v6, null, s1, 0, s0
	global_load_b32 v3, v3, s[4:5]
	v_lshlrev_b32_e32 v1, 2, v1
	s_wait_alu 0xfffd
	v_add_co_ci_u32_e64 v9, null, 0, v6, vcc_lo
	global_load_b32 v1, v1, s[4:5]
	s_wait_loadcnt 0x2
	v_and_b32_e32 v0, 1, v10
	v_and_b32_e32 v2, 2, v10
	v_and_b32_e32 v11, 4, v10
	v_and_b32_e32 v13, 8, v10
	v_and_b32_e32 v6, 32, v10
	v_cmp_eq_u16_e32 vcc_lo, 0, v0
	s_wait_loadcnt 0x1
	v_cvt_f32_ubyte0_e32 v12, v3
	v_cvt_f32_ubyte1_e32 v14, v3
	v_cvt_f32_ubyte2_e32 v15, v3
	v_cvt_f32_ubyte3_e32 v3, v3
	s_delay_alu instid0(VALU_DEP_4) | instskip(NEXT) | instid1(VALU_DEP_4)
	v_mul_f32_e32 v12, v4, v12
	v_mul_f32_e32 v14, v4, v14
	s_wait_loadcnt 0x0
	v_cvt_f32_ubyte0_e32 v16, v1
	v_cvt_f32_ubyte1_e32 v17, v1
	v_mul_f32_e32 v15, v4, v15
	s_wait_alu 0xfffd
	v_cndmask_b32_e64 v0, -v12, v12, vcc_lo
	v_cmp_eq_u16_e32 vcc_lo, 0, v2
	v_cvt_f32_ubyte2_e32 v18, v1
	v_cvt_f32_ubyte3_e32 v19, v1
	v_and_b32_e32 v5, 16, v10
	v_mul_f32_e32 v3, v4, v3
	s_wait_alu 0xfffd
	v_cndmask_b32_e64 v1, -v14, v14, vcc_lo
	v_cmp_eq_u16_e32 vcc_lo, 0, v11
	v_mul_f32_e32 v12, v4, v16
	v_mul_f32_e32 v14, v4, v17
	;; [unrolled: 1-line block ×3, first 2 shown]
	s_wait_alu 0xfffd
	v_cndmask_b32_e64 v2, -v15, v15, vcc_lo
	v_cmp_eq_u16_e32 vcc_lo, 0, v13
	v_mul_f32_e32 v13, v4, v19
	s_wait_alu 0xfffd
	v_cndmask_b32_e64 v3, -v3, v3, vcc_lo
	v_cmp_eq_u16_e32 vcc_lo, 0, v5
	s_wait_alu 0xfffd
	v_cndmask_b32_e64 v4, -v12, v12, vcc_lo
	v_cmp_eq_u16_e32 vcc_lo, 0, v6
	s_wait_alu 0xfffd
	v_cndmask_b32_e64 v5, -v14, v14, vcc_lo
	v_cmp_gt_u32_e32 vcc_lo, 64, v7
	s_wait_alu 0xfffd
	v_cndmask_b32_e64 v6, -v11, v11, vcc_lo
	v_cmp_gt_i16_e32 vcc_lo, 0, v10
	s_wait_alu 0xfffd
	v_cndmask_b32_e64 v7, v13, -v13, vcc_lo
	s_clause 0x1
	global_store_b128 v[8:9], v[0:3], off
	global_store_b128 v[8:9], v[4:7], off offset:16
	s_endpgm
	.section	.rodata,"a",@progbits
	.p2align	6, 0x0
	.amdhsa_kernel _ZL24dequantize_block_iq3_xxsIfEvPKvPT_
		.amdhsa_group_segment_fixed_size 0
		.amdhsa_private_segment_fixed_size 0
		.amdhsa_kernarg_size 16
		.amdhsa_user_sgpr_count 2
		.amdhsa_user_sgpr_dispatch_ptr 0
		.amdhsa_user_sgpr_queue_ptr 0
		.amdhsa_user_sgpr_kernarg_segment_ptr 1
		.amdhsa_user_sgpr_dispatch_id 0
		.amdhsa_user_sgpr_private_segment_size 0
		.amdhsa_wavefront_size32 1
		.amdhsa_uses_dynamic_stack 0
		.amdhsa_enable_private_segment 0
		.amdhsa_system_sgpr_workgroup_id_x 1
		.amdhsa_system_sgpr_workgroup_id_y 0
		.amdhsa_system_sgpr_workgroup_id_z 0
		.amdhsa_system_sgpr_workgroup_info 0
		.amdhsa_system_vgpr_workitem_id 0
		.amdhsa_next_free_vgpr 20
		.amdhsa_next_free_sgpr 8
		.amdhsa_reserve_vcc 1
		.amdhsa_float_round_mode_32 0
		.amdhsa_float_round_mode_16_64 0
		.amdhsa_float_denorm_mode_32 3
		.amdhsa_float_denorm_mode_16_64 3
		.amdhsa_fp16_overflow 0
		.amdhsa_workgroup_processor_mode 1
		.amdhsa_memory_ordered 1
		.amdhsa_forward_progress 1
		.amdhsa_inst_pref_size 6
		.amdhsa_round_robin_scheduling 0
		.amdhsa_exception_fp_ieee_invalid_op 0
		.amdhsa_exception_fp_denorm_src 0
		.amdhsa_exception_fp_ieee_div_zero 0
		.amdhsa_exception_fp_ieee_overflow 0
		.amdhsa_exception_fp_ieee_underflow 0
		.amdhsa_exception_fp_ieee_inexact 0
		.amdhsa_exception_int_div_zero 0
	.end_amdhsa_kernel
	.section	.text._ZL24dequantize_block_iq3_xxsIfEvPKvPT_,"axG",@progbits,_ZL24dequantize_block_iq3_xxsIfEvPKvPT_,comdat
.Lfunc_end12:
	.size	_ZL24dequantize_block_iq3_xxsIfEvPKvPT_, .Lfunc_end12-_ZL24dequantize_block_iq3_xxsIfEvPKvPT_
                                        ; -- End function
	.set _ZL24dequantize_block_iq3_xxsIfEvPKvPT_.num_vgpr, 20
	.set _ZL24dequantize_block_iq3_xxsIfEvPKvPT_.num_agpr, 0
	.set _ZL24dequantize_block_iq3_xxsIfEvPKvPT_.numbered_sgpr, 8
	.set _ZL24dequantize_block_iq3_xxsIfEvPKvPT_.num_named_barrier, 0
	.set _ZL24dequantize_block_iq3_xxsIfEvPKvPT_.private_seg_size, 0
	.set _ZL24dequantize_block_iq3_xxsIfEvPKvPT_.uses_vcc, 1
	.set _ZL24dequantize_block_iq3_xxsIfEvPKvPT_.uses_flat_scratch, 0
	.set _ZL24dequantize_block_iq3_xxsIfEvPKvPT_.has_dyn_sized_stack, 0
	.set _ZL24dequantize_block_iq3_xxsIfEvPKvPT_.has_recursion, 0
	.set _ZL24dequantize_block_iq3_xxsIfEvPKvPT_.has_indirect_call, 0
	.section	.AMDGPU.csdata,"",@progbits
; Kernel info:
; codeLenInByte = 664
; TotalNumSgprs: 10
; NumVgprs: 20
; ScratchSize: 0
; MemoryBound: 0
; FloatMode: 240
; IeeeMode: 1
; LDSByteSize: 0 bytes/workgroup (compile time only)
; SGPRBlocks: 0
; VGPRBlocks: 2
; NumSGPRsForWavesPerEU: 10
; NumVGPRsForWavesPerEU: 20
; Occupancy: 16
; WaveLimiterHint : 0
; COMPUTE_PGM_RSRC2:SCRATCH_EN: 0
; COMPUTE_PGM_RSRC2:USER_SGPR: 2
; COMPUTE_PGM_RSRC2:TRAP_HANDLER: 0
; COMPUTE_PGM_RSRC2:TGID_X_EN: 1
; COMPUTE_PGM_RSRC2:TGID_Y_EN: 0
; COMPUTE_PGM_RSRC2:TGID_Z_EN: 0
; COMPUTE_PGM_RSRC2:TIDIG_COMP_CNT: 0
	.section	.text._ZL22dequantize_block_iq1_sIfEvPKvPT_,"axG",@progbits,_ZL22dequantize_block_iq1_sIfEvPKvPT_,comdat
	.globl	_ZL22dequantize_block_iq1_sIfEvPKvPT_ ; -- Begin function _ZL22dequantize_block_iq1_sIfEvPKvPT_
	.p2align	8
	.type	_ZL22dequantize_block_iq1_sIfEvPKvPT_,@function
_ZL22dequantize_block_iq1_sIfEvPKvPT_:  ; @_ZL22dequantize_block_iq1_sIfEvPKvPT_
; %bb.0:
	s_load_b128 s[0:3], s[0:1], 0x0
	v_and_b32_e32 v3, 7, v0
	s_mov_b32 s4, ttmp9
	s_mov_b32 s5, 0
	v_lshrrev_b32_e32 v6, 3, v0
	s_mul_u64 s[6:7], s[4:5], 50
	v_lshlrev_b32_e32 v1, 1, v3
	v_and_b32_e32 v0, 0x3f8, v0
	s_delay_alu instid0(VALU_DEP_1) | instskip(SKIP_2) | instid1(SALU_CYCLE_1)
	v_lshlrev_b32_e32 v0, 2, v0
	s_wait_kmcnt 0x0
	s_add_nc_u64 s[0:1], s[0:1], s[6:7]
	v_add_co_u32 v2, s6, s0, v1
	s_delay_alu instid0(VALU_DEP_1) | instskip(SKIP_2) | instid1(VALU_DEP_1)
	v_add_co_ci_u32_e64 v4, null, s1, 0, s6
	global_load_u16 v5, v1, s[0:1] offset:34
	v_add_co_u32 v1, vcc_lo, v2, v1
	v_add_co_ci_u32_e64 v2, null, 0, v4, vcc_lo
	s_delay_alu instid0(VALU_DEP_2) | instskip(SKIP_1) | instid1(VALU_DEP_2)
	v_add_co_u32 v1, vcc_lo, v1, v6
	s_wait_alu 0xfffd
	v_add_co_ci_u32_e64 v2, null, 0, v2, vcc_lo
	global_load_u8 v1, v[1:2], off offset:2
	v_mul_u32_u24_e32 v2, 3, v6
	v_mov_b32_e32 v6, 0xbf600000
	s_wait_loadcnt 0x1
	v_and_b32_e32 v4, 0xffff, v5
	s_delay_alu instid0(VALU_DEP_1) | instskip(SKIP_1) | instid1(VALU_DEP_2)
	v_lshrrev_b32_e32 v2, v2, v4
	v_dual_mov_b32 v4, 0 :: v_dual_lshlrev_b32 v3, 7, v3
	v_lshlrev_b32_e32 v2, 8, v2
	s_wait_loadcnt 0x0
	s_delay_alu instid0(VALU_DEP_1)
	v_and_or_b32 v1, 0x700, v2, v1
	global_load_u16 v2, v4, s[0:1]
	s_getpc_b64 s[0:1]
	s_wait_alu 0xfffe
	s_sext_i32_i16 s1, s1
	s_add_co_u32 s0, s0, _ZL13iq1s_grid_gpu@rel32@lo+12
	s_wait_alu 0xfffe
	s_add_co_ci_u32 s1, s1, _ZL13iq1s_grid_gpu@rel32@hi+24
	v_lshrrev_b16 v4, 11, v5
	v_lshlrev_b32_e32 v1, 3, v1
	global_load_b32 v1, v1, s[0:1]
	s_lshl_b64 s[0:1], s[4:5], 10
	s_wait_alu 0xfffe
	s_add_nc_u64 s[0:1], s[2:3], s[0:1]
	s_wait_alu 0xfffe
	v_add_co_u32 v3, s0, s0, v3
	s_wait_alu 0xf1ff
	v_add_co_ci_u32_e64 v7, null, s1, 0, s0
	s_delay_alu instid0(VALU_DEP_2) | instskip(SKIP_1) | instid1(VALU_DEP_2)
	v_add_co_u32 v8, vcc_lo, v3, v0
	s_wait_alu 0xfffd
	v_add_co_ci_u32_e64 v9, null, 0, v7, vcc_lo
	v_cmp_lt_i16_e32 vcc_lo, -1, v5
	s_wait_alu 0xfffd
	v_cndmask_b32_e32 v0, 0xbf900000, v6, vcc_lo
	s_wait_loadcnt 0x1
	v_cvt_f32_f16_e32 v2, v2
	s_wait_loadcnt 0x0
	v_bfe_u32 v11, v1, 20, 4
	v_bfe_u32 v5, v1, 16, 4
	v_bfe_u32 v6, v1, 4, 4
	v_bfe_u32 v10, v1, 12, 4
	s_delay_alu instid0(VALU_DEP_4)
	v_cvt_f32_ubyte0_e32 v11, v11
	v_and_b32_e32 v4, 14, v4
	v_cvt_f32_ubyte0_e32 v5, v5
	v_cvt_f32_ubyte0_e32 v6, v6
	;; [unrolled: 1-line block ×3, first 2 shown]
	v_add_f32_e32 v11, v0, v11
	v_or_b32_e32 v4, 1, v4
	v_add_f32_e32 v5, v0, v5
	s_delay_alu instid0(VALU_DEP_2) | instskip(NEXT) | instid1(VALU_DEP_1)
	v_cvt_f32_ubyte0_e32 v4, v4
	v_dual_mul_f32 v7, v2, v4 :: v_dual_and_b32 v2, 0xf000000, v1
	v_bfe_u32 v4, v1, 8, 4
	s_delay_alu instid0(VALU_DEP_2) | instskip(SKIP_2) | instid1(VALU_DEP_4)
	v_cvt_f32_ubyte3_e32 v2, v2
	v_and_b32_e32 v3, 15, v1
	v_lshrrev_b32_e32 v1, 28, v1
	v_cvt_f32_ubyte0_e32 v4, v4
	s_delay_alu instid0(VALU_DEP_4) | instskip(NEXT) | instid1(VALU_DEP_4)
	v_add_f32_e32 v12, v0, v2
	v_cvt_f32_ubyte0_e32 v3, v3
	s_delay_alu instid0(VALU_DEP_4) | instskip(NEXT) | instid1(VALU_DEP_4)
	v_cvt_f32_ubyte0_e32 v1, v1
	v_add_f32_e32 v4, v0, v4
	v_add_f32_e32 v6, v0, v6
	;; [unrolled: 1-line block ×5, first 2 shown]
	v_mul_f32_e32 v1, v7, v4
	v_mul_f32_e32 v2, v7, v5
	;; [unrolled: 1-line block ×8, first 2 shown]
	s_clause 0x1
	global_store_b128 v[8:9], v[0:3], off
	global_store_b128 v[8:9], v[4:7], off offset:16
	s_endpgm
	.section	.rodata,"a",@progbits
	.p2align	6, 0x0
	.amdhsa_kernel _ZL22dequantize_block_iq1_sIfEvPKvPT_
		.amdhsa_group_segment_fixed_size 0
		.amdhsa_private_segment_fixed_size 0
		.amdhsa_kernarg_size 16
		.amdhsa_user_sgpr_count 2
		.amdhsa_user_sgpr_dispatch_ptr 0
		.amdhsa_user_sgpr_queue_ptr 0
		.amdhsa_user_sgpr_kernarg_segment_ptr 1
		.amdhsa_user_sgpr_dispatch_id 0
		.amdhsa_user_sgpr_private_segment_size 0
		.amdhsa_wavefront_size32 1
		.amdhsa_uses_dynamic_stack 0
		.amdhsa_enable_private_segment 0
		.amdhsa_system_sgpr_workgroup_id_x 1
		.amdhsa_system_sgpr_workgroup_id_y 0
		.amdhsa_system_sgpr_workgroup_id_z 0
		.amdhsa_system_sgpr_workgroup_info 0
		.amdhsa_system_vgpr_workitem_id 0
		.amdhsa_next_free_vgpr 14
		.amdhsa_next_free_sgpr 8
		.amdhsa_reserve_vcc 1
		.amdhsa_float_round_mode_32 0
		.amdhsa_float_round_mode_16_64 0
		.amdhsa_float_denorm_mode_32 3
		.amdhsa_float_denorm_mode_16_64 3
		.amdhsa_fp16_overflow 0
		.amdhsa_workgroup_processor_mode 1
		.amdhsa_memory_ordered 1
		.amdhsa_forward_progress 1
		.amdhsa_inst_pref_size 5
		.amdhsa_round_robin_scheduling 0
		.amdhsa_exception_fp_ieee_invalid_op 0
		.amdhsa_exception_fp_denorm_src 0
		.amdhsa_exception_fp_ieee_div_zero 0
		.amdhsa_exception_fp_ieee_overflow 0
		.amdhsa_exception_fp_ieee_underflow 0
		.amdhsa_exception_fp_ieee_inexact 0
		.amdhsa_exception_int_div_zero 0
	.end_amdhsa_kernel
	.section	.text._ZL22dequantize_block_iq1_sIfEvPKvPT_,"axG",@progbits,_ZL22dequantize_block_iq1_sIfEvPKvPT_,comdat
.Lfunc_end13:
	.size	_ZL22dequantize_block_iq1_sIfEvPKvPT_, .Lfunc_end13-_ZL22dequantize_block_iq1_sIfEvPKvPT_
                                        ; -- End function
	.set _ZL22dequantize_block_iq1_sIfEvPKvPT_.num_vgpr, 14
	.set _ZL22dequantize_block_iq1_sIfEvPKvPT_.num_agpr, 0
	.set _ZL22dequantize_block_iq1_sIfEvPKvPT_.numbered_sgpr, 8
	.set _ZL22dequantize_block_iq1_sIfEvPKvPT_.num_named_barrier, 0
	.set _ZL22dequantize_block_iq1_sIfEvPKvPT_.private_seg_size, 0
	.set _ZL22dequantize_block_iq1_sIfEvPKvPT_.uses_vcc, 1
	.set _ZL22dequantize_block_iq1_sIfEvPKvPT_.uses_flat_scratch, 0
	.set _ZL22dequantize_block_iq1_sIfEvPKvPT_.has_dyn_sized_stack, 0
	.set _ZL22dequantize_block_iq1_sIfEvPKvPT_.has_recursion, 0
	.set _ZL22dequantize_block_iq1_sIfEvPKvPT_.has_indirect_call, 0
	.section	.AMDGPU.csdata,"",@progbits
; Kernel info:
; codeLenInByte = 580
; TotalNumSgprs: 10
; NumVgprs: 14
; ScratchSize: 0
; MemoryBound: 0
; FloatMode: 240
; IeeeMode: 1
; LDSByteSize: 0 bytes/workgroup (compile time only)
; SGPRBlocks: 0
; VGPRBlocks: 1
; NumSGPRsForWavesPerEU: 10
; NumVGPRsForWavesPerEU: 14
; Occupancy: 16
; WaveLimiterHint : 0
; COMPUTE_PGM_RSRC2:SCRATCH_EN: 0
; COMPUTE_PGM_RSRC2:USER_SGPR: 2
; COMPUTE_PGM_RSRC2:TRAP_HANDLER: 0
; COMPUTE_PGM_RSRC2:TGID_X_EN: 1
; COMPUTE_PGM_RSRC2:TGID_Y_EN: 0
; COMPUTE_PGM_RSRC2:TGID_Z_EN: 0
; COMPUTE_PGM_RSRC2:TIDIG_COMP_CNT: 0
	.section	.text._ZL23dequantize_block_iq4_nlIfEvPKvPT_,"axG",@progbits,_ZL23dequantize_block_iq4_nlIfEvPKvPT_,comdat
	.globl	_ZL23dequantize_block_iq4_nlIfEvPKvPT_ ; -- Begin function _ZL23dequantize_block_iq4_nlIfEvPKvPT_
	.p2align	8
	.type	_ZL23dequantize_block_iq4_nlIfEvPKvPT_,@function
_ZL23dequantize_block_iq4_nlIfEvPKvPT_: ; @_ZL23dequantize_block_iq4_nlIfEvPKvPT_
; %bb.0:
	s_load_b128 s[0:3], s[0:1], 0x0
	s_lshl_b32 s4, ttmp9, 3
	s_mov_b32 s5, 0
	v_and_b32_e32 v4, 7, v0
	s_mul_u64 s[6:7], s[4:5], 18
	v_lshrrev_b32_e32 v2, 1, v0
	s_delay_alu instid0(VALU_DEP_1) | instskip(SKIP_2) | instid1(SALU_CYCLE_1)
	v_and_b32_e32 v5, 0x1fc, v2
	s_wait_kmcnt 0x0
	s_add_nc_u64 s[0:1], s[0:1], s[6:7]
	v_mad_co_u64_u32 v[0:1], null, v4, 18, s[0:1]
	s_getpc_b64 s[0:1]
	s_wait_alu 0xfffe
	s_sext_i32_i16 s1, s1
	s_add_co_u32 s0, s0, _ZL13kvalues_iq4nl@rel32@lo+12
	s_wait_alu 0xfffe
	s_add_co_ci_u32 s1, s1, _ZL13kvalues_iq4nl@rel32@hi+24
	s_lshl_b32 s4, ttmp9, 8
	v_add_co_u32 v2, vcc_lo, v0, v5
	s_delay_alu instid0(VALU_DEP_1)
	v_add_co_ci_u32_e64 v3, null, 0, v1, vcc_lo
	s_clause 0x1
	global_load_b32 v2, v[2:3], off offset:2
	global_load_u16 v0, v[0:1], off
	s_wait_loadcnt 0x1
	v_bfe_u32 v3, v2, 4, 4
	s_wait_loadcnt 0x0
	v_cvt_f32_f16_e32 v13, v0
	v_and_b32_e32 v1, 15, v2
	v_bfe_u32 v6, v2, 8, 4
	v_bfe_u32 v7, v2, 12, 4
	v_bfe_u32 v8, v2, 16, 4
	v_bfe_u32 v9, v2, 20, 4
	v_bfe_u32 v10, v2, 24, 4
	v_lshrrev_b32_e32 v2, 28, v2
	s_clause 0x7
	global_load_i8 v1, v1, s[0:1]
	global_load_i8 v3, v3, s[0:1]
	;; [unrolled: 1-line block ×8, first 2 shown]
	v_lshlrev_b32_e32 v4, 7, v4
	s_lshl_b64 s[0:1], s[4:5], 2
	s_wait_alu 0xfffe
	s_add_nc_u64 s[0:1], s[2:3], s[0:1]
	s_wait_alu 0xfffe
	v_add_co_u32 v4, s0, s0, v4
	s_wait_alu 0xf1ff
	v_add_co_ci_u32_e64 v9, null, s1, 0, s0
	s_wait_loadcnt 0x7
	v_cvt_f32_i32_e32 v0, v1
	s_wait_loadcnt 0x6
	v_cvt_f32_i32_e32 v1, v3
	;; [unrolled: 2-line block ×4, first 2 shown]
	v_dual_mul_f32 v0, v13, v0 :: v_dual_lshlrev_b32 v5, 2, v5
	s_wait_loadcnt 0x1
	v_cvt_f32_i32_e32 v10, v10
	s_wait_loadcnt 0x0
	v_cvt_f32_i32_e32 v11, v2
	v_mul_f32_e32 v2, v13, v6
	v_add_co_u32 v8, vcc_lo, v4, v5
	v_cvt_f32_i32_e32 v5, v7
	v_cvt_f32_i32_e32 v7, v12
	s_wait_alu 0xfffd
	v_add_co_ci_u32_e64 v9, null, 0, v9, vcc_lo
	v_mul_f32_e32 v4, v13, v1
	v_mul_f32_e32 v1, v13, v3
	;; [unrolled: 1-line block ×6, first 2 shown]
	s_clause 0x1
	global_store_b128 v[8:9], v[0:3], off
	global_store_b128 v[8:9], v[4:7], off offset:64
	s_endpgm
	.section	.rodata,"a",@progbits
	.p2align	6, 0x0
	.amdhsa_kernel _ZL23dequantize_block_iq4_nlIfEvPKvPT_
		.amdhsa_group_segment_fixed_size 0
		.amdhsa_private_segment_fixed_size 0
		.amdhsa_kernarg_size 16
		.amdhsa_user_sgpr_count 2
		.amdhsa_user_sgpr_dispatch_ptr 0
		.amdhsa_user_sgpr_queue_ptr 0
		.amdhsa_user_sgpr_kernarg_segment_ptr 1
		.amdhsa_user_sgpr_dispatch_id 0
		.amdhsa_user_sgpr_private_segment_size 0
		.amdhsa_wavefront_size32 1
		.amdhsa_uses_dynamic_stack 0
		.amdhsa_enable_private_segment 0
		.amdhsa_system_sgpr_workgroup_id_x 1
		.amdhsa_system_sgpr_workgroup_id_y 0
		.amdhsa_system_sgpr_workgroup_id_z 0
		.amdhsa_system_sgpr_workgroup_info 0
		.amdhsa_system_vgpr_workitem_id 0
		.amdhsa_next_free_vgpr 14
		.amdhsa_next_free_sgpr 8
		.amdhsa_reserve_vcc 1
		.amdhsa_float_round_mode_32 0
		.amdhsa_float_round_mode_16_64 0
		.amdhsa_float_denorm_mode_32 3
		.amdhsa_float_denorm_mode_16_64 3
		.amdhsa_fp16_overflow 0
		.amdhsa_workgroup_processor_mode 1
		.amdhsa_memory_ordered 1
		.amdhsa_forward_progress 1
		.amdhsa_inst_pref_size 4
		.amdhsa_round_robin_scheduling 0
		.amdhsa_exception_fp_ieee_invalid_op 0
		.amdhsa_exception_fp_denorm_src 0
		.amdhsa_exception_fp_ieee_div_zero 0
		.amdhsa_exception_fp_ieee_overflow 0
		.amdhsa_exception_fp_ieee_underflow 0
		.amdhsa_exception_fp_ieee_inexact 0
		.amdhsa_exception_int_div_zero 0
	.end_amdhsa_kernel
	.section	.text._ZL23dequantize_block_iq4_nlIfEvPKvPT_,"axG",@progbits,_ZL23dequantize_block_iq4_nlIfEvPKvPT_,comdat
.Lfunc_end14:
	.size	_ZL23dequantize_block_iq4_nlIfEvPKvPT_, .Lfunc_end14-_ZL23dequantize_block_iq4_nlIfEvPKvPT_
                                        ; -- End function
	.set _ZL23dequantize_block_iq4_nlIfEvPKvPT_.num_vgpr, 14
	.set _ZL23dequantize_block_iq4_nlIfEvPKvPT_.num_agpr, 0
	.set _ZL23dequantize_block_iq4_nlIfEvPKvPT_.numbered_sgpr, 8
	.set _ZL23dequantize_block_iq4_nlIfEvPKvPT_.num_named_barrier, 0
	.set _ZL23dequantize_block_iq4_nlIfEvPKvPT_.private_seg_size, 0
	.set _ZL23dequantize_block_iq4_nlIfEvPKvPT_.uses_vcc, 1
	.set _ZL23dequantize_block_iq4_nlIfEvPKvPT_.uses_flat_scratch, 0
	.set _ZL23dequantize_block_iq4_nlIfEvPKvPT_.has_dyn_sized_stack, 0
	.set _ZL23dequantize_block_iq4_nlIfEvPKvPT_.has_recursion, 0
	.set _ZL23dequantize_block_iq4_nlIfEvPKvPT_.has_indirect_call, 0
	.section	.AMDGPU.csdata,"",@progbits
; Kernel info:
; codeLenInByte = 492
; TotalNumSgprs: 10
; NumVgprs: 14
; ScratchSize: 0
; MemoryBound: 0
; FloatMode: 240
; IeeeMode: 1
; LDSByteSize: 0 bytes/workgroup (compile time only)
; SGPRBlocks: 0
; VGPRBlocks: 1
; NumSGPRsForWavesPerEU: 10
; NumVGPRsForWavesPerEU: 14
; Occupancy: 16
; WaveLimiterHint : 0
; COMPUTE_PGM_RSRC2:SCRATCH_EN: 0
; COMPUTE_PGM_RSRC2:USER_SGPR: 2
; COMPUTE_PGM_RSRC2:TRAP_HANDLER: 0
; COMPUTE_PGM_RSRC2:TGID_X_EN: 1
; COMPUTE_PGM_RSRC2:TGID_Y_EN: 0
; COMPUTE_PGM_RSRC2:TGID_Z_EN: 0
; COMPUTE_PGM_RSRC2:TIDIG_COMP_CNT: 0
	.section	.text._ZL22dequantize_block_iq3_sIfEvPKvPT_,"axG",@progbits,_ZL22dequantize_block_iq3_sIfEvPKvPT_,comdat
	.globl	_ZL22dequantize_block_iq3_sIfEvPKvPT_ ; -- Begin function _ZL22dequantize_block_iq3_sIfEvPKvPT_
	.p2align	8
	.type	_ZL22dequantize_block_iq3_sIfEvPKvPT_,@function
_ZL22dequantize_block_iq3_sIfEvPKvPT_:  ; @_ZL22dequantize_block_iq3_sIfEvPKvPT_
; %bb.0:
	s_load_b128 s[0:3], s[0:1], 0x0
	v_and_b32_e32 v4, 7, v0
	s_lshl_b32 s4, ttmp9, 8
	s_mov_b32 s5, 0
	v_lshrrev_b32_e32 v3, 3, v0
	s_lshl_b64 s[6:7], s[4:5], 2
	s_mov_b32 s4, ttmp9
	v_lshlrev_b32_e32 v1, 3, v4
	s_mul_u64 s[4:5], s[4:5], 0x6e
	v_lshlrev_b32_e32 v5, 1, v3
	v_bfe_u32 v6, v0, 1, 2
	v_lshl_add_u32 v3, v4, 2, v3
	s_delay_alu instid0(VALU_DEP_3) | instskip(SKIP_2) | instid1(SALU_CYCLE_1)
	v_sub_nc_u32_e32 v8, 8, v5
	s_wait_kmcnt 0x0
	s_add_nc_u64 s[0:1], s[0:1], s[4:5]
	v_add_co_u32 v1, s4, s0, v1
	s_delay_alu instid0(VALU_DEP_1) | instskip(NEXT) | instid1(VALU_DEP_2)
	v_add_co_ci_u32_e64 v2, null, s1, 0, s4
	v_add_co_u32 v1, vcc_lo, v1, v5
	s_delay_alu instid0(VALU_DEP_1)
	v_add_co_ci_u32_e64 v2, null, 0, v2, vcc_lo
	v_sub_nc_u32_e32 v5, 7, v5
	s_clause 0x3
	global_load_u16 v1, v[1:2], off offset:2
	global_load_u8 v2, v6, s[0:1] offset:106
	global_load_i8 v7, v3, s[0:1] offset:74
	global_load_u8 v3, v4, s[0:1] offset:66
	v_mov_b32_e32 v6, 0
	global_load_u16 v6, v6, s[0:1]
	s_getpc_b64 s[0:1]
	s_wait_alu 0xfffe
	s_sext_i32_i16 s1, s1
	s_add_co_u32 s0, s0, _ZL10iq3xs_grid@rel32@lo+12
	s_wait_alu 0xfffe
	s_add_co_ci_u32 s1, s1, _ZL10iq3xs_grid@rel32@hi+24
	s_wait_loadcnt 0x2
	v_and_b32_e32 v10, 4, v7
	s_wait_loadcnt 0x1
	v_lshlrev_b32_e32 v8, v8, v3
	v_lshlrev_b32_e32 v3, v5, v3
	v_and_b32_e32 v13, 8, v7
	v_and_b32_e32 v11, 64, v7
	s_wait_loadcnt 0x0
	v_cvt_f32_f16_e32 v6, v6
	v_and_b32_e32 v9, 0xff, v1
	v_lshrrev_b16 v1, 8, v1
	s_delay_alu instid0(VALU_DEP_2) | instskip(NEXT) | instid1(VALU_DEP_2)
	v_and_or_b32 v5, 0x100, v8, v9
	v_and_b32_e32 v1, 0xffff, v1
	s_delay_alu instid0(VALU_DEP_2) | instskip(NEXT) | instid1(VALU_DEP_2)
	v_lshlrev_b32_e32 v5, 2, v5
	v_and_or_b32 v1, 0x100, v3, v1
	global_load_b32 v3, v5, s[0:1]
	v_lshlrev_b32_e32 v1, 2, v1
	global_load_b32 v1, v1, s[0:1]
	s_add_nc_u64 s[0:1], s[2:3], s[6:7]
	s_wait_loadcnt 0x1
	v_cvt_f32_ubyte2_e32 v15, v3
	v_cvt_f32_ubyte1_e32 v14, v3
	s_wait_loadcnt 0x0
	v_cvt_f32_ubyte2_e32 v18, v1
	v_lshlrev_b32_e32 v5, 2, v0
	v_cvt_f32_ubyte3_e32 v19, v1
	v_cvt_f32_ubyte1_e32 v17, v1
	v_cvt_f32_ubyte0_e32 v16, v1
	s_delay_alu instid0(VALU_DEP_4) | instskip(NEXT) | instid1(VALU_DEP_1)
	v_and_b32_e32 v5, 4, v5
	v_bfe_u32 v2, v2, v5, 4
	s_delay_alu instid0(VALU_DEP_1) | instskip(NEXT) | instid1(VALU_DEP_1)
	v_cvt_f32_ubyte0_e32 v2, v2
	v_add_f32_e32 v2, 0.5, v2
	s_delay_alu instid0(VALU_DEP_1) | instskip(SKIP_1) | instid1(VALU_DEP_2)
	v_mul_f32_e32 v2, v2, v6
	v_and_b32_e32 v6, 32, v7
	v_mul_f32_e32 v12, 0.5, v2
	v_cvt_f32_ubyte0_e32 v2, v3
	v_cvt_f32_ubyte3_e32 v3, v3
	s_delay_alu instid0(VALU_DEP_3) | instskip(NEXT) | instid1(VALU_DEP_2)
	v_dual_mul_f32 v15, v12, v15 :: v_dual_and_b32 v0, 0x3f8, v0
	v_dual_mul_f32 v3, v12, v3 :: v_dual_lshlrev_b32 v4, 7, v4
	s_delay_alu instid0(VALU_DEP_2)
	v_lshlrev_b32_e32 v0, 2, v0
	v_mul_f32_e32 v2, v12, v2
	v_mul_f32_e32 v14, v12, v14
	s_wait_alu 0xfffe
	v_add_co_u32 v4, s0, s0, v4
	s_wait_alu 0xf1ff
	v_add_co_ci_u32_e64 v5, null, s1, 0, s0
	v_mul_f32_e32 v16, v12, v16
	s_delay_alu instid0(VALU_DEP_3)
	v_add_co_u32 v8, vcc_lo, v4, v0
	v_and_b32_e32 v0, 1, v7
	s_wait_alu 0xfffd
	v_add_co_ci_u32_e64 v9, null, 0, v5, vcc_lo
	v_and_b32_e32 v5, 2, v7
	v_and_b32_e32 v4, 16, v7
	v_cmp_eq_u16_e32 vcc_lo, 0, v0
	s_wait_alu 0xfffd
	v_cndmask_b32_e64 v0, -v2, v2, vcc_lo
	v_cmp_eq_u16_e32 vcc_lo, 0, v5
	v_mul_f32_e32 v5, v12, v17
	s_wait_alu 0xfffd
	v_cndmask_b32_e64 v1, -v14, v14, vcc_lo
	v_cmp_eq_u16_e32 vcc_lo, 0, v10
	v_mul_f32_e32 v10, v12, v18
	v_mul_f32_e32 v12, v12, v19
	s_wait_alu 0xfffd
	v_cndmask_b32_e64 v2, -v15, v15, vcc_lo
	v_cmp_eq_u16_e32 vcc_lo, 0, v13
	s_wait_alu 0xfffd
	v_cndmask_b32_e64 v3, -v3, v3, vcc_lo
	v_cmp_eq_u16_e32 vcc_lo, 0, v4
	;; [unrolled: 3-line block ×4, first 2 shown]
	s_wait_alu 0xfffd
	v_cndmask_b32_e64 v6, -v10, v10, vcc_lo
	v_cmp_gt_i16_e32 vcc_lo, 0, v7
	s_wait_alu 0xfffd
	v_cndmask_b32_e64 v7, v12, -v12, vcc_lo
	s_clause 0x1
	global_store_b128 v[8:9], v[0:3], off
	global_store_b128 v[8:9], v[4:7], off offset:16
	s_endpgm
	.section	.rodata,"a",@progbits
	.p2align	6, 0x0
	.amdhsa_kernel _ZL22dequantize_block_iq3_sIfEvPKvPT_
		.amdhsa_group_segment_fixed_size 0
		.amdhsa_private_segment_fixed_size 0
		.amdhsa_kernarg_size 16
		.amdhsa_user_sgpr_count 2
		.amdhsa_user_sgpr_dispatch_ptr 0
		.amdhsa_user_sgpr_queue_ptr 0
		.amdhsa_user_sgpr_kernarg_segment_ptr 1
		.amdhsa_user_sgpr_dispatch_id 0
		.amdhsa_user_sgpr_private_segment_size 0
		.amdhsa_wavefront_size32 1
		.amdhsa_uses_dynamic_stack 0
		.amdhsa_enable_private_segment 0
		.amdhsa_system_sgpr_workgroup_id_x 1
		.amdhsa_system_sgpr_workgroup_id_y 0
		.amdhsa_system_sgpr_workgroup_id_z 0
		.amdhsa_system_sgpr_workgroup_info 0
		.amdhsa_system_vgpr_workitem_id 0
		.amdhsa_next_free_vgpr 20
		.amdhsa_next_free_sgpr 8
		.amdhsa_reserve_vcc 1
		.amdhsa_float_round_mode_32 0
		.amdhsa_float_round_mode_16_64 0
		.amdhsa_float_denorm_mode_32 3
		.amdhsa_float_denorm_mode_16_64 3
		.amdhsa_fp16_overflow 0
		.amdhsa_workgroup_processor_mode 1
		.amdhsa_memory_ordered 1
		.amdhsa_forward_progress 1
		.amdhsa_inst_pref_size 6
		.amdhsa_round_robin_scheduling 0
		.amdhsa_exception_fp_ieee_invalid_op 0
		.amdhsa_exception_fp_denorm_src 0
		.amdhsa_exception_fp_ieee_div_zero 0
		.amdhsa_exception_fp_ieee_overflow 0
		.amdhsa_exception_fp_ieee_underflow 0
		.amdhsa_exception_fp_ieee_inexact 0
		.amdhsa_exception_int_div_zero 0
	.end_amdhsa_kernel
	.section	.text._ZL22dequantize_block_iq3_sIfEvPKvPT_,"axG",@progbits,_ZL22dequantize_block_iq3_sIfEvPKvPT_,comdat
.Lfunc_end15:
	.size	_ZL22dequantize_block_iq3_sIfEvPKvPT_, .Lfunc_end15-_ZL22dequantize_block_iq3_sIfEvPKvPT_
                                        ; -- End function
	.set _ZL22dequantize_block_iq3_sIfEvPKvPT_.num_vgpr, 20
	.set _ZL22dequantize_block_iq3_sIfEvPKvPT_.num_agpr, 0
	.set _ZL22dequantize_block_iq3_sIfEvPKvPT_.numbered_sgpr, 8
	.set _ZL22dequantize_block_iq3_sIfEvPKvPT_.num_named_barrier, 0
	.set _ZL22dequantize_block_iq3_sIfEvPKvPT_.private_seg_size, 0
	.set _ZL22dequantize_block_iq3_sIfEvPKvPT_.uses_vcc, 1
	.set _ZL22dequantize_block_iq3_sIfEvPKvPT_.uses_flat_scratch, 0
	.set _ZL22dequantize_block_iq3_sIfEvPKvPT_.has_dyn_sized_stack, 0
	.set _ZL22dequantize_block_iq3_sIfEvPKvPT_.has_recursion, 0
	.set _ZL22dequantize_block_iq3_sIfEvPKvPT_.has_indirect_call, 0
	.section	.AMDGPU.csdata,"",@progbits
; Kernel info:
; codeLenInByte = 716
; TotalNumSgprs: 10
; NumVgprs: 20
; ScratchSize: 0
; MemoryBound: 0
; FloatMode: 240
; IeeeMode: 1
; LDSByteSize: 0 bytes/workgroup (compile time only)
; SGPRBlocks: 0
; VGPRBlocks: 2
; NumSGPRsForWavesPerEU: 10
; NumVGPRsForWavesPerEU: 20
; Occupancy: 16
; WaveLimiterHint : 0
; COMPUTE_PGM_RSRC2:SCRATCH_EN: 0
; COMPUTE_PGM_RSRC2:USER_SGPR: 2
; COMPUTE_PGM_RSRC2:TRAP_HANDLER: 0
; COMPUTE_PGM_RSRC2:TGID_X_EN: 1
; COMPUTE_PGM_RSRC2:TGID_Y_EN: 0
; COMPUTE_PGM_RSRC2:TGID_Z_EN: 0
; COMPUTE_PGM_RSRC2:TIDIG_COMP_CNT: 0
	.section	.text._ZL22dequantize_block_iq2_sIfEvPKvPT_,"axG",@progbits,_ZL22dequantize_block_iq2_sIfEvPKvPT_,comdat
	.globl	_ZL22dequantize_block_iq2_sIfEvPKvPT_ ; -- Begin function _ZL22dequantize_block_iq2_sIfEvPKvPT_
	.p2align	8
	.type	_ZL22dequantize_block_iq2_sIfEvPKvPT_,@function
_ZL22dequantize_block_iq2_sIfEvPKvPT_:  ; @_ZL22dequantize_block_iq2_sIfEvPKvPT_
; %bb.0:
	s_load_b128 s[0:3], s[0:1], 0x0
	v_lshrrev_b32_e32 v1, 3, v0
	v_and_b32_e32 v3, 7, v0
	s_lshl_b32 s4, ttmp9, 8
	s_mov_b32 s5, 0
	s_delay_alu instid0(SALU_CYCLE_1) | instskip(SKIP_4) | instid1(VALU_DEP_1)
	s_lshl_b64 s[6:7], s[4:5], 2
	s_mov_b32 s4, ttmp9
	v_lshl_add_u32 v2, v3, 2, v1
	s_mul_u64 s[4:5], s[4:5], 0x52
	v_lshlrev_b32_e32 v1, 1, v1
	v_sub_nc_u32_e32 v1, 8, v1
	s_wait_kmcnt 0x0
	s_add_nc_u64 s[0:1], s[0:1], s[4:5]
	s_clause 0x3
	global_load_u8 v4, v3, s[0:1] offset:66
	global_load_u8 v5, v2, s[0:1] offset:2
	global_load_i8 v7, v2, s[0:1] offset:34
	global_load_u8 v6, v3, s[0:1] offset:74
	v_mov_b32_e32 v2, 0
	global_load_u16 v8, v2, s[0:1]
	s_getpc_b64 s[0:1]
	s_sext_i32_i16 s1, s1
	s_add_co_u32 s0, s0, _ZL9iq2s_grid@rel32@lo+8
	s_add_co_ci_u32 s1, s1, _ZL9iq2s_grid@rel32@hi+16
	s_wait_loadcnt 0x4
	v_lshlrev_b32_e32 v1, v1, v4
	v_lshrrev_b32_e32 v4, 2, v0
	s_wait_loadcnt 0x2
	v_and_b32_e32 v10, 16, v7
	v_and_b32_e32 v12, 64, v7
	s_delay_alu instid0(VALU_DEP_3) | instskip(SKIP_1) | instid1(VALU_DEP_1)
	v_and_b32_e32 v4, 0xfc, v4
	s_wait_loadcnt 0x1
	v_bfe_u32 v4, v6, v4, 4
	s_wait_loadcnt 0x0
	v_cvt_f32_f16_e32 v6, v8
	s_delay_alu instid0(VALU_DEP_2) | instskip(NEXT) | instid1(VALU_DEP_1)
	v_cvt_f32_ubyte0_e32 v4, v4
	v_add_f32_e32 v4, 0.5, v4
	s_delay_alu instid0(VALU_DEP_1) | instskip(SKIP_1) | instid1(VALU_DEP_1)
	v_mul_f32_e32 v4, v4, v6
	v_and_or_b32 v1, 0x300, v1, v5
	v_dual_mul_f32 v4, 0x3e800000, v4 :: v_dual_lshlrev_b32 v1, 3, v1
	global_load_b64 v[1:2], v1, s[0:1]
	s_add_nc_u64 s[0:1], s[2:3], s[6:7]
	s_wait_loadcnt 0x0
	v_cvt_f32_ubyte0_e32 v13, v1
	v_and_b32_e32 v0, 0x3f8, v0
	v_cvt_f32_ubyte1_e32 v14, v1
	v_lshlrev_b32_e32 v3, 7, v3
	v_cvt_f32_ubyte2_e32 v15, v1
	s_delay_alu instid0(VALU_DEP_4) | instskip(NEXT) | instid1(VALU_DEP_4)
	v_dual_mul_f32 v13, v4, v13 :: v_dual_lshlrev_b32 v0, 2, v0
	v_mul_f32_e32 v14, v4, v14
	s_delay_alu instid0(VALU_DEP_4)
	v_add_co_u32 v3, s0, s0, v3
	s_wait_alu 0xf1ff
	v_add_co_ci_u32_e64 v5, null, s1, 0, s0
	v_cvt_f32_ubyte3_e32 v1, v1
	v_mul_f32_e32 v15, v4, v15
	v_add_co_u32 v8, vcc_lo, v3, v0
	s_delay_alu instid0(VALU_DEP_3) | instskip(SKIP_3) | instid1(VALU_DEP_4)
	v_dual_mul_f32 v19, v4, v1 :: v_dual_and_b32 v0, 1, v7
	v_add_co_ci_u32_e64 v9, null, 0, v5, vcc_lo
	v_cvt_f32_ubyte0_e32 v16, v2
	v_and_b32_e32 v3, 2, v7
	v_cmp_eq_u16_e32 vcc_lo, 0, v0
	v_cvt_f32_ubyte2_e32 v18, v2
	s_delay_alu instid0(VALU_DEP_4)
	v_dual_mul_f32 v16, v4, v16 :: v_dual_and_b32 v5, 4, v7
	v_cvt_f32_ubyte1_e32 v17, v2
	s_wait_alu 0xfffd
	v_cndmask_b32_e64 v0, -v13, v13, vcc_lo
	v_cmp_eq_u16_e32 vcc_lo, 0, v3
	v_and_b32_e32 v6, 8, v7
	v_cvt_f32_ubyte3_e32 v2, v2
	v_dual_mul_f32 v18, v4, v18 :: v_dual_and_b32 v11, 32, v7
	s_wait_alu 0xfffd
	v_cndmask_b32_e64 v1, -v14, v14, vcc_lo
	v_cmp_eq_u16_e32 vcc_lo, 0, v5
	v_mul_f32_e32 v17, v4, v17
	v_mul_f32_e32 v20, v4, v2
	s_wait_alu 0xfffd
	v_cndmask_b32_e64 v2, -v15, v15, vcc_lo
	v_cmp_eq_u16_e32 vcc_lo, 0, v6
	s_wait_alu 0xfffd
	v_cndmask_b32_e64 v3, -v19, v19, vcc_lo
	v_cmp_eq_u16_e32 vcc_lo, 0, v10
	s_wait_alu 0xfffd
	v_cndmask_b32_e64 v4, -v16, v16, vcc_lo
	v_cmp_eq_u16_e32 vcc_lo, 0, v11
	s_wait_alu 0xfffd
	v_cndmask_b32_e64 v5, -v17, v17, vcc_lo
	v_cmp_eq_u16_e32 vcc_lo, 0, v12
	s_wait_alu 0xfffd
	v_cndmask_b32_e64 v6, -v18, v18, vcc_lo
	v_cmp_gt_i16_e32 vcc_lo, 0, v7
	s_wait_alu 0xfffd
	v_cndmask_b32_e64 v7, v20, -v20, vcc_lo
	s_clause 0x1
	global_store_b128 v[8:9], v[0:3], off
	global_store_b128 v[8:9], v[4:7], off offset:16
	s_endpgm
	.section	.rodata,"a",@progbits
	.p2align	6, 0x0
	.amdhsa_kernel _ZL22dequantize_block_iq2_sIfEvPKvPT_
		.amdhsa_group_segment_fixed_size 0
		.amdhsa_private_segment_fixed_size 0
		.amdhsa_kernarg_size 16
		.amdhsa_user_sgpr_count 2
		.amdhsa_user_sgpr_dispatch_ptr 0
		.amdhsa_user_sgpr_queue_ptr 0
		.amdhsa_user_sgpr_kernarg_segment_ptr 1
		.amdhsa_user_sgpr_dispatch_id 0
		.amdhsa_user_sgpr_private_segment_size 0
		.amdhsa_wavefront_size32 1
		.amdhsa_uses_dynamic_stack 0
		.amdhsa_enable_private_segment 0
		.amdhsa_system_sgpr_workgroup_id_x 1
		.amdhsa_system_sgpr_workgroup_id_y 0
		.amdhsa_system_sgpr_workgroup_id_z 0
		.amdhsa_system_sgpr_workgroup_info 0
		.amdhsa_system_vgpr_workitem_id 0
		.amdhsa_next_free_vgpr 21
		.amdhsa_next_free_sgpr 8
		.amdhsa_reserve_vcc 1
		.amdhsa_float_round_mode_32 0
		.amdhsa_float_round_mode_16_64 0
		.amdhsa_float_denorm_mode_32 3
		.amdhsa_float_denorm_mode_16_64 3
		.amdhsa_fp16_overflow 0
		.amdhsa_workgroup_processor_mode 1
		.amdhsa_memory_ordered 1
		.amdhsa_forward_progress 1
		.amdhsa_inst_pref_size 5
		.amdhsa_round_robin_scheduling 0
		.amdhsa_exception_fp_ieee_invalid_op 0
		.amdhsa_exception_fp_denorm_src 0
		.amdhsa_exception_fp_ieee_div_zero 0
		.amdhsa_exception_fp_ieee_overflow 0
		.amdhsa_exception_fp_ieee_underflow 0
		.amdhsa_exception_fp_ieee_inexact 0
		.amdhsa_exception_int_div_zero 0
	.end_amdhsa_kernel
	.section	.text._ZL22dequantize_block_iq2_sIfEvPKvPT_,"axG",@progbits,_ZL22dequantize_block_iq2_sIfEvPKvPT_,comdat
.Lfunc_end16:
	.size	_ZL22dequantize_block_iq2_sIfEvPKvPT_, .Lfunc_end16-_ZL22dequantize_block_iq2_sIfEvPKvPT_
                                        ; -- End function
	.set _ZL22dequantize_block_iq2_sIfEvPKvPT_.num_vgpr, 21
	.set _ZL22dequantize_block_iq2_sIfEvPKvPT_.num_agpr, 0
	.set _ZL22dequantize_block_iq2_sIfEvPKvPT_.numbered_sgpr, 8
	.set _ZL22dequantize_block_iq2_sIfEvPKvPT_.num_named_barrier, 0
	.set _ZL22dequantize_block_iq2_sIfEvPKvPT_.private_seg_size, 0
	.set _ZL22dequantize_block_iq2_sIfEvPKvPT_.uses_vcc, 1
	.set _ZL22dequantize_block_iq2_sIfEvPKvPT_.uses_flat_scratch, 0
	.set _ZL22dequantize_block_iq2_sIfEvPKvPT_.has_dyn_sized_stack, 0
	.set _ZL22dequantize_block_iq2_sIfEvPKvPT_.has_recursion, 0
	.set _ZL22dequantize_block_iq2_sIfEvPKvPT_.has_indirect_call, 0
	.section	.AMDGPU.csdata,"",@progbits
; Kernel info:
; codeLenInByte = 592
; TotalNumSgprs: 10
; NumVgprs: 21
; ScratchSize: 0
; MemoryBound: 0
; FloatMode: 240
; IeeeMode: 1
; LDSByteSize: 0 bytes/workgroup (compile time only)
; SGPRBlocks: 0
; VGPRBlocks: 2
; NumSGPRsForWavesPerEU: 10
; NumVGPRsForWavesPerEU: 21
; Occupancy: 16
; WaveLimiterHint : 0
; COMPUTE_PGM_RSRC2:SCRATCH_EN: 0
; COMPUTE_PGM_RSRC2:USER_SGPR: 2
; COMPUTE_PGM_RSRC2:TRAP_HANDLER: 0
; COMPUTE_PGM_RSRC2:TGID_X_EN: 1
; COMPUTE_PGM_RSRC2:TGID_Y_EN: 0
; COMPUTE_PGM_RSRC2:TGID_Z_EN: 0
; COMPUTE_PGM_RSRC2:TIDIG_COMP_CNT: 0
	.section	.text._ZL23dequantize_block_iq4_xsIfEvPKvPT_,"axG",@progbits,_ZL23dequantize_block_iq4_xsIfEvPKvPT_,comdat
	.globl	_ZL23dequantize_block_iq4_xsIfEvPKvPT_ ; -- Begin function _ZL23dequantize_block_iq4_xsIfEvPKvPT_
	.p2align	8
	.type	_ZL23dequantize_block_iq4_xsIfEvPKvPT_,@function
_ZL23dequantize_block_iq4_xsIfEvPKvPT_: ; @_ZL23dequantize_block_iq4_xsIfEvPKvPT_
; %bb.0:
	s_load_b128 s[0:3], s[0:1], 0x0
	v_and_b32_e32 v3, 7, v0
	s_lshl_b32 s4, ttmp9, 8
	s_mov_b32 s5, 0
	v_lshrrev_b32_e32 v1, 1, v0
	s_lshl_b64 s[6:7], s[4:5], 2
	s_mov_b32 s4, ttmp9
	v_lshlrev_b32_e32 v2, 4, v3
	s_mul_u64 s[4:5], s[4:5], 0x88
	v_and_b32_e32 v4, 0x1fc, v1
	v_bfe_u32 v5, v0, 1, 2
	v_lshlrev_b32_e32 v0, 2, v0
	s_delay_alu instid0(VALU_DEP_1) | instskip(SKIP_2) | instid1(SALU_CYCLE_1)
	v_and_b32_e32 v0, 4, v0
	s_wait_kmcnt 0x0
	s_add_nc_u64 s[0:1], s[0:1], s[4:5]
	v_add_co_u32 v1, s4, s0, v2
	s_delay_alu instid0(VALU_DEP_1) | instskip(SKIP_2) | instid1(VALU_DEP_1)
	v_add_co_ci_u32_e64 v2, null, s1, 0, s4
	global_load_u8 v5, v5, s[0:1] offset:4
	v_add_co_u32 v1, vcc_lo, v1, v4
	v_add_co_ci_u32_e64 v2, null, 0, v2, vcc_lo
	global_load_b32 v1, v[1:2], off offset:8
	v_mov_b32_e32 v2, 0
	global_load_b32 v2, v2, s[0:1]
	s_getpc_b64 s[0:1]
	s_wait_alu 0xfffe
	s_sext_i32_i16 s1, s1
	s_add_co_u32 s0, s0, _ZL13kvalues_iq4nl@rel32@lo+12
	s_wait_alu 0xfffe
	s_add_co_ci_u32 s1, s1, _ZL13kvalues_iq4nl@rel32@hi+24
	s_wait_loadcnt 0x2
	v_bfe_u32 v0, v5, v0, 4
	s_wait_loadcnt 0x1
	v_and_b32_e32 v6, 15, v1
	v_bfe_u32 v7, v1, 4, 4
	v_bfe_u32 v8, v1, 8, 4
	;; [unrolled: 1-line block ×6, first 2 shown]
	v_lshrrev_b32_e32 v1, 28, v1
	s_clause 0x7
	global_load_i8 v6, v6, s[0:1]
	global_load_i8 v7, v7, s[0:1]
	;; [unrolled: 1-line block ×8, first 2 shown]
	v_lshlrev_b32_e32 v8, 1, v3
	s_wait_loadcnt 0x8
	v_lshrrev_b32_e32 v9, 16, v2
	v_cvt_f32_f16_e32 v2, v2
	s_add_nc_u64 s[0:1], s[2:3], s[6:7]
	s_delay_alu instid0(VALU_DEP_2) | instskip(NEXT) | instid1(VALU_DEP_1)
	v_lshrrev_b32_e32 v8, v8, v9
	v_lshlrev_b32_e32 v5, 4, v8
	s_delay_alu instid0(VALU_DEP_1) | instskip(NEXT) | instid1(VALU_DEP_1)
	v_and_or_b32 v0, v5, 48, v0
	v_subrev_nc_u32_e32 v0, 32, v0
	s_delay_alu instid0(VALU_DEP_1) | instskip(NEXT) | instid1(VALU_DEP_1)
	v_cvt_f32_i32_e32 v0, v0
	v_mul_f32_e32 v15, v2, v0
	v_lshlrev_b32_e32 v4, 2, v4
	s_wait_loadcnt 0x7
	v_cvt_f32_i32_e32 v0, v6
	v_lshlrev_b32_e32 v3, 7, v3
	s_wait_loadcnt 0x6
	v_cvt_f32_i32_e32 v2, v7
	s_wait_loadcnt 0x3
	v_cvt_f32_i32_e32 v6, v10
	v_mul_f32_e32 v0, v15, v0
	s_wait_alu 0xfffe
	v_add_co_u32 v3, s0, s0, v3
	s_wait_alu 0xf1ff
	v_add_co_ci_u32_e64 v5, null, s1, 0, s0
	s_wait_loadcnt 0x1
	v_cvt_f32_i32_e32 v10, v12
	v_add_co_u32 v8, vcc_lo, v3, v4
	v_cvt_f32_i32_e32 v3, v13
	s_wait_alu 0xfffd
	v_add_co_ci_u32_e64 v9, null, 0, v5, vcc_lo
	v_cvt_f32_i32_e32 v5, v14
	v_cvt_f32_i32_e32 v7, v11
	s_wait_loadcnt 0x0
	v_cvt_f32_i32_e32 v11, v1
	v_mul_f32_e32 v4, v15, v2
	v_mul_f32_e32 v1, v15, v3
	;; [unrolled: 1-line block ×7, first 2 shown]
	s_clause 0x1
	global_store_b128 v[8:9], v[0:3], off
	global_store_b128 v[8:9], v[4:7], off offset:64
	s_endpgm
	.section	.rodata,"a",@progbits
	.p2align	6, 0x0
	.amdhsa_kernel _ZL23dequantize_block_iq4_xsIfEvPKvPT_
		.amdhsa_group_segment_fixed_size 0
		.amdhsa_private_segment_fixed_size 0
		.amdhsa_kernarg_size 16
		.amdhsa_user_sgpr_count 2
		.amdhsa_user_sgpr_dispatch_ptr 0
		.amdhsa_user_sgpr_queue_ptr 0
		.amdhsa_user_sgpr_kernarg_segment_ptr 1
		.amdhsa_user_sgpr_dispatch_id 0
		.amdhsa_user_sgpr_private_segment_size 0
		.amdhsa_wavefront_size32 1
		.amdhsa_uses_dynamic_stack 0
		.amdhsa_enable_private_segment 0
		.amdhsa_system_sgpr_workgroup_id_x 1
		.amdhsa_system_sgpr_workgroup_id_y 0
		.amdhsa_system_sgpr_workgroup_id_z 0
		.amdhsa_system_sgpr_workgroup_info 0
		.amdhsa_system_vgpr_workitem_id 0
		.amdhsa_next_free_vgpr 16
		.amdhsa_next_free_sgpr 8
		.amdhsa_reserve_vcc 1
		.amdhsa_float_round_mode_32 0
		.amdhsa_float_round_mode_16_64 0
		.amdhsa_float_denorm_mode_32 3
		.amdhsa_float_denorm_mode_16_64 3
		.amdhsa_fp16_overflow 0
		.amdhsa_workgroup_processor_mode 1
		.amdhsa_memory_ordered 1
		.amdhsa_forward_progress 1
		.amdhsa_inst_pref_size 5
		.amdhsa_round_robin_scheduling 0
		.amdhsa_exception_fp_ieee_invalid_op 0
		.amdhsa_exception_fp_denorm_src 0
		.amdhsa_exception_fp_ieee_div_zero 0
		.amdhsa_exception_fp_ieee_overflow 0
		.amdhsa_exception_fp_ieee_underflow 0
		.amdhsa_exception_fp_ieee_inexact 0
		.amdhsa_exception_int_div_zero 0
	.end_amdhsa_kernel
	.section	.text._ZL23dequantize_block_iq4_xsIfEvPKvPT_,"axG",@progbits,_ZL23dequantize_block_iq4_xsIfEvPKvPT_,comdat
.Lfunc_end17:
	.size	_ZL23dequantize_block_iq4_xsIfEvPKvPT_, .Lfunc_end17-_ZL23dequantize_block_iq4_xsIfEvPKvPT_
                                        ; -- End function
	.set _ZL23dequantize_block_iq4_xsIfEvPKvPT_.num_vgpr, 16
	.set _ZL23dequantize_block_iq4_xsIfEvPKvPT_.num_agpr, 0
	.set _ZL23dequantize_block_iq4_xsIfEvPKvPT_.numbered_sgpr, 8
	.set _ZL23dequantize_block_iq4_xsIfEvPKvPT_.num_named_barrier, 0
	.set _ZL23dequantize_block_iq4_xsIfEvPKvPT_.private_seg_size, 0
	.set _ZL23dequantize_block_iq4_xsIfEvPKvPT_.uses_vcc, 1
	.set _ZL23dequantize_block_iq4_xsIfEvPKvPT_.uses_flat_scratch, 0
	.set _ZL23dequantize_block_iq4_xsIfEvPKvPT_.has_dyn_sized_stack, 0
	.set _ZL23dequantize_block_iq4_xsIfEvPKvPT_.has_recursion, 0
	.set _ZL23dequantize_block_iq4_xsIfEvPKvPT_.has_indirect_call, 0
	.section	.AMDGPU.csdata,"",@progbits
; Kernel info:
; codeLenInByte = 588
; TotalNumSgprs: 10
; NumVgprs: 16
; ScratchSize: 0
; MemoryBound: 0
; FloatMode: 240
; IeeeMode: 1
; LDSByteSize: 0 bytes/workgroup (compile time only)
; SGPRBlocks: 0
; VGPRBlocks: 1
; NumSGPRsForWavesPerEU: 10
; NumVGPRsForWavesPerEU: 16
; Occupancy: 16
; WaveLimiterHint : 0
; COMPUTE_PGM_RSRC2:SCRATCH_EN: 0
; COMPUTE_PGM_RSRC2:USER_SGPR: 2
; COMPUTE_PGM_RSRC2:TRAP_HANDLER: 0
; COMPUTE_PGM_RSRC2:TGID_X_EN: 1
; COMPUTE_PGM_RSRC2:TGID_Y_EN: 0
; COMPUTE_PGM_RSRC2:TGID_Z_EN: 0
; COMPUTE_PGM_RSRC2:TIDIG_COMP_CNT: 0
	.section	.text._ZL22dequantize_block_iq1_mIfEvPKvPT_,"axG",@progbits,_ZL22dequantize_block_iq1_mIfEvPKvPT_,comdat
	.globl	_ZL22dequantize_block_iq1_mIfEvPKvPT_ ; -- Begin function _ZL22dequantize_block_iq1_mIfEvPKvPT_
	.p2align	8
	.type	_ZL22dequantize_block_iq1_mIfEvPKvPT_,@function
_ZL22dequantize_block_iq1_mIfEvPKvPT_:  ; @_ZL22dequantize_block_iq1_mIfEvPKvPT_
; %bb.0:
	s_load_b128 s[0:3], s[0:1], 0x0
	v_and_b32_e32 v5, 7, v0
	s_mov_b32 s4, ttmp9
	s_mov_b32 s5, 0
	v_lshrrev_b32_e32 v2, 3, v0
	s_mul_u64 s[6:7], s[4:5], 56
	v_dual_mov_b32 v10, 0xbf600000 :: v_dual_lshlrev_b32 v1, 2, v5
	v_lshrrev_b32_e32 v3, 4, v0
	v_lshlrev_b32_e32 v6, 1, v5
	s_delay_alu instid0(VALU_DEP_1) | instskip(SKIP_2) | instid1(SALU_CYCLE_1)
	v_add_nc_u32_e32 v7, v6, v3
	s_wait_kmcnt 0x0
	s_add_nc_u64 s[0:1], s[0:1], s[6:7]
	v_add_co_u32 v1, s6, s0, v1
	s_delay_alu instid0(VALU_DEP_1) | instskip(NEXT) | instid1(VALU_DEP_2)
	v_add_co_ci_u32_e64 v4, null, s1, 0, s6
	v_add_co_u32 v1, vcc_lo, v1, v2
	s_delay_alu instid0(VALU_DEP_1)
	v_add_co_ci_u32_e64 v2, null, 0, v4, vcc_lo
	s_clause 0x1
	global_load_u8 v8, v[1:2], off
	global_load_u8 v9, v7, s[0:1] offset:32
	v_add_nc_u16 v1, v6, v3
	v_mov_b32_e32 v2, 0
	v_lshrrev_b32_e32 v6, 1, v0
	v_and_b32_e32 v7, 3, v7
	s_delay_alu instid0(VALU_DEP_4) | instskip(NEXT) | instid1(VALU_DEP_1)
	v_lshrrev_b16 v1, 1, v1
	v_and_b32_e32 v3, 62, v1
	global_load_b64 v[1:2], v2, s[0:1] offset:48
	v_add_co_u32 v3, s0, s0, v3
	s_wait_alu 0xf1ff
	v_add_co_ci_u32_e64 v4, null, s1, 0, s0
	s_getpc_b64 s[0:1]
	s_wait_alu 0xfffe
	s_sext_i32_i16 s1, s1
	s_add_co_u32 s0, s0, _ZL13iq1s_grid_gpu@rel32@lo+12
	s_wait_alu 0xfffe
	s_add_co_ci_u32 s1, s1, _ZL13iq1s_grid_gpu@rel32@hi+24
	global_load_u16 v3, v[3:4], off offset:48
	v_and_b32_e32 v4, 4, v6
	s_wait_loadcnt 0x2
	s_delay_alu instid0(VALU_DEP_1) | instskip(NEXT) | instid1(VALU_DEP_1)
	v_lshrrev_b32_e32 v4, v4, v9
	v_lshlrev_b32_e32 v6, 8, v4
	v_and_b32_e32 v4, 8, v4
	s_delay_alu instid0(VALU_DEP_2) | instskip(NEXT) | instid1(VALU_DEP_1)
	v_and_or_b32 v6, 0x700, v6, v8
	v_lshlrev_b32_e32 v6, 3, v6
	global_load_b32 v6, v6, s[0:1]
	s_lshl_b64 s[0:1], s[4:5], 10
	s_wait_loadcnt 0x2
	v_readfirstlane_b32 s4, v2
	v_mul_u32_u24_e32 v2, 3, v7
	v_readfirstlane_b32 s5, v1
	v_lshlrev_b32_e32 v1, 7, v5
	s_wait_alu 0xfffe
	s_add_nc_u64 s[0:1], s[2:3], s[0:1]
	s_lshr_b32 s6, s4, 16
	s_wait_loadcnt 0x1
	v_lshrrev_b32_e32 v2, v2, v3
	s_bfe_u32 s7, s5, 0x4000c
	s_lshr_b32 s5, s5, 24
	s_lshr_b32 s4, s4, 4
	s_and_b32 s5, s5, 0xf0
	v_lshlrev_b32_e32 v2, 1, v2
	s_and_b32 s4, s4, 0xf00
	s_wait_alu 0xfffe
	s_or_b32 s5, s5, s7
	s_and_b32 s6, s6, 0xf000
	s_or_b32 s4, s5, s4
	v_and_or_b32 v2, v2, 14, 1
	s_wait_alu 0xfffe
	s_or_b32 s2, s4, s6
	v_add_co_u32 v1, s0, s0, v1
	s_wait_alu 0xf1ff
	v_add_co_ci_u32_e64 v3, null, s1, 0, s0
	v_cvt_f32_ubyte0_e32 v2, v2
	s_cvt_f32_f16 s0, s2
	s_wait_alu 0xfffe
	s_delay_alu instid0(VALU_DEP_1) | instid1(SALU_CYCLE_2)
	v_dual_mul_f32 v7, s0, v2 :: v_dual_and_b32 v0, 0x3f8, v0
	s_delay_alu instid0(VALU_DEP_1) | instskip(NEXT) | instid1(VALU_DEP_1)
	v_lshlrev_b32_e32 v0, 2, v0
	v_add_co_u32 v8, vcc_lo, v1, v0
	s_wait_alu 0xfffd
	v_add_co_ci_u32_e64 v9, null, 0, v3, vcc_lo
	v_cmp_eq_u32_e32 vcc_lo, 0, v4
	s_wait_alu 0xfffd
	v_cndmask_b32_e32 v0, 0xbf900000, v10, vcc_lo
	s_wait_loadcnt 0x0
	v_bfe_u32 v4, v6, 16, 4
	v_and_b32_e32 v2, 15, v6
	v_bfe_u32 v3, v6, 8, 4
	v_bfe_u32 v5, v6, 4, 4
	;; [unrolled: 1-line block ×3, first 2 shown]
	v_cvt_f32_ubyte0_e32 v4, v4
	v_bfe_u32 v11, v6, 20, 4
	v_cvt_f32_ubyte0_e32 v2, v2
	v_cvt_f32_ubyte0_e32 v3, v3
	;; [unrolled: 1-line block ×3, first 2 shown]
	v_dual_add_f32 v4, v0, v4 :: v_dual_and_b32 v1, 0xf000000, v6
	v_lshrrev_b32_e32 v6, 28, v6
	v_cvt_f32_ubyte0_e32 v10, v10
	v_cvt_f32_ubyte0_e32 v11, v11
	v_add_f32_e32 v2, v0, v2
	v_cvt_f32_ubyte3_e32 v1, v1
	v_cvt_f32_ubyte0_e32 v6, v6
	v_add_f32_e32 v3, v0, v3
	v_add_f32_e32 v5, v0, v5
	;; [unrolled: 1-line block ×6, first 2 shown]
	v_mul_f32_e32 v0, v7, v2
	v_mul_f32_e32 v1, v7, v3
	;; [unrolled: 1-line block ×8, first 2 shown]
	s_clause 0x1
	global_store_b128 v[8:9], v[0:3], off
	global_store_b128 v[8:9], v[4:7], off offset:16
	s_endpgm
	.section	.rodata,"a",@progbits
	.p2align	6, 0x0
	.amdhsa_kernel _ZL22dequantize_block_iq1_mIfEvPKvPT_
		.amdhsa_group_segment_fixed_size 0
		.amdhsa_private_segment_fixed_size 0
		.amdhsa_kernarg_size 16
		.amdhsa_user_sgpr_count 2
		.amdhsa_user_sgpr_dispatch_ptr 0
		.amdhsa_user_sgpr_queue_ptr 0
		.amdhsa_user_sgpr_kernarg_segment_ptr 1
		.amdhsa_user_sgpr_dispatch_id 0
		.amdhsa_user_sgpr_private_segment_size 0
		.amdhsa_wavefront_size32 1
		.amdhsa_uses_dynamic_stack 0
		.amdhsa_enable_private_segment 0
		.amdhsa_system_sgpr_workgroup_id_x 1
		.amdhsa_system_sgpr_workgroup_id_y 0
		.amdhsa_system_sgpr_workgroup_id_z 0
		.amdhsa_system_sgpr_workgroup_info 0
		.amdhsa_system_vgpr_workitem_id 0
		.amdhsa_next_free_vgpr 14
		.amdhsa_next_free_sgpr 8
		.amdhsa_reserve_vcc 1
		.amdhsa_float_round_mode_32 0
		.amdhsa_float_round_mode_16_64 0
		.amdhsa_float_denorm_mode_32 3
		.amdhsa_float_denorm_mode_16_64 3
		.amdhsa_fp16_overflow 0
		.amdhsa_workgroup_processor_mode 1
		.amdhsa_memory_ordered 1
		.amdhsa_forward_progress 1
		.amdhsa_inst_pref_size 6
		.amdhsa_round_robin_scheduling 0
		.amdhsa_exception_fp_ieee_invalid_op 0
		.amdhsa_exception_fp_denorm_src 0
		.amdhsa_exception_fp_ieee_div_zero 0
		.amdhsa_exception_fp_ieee_overflow 0
		.amdhsa_exception_fp_ieee_underflow 0
		.amdhsa_exception_fp_ieee_inexact 0
		.amdhsa_exception_int_div_zero 0
	.end_amdhsa_kernel
	.section	.text._ZL22dequantize_block_iq1_mIfEvPKvPT_,"axG",@progbits,_ZL22dequantize_block_iq1_mIfEvPKvPT_,comdat
.Lfunc_end18:
	.size	_ZL22dequantize_block_iq1_mIfEvPKvPT_, .Lfunc_end18-_ZL22dequantize_block_iq1_mIfEvPKvPT_
                                        ; -- End function
	.set _ZL22dequantize_block_iq1_mIfEvPKvPT_.num_vgpr, 14
	.set _ZL22dequantize_block_iq1_mIfEvPKvPT_.num_agpr, 0
	.set _ZL22dequantize_block_iq1_mIfEvPKvPT_.numbered_sgpr, 8
	.set _ZL22dequantize_block_iq1_mIfEvPKvPT_.num_named_barrier, 0
	.set _ZL22dequantize_block_iq1_mIfEvPKvPT_.private_seg_size, 0
	.set _ZL22dequantize_block_iq1_mIfEvPKvPT_.uses_vcc, 1
	.set _ZL22dequantize_block_iq1_mIfEvPKvPT_.uses_flat_scratch, 0
	.set _ZL22dequantize_block_iq1_mIfEvPKvPT_.has_dyn_sized_stack, 0
	.set _ZL22dequantize_block_iq1_mIfEvPKvPT_.has_recursion, 0
	.set _ZL22dequantize_block_iq1_mIfEvPKvPT_.has_indirect_call, 0
	.section	.AMDGPU.csdata,"",@progbits
; Kernel info:
; codeLenInByte = 696
; TotalNumSgprs: 10
; NumVgprs: 14
; ScratchSize: 0
; MemoryBound: 0
; FloatMode: 240
; IeeeMode: 1
; LDSByteSize: 0 bytes/workgroup (compile time only)
; SGPRBlocks: 0
; VGPRBlocks: 1
; NumSGPRsForWavesPerEU: 10
; NumVGPRsForWavesPerEU: 14
; Occupancy: 16
; WaveLimiterHint : 0
; COMPUTE_PGM_RSRC2:SCRATCH_EN: 0
; COMPUTE_PGM_RSRC2:USER_SGPR: 2
; COMPUTE_PGM_RSRC2:TRAP_HANDLER: 0
; COMPUTE_PGM_RSRC2:TGID_X_EN: 1
; COMPUTE_PGM_RSRC2:TGID_Y_EN: 0
; COMPUTE_PGM_RSRC2:TGID_Z_EN: 0
; COMPUTE_PGM_RSRC2:TIDIG_COMP_CNT: 0
	.section	.text._ZL16dequantize_blockILi32ELi2EXadL_ZL15dequantize_q4_0PKviiR7__half2EEN3c104HalfEEvS1_PT2_l,"axG",@progbits,_ZL16dequantize_blockILi32ELi2EXadL_ZL15dequantize_q4_0PKviiR7__half2EEN3c104HalfEEvS1_PT2_l,comdat
	.globl	_ZL16dequantize_blockILi32ELi2EXadL_ZL15dequantize_q4_0PKviiR7__half2EEN3c104HalfEEvS1_PT2_l ; -- Begin function _ZL16dequantize_blockILi32ELi2EXadL_ZL15dequantize_q4_0PKviiR7__half2EEN3c104HalfEEvS1_PT2_l
	.p2align	8
	.type	_ZL16dequantize_blockILi32ELi2EXadL_ZL15dequantize_q4_0PKviiR7__half2EEN3c104HalfEEvS1_PT2_l,@function
_ZL16dequantize_blockILi32ELi2EXadL_ZL15dequantize_q4_0PKviiR7__half2EEN3c104HalfEEvS1_PT2_l: ; @_ZL16dequantize_blockILi32ELi2EXadL_ZL15dequantize_q4_0PKviiR7__half2EEN3c104HalfEEvS1_PT2_l
; %bb.0:
	s_clause 0x1
	s_load_b32 s4, s[0:1], 0x24
	s_load_b64 s[2:3], s[0:1], 0x10
	v_mov_b32_e32 v1, 0
	s_wait_kmcnt 0x0
	s_and_b32 s4, s4, 0xffff
	s_delay_alu instid0(VALU_DEP_1) | instid1(SALU_CYCLE_1)
	v_mad_co_u64_u32 v[4:5], null, s4, ttmp9, v[0:1]
	s_delay_alu instid0(VALU_DEP_1) | instskip(NEXT) | instid1(VALU_DEP_1)
	v_lshlrev_b64_e32 v[2:3], 1, v[4:5]
	v_cmp_gt_i64_e32 vcc_lo, s[2:3], v[2:3]
	s_and_saveexec_b32 s2, vcc_lo
	s_cbranch_execz .LBB19_2
; %bb.1:
	s_load_b128 s[0:3], s[0:1], 0x0
	v_alignbit_b32 v0, v5, v4, 4
	v_and_b32_e32 v7, 15, v4
	s_wait_kmcnt 0x0
	s_delay_alu instid0(VALU_DEP_2) | instskip(NEXT) | instid1(VALU_DEP_1)
	v_mad_co_i64_i32 v[5:6], null, v0, 18, s[0:1]
	v_add_co_u32 v3, vcc_lo, v5, v7
	s_delay_alu instid0(VALU_DEP_1)
	v_add_co_ci_u32_e64 v4, null, 0, v6, vcc_lo
	s_clause 0x1
	global_load_u8 v0, v[3:4], off offset:2
	global_load_u16 v3, v[5:6], off
	s_wait_loadcnt 0x1
	v_and_b32_e32 v4, 15, v0
	v_lshrrev_b32_e32 v0, 4, v0
	s_wait_loadcnt 0x0
	v_lshl_or_b32 v3, v3, 16, v3
	s_delay_alu instid0(VALU_DEP_3) | instskip(NEXT) | instid1(VALU_DEP_3)
	v_cvt_f32_ubyte0_e32 v4, v4
	v_cvt_f32_ubyte0_e32 v5, v0
	v_mov_b32_e32 v0, v1
	v_and_or_b32 v1, 0xffffffe0, v2, v7
	s_delay_alu instid0(VALU_DEP_4) | instskip(NEXT) | instid1(VALU_DEP_4)
	v_cvt_f16_f32_e32 v4, v4
	v_cvt_f16_f32_e32 v5, v5
	s_delay_alu instid0(VALU_DEP_3) | instskip(NEXT) | instid1(VALU_DEP_2)
	v_ashrrev_i64 v[0:1], 31, v[0:1]
	v_pack_b32_f16 v2, v4, v5
	s_delay_alu instid0(VALU_DEP_2) | instskip(NEXT) | instid1(VALU_DEP_2)
	v_add_co_u32 v0, vcc_lo, s2, v0
	v_pk_add_f16 v2, 0xc800, v2 op_sel_hi:[0,1]
	s_wait_alu 0xfffd
	s_delay_alu instid0(VALU_DEP_4) | instskip(NEXT) | instid1(VALU_DEP_2)
	v_add_co_ci_u32_e64 v1, null, s3, v1, vcc_lo
	v_pk_mul_f16 v2, v2, v3
	s_clause 0x1
	global_store_b16 v[0:1], v2, off
	global_store_d16_hi_b16 v[0:1], v2, off offset:32
.LBB19_2:
	s_endpgm
	.section	.rodata,"a",@progbits
	.p2align	6, 0x0
	.amdhsa_kernel _ZL16dequantize_blockILi32ELi2EXadL_ZL15dequantize_q4_0PKviiR7__half2EEN3c104HalfEEvS1_PT2_l
		.amdhsa_group_segment_fixed_size 0
		.amdhsa_private_segment_fixed_size 0
		.amdhsa_kernarg_size 280
		.amdhsa_user_sgpr_count 2
		.amdhsa_user_sgpr_dispatch_ptr 0
		.amdhsa_user_sgpr_queue_ptr 0
		.amdhsa_user_sgpr_kernarg_segment_ptr 1
		.amdhsa_user_sgpr_dispatch_id 0
		.amdhsa_user_sgpr_private_segment_size 0
		.amdhsa_wavefront_size32 1
		.amdhsa_uses_dynamic_stack 0
		.amdhsa_enable_private_segment 0
		.amdhsa_system_sgpr_workgroup_id_x 1
		.amdhsa_system_sgpr_workgroup_id_y 0
		.amdhsa_system_sgpr_workgroup_id_z 0
		.amdhsa_system_sgpr_workgroup_info 0
		.amdhsa_system_vgpr_workitem_id 0
		.amdhsa_next_free_vgpr 8
		.amdhsa_next_free_sgpr 5
		.amdhsa_reserve_vcc 1
		.amdhsa_float_round_mode_32 0
		.amdhsa_float_round_mode_16_64 0
		.amdhsa_float_denorm_mode_32 3
		.amdhsa_float_denorm_mode_16_64 3
		.amdhsa_fp16_overflow 0
		.amdhsa_workgroup_processor_mode 1
		.amdhsa_memory_ordered 1
		.amdhsa_forward_progress 1
		.amdhsa_inst_pref_size 3
		.amdhsa_round_robin_scheduling 0
		.amdhsa_exception_fp_ieee_invalid_op 0
		.amdhsa_exception_fp_denorm_src 0
		.amdhsa_exception_fp_ieee_div_zero 0
		.amdhsa_exception_fp_ieee_overflow 0
		.amdhsa_exception_fp_ieee_underflow 0
		.amdhsa_exception_fp_ieee_inexact 0
		.amdhsa_exception_int_div_zero 0
	.end_amdhsa_kernel
	.section	.text._ZL16dequantize_blockILi32ELi2EXadL_ZL15dequantize_q4_0PKviiR7__half2EEN3c104HalfEEvS1_PT2_l,"axG",@progbits,_ZL16dequantize_blockILi32ELi2EXadL_ZL15dequantize_q4_0PKviiR7__half2EEN3c104HalfEEvS1_PT2_l,comdat
.Lfunc_end19:
	.size	_ZL16dequantize_blockILi32ELi2EXadL_ZL15dequantize_q4_0PKviiR7__half2EEN3c104HalfEEvS1_PT2_l, .Lfunc_end19-_ZL16dequantize_blockILi32ELi2EXadL_ZL15dequantize_q4_0PKviiR7__half2EEN3c104HalfEEvS1_PT2_l
                                        ; -- End function
	.set _ZL16dequantize_blockILi32ELi2EXadL_ZL15dequantize_q4_0PKviiR7__half2EEN3c104HalfEEvS1_PT2_l.num_vgpr, 8
	.set _ZL16dequantize_blockILi32ELi2EXadL_ZL15dequantize_q4_0PKviiR7__half2EEN3c104HalfEEvS1_PT2_l.num_agpr, 0
	.set _ZL16dequantize_blockILi32ELi2EXadL_ZL15dequantize_q4_0PKviiR7__half2EEN3c104HalfEEvS1_PT2_l.numbered_sgpr, 5
	.set _ZL16dequantize_blockILi32ELi2EXadL_ZL15dequantize_q4_0PKviiR7__half2EEN3c104HalfEEvS1_PT2_l.num_named_barrier, 0
	.set _ZL16dequantize_blockILi32ELi2EXadL_ZL15dequantize_q4_0PKviiR7__half2EEN3c104HalfEEvS1_PT2_l.private_seg_size, 0
	.set _ZL16dequantize_blockILi32ELi2EXadL_ZL15dequantize_q4_0PKviiR7__half2EEN3c104HalfEEvS1_PT2_l.uses_vcc, 1
	.set _ZL16dequantize_blockILi32ELi2EXadL_ZL15dequantize_q4_0PKviiR7__half2EEN3c104HalfEEvS1_PT2_l.uses_flat_scratch, 0
	.set _ZL16dequantize_blockILi32ELi2EXadL_ZL15dequantize_q4_0PKviiR7__half2EEN3c104HalfEEvS1_PT2_l.has_dyn_sized_stack, 0
	.set _ZL16dequantize_blockILi32ELi2EXadL_ZL15dequantize_q4_0PKviiR7__half2EEN3c104HalfEEvS1_PT2_l.has_recursion, 0
	.set _ZL16dequantize_blockILi32ELi2EXadL_ZL15dequantize_q4_0PKviiR7__half2EEN3c104HalfEEvS1_PT2_l.has_indirect_call, 0
	.section	.AMDGPU.csdata,"",@progbits
; Kernel info:
; codeLenInByte = 316
; TotalNumSgprs: 7
; NumVgprs: 8
; ScratchSize: 0
; MemoryBound: 0
; FloatMode: 240
; IeeeMode: 1
; LDSByteSize: 0 bytes/workgroup (compile time only)
; SGPRBlocks: 0
; VGPRBlocks: 0
; NumSGPRsForWavesPerEU: 7
; NumVGPRsForWavesPerEU: 8
; Occupancy: 16
; WaveLimiterHint : 0
; COMPUTE_PGM_RSRC2:SCRATCH_EN: 0
; COMPUTE_PGM_RSRC2:USER_SGPR: 2
; COMPUTE_PGM_RSRC2:TRAP_HANDLER: 0
; COMPUTE_PGM_RSRC2:TGID_X_EN: 1
; COMPUTE_PGM_RSRC2:TGID_Y_EN: 0
; COMPUTE_PGM_RSRC2:TGID_Z_EN: 0
; COMPUTE_PGM_RSRC2:TIDIG_COMP_CNT: 0
	.section	.text._ZL16dequantize_blockILi32ELi2EXadL_ZL15dequantize_q4_1PKviiR7__half2EEN3c104HalfEEvS1_PT2_l,"axG",@progbits,_ZL16dequantize_blockILi32ELi2EXadL_ZL15dequantize_q4_1PKviiR7__half2EEN3c104HalfEEvS1_PT2_l,comdat
	.globl	_ZL16dequantize_blockILi32ELi2EXadL_ZL15dequantize_q4_1PKviiR7__half2EEN3c104HalfEEvS1_PT2_l ; -- Begin function _ZL16dequantize_blockILi32ELi2EXadL_ZL15dequantize_q4_1PKviiR7__half2EEN3c104HalfEEvS1_PT2_l
	.p2align	8
	.type	_ZL16dequantize_blockILi32ELi2EXadL_ZL15dequantize_q4_1PKviiR7__half2EEN3c104HalfEEvS1_PT2_l,@function
_ZL16dequantize_blockILi32ELi2EXadL_ZL15dequantize_q4_1PKviiR7__half2EEN3c104HalfEEvS1_PT2_l: ; @_ZL16dequantize_blockILi32ELi2EXadL_ZL15dequantize_q4_1PKviiR7__half2EEN3c104HalfEEvS1_PT2_l
; %bb.0:
	s_clause 0x1
	s_load_b32 s4, s[0:1], 0x24
	s_load_b64 s[2:3], s[0:1], 0x10
	v_mov_b32_e32 v1, 0
	s_wait_kmcnt 0x0
	s_and_b32 s4, s4, 0xffff
	s_delay_alu instid0(VALU_DEP_1) | instid1(SALU_CYCLE_1)
	v_mad_co_u64_u32 v[4:5], null, s4, ttmp9, v[0:1]
	s_delay_alu instid0(VALU_DEP_1) | instskip(NEXT) | instid1(VALU_DEP_1)
	v_lshlrev_b64_e32 v[2:3], 1, v[4:5]
	v_cmp_gt_i64_e32 vcc_lo, s[2:3], v[2:3]
	s_and_saveexec_b32 s2, vcc_lo
	s_cbranch_execz .LBB20_2
; %bb.1:
	s_load_b128 s[0:3], s[0:1], 0x0
	v_alignbit_b32 v0, v5, v4, 4
	v_and_b32_e32 v7, 15, v4
	s_wait_kmcnt 0x0
	s_delay_alu instid0(VALU_DEP_2) | instskip(NEXT) | instid1(VALU_DEP_1)
	v_mad_co_i64_i32 v[5:6], null, v0, 20, s[0:1]
	v_add_co_u32 v3, vcc_lo, v5, v7
	s_delay_alu instid0(VALU_DEP_1)
	v_add_co_ci_u32_e64 v4, null, 0, v6, vcc_lo
	s_clause 0x1
	global_load_u8 v0, v[3:4], off offset:4
	global_load_b32 v3, v[5:6], off
	s_wait_loadcnt 0x1
	v_and_b32_e32 v4, 15, v0
	v_lshrrev_b32_e32 v5, 4, v0
	v_mov_b32_e32 v0, v1
	v_and_or_b32 v1, 0xffffffe0, v2, v7
	s_wait_loadcnt 0x0
	v_lshrrev_b32_e32 v2, 16, v3
	v_cvt_f32_ubyte0_e32 v4, v4
	v_cvt_f32_ubyte0_e32 v5, v5
	v_and_b32_e32 v6, 0xffff, v3
	v_ashrrev_i64 v[0:1], 31, v[0:1]
	v_and_or_b32 v2, 0xffff0000, v3, v2
	v_cvt_f16_f32_e32 v4, v4
	v_cvt_f16_f32_e32 v5, v5
	v_mul_u32_u24_e32 v6, 0x10001, v6
	v_add_co_u32 v0, vcc_lo, s2, v0
	s_delay_alu instid0(VALU_DEP_3) | instskip(SKIP_2) | instid1(VALU_DEP_2)
	v_pack_b32_f16 v3, v4, v5
	s_wait_alu 0xfffd
	v_add_co_ci_u32_e64 v1, null, s3, v1, vcc_lo
	v_pk_fma_f16 v2, v3, v6, v2
	s_clause 0x1
	global_store_b16 v[0:1], v2, off
	global_store_d16_hi_b16 v[0:1], v2, off offset:32
.LBB20_2:
	s_endpgm
	.section	.rodata,"a",@progbits
	.p2align	6, 0x0
	.amdhsa_kernel _ZL16dequantize_blockILi32ELi2EXadL_ZL15dequantize_q4_1PKviiR7__half2EEN3c104HalfEEvS1_PT2_l
		.amdhsa_group_segment_fixed_size 0
		.amdhsa_private_segment_fixed_size 0
		.amdhsa_kernarg_size 280
		.amdhsa_user_sgpr_count 2
		.amdhsa_user_sgpr_dispatch_ptr 0
		.amdhsa_user_sgpr_queue_ptr 0
		.amdhsa_user_sgpr_kernarg_segment_ptr 1
		.amdhsa_user_sgpr_dispatch_id 0
		.amdhsa_user_sgpr_private_segment_size 0
		.amdhsa_wavefront_size32 1
		.amdhsa_uses_dynamic_stack 0
		.amdhsa_enable_private_segment 0
		.amdhsa_system_sgpr_workgroup_id_x 1
		.amdhsa_system_sgpr_workgroup_id_y 0
		.amdhsa_system_sgpr_workgroup_id_z 0
		.amdhsa_system_sgpr_workgroup_info 0
		.amdhsa_system_vgpr_workitem_id 0
		.amdhsa_next_free_vgpr 8
		.amdhsa_next_free_sgpr 5
		.amdhsa_reserve_vcc 1
		.amdhsa_float_round_mode_32 0
		.amdhsa_float_round_mode_16_64 0
		.amdhsa_float_denorm_mode_32 3
		.amdhsa_float_denorm_mode_16_64 3
		.amdhsa_fp16_overflow 0
		.amdhsa_workgroup_processor_mode 1
		.amdhsa_memory_ordered 1
		.amdhsa_forward_progress 1
		.amdhsa_inst_pref_size 3
		.amdhsa_round_robin_scheduling 0
		.amdhsa_exception_fp_ieee_invalid_op 0
		.amdhsa_exception_fp_denorm_src 0
		.amdhsa_exception_fp_ieee_div_zero 0
		.amdhsa_exception_fp_ieee_overflow 0
		.amdhsa_exception_fp_ieee_underflow 0
		.amdhsa_exception_fp_ieee_inexact 0
		.amdhsa_exception_int_div_zero 0
	.end_amdhsa_kernel
	.section	.text._ZL16dequantize_blockILi32ELi2EXadL_ZL15dequantize_q4_1PKviiR7__half2EEN3c104HalfEEvS1_PT2_l,"axG",@progbits,_ZL16dequantize_blockILi32ELi2EXadL_ZL15dequantize_q4_1PKviiR7__half2EEN3c104HalfEEvS1_PT2_l,comdat
.Lfunc_end20:
	.size	_ZL16dequantize_blockILi32ELi2EXadL_ZL15dequantize_q4_1PKviiR7__half2EEN3c104HalfEEvS1_PT2_l, .Lfunc_end20-_ZL16dequantize_blockILi32ELi2EXadL_ZL15dequantize_q4_1PKviiR7__half2EEN3c104HalfEEvS1_PT2_l
                                        ; -- End function
	.set _ZL16dequantize_blockILi32ELi2EXadL_ZL15dequantize_q4_1PKviiR7__half2EEN3c104HalfEEvS1_PT2_l.num_vgpr, 8
	.set _ZL16dequantize_blockILi32ELi2EXadL_ZL15dequantize_q4_1PKviiR7__half2EEN3c104HalfEEvS1_PT2_l.num_agpr, 0
	.set _ZL16dequantize_blockILi32ELi2EXadL_ZL15dequantize_q4_1PKviiR7__half2EEN3c104HalfEEvS1_PT2_l.numbered_sgpr, 5
	.set _ZL16dequantize_blockILi32ELi2EXadL_ZL15dequantize_q4_1PKviiR7__half2EEN3c104HalfEEvS1_PT2_l.num_named_barrier, 0
	.set _ZL16dequantize_blockILi32ELi2EXadL_ZL15dequantize_q4_1PKviiR7__half2EEN3c104HalfEEvS1_PT2_l.private_seg_size, 0
	.set _ZL16dequantize_blockILi32ELi2EXadL_ZL15dequantize_q4_1PKviiR7__half2EEN3c104HalfEEvS1_PT2_l.uses_vcc, 1
	.set _ZL16dequantize_blockILi32ELi2EXadL_ZL15dequantize_q4_1PKviiR7__half2EEN3c104HalfEEvS1_PT2_l.uses_flat_scratch, 0
	.set _ZL16dequantize_blockILi32ELi2EXadL_ZL15dequantize_q4_1PKviiR7__half2EEN3c104HalfEEvS1_PT2_l.has_dyn_sized_stack, 0
	.set _ZL16dequantize_blockILi32ELi2EXadL_ZL15dequantize_q4_1PKviiR7__half2EEN3c104HalfEEvS1_PT2_l.has_recursion, 0
	.set _ZL16dequantize_blockILi32ELi2EXadL_ZL15dequantize_q4_1PKviiR7__half2EEN3c104HalfEEvS1_PT2_l.has_indirect_call, 0
	.section	.AMDGPU.csdata,"",@progbits
; Kernel info:
; codeLenInByte = 312
; TotalNumSgprs: 7
; NumVgprs: 8
; ScratchSize: 0
; MemoryBound: 0
; FloatMode: 240
; IeeeMode: 1
; LDSByteSize: 0 bytes/workgroup (compile time only)
; SGPRBlocks: 0
; VGPRBlocks: 0
; NumSGPRsForWavesPerEU: 7
; NumVGPRsForWavesPerEU: 8
; Occupancy: 16
; WaveLimiterHint : 0
; COMPUTE_PGM_RSRC2:SCRATCH_EN: 0
; COMPUTE_PGM_RSRC2:USER_SGPR: 2
; COMPUTE_PGM_RSRC2:TRAP_HANDLER: 0
; COMPUTE_PGM_RSRC2:TGID_X_EN: 1
; COMPUTE_PGM_RSRC2:TGID_Y_EN: 0
; COMPUTE_PGM_RSRC2:TGID_Z_EN: 0
; COMPUTE_PGM_RSRC2:TIDIG_COMP_CNT: 0
	.section	.text._ZL16dequantize_blockILi32ELi2EXadL_ZL15dequantize_q5_0PKviiR7__half2EEN3c104HalfEEvS1_PT2_l,"axG",@progbits,_ZL16dequantize_blockILi32ELi2EXadL_ZL15dequantize_q5_0PKviiR7__half2EEN3c104HalfEEvS1_PT2_l,comdat
	.globl	_ZL16dequantize_blockILi32ELi2EXadL_ZL15dequantize_q5_0PKviiR7__half2EEN3c104HalfEEvS1_PT2_l ; -- Begin function _ZL16dequantize_blockILi32ELi2EXadL_ZL15dequantize_q5_0PKviiR7__half2EEN3c104HalfEEvS1_PT2_l
	.p2align	8
	.type	_ZL16dequantize_blockILi32ELi2EXadL_ZL15dequantize_q5_0PKviiR7__half2EEN3c104HalfEEvS1_PT2_l,@function
_ZL16dequantize_blockILi32ELi2EXadL_ZL15dequantize_q5_0PKviiR7__half2EEN3c104HalfEEvS1_PT2_l: ; @_ZL16dequantize_blockILi32ELi2EXadL_ZL15dequantize_q5_0PKviiR7__half2EEN3c104HalfEEvS1_PT2_l
; %bb.0:
	s_clause 0x1
	s_load_b32 s4, s[0:1], 0x24
	s_load_b64 s[2:3], s[0:1], 0x10
	v_mov_b32_e32 v1, 0
	s_wait_kmcnt 0x0
	s_and_b32 s4, s4, 0xffff
	s_delay_alu instid0(VALU_DEP_1) | instid1(SALU_CYCLE_1)
	v_mad_co_u64_u32 v[2:3], null, s4, ttmp9, v[0:1]
	s_delay_alu instid0(VALU_DEP_1) | instskip(NEXT) | instid1(VALU_DEP_1)
	v_lshlrev_b64_e32 v[0:1], 1, v[2:3]
	v_cmp_gt_i64_e32 vcc_lo, s[2:3], v[0:1]
	s_and_saveexec_b32 s2, vcc_lo
	s_cbranch_execz .LBB21_2
; %bb.1:
	s_load_b128 s[0:3], s[0:1], 0x0
	v_alignbit_b32 v1, v3, v2, 4
	v_and_b32_e32 v5, 15, v2
	s_delay_alu instid0(VALU_DEP_1) | instskip(SKIP_1) | instid1(VALU_DEP_3)
	v_and_or_b32 v0, 0xffffffe0, v0, v5
	s_wait_kmcnt 0x0
	v_mad_co_i64_i32 v[3:4], null, v1, 22, s[0:1]
	s_clause 0x1
	global_load_b32 v6, v[3:4], off
	global_load_u16 v7, v[3:4], off offset:4
	v_add_co_u32 v1, vcc_lo, v3, v5
	s_delay_alu instid0(VALU_DEP_1) | instskip(SKIP_4) | instid1(VALU_DEP_1)
	v_add_co_ci_u32_e64 v2, null, 0, v4, vcc_lo
	v_add_nc_u32_e32 v3, 12, v5
	global_load_u8 v1, v[1:2], off offset:6
	s_wait_loadcnt 0x1
	v_perm_b32 v2, v6, v7, 0x1000706
	v_lshrrev_b32_e32 v4, v5, v2
	v_lshrrev_b32_e32 v2, v3, v2
	s_wait_loadcnt 0x0
	v_and_b32_e32 v3, 15, v1
	v_lshrrev_b16 v1, 4, v1
	v_lshlrev_b32_e32 v4, 4, v4
	s_delay_alu instid0(VALU_DEP_2) | instskip(NEXT) | instid1(VALU_DEP_2)
	v_and_or_b32 v1, v2, 16, v1
	v_and_or_b32 v2, v4, 16, v3
	v_and_b32_e32 v4, 0xffff, v6
	s_delay_alu instid0(VALU_DEP_3) | instskip(NEXT) | instid1(VALU_DEP_3)
	v_cvt_f32_ubyte0_e32 v1, v1
	v_cvt_f32_ubyte0_e32 v2, v2
	s_delay_alu instid0(VALU_DEP_2) | instskip(NEXT) | instid1(VALU_DEP_2)
	v_cvt_f16_f32_e32 v3, v1
	v_cvt_f16_f32_e32 v2, v2
	v_ashrrev_i32_e32 v1, 31, v0
	s_delay_alu instid0(VALU_DEP_2) | instskip(NEXT) | instid1(VALU_DEP_2)
	v_pack_b32_f16 v2, v2, v3
	v_lshlrev_b64_e32 v[0:1], 1, v[0:1]
	v_lshl_or_b32 v3, v6, 16, v4
	s_delay_alu instid0(VALU_DEP_3) | instskip(NEXT) | instid1(VALU_DEP_3)
	v_pk_add_f16 v2, 0xcc00, v2 op_sel_hi:[0,1]
	v_add_co_u32 v0, vcc_lo, s2, v0
	s_wait_alu 0xfffd
	s_delay_alu instid0(VALU_DEP_4) | instskip(NEXT) | instid1(VALU_DEP_3)
	v_add_co_ci_u32_e64 v1, null, s3, v1, vcc_lo
	v_pk_mul_f16 v2, v2, v3
	s_clause 0x1
	global_store_b16 v[0:1], v2, off
	global_store_d16_hi_b16 v[0:1], v2, off offset:32
.LBB21_2:
	s_endpgm
	.section	.rodata,"a",@progbits
	.p2align	6, 0x0
	.amdhsa_kernel _ZL16dequantize_blockILi32ELi2EXadL_ZL15dequantize_q5_0PKviiR7__half2EEN3c104HalfEEvS1_PT2_l
		.amdhsa_group_segment_fixed_size 0
		.amdhsa_private_segment_fixed_size 0
		.amdhsa_kernarg_size 280
		.amdhsa_user_sgpr_count 2
		.amdhsa_user_sgpr_dispatch_ptr 0
		.amdhsa_user_sgpr_queue_ptr 0
		.amdhsa_user_sgpr_kernarg_segment_ptr 1
		.amdhsa_user_sgpr_dispatch_id 0
		.amdhsa_user_sgpr_private_segment_size 0
		.amdhsa_wavefront_size32 1
		.amdhsa_uses_dynamic_stack 0
		.amdhsa_enable_private_segment 0
		.amdhsa_system_sgpr_workgroup_id_x 1
		.amdhsa_system_sgpr_workgroup_id_y 0
		.amdhsa_system_sgpr_workgroup_id_z 0
		.amdhsa_system_sgpr_workgroup_info 0
		.amdhsa_system_vgpr_workitem_id 0
		.amdhsa_next_free_vgpr 8
		.amdhsa_next_free_sgpr 5
		.amdhsa_reserve_vcc 1
		.amdhsa_float_round_mode_32 0
		.amdhsa_float_round_mode_16_64 0
		.amdhsa_float_denorm_mode_32 3
		.amdhsa_float_denorm_mode_16_64 3
		.amdhsa_fp16_overflow 0
		.amdhsa_workgroup_processor_mode 1
		.amdhsa_memory_ordered 1
		.amdhsa_forward_progress 1
		.amdhsa_inst_pref_size 3
		.amdhsa_round_robin_scheduling 0
		.amdhsa_exception_fp_ieee_invalid_op 0
		.amdhsa_exception_fp_denorm_src 0
		.amdhsa_exception_fp_ieee_div_zero 0
		.amdhsa_exception_fp_ieee_overflow 0
		.amdhsa_exception_fp_ieee_underflow 0
		.amdhsa_exception_fp_ieee_inexact 0
		.amdhsa_exception_int_div_zero 0
	.end_amdhsa_kernel
	.section	.text._ZL16dequantize_blockILi32ELi2EXadL_ZL15dequantize_q5_0PKviiR7__half2EEN3c104HalfEEvS1_PT2_l,"axG",@progbits,_ZL16dequantize_blockILi32ELi2EXadL_ZL15dequantize_q5_0PKviiR7__half2EEN3c104HalfEEvS1_PT2_l,comdat
.Lfunc_end21:
	.size	_ZL16dequantize_blockILi32ELi2EXadL_ZL15dequantize_q5_0PKviiR7__half2EEN3c104HalfEEvS1_PT2_l, .Lfunc_end21-_ZL16dequantize_blockILi32ELi2EXadL_ZL15dequantize_q5_0PKviiR7__half2EEN3c104HalfEEvS1_PT2_l
                                        ; -- End function
	.set _ZL16dequantize_blockILi32ELi2EXadL_ZL15dequantize_q5_0PKviiR7__half2EEN3c104HalfEEvS1_PT2_l.num_vgpr, 8
	.set _ZL16dequantize_blockILi32ELi2EXadL_ZL15dequantize_q5_0PKviiR7__half2EEN3c104HalfEEvS1_PT2_l.num_agpr, 0
	.set _ZL16dequantize_blockILi32ELi2EXadL_ZL15dequantize_q5_0PKviiR7__half2EEN3c104HalfEEvS1_PT2_l.numbered_sgpr, 5
	.set _ZL16dequantize_blockILi32ELi2EXadL_ZL15dequantize_q5_0PKviiR7__half2EEN3c104HalfEEvS1_PT2_l.num_named_barrier, 0
	.set _ZL16dequantize_blockILi32ELi2EXadL_ZL15dequantize_q5_0PKviiR7__half2EEN3c104HalfEEvS1_PT2_l.private_seg_size, 0
	.set _ZL16dequantize_blockILi32ELi2EXadL_ZL15dequantize_q5_0PKviiR7__half2EEN3c104HalfEEvS1_PT2_l.uses_vcc, 1
	.set _ZL16dequantize_blockILi32ELi2EXadL_ZL15dequantize_q5_0PKviiR7__half2EEN3c104HalfEEvS1_PT2_l.uses_flat_scratch, 0
	.set _ZL16dequantize_blockILi32ELi2EXadL_ZL15dequantize_q5_0PKviiR7__half2EEN3c104HalfEEvS1_PT2_l.has_dyn_sized_stack, 0
	.set _ZL16dequantize_blockILi32ELi2EXadL_ZL15dequantize_q5_0PKviiR7__half2EEN3c104HalfEEvS1_PT2_l.has_recursion, 0
	.set _ZL16dequantize_blockILi32ELi2EXadL_ZL15dequantize_q5_0PKviiR7__half2EEN3c104HalfEEvS1_PT2_l.has_indirect_call, 0
	.section	.AMDGPU.csdata,"",@progbits
; Kernel info:
; codeLenInByte = 384
; TotalNumSgprs: 7
; NumVgprs: 8
; ScratchSize: 0
; MemoryBound: 0
; FloatMode: 240
; IeeeMode: 1
; LDSByteSize: 0 bytes/workgroup (compile time only)
; SGPRBlocks: 0
; VGPRBlocks: 0
; NumSGPRsForWavesPerEU: 7
; NumVGPRsForWavesPerEU: 8
; Occupancy: 16
; WaveLimiterHint : 0
; COMPUTE_PGM_RSRC2:SCRATCH_EN: 0
; COMPUTE_PGM_RSRC2:USER_SGPR: 2
; COMPUTE_PGM_RSRC2:TRAP_HANDLER: 0
; COMPUTE_PGM_RSRC2:TGID_X_EN: 1
; COMPUTE_PGM_RSRC2:TGID_Y_EN: 0
; COMPUTE_PGM_RSRC2:TGID_Z_EN: 0
; COMPUTE_PGM_RSRC2:TIDIG_COMP_CNT: 0
	.section	.text._ZL16dequantize_blockILi32ELi2EXadL_ZL15dequantize_q5_1PKviiR7__half2EEN3c104HalfEEvS1_PT2_l,"axG",@progbits,_ZL16dequantize_blockILi32ELi2EXadL_ZL15dequantize_q5_1PKviiR7__half2EEN3c104HalfEEvS1_PT2_l,comdat
	.globl	_ZL16dequantize_blockILi32ELi2EXadL_ZL15dequantize_q5_1PKviiR7__half2EEN3c104HalfEEvS1_PT2_l ; -- Begin function _ZL16dequantize_blockILi32ELi2EXadL_ZL15dequantize_q5_1PKviiR7__half2EEN3c104HalfEEvS1_PT2_l
	.p2align	8
	.type	_ZL16dequantize_blockILi32ELi2EXadL_ZL15dequantize_q5_1PKviiR7__half2EEN3c104HalfEEvS1_PT2_l,@function
_ZL16dequantize_blockILi32ELi2EXadL_ZL15dequantize_q5_1PKviiR7__half2EEN3c104HalfEEvS1_PT2_l: ; @_ZL16dequantize_blockILi32ELi2EXadL_ZL15dequantize_q5_1PKviiR7__half2EEN3c104HalfEEvS1_PT2_l
; %bb.0:
	s_clause 0x1
	s_load_b32 s4, s[0:1], 0x24
	s_load_b64 s[2:3], s[0:1], 0x10
	v_mov_b32_e32 v1, 0
	s_wait_kmcnt 0x0
	s_and_b32 s4, s4, 0xffff
	s_delay_alu instid0(VALU_DEP_1) | instid1(SALU_CYCLE_1)
	v_mad_co_u64_u32 v[2:3], null, s4, ttmp9, v[0:1]
	s_delay_alu instid0(VALU_DEP_1) | instskip(NEXT) | instid1(VALU_DEP_1)
	v_lshlrev_b64_e32 v[0:1], 1, v[2:3]
	v_cmp_gt_i64_e32 vcc_lo, s[2:3], v[0:1]
	s_and_saveexec_b32 s2, vcc_lo
	s_cbranch_execz .LBB22_2
; %bb.1:
	s_load_b128 s[0:3], s[0:1], 0x0
	v_alignbit_b32 v1, v3, v2, 4
	v_and_b32_e32 v5, 15, v2
	s_wait_kmcnt 0x0
	s_delay_alu instid0(VALU_DEP_2) | instskip(SKIP_2) | instid1(VALU_DEP_1)
	v_mad_co_i64_i32 v[3:4], null, v1, 24, s[0:1]
	global_load_b64 v[1:2], v[3:4], off
	v_add_co_u32 v3, vcc_lo, v3, v5
	v_add_co_ci_u32_e64 v4, null, 0, v4, vcc_lo
	global_load_u8 v3, v[3:4], off offset:8
	v_add_nc_u32_e32 v4, 12, v5
	s_wait_loadcnt 0x1
	v_lshrrev_b32_e32 v6, v5, v2
	s_delay_alu instid0(VALU_DEP_2) | instskip(NEXT) | instid1(VALU_DEP_2)
	v_lshrrev_b32_e32 v2, v4, v2
	v_lshlrev_b32_e32 v4, 4, v6
	s_wait_loadcnt 0x0
	v_and_b32_e32 v6, 15, v3
	v_lshrrev_b16 v3, 4, v3
	s_delay_alu instid0(VALU_DEP_2) | instskip(NEXT) | instid1(VALU_DEP_2)
	v_and_or_b32 v4, v4, 16, v6
	v_and_or_b32 v3, v2, 16, v3
	;; [unrolled: 1-line block ×3, first 2 shown]
	v_lshrrev_b32_e32 v5, 16, v1
	v_and_b32_e32 v6, 0xffff, v1
	v_cvt_f32_ubyte0_e32 v0, v4
	v_cvt_f32_ubyte0_e32 v4, v3
	v_ashrrev_i32_e32 v3, 31, v2
	v_and_or_b32 v5, 0xffff0000, v1, v5
	v_mul_u32_u24_e32 v6, 0x10001, v6
	v_cvt_f16_f32_e32 v0, v0
	v_cvt_f16_f32_e32 v4, v4
	v_lshlrev_b64_e32 v[2:3], 1, v[2:3]
	s_delay_alu instid0(VALU_DEP_2) | instskip(NEXT) | instid1(VALU_DEP_2)
	v_pack_b32_f16 v4, v0, v4
	v_add_co_u32 v0, vcc_lo, s2, v2
	s_wait_alu 0xfffd
	s_delay_alu instid0(VALU_DEP_3) | instskip(NEXT) | instid1(VALU_DEP_3)
	v_add_co_ci_u32_e64 v1, null, s3, v3, vcc_lo
	v_pk_fma_f16 v2, v4, v6, v5
	s_clause 0x1
	global_store_b16 v[0:1], v2, off
	global_store_d16_hi_b16 v[0:1], v2, off offset:32
.LBB22_2:
	s_endpgm
	.section	.rodata,"a",@progbits
	.p2align	6, 0x0
	.amdhsa_kernel _ZL16dequantize_blockILi32ELi2EXadL_ZL15dequantize_q5_1PKviiR7__half2EEN3c104HalfEEvS1_PT2_l
		.amdhsa_group_segment_fixed_size 0
		.amdhsa_private_segment_fixed_size 0
		.amdhsa_kernarg_size 280
		.amdhsa_user_sgpr_count 2
		.amdhsa_user_sgpr_dispatch_ptr 0
		.amdhsa_user_sgpr_queue_ptr 0
		.amdhsa_user_sgpr_kernarg_segment_ptr 1
		.amdhsa_user_sgpr_dispatch_id 0
		.amdhsa_user_sgpr_private_segment_size 0
		.amdhsa_wavefront_size32 1
		.amdhsa_uses_dynamic_stack 0
		.amdhsa_enable_private_segment 0
		.amdhsa_system_sgpr_workgroup_id_x 1
		.amdhsa_system_sgpr_workgroup_id_y 0
		.amdhsa_system_sgpr_workgroup_id_z 0
		.amdhsa_system_sgpr_workgroup_info 0
		.amdhsa_system_vgpr_workitem_id 0
		.amdhsa_next_free_vgpr 7
		.amdhsa_next_free_sgpr 5
		.amdhsa_reserve_vcc 1
		.amdhsa_float_round_mode_32 0
		.amdhsa_float_round_mode_16_64 0
		.amdhsa_float_denorm_mode_32 3
		.amdhsa_float_denorm_mode_16_64 3
		.amdhsa_fp16_overflow 0
		.amdhsa_workgroup_processor_mode 1
		.amdhsa_memory_ordered 1
		.amdhsa_forward_progress 1
		.amdhsa_inst_pref_size 3
		.amdhsa_round_robin_scheduling 0
		.amdhsa_exception_fp_ieee_invalid_op 0
		.amdhsa_exception_fp_denorm_src 0
		.amdhsa_exception_fp_ieee_div_zero 0
		.amdhsa_exception_fp_ieee_overflow 0
		.amdhsa_exception_fp_ieee_underflow 0
		.amdhsa_exception_fp_ieee_inexact 0
		.amdhsa_exception_int_div_zero 0
	.end_amdhsa_kernel
	.section	.text._ZL16dequantize_blockILi32ELi2EXadL_ZL15dequantize_q5_1PKviiR7__half2EEN3c104HalfEEvS1_PT2_l,"axG",@progbits,_ZL16dequantize_blockILi32ELi2EXadL_ZL15dequantize_q5_1PKviiR7__half2EEN3c104HalfEEvS1_PT2_l,comdat
.Lfunc_end22:
	.size	_ZL16dequantize_blockILi32ELi2EXadL_ZL15dequantize_q5_1PKviiR7__half2EEN3c104HalfEEvS1_PT2_l, .Lfunc_end22-_ZL16dequantize_blockILi32ELi2EXadL_ZL15dequantize_q5_1PKviiR7__half2EEN3c104HalfEEvS1_PT2_l
                                        ; -- End function
	.set _ZL16dequantize_blockILi32ELi2EXadL_ZL15dequantize_q5_1PKviiR7__half2EEN3c104HalfEEvS1_PT2_l.num_vgpr, 7
	.set _ZL16dequantize_blockILi32ELi2EXadL_ZL15dequantize_q5_1PKviiR7__half2EEN3c104HalfEEvS1_PT2_l.num_agpr, 0
	.set _ZL16dequantize_blockILi32ELi2EXadL_ZL15dequantize_q5_1PKviiR7__half2EEN3c104HalfEEvS1_PT2_l.numbered_sgpr, 5
	.set _ZL16dequantize_blockILi32ELi2EXadL_ZL15dequantize_q5_1PKviiR7__half2EEN3c104HalfEEvS1_PT2_l.num_named_barrier, 0
	.set _ZL16dequantize_blockILi32ELi2EXadL_ZL15dequantize_q5_1PKviiR7__half2EEN3c104HalfEEvS1_PT2_l.private_seg_size, 0
	.set _ZL16dequantize_blockILi32ELi2EXadL_ZL15dequantize_q5_1PKviiR7__half2EEN3c104HalfEEvS1_PT2_l.uses_vcc, 1
	.set _ZL16dequantize_blockILi32ELi2EXadL_ZL15dequantize_q5_1PKviiR7__half2EEN3c104HalfEEvS1_PT2_l.uses_flat_scratch, 0
	.set _ZL16dequantize_blockILi32ELi2EXadL_ZL15dequantize_q5_1PKviiR7__half2EEN3c104HalfEEvS1_PT2_l.has_dyn_sized_stack, 0
	.set _ZL16dequantize_blockILi32ELi2EXadL_ZL15dequantize_q5_1PKviiR7__half2EEN3c104HalfEEvS1_PT2_l.has_recursion, 0
	.set _ZL16dequantize_blockILi32ELi2EXadL_ZL15dequantize_q5_1PKviiR7__half2EEN3c104HalfEEvS1_PT2_l.has_indirect_call, 0
	.section	.AMDGPU.csdata,"",@progbits
; Kernel info:
; codeLenInByte = 348
; TotalNumSgprs: 7
; NumVgprs: 7
; ScratchSize: 0
; MemoryBound: 0
; FloatMode: 240
; IeeeMode: 1
; LDSByteSize: 0 bytes/workgroup (compile time only)
; SGPRBlocks: 0
; VGPRBlocks: 0
; NumSGPRsForWavesPerEU: 7
; NumVGPRsForWavesPerEU: 7
; Occupancy: 16
; WaveLimiterHint : 0
; COMPUTE_PGM_RSRC2:SCRATCH_EN: 0
; COMPUTE_PGM_RSRC2:USER_SGPR: 2
; COMPUTE_PGM_RSRC2:TRAP_HANDLER: 0
; COMPUTE_PGM_RSRC2:TGID_X_EN: 1
; COMPUTE_PGM_RSRC2:TGID_Y_EN: 0
; COMPUTE_PGM_RSRC2:TGID_Z_EN: 0
; COMPUTE_PGM_RSRC2:TIDIG_COMP_CNT: 0
	.section	.text._ZL16dequantize_blockILi32ELi1EXadL_ZL15dequantize_q8_0PKviiR7__half2EEN3c104HalfEEvS1_PT2_l,"axG",@progbits,_ZL16dequantize_blockILi32ELi1EXadL_ZL15dequantize_q8_0PKviiR7__half2EEN3c104HalfEEvS1_PT2_l,comdat
	.globl	_ZL16dequantize_blockILi32ELi1EXadL_ZL15dequantize_q8_0PKviiR7__half2EEN3c104HalfEEvS1_PT2_l ; -- Begin function _ZL16dequantize_blockILi32ELi1EXadL_ZL15dequantize_q8_0PKviiR7__half2EEN3c104HalfEEvS1_PT2_l
	.p2align	8
	.type	_ZL16dequantize_blockILi32ELi1EXadL_ZL15dequantize_q8_0PKviiR7__half2EEN3c104HalfEEvS1_PT2_l,@function
_ZL16dequantize_blockILi32ELi1EXadL_ZL15dequantize_q8_0PKviiR7__half2EEN3c104HalfEEvS1_PT2_l: ; @_ZL16dequantize_blockILi32ELi1EXadL_ZL15dequantize_q8_0PKviiR7__half2EEN3c104HalfEEvS1_PT2_l
; %bb.0:
	s_clause 0x1
	s_load_b32 s4, s[0:1], 0x24
	s_load_b64 s[2:3], s[0:1], 0x10
	v_mov_b32_e32 v1, 0
	s_wait_kmcnt 0x0
	s_and_b32 s4, s4, 0xffff
	s_delay_alu instid0(VALU_DEP_1) | instid1(SALU_CYCLE_1)
	v_mad_co_u64_u32 v[2:3], null, s4, ttmp9, v[0:1]
	s_delay_alu instid0(VALU_DEP_1) | instskip(NEXT) | instid1(VALU_DEP_1)
	v_lshlrev_b64_e32 v[4:5], 1, v[2:3]
	v_cmp_gt_i64_e32 vcc_lo, s[2:3], v[4:5]
	s_and_saveexec_b32 s2, vcc_lo
	s_cbranch_execz .LBB23_2
; %bb.1:
	s_load_b128 s[0:3], s[0:1], 0x0
	v_alignbit_b32 v0, v3, v2, 4
	v_lshlrev_b32_e32 v2, 1, v2
	s_wait_kmcnt 0x0
	s_delay_alu instid0(VALU_DEP_2) | instskip(SKIP_1) | instid1(VALU_DEP_1)
	v_mad_co_i64_i32 v[5:6], null, v0, 34, s[0:1]
	v_and_b32_e32 v0, 30, v4
	v_add_co_u32 v3, vcc_lo, v5, v0
	s_delay_alu instid0(VALU_DEP_1)
	v_add_co_ci_u32_e64 v4, null, 0, v6, vcc_lo
	s_clause 0x1
	global_load_u16 v0, v[3:4], off offset:2
	global_load_u16 v3, v[5:6], off
	s_wait_loadcnt 0x1
	v_ashrrev_i16 v4, 8, v0
	v_bfe_i32 v0, v0, 0, 8
	s_wait_loadcnt 0x0
	v_lshl_or_b32 v3, v3, 16, v3
	s_delay_alu instid0(VALU_DEP_3) | instskip(NEXT) | instid1(VALU_DEP_3)
	v_cvt_f16_i16_e32 v4, v4
	v_cvt_f16_i16_e32 v0, v0
	s_delay_alu instid0(VALU_DEP_1) | instskip(SKIP_1) | instid1(VALU_DEP_2)
	v_pack_b32_f16 v4, v0, v4
	v_ashrrev_i64 v[0:1], 31, v[1:2]
	v_pk_mul_f16 v2, v4, v3
	s_delay_alu instid0(VALU_DEP_2) | instskip(SKIP_1) | instid1(VALU_DEP_3)
	v_add_co_u32 v0, vcc_lo, s2, v0
	s_wait_alu 0xfffd
	v_add_co_ci_u32_e64 v1, null, s3, v1, vcc_lo
	global_store_b32 v[0:1], v2, off
.LBB23_2:
	s_endpgm
	.section	.rodata,"a",@progbits
	.p2align	6, 0x0
	.amdhsa_kernel _ZL16dequantize_blockILi32ELi1EXadL_ZL15dequantize_q8_0PKviiR7__half2EEN3c104HalfEEvS1_PT2_l
		.amdhsa_group_segment_fixed_size 0
		.amdhsa_private_segment_fixed_size 0
		.amdhsa_kernarg_size 280
		.amdhsa_user_sgpr_count 2
		.amdhsa_user_sgpr_dispatch_ptr 0
		.amdhsa_user_sgpr_queue_ptr 0
		.amdhsa_user_sgpr_kernarg_segment_ptr 1
		.amdhsa_user_sgpr_dispatch_id 0
		.amdhsa_user_sgpr_private_segment_size 0
		.amdhsa_wavefront_size32 1
		.amdhsa_uses_dynamic_stack 0
		.amdhsa_enable_private_segment 0
		.amdhsa_system_sgpr_workgroup_id_x 1
		.amdhsa_system_sgpr_workgroup_id_y 0
		.amdhsa_system_sgpr_workgroup_id_z 0
		.amdhsa_system_sgpr_workgroup_info 0
		.amdhsa_system_vgpr_workitem_id 0
		.amdhsa_next_free_vgpr 7
		.amdhsa_next_free_sgpr 5
		.amdhsa_reserve_vcc 1
		.amdhsa_float_round_mode_32 0
		.amdhsa_float_round_mode_16_64 0
		.amdhsa_float_denorm_mode_32 3
		.amdhsa_float_denorm_mode_16_64 3
		.amdhsa_fp16_overflow 0
		.amdhsa_workgroup_processor_mode 1
		.amdhsa_memory_ordered 1
		.amdhsa_forward_progress 1
		.amdhsa_inst_pref_size 3
		.amdhsa_round_robin_scheduling 0
		.amdhsa_exception_fp_ieee_invalid_op 0
		.amdhsa_exception_fp_denorm_src 0
		.amdhsa_exception_fp_ieee_div_zero 0
		.amdhsa_exception_fp_ieee_overflow 0
		.amdhsa_exception_fp_ieee_underflow 0
		.amdhsa_exception_fp_ieee_inexact 0
		.amdhsa_exception_int_div_zero 0
	.end_amdhsa_kernel
	.section	.text._ZL16dequantize_blockILi32ELi1EXadL_ZL15dequantize_q8_0PKviiR7__half2EEN3c104HalfEEvS1_PT2_l,"axG",@progbits,_ZL16dequantize_blockILi32ELi1EXadL_ZL15dequantize_q8_0PKviiR7__half2EEN3c104HalfEEvS1_PT2_l,comdat
.Lfunc_end23:
	.size	_ZL16dequantize_blockILi32ELi1EXadL_ZL15dequantize_q8_0PKviiR7__half2EEN3c104HalfEEvS1_PT2_l, .Lfunc_end23-_ZL16dequantize_blockILi32ELi1EXadL_ZL15dequantize_q8_0PKviiR7__half2EEN3c104HalfEEvS1_PT2_l
                                        ; -- End function
	.set _ZL16dequantize_blockILi32ELi1EXadL_ZL15dequantize_q8_0PKviiR7__half2EEN3c104HalfEEvS1_PT2_l.num_vgpr, 7
	.set _ZL16dequantize_blockILi32ELi1EXadL_ZL15dequantize_q8_0PKviiR7__half2EEN3c104HalfEEvS1_PT2_l.num_agpr, 0
	.set _ZL16dequantize_blockILi32ELi1EXadL_ZL15dequantize_q8_0PKviiR7__half2EEN3c104HalfEEvS1_PT2_l.numbered_sgpr, 5
	.set _ZL16dequantize_blockILi32ELi1EXadL_ZL15dequantize_q8_0PKviiR7__half2EEN3c104HalfEEvS1_PT2_l.num_named_barrier, 0
	.set _ZL16dequantize_blockILi32ELi1EXadL_ZL15dequantize_q8_0PKviiR7__half2EEN3c104HalfEEvS1_PT2_l.private_seg_size, 0
	.set _ZL16dequantize_blockILi32ELi1EXadL_ZL15dequantize_q8_0PKviiR7__half2EEN3c104HalfEEvS1_PT2_l.uses_vcc, 1
	.set _ZL16dequantize_blockILi32ELi1EXadL_ZL15dequantize_q8_0PKviiR7__half2EEN3c104HalfEEvS1_PT2_l.uses_flat_scratch, 0
	.set _ZL16dequantize_blockILi32ELi1EXadL_ZL15dequantize_q8_0PKviiR7__half2EEN3c104HalfEEvS1_PT2_l.has_dyn_sized_stack, 0
	.set _ZL16dequantize_blockILi32ELi1EXadL_ZL15dequantize_q8_0PKviiR7__half2EEN3c104HalfEEvS1_PT2_l.has_recursion, 0
	.set _ZL16dequantize_blockILi32ELi1EXadL_ZL15dequantize_q8_0PKviiR7__half2EEN3c104HalfEEvS1_PT2_l.has_indirect_call, 0
	.section	.AMDGPU.csdata,"",@progbits
; Kernel info:
; codeLenInByte = 268
; TotalNumSgprs: 7
; NumVgprs: 7
; ScratchSize: 0
; MemoryBound: 0
; FloatMode: 240
; IeeeMode: 1
; LDSByteSize: 0 bytes/workgroup (compile time only)
; SGPRBlocks: 0
; VGPRBlocks: 0
; NumSGPRsForWavesPerEU: 7
; NumVGPRsForWavesPerEU: 7
; Occupancy: 16
; WaveLimiterHint : 0
; COMPUTE_PGM_RSRC2:SCRATCH_EN: 0
; COMPUTE_PGM_RSRC2:USER_SGPR: 2
; COMPUTE_PGM_RSRC2:TRAP_HANDLER: 0
; COMPUTE_PGM_RSRC2:TGID_X_EN: 1
; COMPUTE_PGM_RSRC2:TGID_Y_EN: 0
; COMPUTE_PGM_RSRC2:TGID_Z_EN: 0
; COMPUTE_PGM_RSRC2:TIDIG_COMP_CNT: 0
	.section	.text._ZL21dequantize_block_q2_KIN3c104HalfEEvPKvPT_,"axG",@progbits,_ZL21dequantize_block_q2_KIN3c104HalfEEvPKvPT_,comdat
	.globl	_ZL21dequantize_block_q2_KIN3c104HalfEEvPKvPT_ ; -- Begin function _ZL21dequantize_block_q2_KIN3c104HalfEEvPKvPT_
	.p2align	8
	.type	_ZL21dequantize_block_q2_KIN3c104HalfEEvPKvPT_,@function
_ZL21dequantize_block_q2_KIN3c104HalfEEvPKvPT_: ; @_ZL21dequantize_block_q2_KIN3c104HalfEEvPKvPT_
; %bb.0:
	s_load_b128 s[0:3], s[0:1], 0x0
	v_lshrrev_b32_e32 v1, 5, v0
	v_bfe_u32 v2, v0, 4, 1
	s_mov_b32 s4, ttmp9
	s_mov_b32 s5, 0
	s_delay_alu instid0(SALU_CYCLE_1) | instskip(NEXT) | instid1(VALU_DEP_1)
	s_mul_u64 s[6:7], s[4:5], 0x54
	v_lshl_or_b32 v2, v1, 3, v2
	s_lshl_b32 s4, ttmp9, 8
	v_lshlrev_b32_e32 v1, 8, v1
	s_wait_kmcnt 0x0
	s_add_nc_u64 s[0:1], s[0:1], s[6:7]
	s_clause 0x4
	global_load_u8 v3, v2, s[0:1]
	global_load_u8 v4, v0, s[0:1] offset:16
	global_load_u8 v5, v2, s[0:1] offset:2
	;; [unrolled: 1-line block ×4, first 2 shown]
	s_load_b32 s6, s[0:1], 0x50
	s_lshl_b64 s[0:1], s[4:5], 1
	v_and_b32_e32 v0, 31, v0
	s_add_nc_u64 s[0:1], s[2:3], s[0:1]
	s_delay_alu instid0(SALU_CYCLE_1) | instskip(NEXT) | instid1(VALU_DEP_2)
	v_add_co_u32 v1, s0, s0, v1
	v_lshlrev_b32_e32 v0, 1, v0
	s_wait_alu 0xf1ff
	v_add_co_ci_u32_e64 v7, null, s1, 0, s0
	s_delay_alu instid0(VALU_DEP_2) | instskip(NEXT) | instid1(VALU_DEP_1)
	v_add_co_u32 v0, vcc_lo, v1, v0
	v_add_co_ci_u32_e64 v1, null, 0, v7, vcc_lo
	s_wait_kmcnt 0x0
	s_lshr_b32 s0, s6, 16
	s_wait_loadcnt 0x4
	v_and_b32_e32 v8, 15, v3
	s_wait_loadcnt 0x3
	v_and_b32_e32 v9, 3, v4
	;; [unrolled: 2-line block ×5, first 2 shown]
	v_and_b32_e32 v8, 0xffff, v8
	v_bfe_u32 v11, v4, 2, 2
	v_and_b32_e32 v10, 0xffff, v10
	v_bfe_u32 v13, v4, 4, 2
	v_and_b32_e32 v12, 0xffff, v12
	v_lshrrev_b32_e32 v4, 6, v4
	v_and_b32_e32 v14, 0xffff, v14
	v_lshrrev_b16 v3, 4, v3
	v_mul_u32_u24_e32 v8, v9, v8
	v_lshrrev_b16 v5, 4, v5
	v_mul_u32_u24_e32 v9, v11, v10
	;; [unrolled: 2-line block ×4, first 2 shown]
	v_cvt_f16_u16_e32 v3, v3
	v_cvt_f32_ubyte0_e32 v8, v8
	v_cvt_f16_u16_e32 v5, v5
	v_cvt_f32_ubyte0_e32 v9, v9
	;; [unrolled: 2-line block ×4, first 2 shown]
	s_wait_alu 0xfffe
	v_mul_f16_e32 v3, s0, v3
	v_cvt_f16_f32_e32 v8, v8
	v_mul_f16_e32 v5, s0, v5
	v_cvt_f16_f32_e32 v9, v9
	v_mul_f16_e32 v6, s0, v6
	v_cvt_f16_f32_e32 v10, v10
	v_mul_f16_e32 v2, s0, v2
	v_cvt_f16_f32_e32 v4, v4
	v_fma_f16 v3, s6, v8, -v3
	v_fma_f16 v5, s6, v9, -v5
	;; [unrolled: 1-line block ×3, first 2 shown]
	s_delay_alu instid0(VALU_DEP_4)
	v_fma_f16 v2, s6, v4, -v2
	s_clause 0x3
	global_store_b16 v[0:1], v3, off
	global_store_b16 v[0:1], v5, off offset:64
	global_store_b16 v[0:1], v6, off offset:128
	;; [unrolled: 1-line block ×3, first 2 shown]
	s_endpgm
	.section	.rodata,"a",@progbits
	.p2align	6, 0x0
	.amdhsa_kernel _ZL21dequantize_block_q2_KIN3c104HalfEEvPKvPT_
		.amdhsa_group_segment_fixed_size 0
		.amdhsa_private_segment_fixed_size 0
		.amdhsa_kernarg_size 16
		.amdhsa_user_sgpr_count 2
		.amdhsa_user_sgpr_dispatch_ptr 0
		.amdhsa_user_sgpr_queue_ptr 0
		.amdhsa_user_sgpr_kernarg_segment_ptr 1
		.amdhsa_user_sgpr_dispatch_id 0
		.amdhsa_user_sgpr_private_segment_size 0
		.amdhsa_wavefront_size32 1
		.amdhsa_uses_dynamic_stack 0
		.amdhsa_enable_private_segment 0
		.amdhsa_system_sgpr_workgroup_id_x 1
		.amdhsa_system_sgpr_workgroup_id_y 0
		.amdhsa_system_sgpr_workgroup_id_z 0
		.amdhsa_system_sgpr_workgroup_info 0
		.amdhsa_system_vgpr_workitem_id 0
		.amdhsa_next_free_vgpr 15
		.amdhsa_next_free_sgpr 8
		.amdhsa_reserve_vcc 1
		.amdhsa_float_round_mode_32 0
		.amdhsa_float_round_mode_16_64 0
		.amdhsa_float_denorm_mode_32 3
		.amdhsa_float_denorm_mode_16_64 3
		.amdhsa_fp16_overflow 0
		.amdhsa_workgroup_processor_mode 1
		.amdhsa_memory_ordered 1
		.amdhsa_forward_progress 1
		.amdhsa_inst_pref_size 4
		.amdhsa_round_robin_scheduling 0
		.amdhsa_exception_fp_ieee_invalid_op 0
		.amdhsa_exception_fp_denorm_src 0
		.amdhsa_exception_fp_ieee_div_zero 0
		.amdhsa_exception_fp_ieee_overflow 0
		.amdhsa_exception_fp_ieee_underflow 0
		.amdhsa_exception_fp_ieee_inexact 0
		.amdhsa_exception_int_div_zero 0
	.end_amdhsa_kernel
	.section	.text._ZL21dequantize_block_q2_KIN3c104HalfEEvPKvPT_,"axG",@progbits,_ZL21dequantize_block_q2_KIN3c104HalfEEvPKvPT_,comdat
.Lfunc_end24:
	.size	_ZL21dequantize_block_q2_KIN3c104HalfEEvPKvPT_, .Lfunc_end24-_ZL21dequantize_block_q2_KIN3c104HalfEEvPKvPT_
                                        ; -- End function
	.set _ZL21dequantize_block_q2_KIN3c104HalfEEvPKvPT_.num_vgpr, 15
	.set _ZL21dequantize_block_q2_KIN3c104HalfEEvPKvPT_.num_agpr, 0
	.set _ZL21dequantize_block_q2_KIN3c104HalfEEvPKvPT_.numbered_sgpr, 8
	.set _ZL21dequantize_block_q2_KIN3c104HalfEEvPKvPT_.num_named_barrier, 0
	.set _ZL21dequantize_block_q2_KIN3c104HalfEEvPKvPT_.private_seg_size, 0
	.set _ZL21dequantize_block_q2_KIN3c104HalfEEvPKvPT_.uses_vcc, 1
	.set _ZL21dequantize_block_q2_KIN3c104HalfEEvPKvPT_.uses_flat_scratch, 0
	.set _ZL21dequantize_block_q2_KIN3c104HalfEEvPKvPT_.has_dyn_sized_stack, 0
	.set _ZL21dequantize_block_q2_KIN3c104HalfEEvPKvPT_.has_recursion, 0
	.set _ZL21dequantize_block_q2_KIN3c104HalfEEvPKvPT_.has_indirect_call, 0
	.section	.AMDGPU.csdata,"",@progbits
; Kernel info:
; codeLenInByte = 504
; TotalNumSgprs: 10
; NumVgprs: 15
; ScratchSize: 0
; MemoryBound: 0
; FloatMode: 240
; IeeeMode: 1
; LDSByteSize: 0 bytes/workgroup (compile time only)
; SGPRBlocks: 0
; VGPRBlocks: 1
; NumSGPRsForWavesPerEU: 10
; NumVGPRsForWavesPerEU: 15
; Occupancy: 16
; WaveLimiterHint : 0
; COMPUTE_PGM_RSRC2:SCRATCH_EN: 0
; COMPUTE_PGM_RSRC2:USER_SGPR: 2
; COMPUTE_PGM_RSRC2:TRAP_HANDLER: 0
; COMPUTE_PGM_RSRC2:TGID_X_EN: 1
; COMPUTE_PGM_RSRC2:TGID_Y_EN: 0
; COMPUTE_PGM_RSRC2:TGID_Z_EN: 0
; COMPUTE_PGM_RSRC2:TIDIG_COMP_CNT: 0
	.section	.text._ZL21dequantize_block_q3_KIN3c104HalfEEvPKvPT_,"axG",@progbits,_ZL21dequantize_block_q3_KIN3c104HalfEEvPKvPT_,comdat
	.globl	_ZL21dequantize_block_q3_KIN3c104HalfEEvPKvPT_ ; -- Begin function _ZL21dequantize_block_q3_KIN3c104HalfEEvPKvPT_
	.p2align	8
	.type	_ZL21dequantize_block_q3_KIN3c104HalfEEvPKvPT_,@function
_ZL21dequantize_block_q3_KIN3c104HalfEEvPKvPT_: ; @_ZL21dequantize_block_q3_KIN3c104HalfEEvPKvPT_
; %bb.0:
	v_lshrrev_b32_e32 v4, 5, v0
	v_lshrrev_b32_e32 v6, 3, v0
	s_mov_b32 s7, 0
	s_mov_b32 s6, ttmp9
	s_load_b64 s[4:5], s[0:1], 0x0
	v_lshlrev_b32_e32 v1, 2, v4
	v_bfe_u32 v7, v0, 2, 1
	s_mov_b32 s2, ttmp9
                                        ; implicit-def: $vgpr9
                                        ; implicit-def: $vgpr8
	s_mov_b32 s3, exec_lo
	s_delay_alu instid0(VALU_DEP_2) | instskip(SKIP_1) | instid1(VALU_DEP_2)
	v_sub_nc_u32_e32 v5, v6, v1
	v_dual_mov_b32 v1, s6 :: v_dual_mov_b32 v2, s7
	v_lshlrev_b32_e32 v3, 1, v5
	s_delay_alu instid0(VALU_DEP_1) | instskip(NEXT) | instid1(VALU_DEP_1)
	v_lshl_add_u32 v11, v4, 3, v3
	v_or_b32_e32 v10, v11, v7
	s_delay_alu instid0(VALU_DEP_1)
	v_cmpx_lt_i32_e32 3, v10
	s_xor_b32 s8, exec_lo, s3
	s_cbranch_execz .LBB25_10
; %bb.1:
	v_dual_mov_b32 v1, s6 :: v_dual_mov_b32 v2, s7
                                        ; implicit-def: $vgpr9
                                        ; implicit-def: $vgpr8
	s_mov_b32 s3, exec_lo
	v_cmpx_lt_u32_e32 7, v11
	s_xor_b32 s9, exec_lo, s3
	s_cbranch_execz .LBB25_7
; %bb.2:
	s_mov_b32 s3, 0
                                        ; implicit-def: $vgpr8
	s_delay_alu instid0(SALU_CYCLE_1)
	s_mul_u64 s[10:11], s[2:3], 0x6e
	s_wait_kmcnt 0x0
	s_add_nc_u64 s[10:11], s[4:5], s[10:11]
	global_load_u8 v9, v10, s[10:11] offset:88
	v_add_co_u32 v1, s10, s10, v10
	s_wait_alu 0xf1ff
	v_add_co_ci_u32_e64 v2, null, s11, 0, s10
	s_mov_b32 s10, exec_lo
	v_cmpx_lt_u32_e32 11, v11
	s_wait_alu 0xfffe
	s_xor_b32 s10, exec_lo, s10
	s_cbranch_execz .LBB25_4
; %bb.3:
	global_load_u8 v1, v[1:2], off offset:92
	s_wait_loadcnt 0x0
	v_lshrrev_b16 v8, 2, v1
                                        ; implicit-def: $vgpr1_vgpr2
.LBB25_4:
	s_wait_alu 0xfffe
	s_and_not1_saveexec_b32 s10, s10
	s_cbranch_execz .LBB25_6
; %bb.5:
	global_load_u8 v8, v[1:2], off offset:96
.LBB25_6:
	s_wait_alu 0xfffe
	s_or_b32 exec_lo, exec_lo, s10
	s_wait_loadcnt 0x0
	v_lshrrev_b16 v9, 4, v9
	v_dual_mov_b32 v1, s2 :: v_dual_mov_b32 v2, s3
                                        ; implicit-def: $vgpr10
.LBB25_7:
	s_and_not1_saveexec_b32 s3, s9
	s_cbranch_execz .LBB25_9
; %bb.8:
	s_mul_u64 s[10:11], s[6:7], 0x6e
	s_wait_kmcnt 0x0
	s_wait_alu 0xfffe
	s_add_nc_u64 s[10:11], s[4:5], s[10:11]
	s_clause 0x1
	global_load_u8 v2, v10, s[10:11] offset:96
	global_load_u8 v8, v10, s[10:11] offset:100
	s_wait_loadcnt 0x1
	v_and_b32_e32 v9, 15, v2
	s_wait_loadcnt 0x0
	v_lshlrev_b16 v8, 2, v8
.LBB25_9:
	s_wait_alu 0xfffe
	s_or_b32 exec_lo, exec_lo, s3
                                        ; implicit-def: $vgpr10
.LBB25_10:
	s_or_saveexec_b32 s3, s8
	s_load_b64 s[0:1], s[0:1], 0x8
	s_xor_b32 exec_lo, exec_lo, s3
	s_cbranch_execz .LBB25_12
; %bb.11:
	s_mul_u64 s[6:7], s[6:7], 0x6e
	v_ashrrev_i32_e32 v2, 31, v10
	s_wait_kmcnt 0x0
	s_wait_alu 0xfffe
	s_add_nc_u64 s[6:7], s[4:5], s[6:7]
	s_wait_alu 0xfffe
	v_add_co_u32 v8, vcc_lo, s6, v10
	s_delay_alu instid0(VALU_DEP_1)
	v_add_co_ci_u32_e64 v9, null, s7, v2, vcc_lo
	s_clause 0x1
	global_load_u8 v2, v[8:9], off offset:96
	global_load_u8 v8, v[8:9], off offset:104
	s_wait_loadcnt 0x1
	v_and_b32_e32 v9, 15, v2
	s_wait_loadcnt 0x0
	v_lshlrev_b16 v8, 4, v8
.LBB25_12:
	s_or_b32 exec_lo, exec_lo, s3
	v_lshlrev_b32_e32 v10, 2, v0
	s_wait_kmcnt 0x0
	v_mad_co_u64_u32 v[1:2], null, 0x6e, v1, s[4:5]
	v_and_b32_e32 v0, 0x3e0, v0
	v_lshlrev_b32_e64 v6, v6, 1
	v_and_b32_e32 v10, 12, v10
	s_lshl_b32 s2, s2, 8
	s_mov_b32 s3, 0
	v_lshlrev_b32_e32 v4, 8, v4
	v_add_co_u32 v0, vcc_lo, v1, v0
	v_lshl_or_b32 v7, v7, 4, v10
	s_wait_alu 0xfffd
	v_add_co_ci_u32_e64 v11, null, 0, v2, vcc_lo
	s_wait_alu 0xfffe
	s_lshl_b64 s[2:3], s[2:3], 1
	v_add_co_u32 v10, vcc_lo, v0, v7
	s_wait_alu 0xfffd
	v_add_co_ci_u32_e64 v11, null, 0, v11, vcc_lo
	v_add_co_u32 v12, vcc_lo, v1, v7
	s_wait_alu 0xfffd
	v_add_co_ci_u32_e64 v13, null, 0, v2, vcc_lo
	s_clause 0x2
	global_load_b32 v10, v[10:11], off offset:32
	global_load_b32 v11, v[12:13], off
	global_load_u16 v2, v[1:2], off offset:108
	v_and_b32_e32 v1, 48, v8
	v_lshlrev_b32_e32 v0, 5, v5
	s_wait_alu 0xfffe
	s_add_nc_u64 s[0:1], s[0:1], s[2:3]
	v_lshlrev_b32_e32 v7, 1, v7
	v_add_co_u32 v4, s0, s0, v4
	v_or_b32_e32 v5, v1, v9
	v_ashrrev_i32_e32 v1, 31, v0
	s_wait_alu 0xf1ff
	v_add_co_ci_u32_e64 v8, null, s1, 0, s0
	s_delay_alu instid0(VALU_DEP_3) | instskip(NEXT) | instid1(VALU_DEP_3)
	v_and_b32_e32 v5, 0xff, v5
	v_lshlrev_b64_e32 v[0:1], 1, v[0:1]
	s_delay_alu instid0(VALU_DEP_2) | instskip(NEXT) | instid1(VALU_DEP_1)
	v_subrev_nc_u32_e32 v5, 32, v5
	v_cvt_f32_i32_e32 v5, v5
	s_delay_alu instid0(VALU_DEP_1)
	v_cvt_f16_f32_e32 v5, v5
	s_wait_loadcnt 0x2
	v_bfe_u32 v13, v10, 8, 8
	s_wait_loadcnt 0x1
	v_bfe_u32 v16, v11, 8, 8
	v_and_b32_e32 v15, 0xff, v11
	v_lshrrev_b32_e32 v9, 24, v10
	v_and_b32_e32 v12, 0xff, v10
	v_lshrrev_b32_e32 v14, 24, v11
	v_and_b32_e32 v16, v6, v16
	v_bfe_u32 v10, v10, 16, 8
	v_bfe_u32 v11, v11, 16, 8
	v_lshrrev_b32_e32 v13, v3, v13
	v_and_b32_e32 v15, v6, v15
	v_cmp_eq_u32_e32 vcc_lo, 0, v16
	v_lshrrev_b32_e32 v12, v3, v12
	v_lshrrev_b32_e32 v9, v3, v9
	;; [unrolled: 1-line block ×3, first 2 shown]
	v_and_b32_e32 v10, v6, v14
	v_and_b32_e32 v6, v6, v11
	;; [unrolled: 1-line block ×3, first 2 shown]
	s_wait_alu 0xfffd
	v_cndmask_b32_e64 v13, 0, -4, vcc_lo
	v_cmp_eq_u32_e32 vcc_lo, 0, v15
	v_and_b32_e32 v12, 3, v12
	v_and_b32_e32 v9, 3, v9
	;; [unrolled: 1-line block ×3, first 2 shown]
	v_or_b32_e32 v11, v13, v11
	s_wait_alu 0xfffd
	v_cndmask_b32_e64 v14, 0, -4, vcc_lo
	v_cmp_eq_u32_e32 vcc_lo, 0, v10
	s_delay_alu instid0(VALU_DEP_2) | instskip(SKIP_3) | instid1(VALU_DEP_2)
	v_or_b32_e32 v12, v14, v12
	s_wait_alu 0xfffd
	v_cndmask_b32_e64 v10, 0, -4, vcc_lo
	v_cmp_eq_u32_e32 vcc_lo, 0, v6
	v_or_b32_e32 v9, v10, v9
	s_wait_alu 0xfffd
	v_cndmask_b32_e64 v6, 0, -4, vcc_lo
	v_cvt_f32_i32_e32 v10, v12
	v_add_co_u32 v0, vcc_lo, v4, v0
	v_cvt_f32_i32_e32 v9, v9
	s_delay_alu instid0(VALU_DEP_4)
	v_or_b32_e32 v3, v6, v3
	v_cvt_f32_i32_e32 v6, v11
	v_cvt_f16_f32_e32 v10, v10
	s_wait_alu 0xfffd
	v_add_co_ci_u32_e64 v1, null, v8, v1, vcc_lo
	v_cvt_f32_i32_e32 v3, v3
	v_cvt_f16_f32_e32 v6, v6
	v_cvt_f16_f32_e32 v9, v9
	s_wait_loadcnt 0x0
	v_mul_f16_e32 v4, v2, v5
	v_add_co_u32 v0, vcc_lo, v0, v7
	v_cvt_f16_f32_e32 v3, v3
	v_pack_b32_f16 v2, v10, v6
	s_wait_alu 0xfffd
	v_add_co_ci_u32_e64 v1, null, 0, v1, vcc_lo
	s_delay_alu instid0(VALU_DEP_3) | instskip(NEXT) | instid1(VALU_DEP_3)
	v_pack_b32_f16 v3, v3, v9
	v_pk_mul_f16 v2, v4, v2 op_sel_hi:[0,1]
	s_delay_alu instid0(VALU_DEP_2)
	v_pk_mul_f16 v3, v4, v3 op_sel_hi:[0,1]
	global_store_b64 v[0:1], v[2:3], off
	s_endpgm
	.section	.rodata,"a",@progbits
	.p2align	6, 0x0
	.amdhsa_kernel _ZL21dequantize_block_q3_KIN3c104HalfEEvPKvPT_
		.amdhsa_group_segment_fixed_size 0
		.amdhsa_private_segment_fixed_size 0
		.amdhsa_kernarg_size 16
		.amdhsa_user_sgpr_count 2
		.amdhsa_user_sgpr_dispatch_ptr 0
		.amdhsa_user_sgpr_queue_ptr 0
		.amdhsa_user_sgpr_kernarg_segment_ptr 1
		.amdhsa_user_sgpr_dispatch_id 0
		.amdhsa_user_sgpr_private_segment_size 0
		.amdhsa_wavefront_size32 1
		.amdhsa_uses_dynamic_stack 0
		.amdhsa_enable_private_segment 0
		.amdhsa_system_sgpr_workgroup_id_x 1
		.amdhsa_system_sgpr_workgroup_id_y 0
		.amdhsa_system_sgpr_workgroup_id_z 0
		.amdhsa_system_sgpr_workgroup_info 0
		.amdhsa_system_vgpr_workitem_id 0
		.amdhsa_next_free_vgpr 17
		.amdhsa_next_free_sgpr 12
		.amdhsa_reserve_vcc 1
		.amdhsa_float_round_mode_32 0
		.amdhsa_float_round_mode_16_64 0
		.amdhsa_float_denorm_mode_32 3
		.amdhsa_float_denorm_mode_16_64 3
		.amdhsa_fp16_overflow 0
		.amdhsa_workgroup_processor_mode 1
		.amdhsa_memory_ordered 1
		.amdhsa_forward_progress 1
		.amdhsa_inst_pref_size 9
		.amdhsa_round_robin_scheduling 0
		.amdhsa_exception_fp_ieee_invalid_op 0
		.amdhsa_exception_fp_denorm_src 0
		.amdhsa_exception_fp_ieee_div_zero 0
		.amdhsa_exception_fp_ieee_overflow 0
		.amdhsa_exception_fp_ieee_underflow 0
		.amdhsa_exception_fp_ieee_inexact 0
		.amdhsa_exception_int_div_zero 0
	.end_amdhsa_kernel
	.section	.text._ZL21dequantize_block_q3_KIN3c104HalfEEvPKvPT_,"axG",@progbits,_ZL21dequantize_block_q3_KIN3c104HalfEEvPKvPT_,comdat
.Lfunc_end25:
	.size	_ZL21dequantize_block_q3_KIN3c104HalfEEvPKvPT_, .Lfunc_end25-_ZL21dequantize_block_q3_KIN3c104HalfEEvPKvPT_
                                        ; -- End function
	.set _ZL21dequantize_block_q3_KIN3c104HalfEEvPKvPT_.num_vgpr, 17
	.set _ZL21dequantize_block_q3_KIN3c104HalfEEvPKvPT_.num_agpr, 0
	.set _ZL21dequantize_block_q3_KIN3c104HalfEEvPKvPT_.numbered_sgpr, 12
	.set _ZL21dequantize_block_q3_KIN3c104HalfEEvPKvPT_.num_named_barrier, 0
	.set _ZL21dequantize_block_q3_KIN3c104HalfEEvPKvPT_.private_seg_size, 0
	.set _ZL21dequantize_block_q3_KIN3c104HalfEEvPKvPT_.uses_vcc, 1
	.set _ZL21dequantize_block_q3_KIN3c104HalfEEvPKvPT_.uses_flat_scratch, 0
	.set _ZL21dequantize_block_q3_KIN3c104HalfEEvPKvPT_.has_dyn_sized_stack, 0
	.set _ZL21dequantize_block_q3_KIN3c104HalfEEvPKvPT_.has_recursion, 0
	.set _ZL21dequantize_block_q3_KIN3c104HalfEEvPKvPT_.has_indirect_call, 0
	.section	.AMDGPU.csdata,"",@progbits
; Kernel info:
; codeLenInByte = 1064
; TotalNumSgprs: 14
; NumVgprs: 17
; ScratchSize: 0
; MemoryBound: 0
; FloatMode: 240
; IeeeMode: 1
; LDSByteSize: 0 bytes/workgroup (compile time only)
; SGPRBlocks: 0
; VGPRBlocks: 2
; NumSGPRsForWavesPerEU: 14
; NumVGPRsForWavesPerEU: 17
; Occupancy: 16
; WaveLimiterHint : 0
; COMPUTE_PGM_RSRC2:SCRATCH_EN: 0
; COMPUTE_PGM_RSRC2:USER_SGPR: 2
; COMPUTE_PGM_RSRC2:TRAP_HANDLER: 0
; COMPUTE_PGM_RSRC2:TGID_X_EN: 1
; COMPUTE_PGM_RSRC2:TGID_Y_EN: 0
; COMPUTE_PGM_RSRC2:TGID_Z_EN: 0
; COMPUTE_PGM_RSRC2:TIDIG_COMP_CNT: 0
	.section	.text._ZL21dequantize_block_q4_KIN3c104HalfEEvPKvPT_,"axG",@progbits,_ZL21dequantize_block_q4_KIN3c104HalfEEvPKvPT_,comdat
	.globl	_ZL21dequantize_block_q4_KIN3c104HalfEEvPKvPT_ ; -- Begin function _ZL21dequantize_block_q4_KIN3c104HalfEEvPKvPT_
	.p2align	8
	.type	_ZL21dequantize_block_q4_KIN3c104HalfEEvPKvPT_,@function
_ZL21dequantize_block_q4_KIN3c104HalfEEvPKvPT_: ; @_ZL21dequantize_block_q4_KIN3c104HalfEEvPKvPT_
; %bb.0:
	s_load_b64 s[4:5], s[0:1], 0x0
	v_lshrrev_b32_e32 v3, 3, v0
	s_mov_b32 s2, ttmp9
	s_mov_b32 s3, 0
	v_cmp_lt_u32_e32 vcc_lo, 15, v0
	s_mul_u64 s[2:3], s[2:3], 0x90
	v_lshlrev_b32_e32 v1, 1, v3
                                        ; implicit-def: $vgpr5
                                        ; implicit-def: $vgpr4
	s_wait_kmcnt 0x0
	s_add_nc_u64 s[2:3], s[4:5], s[2:3]
	s_delay_alu instid0(VALU_DEP_1) | instid1(SALU_CYCLE_1)
	v_add_co_u32 v1, s4, s2, v1
	s_delay_alu instid0(VALU_DEP_1)
	v_add_co_ci_u32_e64 v2, null, s3, 0, s4
	s_and_saveexec_b32 s4, vcc_lo
	s_wait_alu 0xfffe
	s_xor_b32 s4, exec_lo, s4
	s_cbranch_execz .LBB26_2
; %bb.1:
	s_clause 0x2
	global_load_u8 v4, v[1:2], off
	global_load_u8 v5, v[1:2], off offset:4
	global_load_u8 v6, v[1:2], off offset:8
	s_wait_loadcnt 0x2
	v_lshrrev_b16 v4, 2, v4
	s_wait_loadcnt 0x1
	v_lshrrev_b16 v5, 2, v5
	s_wait_loadcnt 0x0
	v_and_b32_e32 v7, 15, v6
	v_lshrrev_b16 v6, 4, v6
	v_and_b32_e32 v4, 48, v4
	v_and_b32_e32 v5, 48, v5
	s_delay_alu instid0(VALU_DEP_2) | instskip(NEXT) | instid1(VALU_DEP_2)
	v_or_b32_e32 v4, v4, v7
	v_or_b32_e32 v5, v5, v6
.LBB26_2:
	s_wait_alu 0xfffe
	s_and_not1_saveexec_b32 s4, s4
	s_cbranch_execz .LBB26_4
; %bb.3:
	s_clause 0x1
	global_load_u8 v4, v[1:2], off offset:4
	global_load_u8 v5, v[1:2], off offset:8
	s_wait_loadcnt 0x1
	v_and_b32_e32 v4, 63, v4
	s_wait_loadcnt 0x0
	v_and_b32_e32 v5, 63, v5
.LBB26_4:
	s_wait_alu 0xfffe
	s_or_b32 exec_lo, exec_lo, s4
	s_load_b32 s4, s[2:3], 0x0
                                        ; implicit-def: $vgpr6
                                        ; implicit-def: $vgpr7
	s_and_saveexec_b32 s5, vcc_lo
	s_wait_alu 0xfffe
	s_xor_b32 s5, exec_lo, s5
	s_cbranch_execz .LBB26_6
; %bb.5:
	s_clause 0x2
	global_load_u8 v6, v[1:2], off offset:1
	global_load_u8 v7, v[1:2], off offset:5
	;; [unrolled: 1-line block ×3, first 2 shown]
	s_wait_loadcnt 0x2
	v_lshrrev_b16 v2, 2, v6
	s_wait_loadcnt 0x1
	v_lshrrev_b16 v6, 2, v7
	s_wait_loadcnt 0x0
	v_and_b32_e32 v7, 15, v1
	v_lshrrev_b16 v1, 4, v1
	v_and_b32_e32 v2, 48, v2
	v_and_b32_e32 v6, 48, v6
	s_delay_alu instid0(VALU_DEP_2) | instskip(NEXT) | instid1(VALU_DEP_2)
	v_or_b32_e32 v7, v2, v7
	v_or_b32_e32 v6, v6, v1
                                        ; implicit-def: $vgpr1_vgpr2
.LBB26_6:
	s_wait_alu 0xfffe
	s_or_saveexec_b32 s5, s5
	s_load_b64 s[0:1], s[0:1], 0x8
	s_xor_b32 exec_lo, exec_lo, s5
	s_cbranch_execz .LBB26_8
; %bb.7:
	s_clause 0x1
	global_load_u8 v6, v[1:2], off offset:5
	global_load_u8 v1, v[1:2], off offset:9
	s_wait_loadcnt 0x1
	v_and_b32_e32 v7, 63, v6
	s_wait_loadcnt 0x0
	v_and_b32_e32 v6, 63, v1
.LBB26_8:
	s_or_b32 exec_lo, exec_lo, s5
	v_lshlrev_b32_e32 v0, 2, v0
	v_lshlrev_b32_e32 v1, 5, v3
	s_wait_kmcnt 0x0
	s_lshr_b32 s5, s4, 16
	v_and_b32_e32 v4, 0xff, v4
	v_and_b32_e32 v6, 0xff, v6
	;; [unrolled: 1-line block ×3, first 2 shown]
	v_add_co_u32 v0, s2, s2, v1
	s_wait_alu 0xf1ff
	v_add_co_ci_u32_e64 v1, null, s3, 0, s2
	s_mov_b32 s3, 0
	v_add_co_u32 v0, vcc_lo, v0, v2
	s_delay_alu instid0(VALU_DEP_1)
	v_add_co_ci_u32_e64 v1, null, 0, v1, vcc_lo
	s_lshl_b32 s2, ttmp9, 8
	v_lshlrev_b32_e32 v3, 7, v3
	s_wait_alu 0xfffe
	s_lshl_b64 s[2:3], s[2:3], 1
	global_load_b32 v0, v[0:1], off offset:16
	v_and_b32_e32 v1, 0xff, v5
	v_and_b32_e32 v5, 0xff, v7
	v_cvt_f16_u16_e32 v4, v4
	s_wait_alu 0xfffe
	s_add_nc_u64 s[0:1], s[0:1], s[2:3]
	v_cvt_f16_u16_e32 v6, v6
	v_cvt_f16_u16_e32 v1, v1
	;; [unrolled: 1-line block ×3, first 2 shown]
	v_add_co_u32 v3, s0, s0, v3
	s_wait_alu 0xf1ff
	v_add_co_ci_u32_e64 v7, null, s1, 0, s0
	v_mul_f16_e32 v8, s5, v1
	v_lshlrev_b32_e32 v1, 1, v2
	v_mul_f16_e32 v4, s4, v4
	v_mul_f16_e32 v5, s4, v5
	;; [unrolled: 1-line block ×3, first 2 shown]
	s_wait_loadcnt 0x0
	v_lshrrev_b32_e32 v9, 8, v0
	v_lshrrev_b32_e32 v2, 16, v0
	;; [unrolled: 1-line block ×3, first 2 shown]
	v_and_b32_e32 v10, 15, v0
	v_lshrrev_b16 v12, 4, v0
	v_lshrrev_b32_e32 v0, 20, v0
	v_and_b32_e32 v13, 15, v9
	v_lshrrev_b16 v9, 4, v9
	v_and_b32_e32 v2, 15, v2
	v_and_b32_e32 v14, 15, v11
	;; [unrolled: 1-line block ×4, first 2 shown]
	v_lshrrev_b16 v11, 4, v11
	v_and_b32_e32 v9, 15, v9
	v_cvt_f16_u16_e32 v10, v10
	v_cvt_f16_u16_e32 v13, v13
	v_cvt_f16_u16_e32 v14, v14
	v_cvt_f16_u16_e32 v2, v2
	v_cvt_f16_u16_e32 v12, v12
	v_cvt_f16_u16_e32 v11, v11
	v_cvt_f16_u16_e32 v0, v0
	v_cvt_f16_u16_e32 v9, v9
	v_pack_b32_f16 v10, v10, v13
	v_pack_b32_f16 v13, v2, v14
	s_delay_alu instid0(VALU_DEP_4) | instskip(NEXT) | instid1(VALU_DEP_4)
	v_pack_b32_f16 v11, v0, v11
	v_pack_b32_f16 v9, v12, v9
	v_add_co_u32 v0, vcc_lo, v3, v1
	s_wait_alu 0xfffd
	v_add_co_ci_u32_e64 v1, null, 0, v7, vcc_lo
	v_pk_fma_f16 v2, v4, v10, v8 op_sel_hi:[0,1,0] neg_lo:[0,0,1] neg_hi:[0,0,1]
	v_pk_fma_f16 v3, v4, v13, v8 op_sel_hi:[0,1,0] neg_lo:[0,0,1] neg_hi:[0,0,1]
	;; [unrolled: 1-line block ×4, first 2 shown]
	s_clause 0x1
	global_store_b64 v[0:1], v[2:3], off
	global_store_b64 v[0:1], v[4:5], off offset:64
	s_endpgm
	.section	.rodata,"a",@progbits
	.p2align	6, 0x0
	.amdhsa_kernel _ZL21dequantize_block_q4_KIN3c104HalfEEvPKvPT_
		.amdhsa_group_segment_fixed_size 0
		.amdhsa_private_segment_fixed_size 0
		.amdhsa_kernarg_size 16
		.amdhsa_user_sgpr_count 2
		.amdhsa_user_sgpr_dispatch_ptr 0
		.amdhsa_user_sgpr_queue_ptr 0
		.amdhsa_user_sgpr_kernarg_segment_ptr 1
		.amdhsa_user_sgpr_dispatch_id 0
		.amdhsa_user_sgpr_private_segment_size 0
		.amdhsa_wavefront_size32 1
		.amdhsa_uses_dynamic_stack 0
		.amdhsa_enable_private_segment 0
		.amdhsa_system_sgpr_workgroup_id_x 1
		.amdhsa_system_sgpr_workgroup_id_y 0
		.amdhsa_system_sgpr_workgroup_id_z 0
		.amdhsa_system_sgpr_workgroup_info 0
		.amdhsa_system_vgpr_workitem_id 0
		.amdhsa_next_free_vgpr 15
		.amdhsa_next_free_sgpr 6
		.amdhsa_reserve_vcc 1
		.amdhsa_float_round_mode_32 0
		.amdhsa_float_round_mode_16_64 0
		.amdhsa_float_denorm_mode_32 3
		.amdhsa_float_denorm_mode_16_64 3
		.amdhsa_fp16_overflow 0
		.amdhsa_workgroup_processor_mode 1
		.amdhsa_memory_ordered 1
		.amdhsa_forward_progress 1
		.amdhsa_inst_pref_size 7
		.amdhsa_round_robin_scheduling 0
		.amdhsa_exception_fp_ieee_invalid_op 0
		.amdhsa_exception_fp_denorm_src 0
		.amdhsa_exception_fp_ieee_div_zero 0
		.amdhsa_exception_fp_ieee_overflow 0
		.amdhsa_exception_fp_ieee_underflow 0
		.amdhsa_exception_fp_ieee_inexact 0
		.amdhsa_exception_int_div_zero 0
	.end_amdhsa_kernel
	.section	.text._ZL21dequantize_block_q4_KIN3c104HalfEEvPKvPT_,"axG",@progbits,_ZL21dequantize_block_q4_KIN3c104HalfEEvPKvPT_,comdat
.Lfunc_end26:
	.size	_ZL21dequantize_block_q4_KIN3c104HalfEEvPKvPT_, .Lfunc_end26-_ZL21dequantize_block_q4_KIN3c104HalfEEvPKvPT_
                                        ; -- End function
	.set _ZL21dequantize_block_q4_KIN3c104HalfEEvPKvPT_.num_vgpr, 15
	.set _ZL21dequantize_block_q4_KIN3c104HalfEEvPKvPT_.num_agpr, 0
	.set _ZL21dequantize_block_q4_KIN3c104HalfEEvPKvPT_.numbered_sgpr, 6
	.set _ZL21dequantize_block_q4_KIN3c104HalfEEvPKvPT_.num_named_barrier, 0
	.set _ZL21dequantize_block_q4_KIN3c104HalfEEvPKvPT_.private_seg_size, 0
	.set _ZL21dequantize_block_q4_KIN3c104HalfEEvPKvPT_.uses_vcc, 1
	.set _ZL21dequantize_block_q4_KIN3c104HalfEEvPKvPT_.uses_flat_scratch, 0
	.set _ZL21dequantize_block_q4_KIN3c104HalfEEvPKvPT_.has_dyn_sized_stack, 0
	.set _ZL21dequantize_block_q4_KIN3c104HalfEEvPKvPT_.has_recursion, 0
	.set _ZL21dequantize_block_q4_KIN3c104HalfEEvPKvPT_.has_indirect_call, 0
	.section	.AMDGPU.csdata,"",@progbits
; Kernel info:
; codeLenInByte = 856
; TotalNumSgprs: 8
; NumVgprs: 15
; ScratchSize: 0
; MemoryBound: 0
; FloatMode: 240
; IeeeMode: 1
; LDSByteSize: 0 bytes/workgroup (compile time only)
; SGPRBlocks: 0
; VGPRBlocks: 1
; NumSGPRsForWavesPerEU: 8
; NumVGPRsForWavesPerEU: 15
; Occupancy: 16
; WaveLimiterHint : 0
; COMPUTE_PGM_RSRC2:SCRATCH_EN: 0
; COMPUTE_PGM_RSRC2:USER_SGPR: 2
; COMPUTE_PGM_RSRC2:TRAP_HANDLER: 0
; COMPUTE_PGM_RSRC2:TGID_X_EN: 1
; COMPUTE_PGM_RSRC2:TGID_Y_EN: 0
; COMPUTE_PGM_RSRC2:TGID_Z_EN: 0
; COMPUTE_PGM_RSRC2:TIDIG_COMP_CNT: 0
	.section	.text._ZL21dequantize_block_q5_KIN3c104HalfEEvPKvPT_,"axG",@progbits,_ZL21dequantize_block_q5_KIN3c104HalfEEvPKvPT_,comdat
	.globl	_ZL21dequantize_block_q5_KIN3c104HalfEEvPKvPT_ ; -- Begin function _ZL21dequantize_block_q5_KIN3c104HalfEEvPKvPT_
	.p2align	8
	.type	_ZL21dequantize_block_q5_KIN3c104HalfEEvPKvPT_,@function
_ZL21dequantize_block_q5_KIN3c104HalfEEvPKvPT_: ; @_ZL21dequantize_block_q5_KIN3c104HalfEEvPKvPT_
; %bb.0:
	s_load_b64 s[4:5], s[0:1], 0x0
	v_lshrrev_b32_e32 v4, 4, v0
	s_mov_b32 s2, ttmp9
	s_mov_b32 s3, 0
	v_cmp_lt_u32_e32 vcc_lo, 31, v0
	s_mul_u64 s[2:3], s[2:3], 0xb0
	v_lshlrev_b32_e32 v3, 1, v4
                                        ; implicit-def: $vgpr6
                                        ; implicit-def: $vgpr5
	s_wait_kmcnt 0x0
	s_add_nc_u64 s[2:3], s[4:5], s[2:3]
	s_delay_alu instid0(VALU_DEP_1) | instid1(SALU_CYCLE_1)
	v_add_co_u32 v1, s4, s2, v3
	s_delay_alu instid0(VALU_DEP_1)
	v_add_co_ci_u32_e64 v2, null, s3, 0, s4
	s_and_saveexec_b32 s4, vcc_lo
	s_wait_alu 0xfffe
	s_xor_b32 s4, exec_lo, s4
	s_cbranch_execz .LBB27_2
; %bb.1:
	s_clause 0x2
	global_load_u8 v5, v[1:2], off
	global_load_u8 v6, v[1:2], off offset:4
	global_load_u8 v7, v[1:2], off offset:8
	s_wait_loadcnt 0x2
	v_lshrrev_b16 v5, 2, v5
	s_wait_loadcnt 0x1
	v_lshrrev_b16 v6, 2, v6
	s_wait_loadcnt 0x0
	v_and_b32_e32 v8, 15, v7
	v_lshrrev_b16 v7, 4, v7
	v_and_b32_e32 v5, 48, v5
	v_and_b32_e32 v6, 48, v6
	s_delay_alu instid0(VALU_DEP_2) | instskip(NEXT) | instid1(VALU_DEP_2)
	v_or_b32_e32 v5, v5, v8
	v_or_b32_e32 v6, v6, v7
.LBB27_2:
	s_wait_alu 0xfffe
	s_and_not1_saveexec_b32 s4, s4
	s_cbranch_execz .LBB27_4
; %bb.3:
	s_clause 0x1
	global_load_u8 v5, v[1:2], off offset:4
	global_load_u8 v6, v[1:2], off offset:8
	s_wait_loadcnt 0x1
	v_and_b32_e32 v5, 63, v5
	s_wait_loadcnt 0x0
	v_and_b32_e32 v6, 63, v6
.LBB27_4:
	s_wait_alu 0xfffe
	s_or_b32 exec_lo, exec_lo, s4
	s_load_b32 s4, s[2:3], 0x0
                                        ; implicit-def: $vgpr8
                                        ; implicit-def: $vgpr7
	s_and_saveexec_b32 s5, vcc_lo
	s_wait_alu 0xfffe
	s_xor_b32 s5, exec_lo, s5
	s_cbranch_execz .LBB27_6
; %bb.5:
	s_clause 0x2
	global_load_u8 v7, v[1:2], off offset:1
	global_load_u8 v8, v[1:2], off offset:5
	;; [unrolled: 1-line block ×3, first 2 shown]
	s_wait_loadcnt 0x2
	v_lshrrev_b16 v2, 2, v7
	s_wait_loadcnt 0x1
	v_lshrrev_b16 v7, 2, v8
	s_wait_loadcnt 0x0
	v_and_b32_e32 v8, 15, v1
	v_lshrrev_b16 v1, 4, v1
	v_and_b32_e32 v2, 48, v2
	v_and_b32_e32 v9, 48, v7
	s_delay_alu instid0(VALU_DEP_2) | instskip(NEXT) | instid1(VALU_DEP_2)
	v_or_b32_e32 v7, v2, v8
	v_or_b32_e32 v8, v9, v1
                                        ; implicit-def: $vgpr1_vgpr2
.LBB27_6:
	s_wait_alu 0xfffe
	s_or_saveexec_b32 s5, s5
	s_load_b64 s[0:1], s[0:1], 0x8
	s_xor_b32 exec_lo, exec_lo, s5
	s_cbranch_execz .LBB27_8
; %bb.7:
	s_clause 0x1
	global_load_u8 v7, v[1:2], off offset:5
	global_load_u8 v1, v[1:2], off offset:9
	s_wait_loadcnt 0x1
	v_and_b32_e32 v7, 63, v7
	s_wait_loadcnt 0x0
	v_and_b32_e32 v8, 63, v1
.LBB27_8:
	s_or_b32 exec_lo, exec_lo, s5
	v_lshlrev_b32_e32 v0, 1, v0
	v_lshlrev_b32_e32 v1, 5, v4
	v_lshlrev_b32_e64 v9, v3, 1
	v_lshlrev_b32_e64 v3, v3, 2
	v_and_b32_e32 v6, 0xff, v6
	v_and_b32_e32 v2, 30, v0
	v_add_co_u32 v0, s5, s2, v1
	s_wait_alu 0xf1ff
	v_add_co_ci_u32_e64 v1, null, s3, 0, s5
	v_cvt_f16_u16_e32 v6, v6
	s_delay_alu instid0(VALU_DEP_3) | instskip(NEXT) | instid1(VALU_DEP_1)
	v_add_co_u32 v0, vcc_lo, v0, v2
	v_add_co_ci_u32_e64 v1, null, 0, v1, vcc_lo
	s_wait_kmcnt 0x0
	s_lshr_b32 s5, s4, 16
	v_and_b32_e32 v5, 0xff, v5
	s_clause 0x1
	global_load_u16 v0, v[0:1], off offset:48
	global_load_u16 v1, v2, s[2:3] offset:16
	v_and_b32_e32 v7, 0xff, v7
	v_and_b32_e32 v8, 0xff, v8
	s_mov_b32 s3, 0
	s_lshl_b32 s2, ttmp9, 8
	v_lshlrev_b32_e32 v4, 7, v4
	s_wait_alu 0xfffe
	s_lshl_b64 s[2:3], s[2:3], 1
	v_cvt_f16_u16_e32 v5, v5
	s_wait_alu 0xfffe
	s_add_nc_u64 s[0:1], s[0:1], s[2:3]
	v_cvt_f16_u16_e32 v7, v7
	v_cvt_f16_u16_e32 v8, v8
	v_add_co_u32 v4, s0, s0, v4
	v_lshlrev_b32_e32 v2, 1, v2
	v_mul_f16_e32 v5, s4, v5
	v_mul_f16_e32 v7, s4, v7
	;; [unrolled: 1-line block ×3, first 2 shown]
	s_wait_loadcnt 0x1
	v_lshrrev_b16 v10, 8, v0
	s_wait_loadcnt 0x0
	v_lshrrev_b16 v12, 8, v1
	v_and_b32_e32 v1, 0xff, v1
	v_lshrrev_b16 v13, 4, v0
	v_and_b32_e32 v11, 15, v0
	v_and_b32_e32 v10, 15, v10
	;; [unrolled: 1-line block ×5, first 2 shown]
	v_lshrrev_b16 v0, 12, v0
	v_and_b32_e32 v13, 15, v13
	v_and_b32_e32 v9, v9, v12
	v_cmp_eq_u32_e32 vcc_lo, 0, v14
	v_and_b32_e32 v3, v3, v12
	v_and_b32_e32 v11, 0xffff, v11
	;; [unrolled: 1-line block ×4, first 2 shown]
	s_wait_alu 0xfffd
	v_cndmask_b32_e64 v14, 16, 0, vcc_lo
	v_cmp_eq_u32_e32 vcc_lo, 0, v1
	v_and_b32_e32 v13, 0xffff, v13
	s_wait_alu 0xf1ff
	v_add_co_ci_u32_e64 v12, null, s1, 0, s0
	v_or_b32_e32 v11, v14, v11
	s_wait_alu 0xfffd
	v_cndmask_b32_e64 v1, 16, 0, vcc_lo
	v_cmp_eq_u32_e32 vcc_lo, 0, v9
	s_delay_alu instid0(VALU_DEP_2) | instskip(SKIP_3) | instid1(VALU_DEP_3)
	v_or_b32_e32 v1, v1, v13
	s_wait_alu 0xfffd
	v_cndmask_b32_e64 v9, 16, 0, vcc_lo
	v_cmp_eq_u32_e32 vcc_lo, 0, v3
	v_cvt_f32_ubyte0_e32 v1, v1
	s_delay_alu instid0(VALU_DEP_3) | instskip(SKIP_2) | instid1(VALU_DEP_3)
	v_or_b32_e32 v9, v9, v10
	s_wait_alu 0xfffd
	v_cndmask_b32_e64 v3, 16, 0, vcc_lo
	v_cvt_f16_f32_e32 v1, v1
	s_delay_alu instid0(VALU_DEP_3) | instskip(NEXT) | instid1(VALU_DEP_3)
	v_cvt_f32_ubyte0_e32 v9, v9
	v_or_b32_e32 v0, v3, v0
	v_mul_f16_e32 v3, s5, v6
	v_cvt_f32_ubyte0_e32 v6, v11
	s_delay_alu instid0(VALU_DEP_4) | instskip(NEXT) | instid1(VALU_DEP_4)
	v_cvt_f16_f32_e32 v9, v9
	v_cvt_f32_ubyte0_e32 v0, v0
	s_delay_alu instid0(VALU_DEP_3) | instskip(NEXT) | instid1(VALU_DEP_2)
	v_cvt_f16_f32_e32 v6, v6
	v_cvt_f16_f32_e32 v0, v0
	s_delay_alu instid0(VALU_DEP_2) | instskip(NEXT) | instid1(VALU_DEP_2)
	v_pack_b32_f16 v6, v6, v9
	v_pack_b32_f16 v9, v1, v0
	v_add_co_u32 v0, vcc_lo, v4, v2
	s_wait_alu 0xfffd
	v_add_co_ci_u32_e64 v1, null, 0, v12, vcc_lo
	v_pk_fma_f16 v2, v5, v6, v3 op_sel_hi:[0,1,0] neg_lo:[0,0,1] neg_hi:[0,0,1]
	v_pk_fma_f16 v3, v7, v9, v8 op_sel_hi:[0,1,0] neg_lo:[0,0,1] neg_hi:[0,0,1]
	s_clause 0x1
	global_store_b32 v[0:1], v2, off
	global_store_b32 v[0:1], v3, off offset:64
	s_endpgm
	.section	.rodata,"a",@progbits
	.p2align	6, 0x0
	.amdhsa_kernel _ZL21dequantize_block_q5_KIN3c104HalfEEvPKvPT_
		.amdhsa_group_segment_fixed_size 0
		.amdhsa_private_segment_fixed_size 0
		.amdhsa_kernarg_size 16
		.amdhsa_user_sgpr_count 2
		.amdhsa_user_sgpr_dispatch_ptr 0
		.amdhsa_user_sgpr_queue_ptr 0
		.amdhsa_user_sgpr_kernarg_segment_ptr 1
		.amdhsa_user_sgpr_dispatch_id 0
		.amdhsa_user_sgpr_private_segment_size 0
		.amdhsa_wavefront_size32 1
		.amdhsa_uses_dynamic_stack 0
		.amdhsa_enable_private_segment 0
		.amdhsa_system_sgpr_workgroup_id_x 1
		.amdhsa_system_sgpr_workgroup_id_y 0
		.amdhsa_system_sgpr_workgroup_id_z 0
		.amdhsa_system_sgpr_workgroup_info 0
		.amdhsa_system_vgpr_workitem_id 0
		.amdhsa_next_free_vgpr 15
		.amdhsa_next_free_sgpr 6
		.amdhsa_reserve_vcc 1
		.amdhsa_float_round_mode_32 0
		.amdhsa_float_round_mode_16_64 0
		.amdhsa_float_denorm_mode_32 3
		.amdhsa_float_denorm_mode_16_64 3
		.amdhsa_fp16_overflow 0
		.amdhsa_workgroup_processor_mode 1
		.amdhsa_memory_ordered 1
		.amdhsa_forward_progress 1
		.amdhsa_inst_pref_size 8
		.amdhsa_round_robin_scheduling 0
		.amdhsa_exception_fp_ieee_invalid_op 0
		.amdhsa_exception_fp_denorm_src 0
		.amdhsa_exception_fp_ieee_div_zero 0
		.amdhsa_exception_fp_ieee_overflow 0
		.amdhsa_exception_fp_ieee_underflow 0
		.amdhsa_exception_fp_ieee_inexact 0
		.amdhsa_exception_int_div_zero 0
	.end_amdhsa_kernel
	.section	.text._ZL21dequantize_block_q5_KIN3c104HalfEEvPKvPT_,"axG",@progbits,_ZL21dequantize_block_q5_KIN3c104HalfEEvPKvPT_,comdat
.Lfunc_end27:
	.size	_ZL21dequantize_block_q5_KIN3c104HalfEEvPKvPT_, .Lfunc_end27-_ZL21dequantize_block_q5_KIN3c104HalfEEvPKvPT_
                                        ; -- End function
	.set _ZL21dequantize_block_q5_KIN3c104HalfEEvPKvPT_.num_vgpr, 15
	.set _ZL21dequantize_block_q5_KIN3c104HalfEEvPKvPT_.num_agpr, 0
	.set _ZL21dequantize_block_q5_KIN3c104HalfEEvPKvPT_.numbered_sgpr, 6
	.set _ZL21dequantize_block_q5_KIN3c104HalfEEvPKvPT_.num_named_barrier, 0
	.set _ZL21dequantize_block_q5_KIN3c104HalfEEvPKvPT_.private_seg_size, 0
	.set _ZL21dequantize_block_q5_KIN3c104HalfEEvPKvPT_.uses_vcc, 1
	.set _ZL21dequantize_block_q5_KIN3c104HalfEEvPKvPT_.uses_flat_scratch, 0
	.set _ZL21dequantize_block_q5_KIN3c104HalfEEvPKvPT_.has_dyn_sized_stack, 0
	.set _ZL21dequantize_block_q5_KIN3c104HalfEEvPKvPT_.has_recursion, 0
	.set _ZL21dequantize_block_q5_KIN3c104HalfEEvPKvPT_.has_indirect_call, 0
	.section	.AMDGPU.csdata,"",@progbits
; Kernel info:
; codeLenInByte = 1000
; TotalNumSgprs: 8
; NumVgprs: 15
; ScratchSize: 0
; MemoryBound: 0
; FloatMode: 240
; IeeeMode: 1
; LDSByteSize: 0 bytes/workgroup (compile time only)
; SGPRBlocks: 0
; VGPRBlocks: 1
; NumSGPRsForWavesPerEU: 8
; NumVGPRsForWavesPerEU: 15
; Occupancy: 16
; WaveLimiterHint : 0
; COMPUTE_PGM_RSRC2:SCRATCH_EN: 0
; COMPUTE_PGM_RSRC2:USER_SGPR: 2
; COMPUTE_PGM_RSRC2:TRAP_HANDLER: 0
; COMPUTE_PGM_RSRC2:TGID_X_EN: 1
; COMPUTE_PGM_RSRC2:TGID_Y_EN: 0
; COMPUTE_PGM_RSRC2:TGID_Z_EN: 0
; COMPUTE_PGM_RSRC2:TIDIG_COMP_CNT: 0
	.section	.text._ZL21dequantize_block_q6_KIN3c104HalfEEvPKvPT_,"axG",@progbits,_ZL21dequantize_block_q6_KIN3c104HalfEEvPKvPT_,comdat
	.globl	_ZL21dequantize_block_q6_KIN3c104HalfEEvPKvPT_ ; -- Begin function _ZL21dequantize_block_q6_KIN3c104HalfEEvPKvPT_
	.p2align	8
	.type	_ZL21dequantize_block_q6_KIN3c104HalfEEvPKvPT_,@function
_ZL21dequantize_block_q6_KIN3c104HalfEEvPKvPT_: ; @_ZL21dequantize_block_q6_KIN3c104HalfEEvPKvPT_
; %bb.0:
	s_load_b128 s[0:3], s[0:1], 0x0
	v_lshrrev_b32_e32 v3, 5, v0
	s_lshl_b32 s4, ttmp9, 8
	s_mov_b32 s5, 0
	v_dual_mov_b32 v9, 0 :: v_dual_and_b32 v4, 31, v0
	s_lshl_b64 s[6:7], s[4:5], 1
	s_mov_b32 s4, ttmp9
	v_lshlrev_b32_e32 v1, 6, v3
	s_mul_u64 s[4:5], s[4:5], 0xd2
	s_wait_kmcnt 0x0
	s_add_nc_u64 s[0:1], s[0:1], s[4:5]
	s_delay_alu instid0(VALU_DEP_1) | instid1(SALU_CYCLE_1)
	v_add_co_u32 v1, s4, s0, v1
	s_delay_alu instid0(VALU_DEP_1) | instskip(SKIP_2) | instid1(VALU_DEP_1)
	v_add_co_ci_u32_e64 v2, null, s1, 0, s4
	global_load_u8 v5, v0, s[0:1] offset:128
	v_add_co_u32 v1, vcc_lo, v1, v4
	v_add_co_ci_u32_e64 v2, null, 0, v2, vcc_lo
	v_bfe_u32 v0, v0, 4, 1
	v_lshlrev_b32_e32 v4, 1, v4
	s_clause 0x1
	global_load_u8 v6, v[1:2], off
	global_load_u8 v1, v[1:2], off offset:32
	v_lshl_or_b32 v0, v3, 3, v0
	s_clause 0x4
	global_load_i8 v2, v0, s[0:1] offset:192
	global_load_i8 v7, v0, s[0:1] offset:194
	;; [unrolled: 1-line block ×4, first 2 shown]
	global_load_u16 v9, v9, s[0:1] offset:208
	v_lshlrev_b32_e32 v3, 8, v3
	s_add_nc_u64 s[0:1], s[2:3], s[6:7]
	s_wait_alu 0xfffe
	s_delay_alu instid0(VALU_DEP_1)
	v_add_co_u32 v3, s0, s0, v3
	s_wait_loadcnt 0x7
	v_lshlrev_b16 v10, 4, v5
	v_lshlrev_b16 v11, 2, v5
	v_lshrrev_b16 v12, 2, v5
	v_and_b32_e32 v5, 48, v5
	s_delay_alu instid0(VALU_DEP_4) | instskip(NEXT) | instid1(VALU_DEP_4)
	v_and_b32_e32 v10, 48, v10
	v_and_b32_e32 v11, 48, v11
	s_wait_loadcnt 0x6
	v_and_b32_e32 v13, 15, v6
	s_wait_loadcnt 0x5
	v_and_b32_e32 v14, 15, v1
	v_lshrrev_b16 v6, 4, v6
	v_and_b32_e32 v12, 48, v12
	v_lshrrev_b16 v1, 4, v1
	v_or_b32_e32 v10, v13, v10
	v_or_b32_e32 v11, v14, v11
	;; [unrolled: 1-line block ×3, first 2 shown]
	s_delay_alu instid0(VALU_DEP_4) | instskip(NEXT) | instid1(VALU_DEP_4)
	v_or_b32_e32 v1, v1, v12
	v_and_b32_e32 v6, 0xffff, v10
	s_delay_alu instid0(VALU_DEP_4) | instskip(NEXT) | instid1(VALU_DEP_4)
	v_and_b32_e32 v10, 0xffff, v11
	v_and_b32_e32 v5, 0xffff, v5
	s_delay_alu instid0(VALU_DEP_4) | instskip(NEXT) | instid1(VALU_DEP_4)
	v_and_b32_e32 v1, 0xffff, v1
	v_subrev_nc_u32_e32 v6, 32, v6
	s_delay_alu instid0(VALU_DEP_4) | instskip(NEXT) | instid1(VALU_DEP_4)
	v_subrev_nc_u32_e32 v10, 32, v10
	v_subrev_nc_u32_e32 v5, 32, v5
	s_delay_alu instid0(VALU_DEP_4)
	v_subrev_nc_u32_e32 v1, 32, v1
	s_wait_loadcnt 0x4
	v_mul_i32_i24_e32 v2, v6, v2
	s_wait_loadcnt 0x3
	v_mul_i32_i24_e32 v6, v10, v7
	;; [unrolled: 2-line block ×4, first 2 shown]
	v_cvt_f32_i32_e32 v1, v2
	v_cvt_f32_i32_e32 v2, v6
	;; [unrolled: 1-line block ×3, first 2 shown]
	s_wait_alu 0xf1ff
	v_add_co_ci_u32_e64 v6, null, s1, 0, s0
	v_cvt_f32_i32_e32 v0, v0
	v_cvt_f16_f32_e32 v7, v1
	v_cvt_f16_f32_e32 v2, v2
	;; [unrolled: 1-line block ×3, first 2 shown]
	s_delay_alu instid0(VALU_DEP_4)
	v_cvt_f16_f32_e32 v8, v0
	v_add_co_u32 v0, vcc_lo, v3, v4
	s_wait_alu 0xfffd
	v_add_co_ci_u32_e64 v1, null, 0, v6, vcc_lo
	s_wait_loadcnt 0x0
	v_mul_f16_e32 v3, v9, v7
	v_mul_f16_e32 v2, v9, v2
	;; [unrolled: 1-line block ×4, first 2 shown]
	s_clause 0x3
	global_store_b16 v[0:1], v3, off
	global_store_b16 v[0:1], v2, off offset:64
	global_store_b16 v[0:1], v4, off offset:128
	;; [unrolled: 1-line block ×3, first 2 shown]
	s_endpgm
	.section	.rodata,"a",@progbits
	.p2align	6, 0x0
	.amdhsa_kernel _ZL21dequantize_block_q6_KIN3c104HalfEEvPKvPT_
		.amdhsa_group_segment_fixed_size 0
		.amdhsa_private_segment_fixed_size 0
		.amdhsa_kernarg_size 16
		.amdhsa_user_sgpr_count 2
		.amdhsa_user_sgpr_dispatch_ptr 0
		.amdhsa_user_sgpr_queue_ptr 0
		.amdhsa_user_sgpr_kernarg_segment_ptr 1
		.amdhsa_user_sgpr_dispatch_id 0
		.amdhsa_user_sgpr_private_segment_size 0
		.amdhsa_wavefront_size32 1
		.amdhsa_uses_dynamic_stack 0
		.amdhsa_enable_private_segment 0
		.amdhsa_system_sgpr_workgroup_id_x 1
		.amdhsa_system_sgpr_workgroup_id_y 0
		.amdhsa_system_sgpr_workgroup_id_z 0
		.amdhsa_system_sgpr_workgroup_info 0
		.amdhsa_system_vgpr_workitem_id 0
		.amdhsa_next_free_vgpr 15
		.amdhsa_next_free_sgpr 8
		.amdhsa_reserve_vcc 1
		.amdhsa_float_round_mode_32 0
		.amdhsa_float_round_mode_16_64 0
		.amdhsa_float_denorm_mode_32 3
		.amdhsa_float_denorm_mode_16_64 3
		.amdhsa_fp16_overflow 0
		.amdhsa_workgroup_processor_mode 1
		.amdhsa_memory_ordered 1
		.amdhsa_forward_progress 1
		.amdhsa_inst_pref_size 5
		.amdhsa_round_robin_scheduling 0
		.amdhsa_exception_fp_ieee_invalid_op 0
		.amdhsa_exception_fp_denorm_src 0
		.amdhsa_exception_fp_ieee_div_zero 0
		.amdhsa_exception_fp_ieee_overflow 0
		.amdhsa_exception_fp_ieee_underflow 0
		.amdhsa_exception_fp_ieee_inexact 0
		.amdhsa_exception_int_div_zero 0
	.end_amdhsa_kernel
	.section	.text._ZL21dequantize_block_q6_KIN3c104HalfEEvPKvPT_,"axG",@progbits,_ZL21dequantize_block_q6_KIN3c104HalfEEvPKvPT_,comdat
.Lfunc_end28:
	.size	_ZL21dequantize_block_q6_KIN3c104HalfEEvPKvPT_, .Lfunc_end28-_ZL21dequantize_block_q6_KIN3c104HalfEEvPKvPT_
                                        ; -- End function
	.set _ZL21dequantize_block_q6_KIN3c104HalfEEvPKvPT_.num_vgpr, 15
	.set _ZL21dequantize_block_q6_KIN3c104HalfEEvPKvPT_.num_agpr, 0
	.set _ZL21dequantize_block_q6_KIN3c104HalfEEvPKvPT_.numbered_sgpr, 8
	.set _ZL21dequantize_block_q6_KIN3c104HalfEEvPKvPT_.num_named_barrier, 0
	.set _ZL21dequantize_block_q6_KIN3c104HalfEEvPKvPT_.private_seg_size, 0
	.set _ZL21dequantize_block_q6_KIN3c104HalfEEvPKvPT_.uses_vcc, 1
	.set _ZL21dequantize_block_q6_KIN3c104HalfEEvPKvPT_.uses_flat_scratch, 0
	.set _ZL21dequantize_block_q6_KIN3c104HalfEEvPKvPT_.has_dyn_sized_stack, 0
	.set _ZL21dequantize_block_q6_KIN3c104HalfEEvPKvPT_.has_recursion, 0
	.set _ZL21dequantize_block_q6_KIN3c104HalfEEvPKvPT_.has_indirect_call, 0
	.section	.AMDGPU.csdata,"",@progbits
; Kernel info:
; codeLenInByte = 584
; TotalNumSgprs: 10
; NumVgprs: 15
; ScratchSize: 0
; MemoryBound: 0
; FloatMode: 240
; IeeeMode: 1
; LDSByteSize: 0 bytes/workgroup (compile time only)
; SGPRBlocks: 0
; VGPRBlocks: 1
; NumSGPRsForWavesPerEU: 10
; NumVGPRsForWavesPerEU: 15
; Occupancy: 16
; WaveLimiterHint : 0
; COMPUTE_PGM_RSRC2:SCRATCH_EN: 0
; COMPUTE_PGM_RSRC2:USER_SGPR: 2
; COMPUTE_PGM_RSRC2:TRAP_HANDLER: 0
; COMPUTE_PGM_RSRC2:TGID_X_EN: 1
; COMPUTE_PGM_RSRC2:TGID_Y_EN: 0
; COMPUTE_PGM_RSRC2:TGID_Z_EN: 0
; COMPUTE_PGM_RSRC2:TIDIG_COMP_CNT: 0
	.section	.text._ZL24dequantize_block_iq2_xxsIN3c104HalfEEvPKvPT_,"axG",@progbits,_ZL24dequantize_block_iq2_xxsIN3c104HalfEEvPKvPT_,comdat
	.globl	_ZL24dequantize_block_iq2_xxsIN3c104HalfEEvPKvPT_ ; -- Begin function _ZL24dequantize_block_iq2_xxsIN3c104HalfEEvPKvPT_
	.p2align	8
	.type	_ZL24dequantize_block_iq2_xxsIN3c104HalfEEvPKvPT_,@function
_ZL24dequantize_block_iq2_xxsIN3c104HalfEEvPKvPT_: ; @_ZL24dequantize_block_iq2_xxsIN3c104HalfEEvPKvPT_
; %bb.0:
	s_load_b128 s[0:3], s[0:1], 0x0
	v_dual_mov_b32 v6, 0 :: v_dual_and_b32 v3, 7, v0
	s_lshl_b32 s4, ttmp9, 8
	s_mov_b32 s5, 0
	v_lshrrev_b32_e32 v5, 3, v0
	s_lshl_b64 s[6:7], s[4:5], 1
	s_mov_b32 s4, ttmp9
	v_lshlrev_b32_e32 v4, 3, v3
	s_mul_u64 s[4:5], s[4:5], 0x42
	s_wait_kmcnt 0x0
	s_add_nc_u64 s[0:1], s[0:1], s[4:5]
	s_delay_alu instid0(VALU_DEP_1) | instid1(SALU_CYCLE_1)
	v_add_co_u32 v1, s4, s0, v4
	s_delay_alu instid0(VALU_DEP_1) | instskip(NEXT) | instid1(VALU_DEP_2)
	v_add_co_ci_u32_e64 v2, null, s1, 0, s4
	v_add_co_u32 v1, vcc_lo, v1, v5
	s_delay_alu instid0(VALU_DEP_1)
	v_add_co_ci_u32_e64 v2, null, 0, v2, vcc_lo
	s_clause 0x2
	global_load_u8 v1, v[1:2], off offset:2
	global_load_u16 v6, v6, s[0:1]
	global_load_b32 v4, v4, s[0:1] offset:6
	v_mul_u32_u24_e32 v2, 7, v5
	s_getpc_b64 s[0:1]
	s_wait_alu 0xfffe
	s_sext_i32_i16 s1, s1
	s_add_co_u32 s0, s0, _ZL11iq2xxs_grid@rel32@lo+12
	s_wait_alu 0xfffe
	s_add_co_ci_u32 s1, s1, _ZL11iq2xxs_grid@rel32@hi+24
	s_getpc_b64 s[4:5]
	s_wait_alu 0xfffe
	s_sext_i32_i16 s5, s5
	s_add_co_u32 s4, s4, _ZL12ksigns_iq2xs@rel32@lo+12
	s_wait_alu 0xfffe
	s_add_co_ci_u32 s5, s5, _ZL12ksigns_iq2xs@rel32@hi+24
	s_wait_loadcnt 0x1
	v_cvt_f32_f16_e32 v6, v6
	s_wait_loadcnt 0x0
	v_bfe_u32 v5, v4, v2, 7
	v_lshrrev_b32_e32 v4, 28, v4
	s_delay_alu instid0(VALU_DEP_1) | instskip(NEXT) | instid1(VALU_DEP_1)
	v_cvt_f32_ubyte0_e32 v4, v4
	v_dual_add_f32 v4, 0.5, v4 :: v_dual_lshlrev_b32 v1, 3, v1
	global_load_b64 v[1:2], v1, s[0:1]
	global_load_i8 v7, v5, s[4:5]
	v_lshlrev_b32_e32 v3, 6, v3
	s_add_nc_u64 s[0:1], s[2:3], s[6:7]
	v_mul_f32_e32 v4, v4, v6
	s_wait_alu 0xfffe
	s_delay_alu instid0(VALU_DEP_2)
	v_add_co_u32 v3, s0, s0, v3
	s_wait_alu 0xf1ff
	v_add_co_ci_u32_e64 v6, null, s1, 0, s0
	v_mul_f32_e32 v4, 0x3e800000, v4
	s_wait_loadcnt 0x1
	v_cvt_f32_ubyte0_e32 v8, v1
	s_wait_loadcnt 0x0
	v_and_b32_e32 v9, 1, v7
	v_cvt_f32_ubyte1_e32 v10, v1
	v_and_b32_e32 v11, 2, v7
	v_cvt_f32_ubyte2_e32 v12, v1
	v_cvt_f32_ubyte3_e32 v1, v1
	v_and_b32_e32 v0, 0x3f8, v0
	v_cvt_f32_ubyte0_e32 v15, v2
	v_cvt_f32_ubyte1_e32 v17, v2
	v_cvt_f32_ubyte2_e32 v19, v2
	v_cvt_f32_ubyte3_e32 v2, v2
	v_mul_f32_e32 v8, v4, v8
	v_cmp_eq_u16_e32 vcc_lo, 0, v9
	v_dual_mul_f32 v10, v4, v10 :: v_dual_and_b32 v13, 4, v7
	v_dual_mul_f32 v17, v4, v17 :: v_dual_and_b32 v14, 8, v7
	v_mul_f32_e32 v12, v4, v12
	v_dual_mul_f32 v1, v4, v1 :: v_dual_lshlrev_b32 v0, 1, v0
	v_mul_f32_e32 v15, v4, v15
	v_mul_f32_e32 v19, v4, v19
	;; [unrolled: 1-line block ×3, first 2 shown]
	s_wait_alu 0xfffd
	v_cndmask_b32_e64 v4, -v8, v8, vcc_lo
	v_cmp_eq_u16_e32 vcc_lo, 0, v11
	v_and_b32_e32 v16, 16, v7
	v_and_b32_e32 v18, 32, v7
	s_wait_alu 0xfffd
	v_cndmask_b32_e64 v8, -v10, v10, vcc_lo
	v_cmp_eq_u16_e32 vcc_lo, 0, v13
	s_delay_alu instid0(VALU_DEP_2) | instskip(SKIP_3) | instid1(VALU_DEP_2)
	v_cvt_f16_f32_e32 v8, v8
	s_wait_alu 0xfffd
	v_cndmask_b32_e64 v9, -v12, v12, vcc_lo
	v_cmp_eq_u16_e32 vcc_lo, 0, v14
	v_cvt_f16_f32_e32 v9, v9
	s_wait_alu 0xfffd
	v_cndmask_b32_e64 v1, -v1, v1, vcc_lo
	v_cmp_eq_u16_e32 vcc_lo, 0, v16
	s_delay_alu instid0(VALU_DEP_2) | instskip(SKIP_3) | instid1(VALU_DEP_3)
	v_cvt_f16_f32_e32 v1, v1
	s_wait_alu 0xfffd
	v_cndmask_b32_e64 v10, -v15, v15, vcc_lo
	v_cmp_eq_u16_e32 vcc_lo, 0, v18
	v_pack_b32_f16 v1, v9, v1
	s_delay_alu instid0(VALU_DEP_3) | instskip(SKIP_3) | instid1(VALU_DEP_2)
	v_cvt_f16_f32_e32 v10, v10
	s_wait_alu 0xfffd
	v_cndmask_b32_e64 v11, -v17, v17, vcc_lo
	v_cmp_gt_u32_e32 vcc_lo, 64, v5
	v_cvt_f16_f32_e32 v11, v11
	s_wait_alu 0xfffd
	v_cndmask_b32_e64 v5, -v19, v19, vcc_lo
	v_cmp_gt_i16_e32 vcc_lo, 0, v7
	v_cvt_f16_f32_e32 v7, v4
	s_delay_alu instid0(VALU_DEP_3)
	v_cvt_f16_f32_e32 v12, v5
	s_wait_alu 0xfffd
	v_cndmask_b32_e64 v2, v2, -v2, vcc_lo
	v_add_co_u32 v4, vcc_lo, v3, v0
	s_wait_alu 0xfffd
	v_add_co_ci_u32_e64 v5, null, 0, v6, vcc_lo
	s_delay_alu instid0(VALU_DEP_3) | instskip(SKIP_1) | instid1(VALU_DEP_2)
	v_cvt_f16_f32_e32 v2, v2
	v_pack_b32_f16 v0, v7, v8
	v_pack_b32_f16 v3, v12, v2
	;; [unrolled: 1-line block ×3, first 2 shown]
	global_store_b128 v[4:5], v[0:3], off
	s_endpgm
	.section	.rodata,"a",@progbits
	.p2align	6, 0x0
	.amdhsa_kernel _ZL24dequantize_block_iq2_xxsIN3c104HalfEEvPKvPT_
		.amdhsa_group_segment_fixed_size 0
		.amdhsa_private_segment_fixed_size 0
		.amdhsa_kernarg_size 16
		.amdhsa_user_sgpr_count 2
		.amdhsa_user_sgpr_dispatch_ptr 0
		.amdhsa_user_sgpr_queue_ptr 0
		.amdhsa_user_sgpr_kernarg_segment_ptr 1
		.amdhsa_user_sgpr_dispatch_id 0
		.amdhsa_user_sgpr_private_segment_size 0
		.amdhsa_wavefront_size32 1
		.amdhsa_uses_dynamic_stack 0
		.amdhsa_enable_private_segment 0
		.amdhsa_system_sgpr_workgroup_id_x 1
		.amdhsa_system_sgpr_workgroup_id_y 0
		.amdhsa_system_sgpr_workgroup_id_z 0
		.amdhsa_system_sgpr_workgroup_info 0
		.amdhsa_system_vgpr_workitem_id 0
		.amdhsa_next_free_vgpr 20
		.amdhsa_next_free_sgpr 8
		.amdhsa_reserve_vcc 1
		.amdhsa_float_round_mode_32 0
		.amdhsa_float_round_mode_16_64 0
		.amdhsa_float_denorm_mode_32 3
		.amdhsa_float_denorm_mode_16_64 3
		.amdhsa_fp16_overflow 0
		.amdhsa_workgroup_processor_mode 1
		.amdhsa_memory_ordered 1
		.amdhsa_forward_progress 1
		.amdhsa_inst_pref_size 6
		.amdhsa_round_robin_scheduling 0
		.amdhsa_exception_fp_ieee_invalid_op 0
		.amdhsa_exception_fp_denorm_src 0
		.amdhsa_exception_fp_ieee_div_zero 0
		.amdhsa_exception_fp_ieee_overflow 0
		.amdhsa_exception_fp_ieee_underflow 0
		.amdhsa_exception_fp_ieee_inexact 0
		.amdhsa_exception_int_div_zero 0
	.end_amdhsa_kernel
	.section	.text._ZL24dequantize_block_iq2_xxsIN3c104HalfEEvPKvPT_,"axG",@progbits,_ZL24dequantize_block_iq2_xxsIN3c104HalfEEvPKvPT_,comdat
.Lfunc_end29:
	.size	_ZL24dequantize_block_iq2_xxsIN3c104HalfEEvPKvPT_, .Lfunc_end29-_ZL24dequantize_block_iq2_xxsIN3c104HalfEEvPKvPT_
                                        ; -- End function
	.set _ZL24dequantize_block_iq2_xxsIN3c104HalfEEvPKvPT_.num_vgpr, 20
	.set _ZL24dequantize_block_iq2_xxsIN3c104HalfEEvPKvPT_.num_agpr, 0
	.set _ZL24dequantize_block_iq2_xxsIN3c104HalfEEvPKvPT_.numbered_sgpr, 8
	.set _ZL24dequantize_block_iq2_xxsIN3c104HalfEEvPKvPT_.num_named_barrier, 0
	.set _ZL24dequantize_block_iq2_xxsIN3c104HalfEEvPKvPT_.private_seg_size, 0
	.set _ZL24dequantize_block_iq2_xxsIN3c104HalfEEvPKvPT_.uses_vcc, 1
	.set _ZL24dequantize_block_iq2_xxsIN3c104HalfEEvPKvPT_.uses_flat_scratch, 0
	.set _ZL24dequantize_block_iq2_xxsIN3c104HalfEEvPKvPT_.has_dyn_sized_stack, 0
	.set _ZL24dequantize_block_iq2_xxsIN3c104HalfEEvPKvPT_.has_recursion, 0
	.set _ZL24dequantize_block_iq2_xxsIN3c104HalfEEvPKvPT_.has_indirect_call, 0
	.section	.AMDGPU.csdata,"",@progbits
; Kernel info:
; codeLenInByte = 676
; TotalNumSgprs: 10
; NumVgprs: 20
; ScratchSize: 0
; MemoryBound: 0
; FloatMode: 240
; IeeeMode: 1
; LDSByteSize: 0 bytes/workgroup (compile time only)
; SGPRBlocks: 0
; VGPRBlocks: 2
; NumSGPRsForWavesPerEU: 10
; NumVGPRsForWavesPerEU: 20
; Occupancy: 16
; WaveLimiterHint : 0
; COMPUTE_PGM_RSRC2:SCRATCH_EN: 0
; COMPUTE_PGM_RSRC2:USER_SGPR: 2
; COMPUTE_PGM_RSRC2:TRAP_HANDLER: 0
; COMPUTE_PGM_RSRC2:TGID_X_EN: 1
; COMPUTE_PGM_RSRC2:TGID_Y_EN: 0
; COMPUTE_PGM_RSRC2:TGID_Z_EN: 0
; COMPUTE_PGM_RSRC2:TIDIG_COMP_CNT: 0
	.section	.text._ZL23dequantize_block_iq2_xsIN3c104HalfEEvPKvPT_,"axG",@progbits,_ZL23dequantize_block_iq2_xsIN3c104HalfEEvPKvPT_,comdat
	.globl	_ZL23dequantize_block_iq2_xsIN3c104HalfEEvPKvPT_ ; -- Begin function _ZL23dequantize_block_iq2_xsIN3c104HalfEEvPKvPT_
	.p2align	8
	.type	_ZL23dequantize_block_iq2_xsIN3c104HalfEEvPKvPT_,@function
_ZL23dequantize_block_iq2_xsIN3c104HalfEEvPKvPT_: ; @_ZL23dequantize_block_iq2_xsIN3c104HalfEEvPKvPT_
; %bb.0:
	s_load_b128 s[0:3], s[0:1], 0x0
	v_and_b32_e32 v3, 7, v0
	s_lshl_b32 s4, ttmp9, 8
	s_mov_b32 s5, 0
	v_lshrrev_b32_e32 v4, 2, v0
	s_lshl_b64 s[6:7], s[4:5], 1
	s_mov_b32 s4, ttmp9
	v_lshlrev_b32_e32 v1, 3, v3
	s_mul_u64 s[4:5], s[4:5], 0x4a
	v_and_b32_e32 v2, 0xfe, v4
	v_and_b32_e32 v4, 0xfc, v4
	s_wait_kmcnt 0x0
	s_add_nc_u64 s[0:1], s[0:1], s[4:5]
	s_delay_alu instid0(SALU_CYCLE_1) | instskip(NEXT) | instid1(VALU_DEP_1)
	v_add_co_u32 v1, s4, s0, v1
	v_add_co_ci_u32_e64 v5, null, s1, 0, s4
	s_delay_alu instid0(VALU_DEP_2) | instskip(NEXT) | instid1(VALU_DEP_1)
	v_add_co_u32 v1, vcc_lo, v1, v2
	v_add_co_ci_u32_e64 v2, null, 0, v5, vcc_lo
	global_load_u16 v5, v[1:2], off offset:2
	v_mov_b32_e32 v1, 0
	s_clause 0x1
	global_load_u16 v6, v1, s[0:1]
	global_load_u8 v7, v3, s[0:1] offset:66
	s_getpc_b64 s[0:1]
	s_wait_alu 0xfffe
	s_sext_i32_i16 s1, s1
	s_add_co_u32 s0, s0, _ZL12ksigns_iq2xs@rel32@lo+12
	s_wait_alu 0xfffe
	s_add_co_ci_u32 s1, s1, _ZL12ksigns_iq2xs@rel32@hi+24
	s_getpc_b64 s[4:5]
	s_wait_alu 0xfffe
	s_sext_i32_i16 s5, s5
	s_add_co_u32 s4, s4, _ZL10iq2xs_grid@rel32@lo+12
	s_wait_alu 0xfffe
	s_add_co_ci_u32 s5, s5, _ZL10iq2xs_grid@rel32@hi+24
	s_wait_loadcnt 0x1
	v_cvt_f32_f16_e32 v6, v6
	s_wait_loadcnt 0x0
	v_bfe_u32 v4, v7, v4, 4
	s_delay_alu instid0(VALU_DEP_1) | instskip(NEXT) | instid1(VALU_DEP_1)
	v_cvt_f32_ubyte0_e32 v4, v4
	v_add_f32_e32 v4, 0.5, v4
	s_delay_alu instid0(VALU_DEP_1) | instskip(NEXT) | instid1(VALU_DEP_1)
	v_dual_mul_f32 v4, v4, v6 :: v_dual_lshlrev_b32 v3, 6, v3
	v_mul_f32_e32 v4, 0x3e800000, v4
	v_and_b32_e32 v1, 0xffff, v5
	v_and_b32_e32 v2, 0x1ff, v5
	s_delay_alu instid0(VALU_DEP_2) | instskip(NEXT) | instid1(VALU_DEP_2)
	v_lshrrev_b32_e32 v1, 9, v1
	v_and_b32_e32 v2, 0xffff, v2
	global_load_i8 v8, v1, s[0:1]
	v_lshlrev_b32_e32 v1, 3, v2
	s_add_nc_u64 s[0:1], s[2:3], s[6:7]
	s_wait_alu 0xfffe
	v_add_co_u32 v3, s0, s0, v3
	global_load_b64 v[1:2], v1, s[4:5]
	s_wait_alu 0xf1ff
	v_add_co_ci_u32_e64 v6, null, s1, 0, s0
	s_wait_loadcnt 0x1
	v_and_b32_e32 v10, 4, v8
	v_and_b32_e32 v11, 8, v8
	;; [unrolled: 1-line block ×4, first 2 shown]
	s_wait_loadcnt 0x0
	v_cvt_f32_ubyte0_e32 v14, v1
	v_cvt_f32_ubyte1_e32 v18, v2
	v_and_b32_e32 v7, 1, v8
	v_cvt_f32_ubyte1_e32 v15, v1
	v_cvt_f32_ubyte2_e32 v16, v1
	v_cvt_f32_ubyte3_e32 v1, v1
	v_cvt_f32_ubyte0_e32 v17, v2
	v_and_b32_e32 v0, 0x3f8, v0
	v_cvt_f32_ubyte2_e32 v19, v2
	v_cvt_f32_ubyte3_e32 v2, v2
	v_dual_mul_f32 v14, v4, v14 :: v_dual_and_b32 v9, 2, v8
	v_mul_f32_e32 v18, v4, v18
	v_cmp_eq_u16_e32 vcc_lo, 0, v7
	v_mul_f32_e32 v15, v4, v15
	v_mul_f32_e32 v16, v4, v16
	;; [unrolled: 1-line block ×3, first 2 shown]
	v_dual_mul_f32 v17, v4, v17 :: v_dual_lshlrev_b32 v0, 1, v0
	v_mul_f32_e32 v19, v4, v19
	v_mul_f32_e32 v2, v4, v2
	s_wait_alu 0xfffd
	v_cndmask_b32_e64 v4, -v14, v14, vcc_lo
	v_cmp_eq_u16_e32 vcc_lo, 0, v9
	s_wait_alu 0xfffd
	v_cndmask_b32_e64 v7, -v15, v15, vcc_lo
	v_cmp_eq_u16_e32 vcc_lo, 0, v10
	s_delay_alu instid0(VALU_DEP_2) | instskip(SKIP_3) | instid1(VALU_DEP_2)
	v_cvt_f16_f32_e32 v7, v7
	s_wait_alu 0xfffd
	v_cndmask_b32_e64 v9, -v16, v16, vcc_lo
	v_cmp_eq_u16_e32 vcc_lo, 0, v11
	v_cvt_f16_f32_e32 v9, v9
	s_wait_alu 0xfffd
	v_cndmask_b32_e64 v1, -v1, v1, vcc_lo
	v_cmp_eq_u16_e32 vcc_lo, 0, v12
	s_delay_alu instid0(VALU_DEP_2) | instskip(SKIP_3) | instid1(VALU_DEP_3)
	v_cvt_f16_f32_e32 v1, v1
	s_wait_alu 0xfffd
	v_cndmask_b32_e64 v10, -v17, v17, vcc_lo
	v_cmp_eq_u16_e32 vcc_lo, 0, v13
	v_pack_b32_f16 v1, v9, v1
	s_delay_alu instid0(VALU_DEP_3) | instskip(SKIP_3) | instid1(VALU_DEP_2)
	v_cvt_f16_f32_e32 v10, v10
	s_wait_alu 0xfffd
	v_cndmask_b32_e64 v11, -v18, v18, vcc_lo
	v_cmp_gt_i16_e32 vcc_lo, 0, v5
	v_cvt_f16_f32_e32 v11, v11
	s_wait_alu 0xfffd
	v_cndmask_b32_e64 v5, v19, -v19, vcc_lo
	v_cmp_gt_i16_e32 vcc_lo, 0, v8
	v_cvt_f16_f32_e32 v8, v4
	s_delay_alu instid0(VALU_DEP_3)
	v_cvt_f16_f32_e32 v12, v5
	s_wait_alu 0xfffd
	v_cndmask_b32_e64 v2, v2, -v2, vcc_lo
	v_add_co_u32 v4, vcc_lo, v3, v0
	s_wait_alu 0xfffd
	v_add_co_ci_u32_e64 v5, null, 0, v6, vcc_lo
	s_delay_alu instid0(VALU_DEP_3) | instskip(SKIP_1) | instid1(VALU_DEP_2)
	v_cvt_f16_f32_e32 v2, v2
	v_pack_b32_f16 v0, v8, v7
	v_pack_b32_f16 v3, v12, v2
	;; [unrolled: 1-line block ×3, first 2 shown]
	global_store_b128 v[4:5], v[0:3], off
	s_endpgm
	.section	.rodata,"a",@progbits
	.p2align	6, 0x0
	.amdhsa_kernel _ZL23dequantize_block_iq2_xsIN3c104HalfEEvPKvPT_
		.amdhsa_group_segment_fixed_size 0
		.amdhsa_private_segment_fixed_size 0
		.amdhsa_kernarg_size 16
		.amdhsa_user_sgpr_count 2
		.amdhsa_user_sgpr_dispatch_ptr 0
		.amdhsa_user_sgpr_queue_ptr 0
		.amdhsa_user_sgpr_kernarg_segment_ptr 1
		.amdhsa_user_sgpr_dispatch_id 0
		.amdhsa_user_sgpr_private_segment_size 0
		.amdhsa_wavefront_size32 1
		.amdhsa_uses_dynamic_stack 0
		.amdhsa_enable_private_segment 0
		.amdhsa_system_sgpr_workgroup_id_x 1
		.amdhsa_system_sgpr_workgroup_id_y 0
		.amdhsa_system_sgpr_workgroup_id_z 0
		.amdhsa_system_sgpr_workgroup_info 0
		.amdhsa_system_vgpr_workitem_id 0
		.amdhsa_next_free_vgpr 20
		.amdhsa_next_free_sgpr 8
		.amdhsa_reserve_vcc 1
		.amdhsa_float_round_mode_32 0
		.amdhsa_float_round_mode_16_64 0
		.amdhsa_float_denorm_mode_32 3
		.amdhsa_float_denorm_mode_16_64 3
		.amdhsa_fp16_overflow 0
		.amdhsa_workgroup_processor_mode 1
		.amdhsa_memory_ordered 1
		.amdhsa_forward_progress 1
		.amdhsa_inst_pref_size 6
		.amdhsa_round_robin_scheduling 0
		.amdhsa_exception_fp_ieee_invalid_op 0
		.amdhsa_exception_fp_denorm_src 0
		.amdhsa_exception_fp_ieee_div_zero 0
		.amdhsa_exception_fp_ieee_overflow 0
		.amdhsa_exception_fp_ieee_underflow 0
		.amdhsa_exception_fp_ieee_inexact 0
		.amdhsa_exception_int_div_zero 0
	.end_amdhsa_kernel
	.section	.text._ZL23dequantize_block_iq2_xsIN3c104HalfEEvPKvPT_,"axG",@progbits,_ZL23dequantize_block_iq2_xsIN3c104HalfEEvPKvPT_,comdat
.Lfunc_end30:
	.size	_ZL23dequantize_block_iq2_xsIN3c104HalfEEvPKvPT_, .Lfunc_end30-_ZL23dequantize_block_iq2_xsIN3c104HalfEEvPKvPT_
                                        ; -- End function
	.set _ZL23dequantize_block_iq2_xsIN3c104HalfEEvPKvPT_.num_vgpr, 20
	.set _ZL23dequantize_block_iq2_xsIN3c104HalfEEvPKvPT_.num_agpr, 0
	.set _ZL23dequantize_block_iq2_xsIN3c104HalfEEvPKvPT_.numbered_sgpr, 8
	.set _ZL23dequantize_block_iq2_xsIN3c104HalfEEvPKvPT_.num_named_barrier, 0
	.set _ZL23dequantize_block_iq2_xsIN3c104HalfEEvPKvPT_.private_seg_size, 0
	.set _ZL23dequantize_block_iq2_xsIN3c104HalfEEvPKvPT_.uses_vcc, 1
	.set _ZL23dequantize_block_iq2_xsIN3c104HalfEEvPKvPT_.uses_flat_scratch, 0
	.set _ZL23dequantize_block_iq2_xsIN3c104HalfEEvPKvPT_.has_dyn_sized_stack, 0
	.set _ZL23dequantize_block_iq2_xsIN3c104HalfEEvPKvPT_.has_recursion, 0
	.set _ZL23dequantize_block_iq2_xsIN3c104HalfEEvPKvPT_.has_indirect_call, 0
	.section	.AMDGPU.csdata,"",@progbits
; Kernel info:
; codeLenInByte = 712
; TotalNumSgprs: 10
; NumVgprs: 20
; ScratchSize: 0
; MemoryBound: 0
; FloatMode: 240
; IeeeMode: 1
; LDSByteSize: 0 bytes/workgroup (compile time only)
; SGPRBlocks: 0
; VGPRBlocks: 2
; NumSGPRsForWavesPerEU: 10
; NumVGPRsForWavesPerEU: 20
; Occupancy: 16
; WaveLimiterHint : 0
; COMPUTE_PGM_RSRC2:SCRATCH_EN: 0
; COMPUTE_PGM_RSRC2:USER_SGPR: 2
; COMPUTE_PGM_RSRC2:TRAP_HANDLER: 0
; COMPUTE_PGM_RSRC2:TGID_X_EN: 1
; COMPUTE_PGM_RSRC2:TGID_Y_EN: 0
; COMPUTE_PGM_RSRC2:TGID_Z_EN: 0
; COMPUTE_PGM_RSRC2:TIDIG_COMP_CNT: 0
	.section	.text._ZL24dequantize_block_iq3_xxsIN3c104HalfEEvPKvPT_,"axG",@progbits,_ZL24dequantize_block_iq3_xxsIN3c104HalfEEvPKvPT_,comdat
	.globl	_ZL24dequantize_block_iq3_xxsIN3c104HalfEEvPKvPT_ ; -- Begin function _ZL24dequantize_block_iq3_xxsIN3c104HalfEEvPKvPT_
	.p2align	8
	.type	_ZL24dequantize_block_iq3_xxsIN3c104HalfEEvPKvPT_,@function
_ZL24dequantize_block_iq3_xxsIN3c104HalfEEvPKvPT_: ; @_ZL24dequantize_block_iq3_xxsIN3c104HalfEEvPKvPT_
; %bb.0:
	s_load_b128 s[0:3], s[0:1], 0x0
	v_and_b32_e32 v4, 7, v0
	s_lshl_b32 s4, ttmp9, 8
	s_mov_b32 s5, 0
	v_lshrrev_b32_e32 v3, 3, v0
	s_lshl_b64 s[6:7], s[4:5], 1
	s_mov_b32 s4, ttmp9
	v_lshlrev_b32_e32 v1, 3, v4
	s_mul_u64 s[4:5], s[4:5], 0x62
	v_lshlrev_b32_e32 v2, 1, v3
	v_mul_u32_u24_e32 v3, 7, v3
	s_wait_kmcnt 0x0
	s_add_nc_u64 s[0:1], s[0:1], s[4:5]
	s_delay_alu instid0(SALU_CYCLE_1) | instskip(NEXT) | instid1(VALU_DEP_1)
	v_add_co_u32 v1, s4, s0, v1
	v_add_co_ci_u32_e64 v5, null, s1, 0, s4
	s_delay_alu instid0(VALU_DEP_2) | instskip(NEXT) | instid1(VALU_DEP_1)
	v_add_co_u32 v1, vcc_lo, v1, v2
	v_add_co_ci_u32_e64 v2, null, 0, v5, vcc_lo
	v_dual_mov_b32 v5, 0 :: v_dual_lshlrev_b32 v6, 2, v4
	s_clause 0x2
	global_load_u16 v1, v[1:2], off offset:2
	global_load_u16 v2, v5, s[0:1]
	global_load_b32 v5, v6, s[0:1] offset:66
	s_getpc_b64 s[0:1]
	s_wait_alu 0xfffe
	s_sext_i32_i16 s1, s1
	s_add_co_u32 s0, s0, _ZL12ksigns_iq2xs@rel32@lo+12
	s_wait_alu 0xfffe
	s_add_co_ci_u32 s1, s1, _ZL12ksigns_iq2xs@rel32@hi+24
	s_getpc_b64 s[4:5]
	s_wait_alu 0xfffe
	s_sext_i32_i16 s5, s5
	s_add_co_u32 s4, s4, _ZL11iq3xxs_grid@rel32@lo+12
	s_wait_alu 0xfffe
	s_add_co_ci_u32 s5, s5, _ZL11iq3xxs_grid@rel32@hi+24
	s_wait_loadcnt 0x1
	v_cvt_f32_f16_e32 v2, v2
	s_wait_loadcnt 0x0
	v_bfe_u32 v3, v5, v3, 7
	v_lshrrev_b32_e32 v5, 28, v5
	global_load_i8 v7, v3, s[0:1]
	v_cvt_f32_ubyte0_e32 v5, v5
	s_add_nc_u64 s[0:1], s[2:3], s[6:7]
	s_delay_alu instid0(VALU_DEP_1) | instskip(NEXT) | instid1(VALU_DEP_1)
	v_add_f32_e32 v5, 0.5, v5
	v_mul_f32_e32 v2, v5, v2
	s_wait_loadcnt 0x0
	s_delay_alu instid0(VALU_DEP_1)
	v_dual_mul_f32 v2, 0.5, v2 :: v_dual_and_b32 v9, 16, v7
	v_and_b32_e32 v6, 0xff, v1
	v_lshrrev_b16 v1, 8, v1
	v_and_b32_e32 v8, 1, v7
	v_and_b32_e32 v10, 2, v7
	;; [unrolled: 1-line block ×5, first 2 shown]
	v_cmp_eq_u16_e32 vcc_lo, 0, v8
	v_and_b32_e32 v11, 32, v7
	s_delay_alu instid0(VALU_DEP_3)
	v_lshlrev_b32_e32 v1, 2, v1
	global_load_b32 v1, v1, s[4:5]
	s_wait_loadcnt 0x0
	v_cvt_f32_ubyte0_e32 v17, v1
	v_lshlrev_b32_e32 v6, 2, v6
	v_cvt_f32_ubyte1_e32 v18, v1
	v_cvt_f32_ubyte2_e32 v19, v1
	v_cvt_f32_ubyte3_e32 v1, v1
	v_and_b32_e32 v0, 0x3f8, v0
	global_load_b32 v6, v6, s[4:5]
	v_dual_mul_f32 v1, v2, v1 :: v_dual_lshlrev_b32 v4, 6, v4
	s_wait_alu 0xfffe
	s_delay_alu instid0(VALU_DEP_1)
	v_add_co_u32 v4, s0, s0, v4
	s_wait_alu 0xf1ff
	v_add_co_ci_u32_e64 v5, null, s1, 0, s0
	s_wait_loadcnt 0x0
	v_cvt_f32_ubyte0_e32 v13, v6
	v_cvt_f32_ubyte1_e32 v15, v6
	v_cvt_f32_ubyte2_e32 v16, v6
	v_cvt_f32_ubyte3_e32 v6, v6
	s_delay_alu instid0(VALU_DEP_4) | instskip(NEXT) | instid1(VALU_DEP_4)
	v_mul_f32_e32 v13, v2, v13
	v_mul_f32_e32 v15, v2, v15
	s_delay_alu instid0(VALU_DEP_4) | instskip(NEXT) | instid1(VALU_DEP_4)
	v_mul_f32_e32 v16, v2, v16
	v_mul_f32_e32 v6, v2, v6
	s_wait_alu 0xfffd
	v_cndmask_b32_e64 v8, -v13, v13, vcc_lo
	v_cmp_eq_u16_e32 vcc_lo, 0, v10
	v_mul_f32_e32 v13, v2, v17
	s_delay_alu instid0(VALU_DEP_3)
	v_cvt_f16_f32_e32 v8, v8
	s_wait_alu 0xfffd
	v_cndmask_b32_e64 v10, -v15, v15, vcc_lo
	v_cmp_eq_u16_e32 vcc_lo, 0, v12
	v_dual_mul_f32 v15, v2, v18 :: v_dual_lshlrev_b32 v0, 1, v0
	s_wait_alu 0xfffd
	v_cndmask_b32_e64 v12, -v16, v16, vcc_lo
	v_cmp_eq_u16_e32 vcc_lo, 0, v14
	v_mul_f32_e32 v16, v2, v19
	s_wait_alu 0xfffd
	v_cndmask_b32_e64 v6, -v6, v6, vcc_lo
	v_cmp_eq_u16_e32 vcc_lo, 0, v9
	v_cvt_f16_f32_e32 v9, v10
	s_delay_alu instid0(VALU_DEP_3) | instskip(SKIP_4) | instid1(VALU_DEP_3)
	v_cvt_f16_f32_e32 v6, v6
	s_wait_alu 0xfffd
	v_cndmask_b32_e64 v2, -v13, v13, vcc_lo
	v_cmp_eq_u16_e32 vcc_lo, 0, v11
	v_cvt_f16_f32_e32 v11, v12
	v_cvt_f16_f32_e32 v2, v2
	s_wait_alu 0xfffd
	v_cndmask_b32_e64 v10, -v15, v15, vcc_lo
	v_cmp_gt_u32_e32 vcc_lo, 64, v3
	s_wait_alu 0xfffd
	v_cndmask_b32_e64 v3, -v16, v16, vcc_lo
	v_cmp_gt_i16_e32 vcc_lo, 0, v7
	v_cvt_f16_f32_e32 v7, v10
	s_delay_alu instid0(VALU_DEP_3)
	v_cvt_f16_f32_e32 v3, v3
	s_wait_alu 0xfffd
	v_cndmask_b32_e64 v1, v1, -v1, vcc_lo
	v_add_co_u32 v4, vcc_lo, v4, v0
	s_wait_alu 0xfffd
	v_add_co_ci_u32_e64 v5, null, 0, v5, vcc_lo
	s_delay_alu instid0(VALU_DEP_3) | instskip(SKIP_3) | instid1(VALU_DEP_4)
	v_cvt_f16_f32_e32 v10, v1
	v_pack_b32_f16 v1, v11, v6
	v_pack_b32_f16 v2, v2, v7
	;; [unrolled: 1-line block ×4, first 2 shown]
	global_store_b128 v[4:5], v[0:3], off
	s_endpgm
	.section	.rodata,"a",@progbits
	.p2align	6, 0x0
	.amdhsa_kernel _ZL24dequantize_block_iq3_xxsIN3c104HalfEEvPKvPT_
		.amdhsa_group_segment_fixed_size 0
		.amdhsa_private_segment_fixed_size 0
		.amdhsa_kernarg_size 16
		.amdhsa_user_sgpr_count 2
		.amdhsa_user_sgpr_dispatch_ptr 0
		.amdhsa_user_sgpr_queue_ptr 0
		.amdhsa_user_sgpr_kernarg_segment_ptr 1
		.amdhsa_user_sgpr_dispatch_id 0
		.amdhsa_user_sgpr_private_segment_size 0
		.amdhsa_wavefront_size32 1
		.amdhsa_uses_dynamic_stack 0
		.amdhsa_enable_private_segment 0
		.amdhsa_system_sgpr_workgroup_id_x 1
		.amdhsa_system_sgpr_workgroup_id_y 0
		.amdhsa_system_sgpr_workgroup_id_z 0
		.amdhsa_system_sgpr_workgroup_info 0
		.amdhsa_system_vgpr_workitem_id 0
		.amdhsa_next_free_vgpr 20
		.amdhsa_next_free_sgpr 8
		.amdhsa_reserve_vcc 1
		.amdhsa_float_round_mode_32 0
		.amdhsa_float_round_mode_16_64 0
		.amdhsa_float_denorm_mode_32 3
		.amdhsa_float_denorm_mode_16_64 3
		.amdhsa_fp16_overflow 0
		.amdhsa_workgroup_processor_mode 1
		.amdhsa_memory_ordered 1
		.amdhsa_forward_progress 1
		.amdhsa_inst_pref_size 6
		.amdhsa_round_robin_scheduling 0
		.amdhsa_exception_fp_ieee_invalid_op 0
		.amdhsa_exception_fp_denorm_src 0
		.amdhsa_exception_fp_ieee_div_zero 0
		.amdhsa_exception_fp_ieee_overflow 0
		.amdhsa_exception_fp_ieee_underflow 0
		.amdhsa_exception_fp_ieee_inexact 0
		.amdhsa_exception_int_div_zero 0
	.end_amdhsa_kernel
	.section	.text._ZL24dequantize_block_iq3_xxsIN3c104HalfEEvPKvPT_,"axG",@progbits,_ZL24dequantize_block_iq3_xxsIN3c104HalfEEvPKvPT_,comdat
.Lfunc_end31:
	.size	_ZL24dequantize_block_iq3_xxsIN3c104HalfEEvPKvPT_, .Lfunc_end31-_ZL24dequantize_block_iq3_xxsIN3c104HalfEEvPKvPT_
                                        ; -- End function
	.set _ZL24dequantize_block_iq3_xxsIN3c104HalfEEvPKvPT_.num_vgpr, 20
	.set _ZL24dequantize_block_iq3_xxsIN3c104HalfEEvPKvPT_.num_agpr, 0
	.set _ZL24dequantize_block_iq3_xxsIN3c104HalfEEvPKvPT_.numbered_sgpr, 8
	.set _ZL24dequantize_block_iq3_xxsIN3c104HalfEEvPKvPT_.num_named_barrier, 0
	.set _ZL24dequantize_block_iq3_xxsIN3c104HalfEEvPKvPT_.private_seg_size, 0
	.set _ZL24dequantize_block_iq3_xxsIN3c104HalfEEvPKvPT_.uses_vcc, 1
	.set _ZL24dequantize_block_iq3_xxsIN3c104HalfEEvPKvPT_.uses_flat_scratch, 0
	.set _ZL24dequantize_block_iq3_xxsIN3c104HalfEEvPKvPT_.has_dyn_sized_stack, 0
	.set _ZL24dequantize_block_iq3_xxsIN3c104HalfEEvPKvPT_.has_recursion, 0
	.set _ZL24dequantize_block_iq3_xxsIN3c104HalfEEvPKvPT_.has_indirect_call, 0
	.section	.AMDGPU.csdata,"",@progbits
; Kernel info:
; codeLenInByte = 732
; TotalNumSgprs: 10
; NumVgprs: 20
; ScratchSize: 0
; MemoryBound: 0
; FloatMode: 240
; IeeeMode: 1
; LDSByteSize: 0 bytes/workgroup (compile time only)
; SGPRBlocks: 0
; VGPRBlocks: 2
; NumSGPRsForWavesPerEU: 10
; NumVGPRsForWavesPerEU: 20
; Occupancy: 16
; WaveLimiterHint : 0
; COMPUTE_PGM_RSRC2:SCRATCH_EN: 0
; COMPUTE_PGM_RSRC2:USER_SGPR: 2
; COMPUTE_PGM_RSRC2:TRAP_HANDLER: 0
; COMPUTE_PGM_RSRC2:TGID_X_EN: 1
; COMPUTE_PGM_RSRC2:TGID_Y_EN: 0
; COMPUTE_PGM_RSRC2:TGID_Z_EN: 0
; COMPUTE_PGM_RSRC2:TIDIG_COMP_CNT: 0
	.section	.text._ZL22dequantize_block_iq1_sIN3c104HalfEEvPKvPT_,"axG",@progbits,_ZL22dequantize_block_iq1_sIN3c104HalfEEvPKvPT_,comdat
	.globl	_ZL22dequantize_block_iq1_sIN3c104HalfEEvPKvPT_ ; -- Begin function _ZL22dequantize_block_iq1_sIN3c104HalfEEvPKvPT_
	.p2align	8
	.type	_ZL22dequantize_block_iq1_sIN3c104HalfEEvPKvPT_,@function
_ZL22dequantize_block_iq1_sIN3c104HalfEEvPKvPT_: ; @_ZL22dequantize_block_iq1_sIN3c104HalfEEvPKvPT_
; %bb.0:
	s_load_b128 s[0:3], s[0:1], 0x0
	v_and_b32_e32 v3, 7, v0
	s_mov_b32 s4, ttmp9
	s_mov_b32 s5, 0
	v_lshrrev_b32_e32 v6, 3, v0
	s_mul_u64 s[6:7], s[4:5], 50
	v_lshlrev_b32_e32 v1, 1, v3
	v_and_b32_e32 v0, 0x3f8, v0
	s_delay_alu instid0(VALU_DEP_1) | instskip(SKIP_2) | instid1(SALU_CYCLE_1)
	v_lshlrev_b32_e32 v7, 1, v0
	s_wait_kmcnt 0x0
	s_add_nc_u64 s[0:1], s[0:1], s[6:7]
	v_add_co_u32 v2, s6, s0, v1
	s_delay_alu instid0(VALU_DEP_1) | instskip(SKIP_2) | instid1(VALU_DEP_1)
	v_add_co_ci_u32_e64 v4, null, s1, 0, s6
	global_load_u16 v5, v1, s[0:1] offset:34
	v_add_co_u32 v1, vcc_lo, v2, v1
	v_add_co_ci_u32_e64 v2, null, 0, v4, vcc_lo
	s_delay_alu instid0(VALU_DEP_2) | instskip(SKIP_1) | instid1(VALU_DEP_2)
	v_add_co_u32 v1, vcc_lo, v1, v6
	s_wait_alu 0xfffd
	v_add_co_ci_u32_e64 v2, null, 0, v2, vcc_lo
	global_load_u8 v1, v[1:2], off offset:2
	v_mul_u32_u24_e32 v2, 3, v6
	v_mov_b32_e32 v6, 0xbf600000
	s_wait_loadcnt 0x1
	v_and_b32_e32 v4, 0xffff, v5
	v_cmp_lt_i16_e32 vcc_lo, -1, v5
	s_delay_alu instid0(VALU_DEP_2) | instskip(SKIP_1) | instid1(VALU_DEP_2)
	v_lshrrev_b32_e32 v2, v2, v4
	v_dual_mov_b32 v4, 0 :: v_dual_lshlrev_b32 v3, 6, v3
	v_lshlrev_b32_e32 v2, 8, v2
	s_wait_loadcnt 0x0
	s_delay_alu instid0(VALU_DEP_1)
	v_and_or_b32 v1, 0x700, v2, v1
	global_load_u16 v2, v4, s[0:1]
	v_lshrrev_b16 v4, 11, v5
	s_getpc_b64 s[0:1]
	s_wait_alu 0xfffe
	s_sext_i32_i16 s1, s1
	s_add_co_u32 s0, s0, _ZL13iq1s_grid_gpu@rel32@lo+12
	s_wait_alu 0xfffe
	s_add_co_ci_u32 s1, s1, _ZL13iq1s_grid_gpu@rel32@hi+24
	v_and_b32_e32 v4, 14, v4
	s_delay_alu instid0(VALU_DEP_1) | instskip(SKIP_2) | instid1(VALU_DEP_2)
	v_or_b32_e32 v4, 1, v4
	s_wait_loadcnt 0x0
	v_cvt_f32_f16_e32 v0, v2
	v_cvt_f32_ubyte0_e32 v2, v4
	v_lshlrev_b32_e32 v1, 3, v1
	global_load_b32 v1, v1, s[0:1]
	s_lshl_b64 s[0:1], s[4:5], 9
	s_wait_alu 0xfffe
	s_add_nc_u64 s[0:1], s[2:3], s[0:1]
	s_wait_alu 0xfffe
	v_add_co_u32 v4, s0, s0, v3
	s_wait_alu 0xfffd
	v_cndmask_b32_e32 v3, 0xbf900000, v6, vcc_lo
	v_mul_f32_e32 v6, v0, v2
	s_wait_alu 0xf1ff
	v_add_co_ci_u32_e64 v8, null, s1, 0, s0
	s_wait_loadcnt 0x0
	v_and_b32_e32 v2, 15, v1
	v_bfe_u32 v5, v1, 8, 4
	v_bfe_u32 v9, v1, 16, 4
	;; [unrolled: 1-line block ×5, first 2 shown]
	v_cvt_f32_ubyte0_e32 v2, v2
	v_cvt_f32_ubyte0_e32 v5, v5
	;; [unrolled: 1-line block ×5, first 2 shown]
	v_and_b32_e32 v0, 0xf000000, v1
	v_lshrrev_b32_e32 v1, 28, v1
	v_cvt_f32_ubyte0_e32 v12, v12
	v_add_f32_e32 v2, v3, v2
	v_add_f32_e32 v13, v3, v5
	;; [unrolled: 1-line block ×3, first 2 shown]
	v_cvt_f32_ubyte0_e32 v1, v1
	v_add_f32_e32 v10, v3, v10
	v_add_f32_e32 v11, v3, v11
	v_cvt_f32_ubyte3_e32 v0, v0
	v_add_f32_e32 v12, v3, v12
	v_add_f32_e32 v14, v3, v1
	v_fma_mixlo_f16 v1, v6, v5, 0
	v_add_co_u32 v4, vcc_lo, v4, v7
	v_add_f32_e32 v9, v3, v0
	v_fma_mixlo_f16 v0, v6, v2, 0
	v_fma_mixlo_f16 v2, v6, v10, 0
	;; [unrolled: 1-line block ×3, first 2 shown]
	s_wait_alu 0xfffd
	v_add_co_ci_u32_e64 v5, null, 0, v8, vcc_lo
	v_fma_mixhi_f16 v1, v6, v9, 0
	v_fma_mixhi_f16 v2, v6, v11, 0
	;; [unrolled: 1-line block ×4, first 2 shown]
	global_store_b128 v[4:5], v[0:3], off
	s_endpgm
	.section	.rodata,"a",@progbits
	.p2align	6, 0x0
	.amdhsa_kernel _ZL22dequantize_block_iq1_sIN3c104HalfEEvPKvPT_
		.amdhsa_group_segment_fixed_size 0
		.amdhsa_private_segment_fixed_size 0
		.amdhsa_kernarg_size 16
		.amdhsa_user_sgpr_count 2
		.amdhsa_user_sgpr_dispatch_ptr 0
		.amdhsa_user_sgpr_queue_ptr 0
		.amdhsa_user_sgpr_kernarg_segment_ptr 1
		.amdhsa_user_sgpr_dispatch_id 0
		.amdhsa_user_sgpr_private_segment_size 0
		.amdhsa_wavefront_size32 1
		.amdhsa_uses_dynamic_stack 0
		.amdhsa_enable_private_segment 0
		.amdhsa_system_sgpr_workgroup_id_x 1
		.amdhsa_system_sgpr_workgroup_id_y 0
		.amdhsa_system_sgpr_workgroup_id_z 0
		.amdhsa_system_sgpr_workgroup_info 0
		.amdhsa_system_vgpr_workitem_id 0
		.amdhsa_next_free_vgpr 15
		.amdhsa_next_free_sgpr 8
		.amdhsa_reserve_vcc 1
		.amdhsa_float_round_mode_32 0
		.amdhsa_float_round_mode_16_64 0
		.amdhsa_float_denorm_mode_32 3
		.amdhsa_float_denorm_mode_16_64 3
		.amdhsa_fp16_overflow 0
		.amdhsa_workgroup_processor_mode 1
		.amdhsa_memory_ordered 1
		.amdhsa_forward_progress 1
		.amdhsa_inst_pref_size 5
		.amdhsa_round_robin_scheduling 0
		.amdhsa_exception_fp_ieee_invalid_op 0
		.amdhsa_exception_fp_denorm_src 0
		.amdhsa_exception_fp_ieee_div_zero 0
		.amdhsa_exception_fp_ieee_overflow 0
		.amdhsa_exception_fp_ieee_underflow 0
		.amdhsa_exception_fp_ieee_inexact 0
		.amdhsa_exception_int_div_zero 0
	.end_amdhsa_kernel
	.section	.text._ZL22dequantize_block_iq1_sIN3c104HalfEEvPKvPT_,"axG",@progbits,_ZL22dequantize_block_iq1_sIN3c104HalfEEvPKvPT_,comdat
.Lfunc_end32:
	.size	_ZL22dequantize_block_iq1_sIN3c104HalfEEvPKvPT_, .Lfunc_end32-_ZL22dequantize_block_iq1_sIN3c104HalfEEvPKvPT_
                                        ; -- End function
	.set _ZL22dequantize_block_iq1_sIN3c104HalfEEvPKvPT_.num_vgpr, 15
	.set _ZL22dequantize_block_iq1_sIN3c104HalfEEvPKvPT_.num_agpr, 0
	.set _ZL22dequantize_block_iq1_sIN3c104HalfEEvPKvPT_.numbered_sgpr, 8
	.set _ZL22dequantize_block_iq1_sIN3c104HalfEEvPKvPT_.num_named_barrier, 0
	.set _ZL22dequantize_block_iq1_sIN3c104HalfEEvPKvPT_.private_seg_size, 0
	.set _ZL22dequantize_block_iq1_sIN3c104HalfEEvPKvPT_.uses_vcc, 1
	.set _ZL22dequantize_block_iq1_sIN3c104HalfEEvPKvPT_.uses_flat_scratch, 0
	.set _ZL22dequantize_block_iq1_sIN3c104HalfEEvPKvPT_.has_dyn_sized_stack, 0
	.set _ZL22dequantize_block_iq1_sIN3c104HalfEEvPKvPT_.has_recursion, 0
	.set _ZL22dequantize_block_iq1_sIN3c104HalfEEvPKvPT_.has_indirect_call, 0
	.section	.AMDGPU.csdata,"",@progbits
; Kernel info:
; codeLenInByte = 576
; TotalNumSgprs: 10
; NumVgprs: 15
; ScratchSize: 0
; MemoryBound: 0
; FloatMode: 240
; IeeeMode: 1
; LDSByteSize: 0 bytes/workgroup (compile time only)
; SGPRBlocks: 0
; VGPRBlocks: 1
; NumSGPRsForWavesPerEU: 10
; NumVGPRsForWavesPerEU: 15
; Occupancy: 16
; WaveLimiterHint : 0
; COMPUTE_PGM_RSRC2:SCRATCH_EN: 0
; COMPUTE_PGM_RSRC2:USER_SGPR: 2
; COMPUTE_PGM_RSRC2:TRAP_HANDLER: 0
; COMPUTE_PGM_RSRC2:TGID_X_EN: 1
; COMPUTE_PGM_RSRC2:TGID_Y_EN: 0
; COMPUTE_PGM_RSRC2:TGID_Z_EN: 0
; COMPUTE_PGM_RSRC2:TIDIG_COMP_CNT: 0
	.section	.text._ZL23dequantize_block_iq4_nlIN3c104HalfEEvPKvPT_,"axG",@progbits,_ZL23dequantize_block_iq4_nlIN3c104HalfEEvPKvPT_,comdat
	.globl	_ZL23dequantize_block_iq4_nlIN3c104HalfEEvPKvPT_ ; -- Begin function _ZL23dequantize_block_iq4_nlIN3c104HalfEEvPKvPT_
	.p2align	8
	.type	_ZL23dequantize_block_iq4_nlIN3c104HalfEEvPKvPT_,@function
_ZL23dequantize_block_iq4_nlIN3c104HalfEEvPKvPT_: ; @_ZL23dequantize_block_iq4_nlIN3c104HalfEEvPKvPT_
; %bb.0:
	s_load_b128 s[0:3], s[0:1], 0x0
	s_lshl_b32 s4, ttmp9, 3
	s_mov_b32 s5, 0
	v_and_b32_e32 v4, 7, v0
	s_mul_u64 s[6:7], s[4:5], 18
	v_lshrrev_b32_e32 v2, 1, v0
	s_delay_alu instid0(VALU_DEP_1) | instskip(SKIP_2) | instid1(SALU_CYCLE_1)
	v_and_b32_e32 v5, 0x1fc, v2
	s_wait_kmcnt 0x0
	s_add_nc_u64 s[0:1], s[0:1], s[6:7]
	v_mad_co_u64_u32 v[0:1], null, v4, 18, s[0:1]
	s_getpc_b64 s[0:1]
	s_wait_alu 0xfffe
	s_sext_i32_i16 s1, s1
	s_add_co_u32 s0, s0, _ZL13kvalues_iq4nl@rel32@lo+12
	s_wait_alu 0xfffe
	s_add_co_ci_u32 s1, s1, _ZL13kvalues_iq4nl@rel32@hi+24
	s_lshl_b32 s4, ttmp9, 8
	v_add_co_u32 v2, vcc_lo, v0, v5
	s_delay_alu instid0(VALU_DEP_1)
	v_add_co_ci_u32_e64 v3, null, 0, v1, vcc_lo
	global_load_b32 v2, v[2:3], off offset:2
	s_wait_loadcnt 0x0
	v_and_b32_e32 v3, 15, v2
	v_bfe_u32 v6, v2, 4, 4
	v_bfe_u32 v7, v2, 8, 4
	;; [unrolled: 1-line block ×6, first 2 shown]
	v_lshrrev_b32_e32 v2, 28, v2
	s_clause 0x7
	global_load_i8 v3, v3, s[0:1]
	global_load_i8 v6, v6, s[0:1]
	;; [unrolled: 1-line block ×8, first 2 shown]
	global_load_u16 v12, v[0:1], off
	v_lshlrev_b32_e32 v0, 6, v4
	s_lshl_b64 s[0:1], s[4:5], 1
	v_lshlrev_b32_e32 v4, 1, v5
	s_wait_alu 0xfffe
	s_add_nc_u64 s[0:1], s[2:3], s[0:1]
	s_wait_alu 0xfffe
	v_add_co_u32 v5, s0, s0, v0
	s_wait_alu 0xf1ff
	v_add_co_ci_u32_e64 v13, null, s1, 0, s0
	s_delay_alu instid0(VALU_DEP_2) | instskip(SKIP_1) | instid1(VALU_DEP_2)
	v_add_co_u32 v4, vcc_lo, v5, v4
	s_wait_alu 0xfffd
	v_add_co_ci_u32_e64 v5, null, 0, v13, vcc_lo
	s_wait_loadcnt 0x8
	v_cvt_f32_i32_e32 v0, v3
	s_wait_loadcnt 0x7
	v_cvt_f32_i32_e32 v1, v6
	;; [unrolled: 2-line block ×8, first 2 shown]
	s_wait_loadcnt 0x0
	v_fma_mixlo_f16 v0, v12, v0, 0 op_sel_hi:[1,0,0]
	v_fma_mixlo_f16 v2, v12, v1, 0 op_sel_hi:[1,0,0]
	v_fma_mixlo_f16 v1, v12, v3, 0 op_sel_hi:[1,0,0]
	v_fma_mixlo_f16 v3, v12, v8, 0 op_sel_hi:[1,0,0]
	s_delay_alu instid0(VALU_DEP_4) | instskip(NEXT) | instid1(VALU_DEP_4)
	v_fma_mixhi_f16 v0, v12, v6, 0 op_sel_hi:[1,0,0]
	v_fma_mixhi_f16 v2, v12, v7, 0 op_sel_hi:[1,0,0]
	s_delay_alu instid0(VALU_DEP_4) | instskip(NEXT) | instid1(VALU_DEP_4)
	v_fma_mixhi_f16 v1, v12, v9, 0 op_sel_hi:[1,0,0]
	v_fma_mixhi_f16 v3, v12, v10, 0 op_sel_hi:[1,0,0]
	s_clause 0x1
	global_store_b64 v[4:5], v[0:1], off
	global_store_b64 v[4:5], v[2:3], off offset:32
	s_endpgm
	.section	.rodata,"a",@progbits
	.p2align	6, 0x0
	.amdhsa_kernel _ZL23dequantize_block_iq4_nlIN3c104HalfEEvPKvPT_
		.amdhsa_group_segment_fixed_size 0
		.amdhsa_private_segment_fixed_size 0
		.amdhsa_kernarg_size 16
		.amdhsa_user_sgpr_count 2
		.amdhsa_user_sgpr_dispatch_ptr 0
		.amdhsa_user_sgpr_queue_ptr 0
		.amdhsa_user_sgpr_kernarg_segment_ptr 1
		.amdhsa_user_sgpr_dispatch_id 0
		.amdhsa_user_sgpr_private_segment_size 0
		.amdhsa_wavefront_size32 1
		.amdhsa_uses_dynamic_stack 0
		.amdhsa_enable_private_segment 0
		.amdhsa_system_sgpr_workgroup_id_x 1
		.amdhsa_system_sgpr_workgroup_id_y 0
		.amdhsa_system_sgpr_workgroup_id_z 0
		.amdhsa_system_sgpr_workgroup_info 0
		.amdhsa_system_vgpr_workitem_id 0
		.amdhsa_next_free_vgpr 14
		.amdhsa_next_free_sgpr 8
		.amdhsa_reserve_vcc 1
		.amdhsa_float_round_mode_32 0
		.amdhsa_float_round_mode_16_64 0
		.amdhsa_float_denorm_mode_32 3
		.amdhsa_float_denorm_mode_16_64 3
		.amdhsa_fp16_overflow 0
		.amdhsa_workgroup_processor_mode 1
		.amdhsa_memory_ordered 1
		.amdhsa_forward_progress 1
		.amdhsa_inst_pref_size 5
		.amdhsa_round_robin_scheduling 0
		.amdhsa_exception_fp_ieee_invalid_op 0
		.amdhsa_exception_fp_denorm_src 0
		.amdhsa_exception_fp_ieee_div_zero 0
		.amdhsa_exception_fp_ieee_overflow 0
		.amdhsa_exception_fp_ieee_underflow 0
		.amdhsa_exception_fp_ieee_inexact 0
		.amdhsa_exception_int_div_zero 0
	.end_amdhsa_kernel
	.section	.text._ZL23dequantize_block_iq4_nlIN3c104HalfEEvPKvPT_,"axG",@progbits,_ZL23dequantize_block_iq4_nlIN3c104HalfEEvPKvPT_,comdat
.Lfunc_end33:
	.size	_ZL23dequantize_block_iq4_nlIN3c104HalfEEvPKvPT_, .Lfunc_end33-_ZL23dequantize_block_iq4_nlIN3c104HalfEEvPKvPT_
                                        ; -- End function
	.set _ZL23dequantize_block_iq4_nlIN3c104HalfEEvPKvPT_.num_vgpr, 14
	.set _ZL23dequantize_block_iq4_nlIN3c104HalfEEvPKvPT_.num_agpr, 0
	.set _ZL23dequantize_block_iq4_nlIN3c104HalfEEvPKvPT_.numbered_sgpr, 8
	.set _ZL23dequantize_block_iq4_nlIN3c104HalfEEvPKvPT_.num_named_barrier, 0
	.set _ZL23dequantize_block_iq4_nlIN3c104HalfEEvPKvPT_.private_seg_size, 0
	.set _ZL23dequantize_block_iq4_nlIN3c104HalfEEvPKvPT_.uses_vcc, 1
	.set _ZL23dequantize_block_iq4_nlIN3c104HalfEEvPKvPT_.uses_flat_scratch, 0
	.set _ZL23dequantize_block_iq4_nlIN3c104HalfEEvPKvPT_.has_dyn_sized_stack, 0
	.set _ZL23dequantize_block_iq4_nlIN3c104HalfEEvPKvPT_.has_recursion, 0
	.set _ZL23dequantize_block_iq4_nlIN3c104HalfEEvPKvPT_.has_indirect_call, 0
	.section	.AMDGPU.csdata,"",@progbits
; Kernel info:
; codeLenInByte = 536
; TotalNumSgprs: 10
; NumVgprs: 14
; ScratchSize: 0
; MemoryBound: 0
; FloatMode: 240
; IeeeMode: 1
; LDSByteSize: 0 bytes/workgroup (compile time only)
; SGPRBlocks: 0
; VGPRBlocks: 1
; NumSGPRsForWavesPerEU: 10
; NumVGPRsForWavesPerEU: 14
; Occupancy: 16
; WaveLimiterHint : 0
; COMPUTE_PGM_RSRC2:SCRATCH_EN: 0
; COMPUTE_PGM_RSRC2:USER_SGPR: 2
; COMPUTE_PGM_RSRC2:TRAP_HANDLER: 0
; COMPUTE_PGM_RSRC2:TGID_X_EN: 1
; COMPUTE_PGM_RSRC2:TGID_Y_EN: 0
; COMPUTE_PGM_RSRC2:TGID_Z_EN: 0
; COMPUTE_PGM_RSRC2:TIDIG_COMP_CNT: 0
	.section	.text._ZL22dequantize_block_iq3_sIN3c104HalfEEvPKvPT_,"axG",@progbits,_ZL22dequantize_block_iq3_sIN3c104HalfEEvPKvPT_,comdat
	.globl	_ZL22dequantize_block_iq3_sIN3c104HalfEEvPKvPT_ ; -- Begin function _ZL22dequantize_block_iq3_sIN3c104HalfEEvPKvPT_
	.p2align	8
	.type	_ZL22dequantize_block_iq3_sIN3c104HalfEEvPKvPT_,@function
_ZL22dequantize_block_iq3_sIN3c104HalfEEvPKvPT_: ; @_ZL22dequantize_block_iq3_sIN3c104HalfEEvPKvPT_
; %bb.0:
	s_load_b128 s[0:3], s[0:1], 0x0
	v_dual_mov_b32 v7, 0 :: v_dual_and_b32 v4, 7, v0
	s_lshl_b32 s4, ttmp9, 8
	s_mov_b32 s5, 0
	v_lshrrev_b32_e32 v3, 3, v0
	s_lshl_b64 s[6:7], s[4:5], 1
	s_mov_b32 s4, ttmp9
	v_lshlrev_b32_e32 v1, 3, v4
	s_mul_u64 s[4:5], s[4:5], 0x6e
	v_lshlrev_b32_e32 v5, 1, v3
	v_bfe_u32 v6, v0, 1, 2
	v_lshl_add_u32 v3, v4, 2, v3
	s_delay_alu instid0(VALU_DEP_3) | instskip(SKIP_2) | instid1(SALU_CYCLE_1)
	v_sub_nc_u32_e32 v8, 8, v5
	s_wait_kmcnt 0x0
	s_add_nc_u64 s[0:1], s[0:1], s[4:5]
	v_add_co_u32 v1, s4, s0, v1
	s_delay_alu instid0(VALU_DEP_1) | instskip(NEXT) | instid1(VALU_DEP_2)
	v_add_co_ci_u32_e64 v2, null, s1, 0, s4
	v_add_co_u32 v1, vcc_lo, v1, v5
	s_delay_alu instid0(VALU_DEP_1)
	v_add_co_ci_u32_e64 v2, null, 0, v2, vcc_lo
	v_sub_nc_u32_e32 v5, 7, v5
	s_clause 0x4
	global_load_u16 v1, v[1:2], off offset:2
	global_load_u8 v2, v6, s[0:1] offset:106
	global_load_i8 v3, v3, s[0:1] offset:74
	global_load_u8 v6, v4, s[0:1] offset:66
	global_load_u16 v7, v7, s[0:1]
	s_getpc_b64 s[0:1]
	s_wait_alu 0xfffe
	s_sext_i32_i16 s1, s1
	s_add_co_u32 s0, s0, _ZL10iq3xs_grid@rel32@lo+12
	s_wait_alu 0xfffe
	s_add_co_ci_u32 s1, s1, _ZL10iq3xs_grid@rel32@hi+24
	s_wait_loadcnt 0x4
	v_and_b32_e32 v9, 0xff, v1
	v_lshrrev_b16 v1, 8, v1
	s_wait_loadcnt 0x2
	v_and_b32_e32 v11, 4, v3
	s_wait_loadcnt 0x1
	v_lshlrev_b32_e32 v8, v8, v6
	v_lshlrev_b32_e32 v5, v5, v6
	v_and_b32_e32 v14, 8, v3
	v_and_b32_e32 v1, 0xffff, v1
	;; [unrolled: 1-line block ×3, first 2 shown]
	v_and_or_b32 v6, 0x100, v8, v9
	v_and_b32_e32 v8, 1, v3
	v_and_b32_e32 v9, 16, v3
	v_and_or_b32 v1, 0x100, v5, v1
	v_and_b32_e32 v12, 64, v3
	v_lshlrev_b32_e32 v6, 2, v6
	v_cmp_eq_u16_e32 vcc_lo, 0, v8
	s_delay_alu instid0(VALU_DEP_4)
	v_lshlrev_b32_e32 v1, 2, v1
	s_clause 0x1
	global_load_b32 v5, v6, s[0:1]
	global_load_b32 v1, v1, s[0:1]
	s_add_nc_u64 s[0:1], s[2:3], s[6:7]
	s_wait_loadcnt 0x1
	v_cvt_f32_ubyte0_e32 v13, v5
	v_cvt_f32_ubyte1_e32 v15, v5
	v_cvt_f32_ubyte2_e32 v16, v5
	v_cvt_f32_ubyte3_e32 v5, v5
	v_lshlrev_b32_e32 v6, 2, v0
	s_wait_loadcnt 0x0
	v_cvt_f32_ubyte0_e32 v17, v1
	v_cvt_f32_ubyte1_e32 v18, v1
	v_cvt_f32_ubyte2_e32 v19, v1
	v_cvt_f32_ubyte3_e32 v1, v1
	v_and_b32_e32 v6, 4, v6
	s_delay_alu instid0(VALU_DEP_1) | instskip(SKIP_1) | instid1(VALU_DEP_2)
	v_bfe_u32 v2, v2, v6, 4
	v_cvt_f32_f16_e32 v6, v7
	v_cvt_f32_ubyte0_e32 v2, v2
	s_delay_alu instid0(VALU_DEP_1) | instskip(NEXT) | instid1(VALU_DEP_1)
	v_add_f32_e32 v2, 0.5, v2
	v_mul_f32_e32 v2, v2, v6
	v_and_b32_e32 v6, 2, v3
	s_delay_alu instid0(VALU_DEP_2) | instskip(SKIP_1) | instid1(VALU_DEP_2)
	v_mul_f32_e32 v2, 0.5, v2
	v_and_b32_e32 v0, 0x3f8, v0
	v_dual_mul_f32 v1, v2, v1 :: v_dual_lshlrev_b32 v4, 6, v4
	v_mul_f32_e32 v13, v2, v13
	v_mul_f32_e32 v15, v2, v15
	;; [unrolled: 1-line block ×4, first 2 shown]
	s_wait_alu 0xfffe
	v_add_co_u32 v4, s0, s0, v4
	s_wait_alu 0xfffd
	v_cndmask_b32_e64 v8, -v13, v13, vcc_lo
	v_cmp_eq_u16_e32 vcc_lo, 0, v6
	v_mul_f32_e32 v13, v2, v17
	s_wait_alu 0xf1ff
	v_add_co_ci_u32_e64 v7, null, s1, 0, s0
	v_cvt_f16_f32_e32 v8, v8
	s_wait_alu 0xfffd
	v_cndmask_b32_e64 v6, -v15, v15, vcc_lo
	v_cmp_eq_u16_e32 vcc_lo, 0, v11
	v_dual_mul_f32 v15, v2, v18 :: v_dual_lshlrev_b32 v0, 1, v0
	s_delay_alu instid0(VALU_DEP_3)
	v_cvt_f16_f32_e32 v6, v6
	s_wait_alu 0xfffd
	v_cndmask_b32_e64 v11, -v16, v16, vcc_lo
	v_cmp_eq_u16_e32 vcc_lo, 0, v14
	v_mul_f32_e32 v16, v2, v19
	s_wait_alu 0xfffd
	v_cndmask_b32_e64 v5, -v5, v5, vcc_lo
	v_cmp_eq_u16_e32 vcc_lo, 0, v9
	s_wait_alu 0xfffd
	v_cndmask_b32_e64 v2, -v13, v13, vcc_lo
	v_cmp_eq_u16_e32 vcc_lo, 0, v10
	v_cvt_f16_f32_e32 v10, v11
	s_delay_alu instid0(VALU_DEP_3) | instskip(SKIP_3) | instid1(VALU_DEP_2)
	v_cvt_f16_f32_e32 v2, v2
	s_wait_alu 0xfffd
	v_cndmask_b32_e64 v9, -v15, v15, vcc_lo
	v_cmp_eq_u16_e32 vcc_lo, 0, v12
	v_cvt_f16_f32_e32 v9, v9
	s_wait_alu 0xfffd
	v_cndmask_b32_e64 v11, -v16, v16, vcc_lo
	v_cmp_gt_i16_e32 vcc_lo, 0, v3
	v_cvt_f16_f32_e32 v3, v5
	v_pack_b32_f16 v2, v2, v9
	s_delay_alu instid0(VALU_DEP_4)
	v_cvt_f16_f32_e32 v11, v11
	s_wait_alu 0xfffd
	v_cndmask_b32_e64 v1, v1, -v1, vcc_lo
	v_add_co_u32 v4, vcc_lo, v4, v0
	s_wait_alu 0xfffd
	v_add_co_ci_u32_e64 v5, null, 0, v7, vcc_lo
	s_delay_alu instid0(VALU_DEP_3) | instskip(SKIP_2) | instid1(VALU_DEP_3)
	v_cvt_f16_f32_e32 v12, v1
	v_pack_b32_f16 v1, v10, v3
	v_pack_b32_f16 v0, v8, v6
	;; [unrolled: 1-line block ×3, first 2 shown]
	global_store_b128 v[4:5], v[0:3], off
	s_endpgm
	.section	.rodata,"a",@progbits
	.p2align	6, 0x0
	.amdhsa_kernel _ZL22dequantize_block_iq3_sIN3c104HalfEEvPKvPT_
		.amdhsa_group_segment_fixed_size 0
		.amdhsa_private_segment_fixed_size 0
		.amdhsa_kernarg_size 16
		.amdhsa_user_sgpr_count 2
		.amdhsa_user_sgpr_dispatch_ptr 0
		.amdhsa_user_sgpr_queue_ptr 0
		.amdhsa_user_sgpr_kernarg_segment_ptr 1
		.amdhsa_user_sgpr_dispatch_id 0
		.amdhsa_user_sgpr_private_segment_size 0
		.amdhsa_wavefront_size32 1
		.amdhsa_uses_dynamic_stack 0
		.amdhsa_enable_private_segment 0
		.amdhsa_system_sgpr_workgroup_id_x 1
		.amdhsa_system_sgpr_workgroup_id_y 0
		.amdhsa_system_sgpr_workgroup_id_z 0
		.amdhsa_system_sgpr_workgroup_info 0
		.amdhsa_system_vgpr_workitem_id 0
		.amdhsa_next_free_vgpr 20
		.amdhsa_next_free_sgpr 8
		.amdhsa_reserve_vcc 1
		.amdhsa_float_round_mode_32 0
		.amdhsa_float_round_mode_16_64 0
		.amdhsa_float_denorm_mode_32 3
		.amdhsa_float_denorm_mode_16_64 3
		.amdhsa_fp16_overflow 0
		.amdhsa_workgroup_processor_mode 1
		.amdhsa_memory_ordered 1
		.amdhsa_forward_progress 1
		.amdhsa_inst_pref_size 6
		.amdhsa_round_robin_scheduling 0
		.amdhsa_exception_fp_ieee_invalid_op 0
		.amdhsa_exception_fp_denorm_src 0
		.amdhsa_exception_fp_ieee_div_zero 0
		.amdhsa_exception_fp_ieee_overflow 0
		.amdhsa_exception_fp_ieee_underflow 0
		.amdhsa_exception_fp_ieee_inexact 0
		.amdhsa_exception_int_div_zero 0
	.end_amdhsa_kernel
	.section	.text._ZL22dequantize_block_iq3_sIN3c104HalfEEvPKvPT_,"axG",@progbits,_ZL22dequantize_block_iq3_sIN3c104HalfEEvPKvPT_,comdat
.Lfunc_end34:
	.size	_ZL22dequantize_block_iq3_sIN3c104HalfEEvPKvPT_, .Lfunc_end34-_ZL22dequantize_block_iq3_sIN3c104HalfEEvPKvPT_
                                        ; -- End function
	.set _ZL22dequantize_block_iq3_sIN3c104HalfEEvPKvPT_.num_vgpr, 20
	.set _ZL22dequantize_block_iq3_sIN3c104HalfEEvPKvPT_.num_agpr, 0
	.set _ZL22dequantize_block_iq3_sIN3c104HalfEEvPKvPT_.numbered_sgpr, 8
	.set _ZL22dequantize_block_iq3_sIN3c104HalfEEvPKvPT_.num_named_barrier, 0
	.set _ZL22dequantize_block_iq3_sIN3c104HalfEEvPKvPT_.private_seg_size, 0
	.set _ZL22dequantize_block_iq3_sIN3c104HalfEEvPKvPT_.uses_vcc, 1
	.set _ZL22dequantize_block_iq3_sIN3c104HalfEEvPKvPT_.uses_flat_scratch, 0
	.set _ZL22dequantize_block_iq3_sIN3c104HalfEEvPKvPT_.has_dyn_sized_stack, 0
	.set _ZL22dequantize_block_iq3_sIN3c104HalfEEvPKvPT_.has_recursion, 0
	.set _ZL22dequantize_block_iq3_sIN3c104HalfEEvPKvPT_.has_indirect_call, 0
	.section	.AMDGPU.csdata,"",@progbits
; Kernel info:
; codeLenInByte = 768
; TotalNumSgprs: 10
; NumVgprs: 20
; ScratchSize: 0
; MemoryBound: 0
; FloatMode: 240
; IeeeMode: 1
; LDSByteSize: 0 bytes/workgroup (compile time only)
; SGPRBlocks: 0
; VGPRBlocks: 2
; NumSGPRsForWavesPerEU: 10
; NumVGPRsForWavesPerEU: 20
; Occupancy: 16
; WaveLimiterHint : 0
; COMPUTE_PGM_RSRC2:SCRATCH_EN: 0
; COMPUTE_PGM_RSRC2:USER_SGPR: 2
; COMPUTE_PGM_RSRC2:TRAP_HANDLER: 0
; COMPUTE_PGM_RSRC2:TGID_X_EN: 1
; COMPUTE_PGM_RSRC2:TGID_Y_EN: 0
; COMPUTE_PGM_RSRC2:TGID_Z_EN: 0
; COMPUTE_PGM_RSRC2:TIDIG_COMP_CNT: 0
	.section	.text._ZL22dequantize_block_iq2_sIN3c104HalfEEvPKvPT_,"axG",@progbits,_ZL22dequantize_block_iq2_sIN3c104HalfEEvPKvPT_,comdat
	.globl	_ZL22dequantize_block_iq2_sIN3c104HalfEEvPKvPT_ ; -- Begin function _ZL22dequantize_block_iq2_sIN3c104HalfEEvPKvPT_
	.p2align	8
	.type	_ZL22dequantize_block_iq2_sIN3c104HalfEEvPKvPT_,@function
_ZL22dequantize_block_iq2_sIN3c104HalfEEvPKvPT_: ; @_ZL22dequantize_block_iq2_sIN3c104HalfEEvPKvPT_
; %bb.0:
	s_load_b128 s[0:3], s[0:1], 0x0
	v_lshrrev_b32_e32 v1, 3, v0
	v_and_b32_e32 v3, 7, v0
	s_lshl_b32 s4, ttmp9, 8
	s_mov_b32 s5, 0
	s_delay_alu instid0(SALU_CYCLE_1) | instskip(SKIP_4) | instid1(VALU_DEP_1)
	s_lshl_b64 s[6:7], s[4:5], 1
	s_mov_b32 s4, ttmp9
	v_lshl_add_u32 v2, v3, 2, v1
	s_mul_u64 s[4:5], s[4:5], 0x52
	v_lshlrev_b32_e32 v1, 1, v1
	v_sub_nc_u32_e32 v1, 8, v1
	s_wait_kmcnt 0x0
	s_add_nc_u64 s[0:1], s[0:1], s[4:5]
	s_clause 0x3
	global_load_u8 v4, v3, s[0:1] offset:66
	global_load_u8 v5, v2, s[0:1] offset:2
	global_load_i8 v6, v2, s[0:1] offset:34
	global_load_u8 v7, v3, s[0:1] offset:74
	v_mov_b32_e32 v2, 0
	global_load_u16 v8, v2, s[0:1]
	s_getpc_b64 s[0:1]
	s_sext_i32_i16 s1, s1
	s_add_co_u32 s0, s0, _ZL9iq2s_grid@rel32@lo+8
	s_add_co_ci_u32 s1, s1, _ZL9iq2s_grid@rel32@hi+16
	s_wait_loadcnt 0x4
	v_lshlrev_b32_e32 v1, v1, v4
	v_lshrrev_b32_e32 v4, 2, v0
	s_wait_loadcnt 0x2
	v_and_b32_e32 v11, 16, v6
	v_and_b32_e32 v12, 32, v6
	;; [unrolled: 1-line block ×3, first 2 shown]
	v_and_or_b32 v1, 0x300, v1, v5
	v_and_b32_e32 v4, 0xfc, v4
	s_wait_loadcnt 0x0
	v_cvt_f32_f16_e32 v5, v8
	s_delay_alu instid0(VALU_DEP_2) | instskip(NEXT) | instid1(VALU_DEP_1)
	v_bfe_u32 v4, v7, v4, 4
	v_cvt_f32_ubyte0_e32 v4, v4
	s_delay_alu instid0(VALU_DEP_1) | instskip(NEXT) | instid1(VALU_DEP_1)
	v_add_f32_e32 v4, 0.5, v4
	v_mul_f32_e32 v4, v4, v5
	v_lshlrev_b32_e32 v1, 3, v1
	s_delay_alu instid0(VALU_DEP_2)
	v_dual_mul_f32 v4, 0x3e800000, v4 :: v_dual_and_b32 v5, 8, v6
	global_load_b64 v[1:2], v1, s[0:1]
	s_add_nc_u64 s[0:1], s[2:3], s[6:7]
	s_wait_loadcnt 0x0
	v_cvt_f32_ubyte0_e32 v14, v1
	v_cvt_f32_ubyte0_e32 v17, v2
	v_and_b32_e32 v8, 1, v6
	v_lshlrev_b32_e32 v3, 6, v3
	v_cvt_f32_ubyte1_e32 v15, v1
	v_and_b32_e32 v0, 0x3f8, v0
	v_cvt_f32_ubyte2_e32 v16, v1
	v_and_b32_e32 v9, 2, v6
	v_cvt_f32_ubyte3_e32 v1, v1
	v_cvt_f32_ubyte1_e32 v18, v2
	v_cvt_f32_ubyte2_e32 v19, v2
	v_cvt_f32_ubyte3_e32 v2, v2
	v_mul_f32_e32 v14, v4, v14
	v_mul_f32_e32 v17, v4, v17
	v_cmp_eq_u16_e32 vcc_lo, 0, v8
	v_dual_mul_f32 v19, v4, v19 :: v_dual_and_b32 v10, 4, v6
	v_dual_mul_f32 v15, v4, v15 :: v_dual_lshlrev_b32 v0, 1, v0
	v_mul_f32_e32 v1, v4, v1
	v_mul_f32_e32 v16, v4, v16
	;; [unrolled: 1-line block ×4, first 2 shown]
	v_cndmask_b32_e64 v4, -v14, v14, vcc_lo
	v_cmp_eq_u16_e32 vcc_lo, 0, v9
	v_add_co_u32 v3, s0, s0, v3
	s_wait_alu 0xf1ff
	v_add_co_ci_u32_e64 v7, null, s1, 0, s0
	s_wait_alu 0xfffd
	v_cndmask_b32_e64 v8, -v15, v15, vcc_lo
	v_cmp_eq_u16_e32 vcc_lo, 0, v10
	s_delay_alu instid0(VALU_DEP_2) | instskip(SKIP_3) | instid1(VALU_DEP_2)
	v_cvt_f16_f32_e32 v8, v8
	s_wait_alu 0xfffd
	v_cndmask_b32_e64 v9, -v16, v16, vcc_lo
	v_cmp_eq_u16_e32 vcc_lo, 0, v5
	v_cvt_f16_f32_e32 v9, v9
	s_wait_alu 0xfffd
	v_cndmask_b32_e64 v1, -v1, v1, vcc_lo
	v_cmp_eq_u16_e32 vcc_lo, 0, v11
	s_delay_alu instid0(VALU_DEP_2) | instskip(SKIP_3) | instid1(VALU_DEP_3)
	v_cvt_f16_f32_e32 v1, v1
	s_wait_alu 0xfffd
	v_cndmask_b32_e64 v5, -v17, v17, vcc_lo
	v_cmp_eq_u16_e32 vcc_lo, 0, v12
	v_pack_b32_f16 v1, v9, v1
	s_delay_alu instid0(VALU_DEP_3) | instskip(SKIP_3) | instid1(VALU_DEP_2)
	v_cvt_f16_f32_e32 v12, v5
	s_wait_alu 0xfffd
	v_cndmask_b32_e64 v10, -v18, v18, vcc_lo
	v_cmp_eq_u16_e32 vcc_lo, 0, v13
	v_cvt_f16_f32_e32 v10, v10
	s_wait_alu 0xfffd
	v_cndmask_b32_e64 v11, -v19, v19, vcc_lo
	v_cmp_gt_i16_e32 vcc_lo, 0, v6
	v_cvt_f16_f32_e32 v6, v4
	s_delay_alu instid0(VALU_DEP_3)
	v_cvt_f16_f32_e32 v11, v11
	s_wait_alu 0xfffd
	v_cndmask_b32_e64 v2, v2, -v2, vcc_lo
	v_add_co_u32 v4, vcc_lo, v3, v0
	s_wait_alu 0xfffd
	v_add_co_ci_u32_e64 v5, null, 0, v7, vcc_lo
	s_delay_alu instid0(VALU_DEP_3) | instskip(SKIP_1) | instid1(VALU_DEP_2)
	v_cvt_f16_f32_e32 v2, v2
	v_pack_b32_f16 v0, v6, v8
	v_pack_b32_f16 v3, v11, v2
	v_pack_b32_f16 v2, v12, v10
	global_store_b128 v[4:5], v[0:3], off
	s_endpgm
	.section	.rodata,"a",@progbits
	.p2align	6, 0x0
	.amdhsa_kernel _ZL22dequantize_block_iq2_sIN3c104HalfEEvPKvPT_
		.amdhsa_group_segment_fixed_size 0
		.amdhsa_private_segment_fixed_size 0
		.amdhsa_kernarg_size 16
		.amdhsa_user_sgpr_count 2
		.amdhsa_user_sgpr_dispatch_ptr 0
		.amdhsa_user_sgpr_queue_ptr 0
		.amdhsa_user_sgpr_kernarg_segment_ptr 1
		.amdhsa_user_sgpr_dispatch_id 0
		.amdhsa_user_sgpr_private_segment_size 0
		.amdhsa_wavefront_size32 1
		.amdhsa_uses_dynamic_stack 0
		.amdhsa_enable_private_segment 0
		.amdhsa_system_sgpr_workgroup_id_x 1
		.amdhsa_system_sgpr_workgroup_id_y 0
		.amdhsa_system_sgpr_workgroup_id_z 0
		.amdhsa_system_sgpr_workgroup_info 0
		.amdhsa_system_vgpr_workitem_id 0
		.amdhsa_next_free_vgpr 20
		.amdhsa_next_free_sgpr 8
		.amdhsa_reserve_vcc 1
		.amdhsa_float_round_mode_32 0
		.amdhsa_float_round_mode_16_64 0
		.amdhsa_float_denorm_mode_32 3
		.amdhsa_float_denorm_mode_16_64 3
		.amdhsa_fp16_overflow 0
		.amdhsa_workgroup_processor_mode 1
		.amdhsa_memory_ordered 1
		.amdhsa_forward_progress 1
		.amdhsa_inst_pref_size 5
		.amdhsa_round_robin_scheduling 0
		.amdhsa_exception_fp_ieee_invalid_op 0
		.amdhsa_exception_fp_denorm_src 0
		.amdhsa_exception_fp_ieee_div_zero 0
		.amdhsa_exception_fp_ieee_overflow 0
		.amdhsa_exception_fp_ieee_underflow 0
		.amdhsa_exception_fp_ieee_inexact 0
		.amdhsa_exception_int_div_zero 0
	.end_amdhsa_kernel
	.section	.text._ZL22dequantize_block_iq2_sIN3c104HalfEEvPKvPT_,"axG",@progbits,_ZL22dequantize_block_iq2_sIN3c104HalfEEvPKvPT_,comdat
.Lfunc_end35:
	.size	_ZL22dequantize_block_iq2_sIN3c104HalfEEvPKvPT_, .Lfunc_end35-_ZL22dequantize_block_iq2_sIN3c104HalfEEvPKvPT_
                                        ; -- End function
	.set _ZL22dequantize_block_iq2_sIN3c104HalfEEvPKvPT_.num_vgpr, 20
	.set _ZL22dequantize_block_iq2_sIN3c104HalfEEvPKvPT_.num_agpr, 0
	.set _ZL22dequantize_block_iq2_sIN3c104HalfEEvPKvPT_.numbered_sgpr, 8
	.set _ZL22dequantize_block_iq2_sIN3c104HalfEEvPKvPT_.num_named_barrier, 0
	.set _ZL22dequantize_block_iq2_sIN3c104HalfEEvPKvPT_.private_seg_size, 0
	.set _ZL22dequantize_block_iq2_sIN3c104HalfEEvPKvPT_.uses_vcc, 1
	.set _ZL22dequantize_block_iq2_sIN3c104HalfEEvPKvPT_.uses_flat_scratch, 0
	.set _ZL22dequantize_block_iq2_sIN3c104HalfEEvPKvPT_.has_dyn_sized_stack, 0
	.set _ZL22dequantize_block_iq2_sIN3c104HalfEEvPKvPT_.has_recursion, 0
	.set _ZL22dequantize_block_iq2_sIN3c104HalfEEvPKvPT_.has_indirect_call, 0
	.section	.AMDGPU.csdata,"",@progbits
; Kernel info:
; codeLenInByte = 640
; TotalNumSgprs: 10
; NumVgprs: 20
; ScratchSize: 0
; MemoryBound: 0
; FloatMode: 240
; IeeeMode: 1
; LDSByteSize: 0 bytes/workgroup (compile time only)
; SGPRBlocks: 0
; VGPRBlocks: 2
; NumSGPRsForWavesPerEU: 10
; NumVGPRsForWavesPerEU: 20
; Occupancy: 16
; WaveLimiterHint : 0
; COMPUTE_PGM_RSRC2:SCRATCH_EN: 0
; COMPUTE_PGM_RSRC2:USER_SGPR: 2
; COMPUTE_PGM_RSRC2:TRAP_HANDLER: 0
; COMPUTE_PGM_RSRC2:TGID_X_EN: 1
; COMPUTE_PGM_RSRC2:TGID_Y_EN: 0
; COMPUTE_PGM_RSRC2:TGID_Z_EN: 0
; COMPUTE_PGM_RSRC2:TIDIG_COMP_CNT: 0
	.section	.text._ZL23dequantize_block_iq4_xsIN3c104HalfEEvPKvPT_,"axG",@progbits,_ZL23dequantize_block_iq4_xsIN3c104HalfEEvPKvPT_,comdat
	.globl	_ZL23dequantize_block_iq4_xsIN3c104HalfEEvPKvPT_ ; -- Begin function _ZL23dequantize_block_iq4_xsIN3c104HalfEEvPKvPT_
	.p2align	8
	.type	_ZL23dequantize_block_iq4_xsIN3c104HalfEEvPKvPT_,@function
_ZL23dequantize_block_iq4_xsIN3c104HalfEEvPKvPT_: ; @_ZL23dequantize_block_iq4_xsIN3c104HalfEEvPKvPT_
; %bb.0:
	s_load_b128 s[0:3], s[0:1], 0x0
	v_and_b32_e32 v3, 7, v0
	s_lshl_b32 s4, ttmp9, 8
	s_mov_b32 s5, 0
	v_lshrrev_b32_e32 v1, 1, v0
	s_lshl_b64 s[6:7], s[4:5], 1
	s_mov_b32 s4, ttmp9
	v_lshlrev_b32_e32 v2, 4, v3
	s_mul_u64 s[4:5], s[4:5], 0x88
	v_and_b32_e32 v4, 0x1fc, v1
	v_bfe_u32 v5, v0, 1, 2
	v_lshlrev_b32_e32 v0, 2, v0
	s_delay_alu instid0(VALU_DEP_1) | instskip(SKIP_2) | instid1(SALU_CYCLE_1)
	v_and_b32_e32 v0, 4, v0
	s_wait_kmcnt 0x0
	s_add_nc_u64 s[0:1], s[0:1], s[4:5]
	v_add_co_u32 v1, s4, s0, v2
	s_delay_alu instid0(VALU_DEP_1) | instskip(SKIP_2) | instid1(VALU_DEP_1)
	v_add_co_ci_u32_e64 v2, null, s1, 0, s4
	global_load_u8 v5, v5, s[0:1] offset:4
	v_add_co_u32 v1, vcc_lo, v1, v4
	v_add_co_ci_u32_e64 v2, null, 0, v2, vcc_lo
	v_lshlrev_b32_e32 v4, 1, v4
	global_load_b32 v1, v[1:2], off offset:8
	v_mov_b32_e32 v2, 0
	global_load_b32 v2, v2, s[0:1]
	s_getpc_b64 s[0:1]
	s_wait_alu 0xfffe
	s_sext_i32_i16 s1, s1
	s_add_co_u32 s0, s0, _ZL13kvalues_iq4nl@rel32@lo+12
	s_wait_alu 0xfffe
	s_add_co_ci_u32 s1, s1, _ZL13kvalues_iq4nl@rel32@hi+24
	s_wait_loadcnt 0x2
	v_bfe_u32 v0, v5, v0, 4
	s_wait_loadcnt 0x1
	v_and_b32_e32 v6, 15, v1
	v_bfe_u32 v7, v1, 4, 4
	v_bfe_u32 v8, v1, 8, 4
	;; [unrolled: 1-line block ×6, first 2 shown]
	v_lshrrev_b32_e32 v1, 28, v1
	s_clause 0x7
	global_load_i8 v6, v6, s[0:1]
	global_load_i8 v7, v7, s[0:1]
	;; [unrolled: 1-line block ×8, first 2 shown]
	s_wait_loadcnt 0x8
	v_lshrrev_b32_e32 v14, 16, v2
	v_cvt_f32_f16_e32 v2, v2
	v_lshlrev_b32_e32 v13, 1, v3
	v_lshlrev_b32_e32 v3, 6, v3
	s_add_nc_u64 s[0:1], s[2:3], s[6:7]
	s_delay_alu instid0(VALU_DEP_2) | instskip(NEXT) | instid1(VALU_DEP_1)
	v_lshrrev_b32_e32 v13, v13, v14
	v_lshlrev_b32_e32 v5, 4, v13
	s_delay_alu instid0(VALU_DEP_1)
	v_and_or_b32 v0, v5, 48, v0
	s_wait_alu 0xfffe
	v_add_co_u32 v5, s0, s0, v3
	s_wait_alu 0xf1ff
	v_add_co_ci_u32_e64 v13, null, s1, 0, s0
	v_subrev_nc_u32_e32 v0, 32, v0
	s_delay_alu instid0(VALU_DEP_3) | instskip(SKIP_1) | instid1(VALU_DEP_3)
	v_add_co_u32 v4, vcc_lo, v5, v4
	s_wait_alu 0xfffd
	v_add_co_ci_u32_e64 v5, null, 0, v13, vcc_lo
	s_delay_alu instid0(VALU_DEP_3) | instskip(NEXT) | instid1(VALU_DEP_1)
	v_cvt_f32_i32_e32 v0, v0
	v_mul_f32_e32 v14, v2, v0
	s_wait_loadcnt 0x7
	v_cvt_f32_i32_e32 v0, v6
	s_wait_loadcnt 0x6
	v_cvt_f32_i32_e32 v2, v7
	;; [unrolled: 2-line block ×8, first 2 shown]
	v_fma_mixlo_f16 v0, v14, v0, 0
	v_fma_mixlo_f16 v1, v14, v3, 0
	v_fma_mixlo_f16 v2, v14, v2, 0
	v_fma_mixlo_f16 v3, v14, v8, 0
	s_delay_alu instid0(VALU_DEP_4) | instskip(NEXT) | instid1(VALU_DEP_4)
	v_fma_mixhi_f16 v0, v14, v6, 0
	v_fma_mixhi_f16 v1, v14, v9, 0
	s_delay_alu instid0(VALU_DEP_4) | instskip(NEXT) | instid1(VALU_DEP_4)
	v_fma_mixhi_f16 v2, v14, v7, 0
	v_fma_mixhi_f16 v3, v14, v10, 0
	s_clause 0x1
	global_store_b64 v[4:5], v[0:1], off
	global_store_b64 v[4:5], v[2:3], off offset:32
	s_endpgm
	.section	.rodata,"a",@progbits
	.p2align	6, 0x0
	.amdhsa_kernel _ZL23dequantize_block_iq4_xsIN3c104HalfEEvPKvPT_
		.amdhsa_group_segment_fixed_size 0
		.amdhsa_private_segment_fixed_size 0
		.amdhsa_kernarg_size 16
		.amdhsa_user_sgpr_count 2
		.amdhsa_user_sgpr_dispatch_ptr 0
		.amdhsa_user_sgpr_queue_ptr 0
		.amdhsa_user_sgpr_kernarg_segment_ptr 1
		.amdhsa_user_sgpr_dispatch_id 0
		.amdhsa_user_sgpr_private_segment_size 0
		.amdhsa_wavefront_size32 1
		.amdhsa_uses_dynamic_stack 0
		.amdhsa_enable_private_segment 0
		.amdhsa_system_sgpr_workgroup_id_x 1
		.amdhsa_system_sgpr_workgroup_id_y 0
		.amdhsa_system_sgpr_workgroup_id_z 0
		.amdhsa_system_sgpr_workgroup_info 0
		.amdhsa_system_vgpr_workitem_id 0
		.amdhsa_next_free_vgpr 15
		.amdhsa_next_free_sgpr 8
		.amdhsa_reserve_vcc 1
		.amdhsa_float_round_mode_32 0
		.amdhsa_float_round_mode_16_64 0
		.amdhsa_float_denorm_mode_32 3
		.amdhsa_float_denorm_mode_16_64 3
		.amdhsa_fp16_overflow 0
		.amdhsa_workgroup_processor_mode 1
		.amdhsa_memory_ordered 1
		.amdhsa_forward_progress 1
		.amdhsa_inst_pref_size 6
		.amdhsa_round_robin_scheduling 0
		.amdhsa_exception_fp_ieee_invalid_op 0
		.amdhsa_exception_fp_denorm_src 0
		.amdhsa_exception_fp_ieee_div_zero 0
		.amdhsa_exception_fp_ieee_overflow 0
		.amdhsa_exception_fp_ieee_underflow 0
		.amdhsa_exception_fp_ieee_inexact 0
		.amdhsa_exception_int_div_zero 0
	.end_amdhsa_kernel
	.section	.text._ZL23dequantize_block_iq4_xsIN3c104HalfEEvPKvPT_,"axG",@progbits,_ZL23dequantize_block_iq4_xsIN3c104HalfEEvPKvPT_,comdat
.Lfunc_end36:
	.size	_ZL23dequantize_block_iq4_xsIN3c104HalfEEvPKvPT_, .Lfunc_end36-_ZL23dequantize_block_iq4_xsIN3c104HalfEEvPKvPT_
                                        ; -- End function
	.set _ZL23dequantize_block_iq4_xsIN3c104HalfEEvPKvPT_.num_vgpr, 15
	.set _ZL23dequantize_block_iq4_xsIN3c104HalfEEvPKvPT_.num_agpr, 0
	.set _ZL23dequantize_block_iq4_xsIN3c104HalfEEvPKvPT_.numbered_sgpr, 8
	.set _ZL23dequantize_block_iq4_xsIN3c104HalfEEvPKvPT_.num_named_barrier, 0
	.set _ZL23dequantize_block_iq4_xsIN3c104HalfEEvPKvPT_.private_seg_size, 0
	.set _ZL23dequantize_block_iq4_xsIN3c104HalfEEvPKvPT_.uses_vcc, 1
	.set _ZL23dequantize_block_iq4_xsIN3c104HalfEEvPKvPT_.uses_flat_scratch, 0
	.set _ZL23dequantize_block_iq4_xsIN3c104HalfEEvPKvPT_.has_dyn_sized_stack, 0
	.set _ZL23dequantize_block_iq4_xsIN3c104HalfEEvPKvPT_.has_recursion, 0
	.set _ZL23dequantize_block_iq4_xsIN3c104HalfEEvPKvPT_.has_indirect_call, 0
	.section	.AMDGPU.csdata,"",@progbits
; Kernel info:
; codeLenInByte = 644
; TotalNumSgprs: 10
; NumVgprs: 15
; ScratchSize: 0
; MemoryBound: 0
; FloatMode: 240
; IeeeMode: 1
; LDSByteSize: 0 bytes/workgroup (compile time only)
; SGPRBlocks: 0
; VGPRBlocks: 1
; NumSGPRsForWavesPerEU: 10
; NumVGPRsForWavesPerEU: 15
; Occupancy: 16
; WaveLimiterHint : 0
; COMPUTE_PGM_RSRC2:SCRATCH_EN: 0
; COMPUTE_PGM_RSRC2:USER_SGPR: 2
; COMPUTE_PGM_RSRC2:TRAP_HANDLER: 0
; COMPUTE_PGM_RSRC2:TGID_X_EN: 1
; COMPUTE_PGM_RSRC2:TGID_Y_EN: 0
; COMPUTE_PGM_RSRC2:TGID_Z_EN: 0
; COMPUTE_PGM_RSRC2:TIDIG_COMP_CNT: 0
	.section	.text._ZL22dequantize_block_iq1_mIN3c104HalfEEvPKvPT_,"axG",@progbits,_ZL22dequantize_block_iq1_mIN3c104HalfEEvPKvPT_,comdat
	.globl	_ZL22dequantize_block_iq1_mIN3c104HalfEEvPKvPT_ ; -- Begin function _ZL22dequantize_block_iq1_mIN3c104HalfEEvPKvPT_
	.p2align	8
	.type	_ZL22dequantize_block_iq1_mIN3c104HalfEEvPKvPT_,@function
_ZL22dequantize_block_iq1_mIN3c104HalfEEvPKvPT_: ; @_ZL22dequantize_block_iq1_mIN3c104HalfEEvPKvPT_
; %bb.0:
	s_load_b128 s[0:3], s[0:1], 0x0
	v_and_b32_e32 v5, 7, v0
	s_mov_b32 s4, ttmp9
	s_mov_b32 s5, 0
	v_lshrrev_b32_e32 v2, 3, v0
	s_mul_u64 s[6:7], s[4:5], 56
	v_lshlrev_b32_e32 v1, 2, v5
	v_lshrrev_b32_e32 v3, 4, v0
	v_lshlrev_b32_e32 v6, 1, v5
	s_delay_alu instid0(VALU_DEP_1) | instskip(SKIP_2) | instid1(SALU_CYCLE_1)
	v_add_nc_u32_e32 v7, v6, v3
	s_wait_kmcnt 0x0
	s_add_nc_u64 s[0:1], s[0:1], s[6:7]
	v_add_co_u32 v1, s6, s0, v1
	s_delay_alu instid0(VALU_DEP_1) | instskip(NEXT) | instid1(VALU_DEP_2)
	v_add_co_ci_u32_e64 v4, null, s1, 0, s6
	v_add_co_u32 v1, vcc_lo, v1, v2
	s_delay_alu instid0(VALU_DEP_1)
	v_add_co_ci_u32_e64 v2, null, 0, v4, vcc_lo
	s_clause 0x1
	global_load_u8 v8, v[1:2], off
	global_load_u8 v9, v7, s[0:1] offset:32
	v_add_nc_u16 v1, v6, v3
	v_mov_b32_e32 v2, 0
	v_lshrrev_b32_e32 v6, 1, v0
	s_delay_alu instid0(VALU_DEP_3) | instskip(NEXT) | instid1(VALU_DEP_2)
	v_lshrrev_b16 v1, 1, v1
	v_and_b32_e32 v6, 4, v6
	s_delay_alu instid0(VALU_DEP_2)
	v_and_b32_e32 v3, 62, v1
	global_load_b64 v[1:2], v2, s[0:1] offset:48
	v_add_co_u32 v3, s0, s0, v3
	s_wait_alu 0xf1ff
	v_add_co_ci_u32_e64 v4, null, s1, 0, s0
	s_getpc_b64 s[0:1]
	s_wait_alu 0xfffe
	s_sext_i32_i16 s1, s1
	s_add_co_u32 s0, s0, _ZL13iq1s_grid_gpu@rel32@lo+12
	s_wait_alu 0xfffe
	s_add_co_ci_u32 s1, s1, _ZL13iq1s_grid_gpu@rel32@hi+24
	global_load_u16 v3, v[3:4], off offset:48
	s_wait_loadcnt 0x2
	v_lshrrev_b32_e32 v4, v6, v9
	s_delay_alu instid0(VALU_DEP_1) | instskip(NEXT) | instid1(VALU_DEP_1)
	v_lshlrev_b32_e32 v6, 8, v4
	v_and_or_b32 v6, 0x700, v6, v8
	v_mov_b32_e32 v8, 0xbf600000
	s_delay_alu instid0(VALU_DEP_2)
	v_lshlrev_b32_e32 v6, 3, v6
	global_load_b32 v6, v6, s[0:1]
	s_lshl_b64 s[0:1], s[4:5], 9
	s_wait_loadcnt 0x2
	v_readfirstlane_b32 s4, v2
	v_readfirstlane_b32 s5, v1
	v_lshlrev_b32_e32 v1, 6, v5
	s_wait_alu 0xfffe
	s_add_nc_u64 s[0:1], s[2:3], s[0:1]
	s_lshr_b32 s6, s4, 16
	s_bfe_u32 s7, s5, 0x4000c
	s_lshr_b32 s5, s5, 24
	s_lshr_b32 s4, s4, 4
	s_and_b32 s5, s5, 0xf0
	s_and_b32 s4, s4, 0xf00
	s_wait_alu 0xfffe
	s_or_b32 s5, s5, s7
	s_and_b32 s6, s6, 0xf000
	s_or_b32 s4, s5, s4
	s_wait_alu 0xfffe
	s_or_b32 s4, s4, s6
	s_delay_alu instid0(SALU_CYCLE_1)
	s_cvt_f32_f16 s2, s4
	s_wait_loadcnt 0x0
	v_bfe_u32 v10, v6, 4, 4
	v_bfe_u32 v11, v6, 12, 4
	;; [unrolled: 1-line block ×4, first 2 shown]
	s_delay_alu instid0(VALU_DEP_4)
	v_cvt_f32_ubyte0_e32 v10, v10
	v_and_b32_e32 v7, 3, v7
	v_cvt_f32_ubyte0_e32 v11, v11
	v_and_b32_e32 v0, 0x3f8, v0
	v_cvt_f32_ubyte0_e32 v9, v9
	v_cvt_f32_ubyte0_e32 v12, v12
	v_mul_u32_u24_e32 v2, 3, v7
	s_delay_alu instid0(VALU_DEP_4) | instskip(NEXT) | instid1(VALU_DEP_2)
	v_lshlrev_b32_e32 v5, 1, v0
	v_lshrrev_b32_e32 v0, v2, v3
	v_and_b32_e32 v2, 8, v4
	v_bfe_u32 v3, v6, 8, 4
	v_add_co_u32 v4, s0, s0, v1
	s_delay_alu instid0(VALU_DEP_4) | instskip(NEXT) | instid1(VALU_DEP_4)
	v_lshlrev_b32_e32 v0, 1, v0
	v_cmp_eq_u32_e32 vcc_lo, 0, v2
	v_and_b32_e32 v2, 15, v6
	v_cvt_f32_ubyte0_e32 v3, v3
	s_wait_alu 0xf1ff
	v_add_co_ci_u32_e64 v7, null, s1, 0, s0
	v_and_or_b32 v0, v0, 14, 1
	s_wait_alu 0xfffd
	v_cndmask_b32_e32 v1, 0xbf900000, v8, vcc_lo
	v_cvt_f32_ubyte0_e32 v2, v2
	s_delay_alu instid0(VALU_DEP_3) | instskip(NEXT) | instid1(VALU_DEP_3)
	v_cvt_f32_ubyte0_e32 v0, v0
	v_add_f32_e32 v13, v1, v3
	s_delay_alu instid0(VALU_DEP_3)
	v_add_f32_e32 v2, v1, v2
	v_add_f32_e32 v3, v1, v9
	;; [unrolled: 1-line block ×3, first 2 shown]
	v_mul_f32_e32 v8, s2, v0
	v_and_b32_e32 v0, 0xf000000, v6
	v_lshrrev_b32_e32 v6, 28, v6
	v_add_f32_e32 v12, v1, v12
	v_add_f32_e32 v11, v1, v11
	s_delay_alu instid0(VALU_DEP_4) | instskip(NEXT) | instid1(VALU_DEP_4)
	v_cvt_f32_ubyte3_e32 v0, v0
	v_cvt_f32_ubyte0_e32 v6, v6
	s_delay_alu instid0(VALU_DEP_2) | instskip(NEXT) | instid1(VALU_DEP_2)
	v_add_f32_e32 v9, v1, v0
	v_add_f32_e32 v6, v1, v6
	v_fma_mixlo_f16 v0, v8, v2, 0
	v_fma_mixlo_f16 v1, v8, v3, 0
	;; [unrolled: 1-line block ×4, first 2 shown]
	v_add_co_u32 v4, vcc_lo, v4, v5
	s_wait_alu 0xfffd
	v_add_co_ci_u32_e64 v5, null, 0, v7, vcc_lo
	s_delay_alu instid0(VALU_DEP_3)
	v_fma_mixhi_f16 v3, v8, v6, 0
	v_fma_mixhi_f16 v2, v8, v11, 0
	v_fma_mixhi_f16 v1, v8, v9, 0
	v_fma_mixhi_f16 v0, v8, v13, 0
	global_store_b128 v[4:5], v[0:3], off
	s_endpgm
	.section	.rodata,"a",@progbits
	.p2align	6, 0x0
	.amdhsa_kernel _ZL22dequantize_block_iq1_mIN3c104HalfEEvPKvPT_
		.amdhsa_group_segment_fixed_size 0
		.amdhsa_private_segment_fixed_size 0
		.amdhsa_kernarg_size 16
		.amdhsa_user_sgpr_count 2
		.amdhsa_user_sgpr_dispatch_ptr 0
		.amdhsa_user_sgpr_queue_ptr 0
		.amdhsa_user_sgpr_kernarg_segment_ptr 1
		.amdhsa_user_sgpr_dispatch_id 0
		.amdhsa_user_sgpr_private_segment_size 0
		.amdhsa_wavefront_size32 1
		.amdhsa_uses_dynamic_stack 0
		.amdhsa_enable_private_segment 0
		.amdhsa_system_sgpr_workgroup_id_x 1
		.amdhsa_system_sgpr_workgroup_id_y 0
		.amdhsa_system_sgpr_workgroup_id_z 0
		.amdhsa_system_sgpr_workgroup_info 0
		.amdhsa_system_vgpr_workitem_id 0
		.amdhsa_next_free_vgpr 14
		.amdhsa_next_free_sgpr 8
		.amdhsa_reserve_vcc 1
		.amdhsa_float_round_mode_32 0
		.amdhsa_float_round_mode_16_64 0
		.amdhsa_float_denorm_mode_32 3
		.amdhsa_float_denorm_mode_16_64 3
		.amdhsa_fp16_overflow 0
		.amdhsa_workgroup_processor_mode 1
		.amdhsa_memory_ordered 1
		.amdhsa_forward_progress 1
		.amdhsa_inst_pref_size 6
		.amdhsa_round_robin_scheduling 0
		.amdhsa_exception_fp_ieee_invalid_op 0
		.amdhsa_exception_fp_denorm_src 0
		.amdhsa_exception_fp_ieee_div_zero 0
		.amdhsa_exception_fp_ieee_overflow 0
		.amdhsa_exception_fp_ieee_underflow 0
		.amdhsa_exception_fp_ieee_inexact 0
		.amdhsa_exception_int_div_zero 0
	.end_amdhsa_kernel
	.section	.text._ZL22dequantize_block_iq1_mIN3c104HalfEEvPKvPT_,"axG",@progbits,_ZL22dequantize_block_iq1_mIN3c104HalfEEvPKvPT_,comdat
.Lfunc_end37:
	.size	_ZL22dequantize_block_iq1_mIN3c104HalfEEvPKvPT_, .Lfunc_end37-_ZL22dequantize_block_iq1_mIN3c104HalfEEvPKvPT_
                                        ; -- End function
	.set _ZL22dequantize_block_iq1_mIN3c104HalfEEvPKvPT_.num_vgpr, 14
	.set _ZL22dequantize_block_iq1_mIN3c104HalfEEvPKvPT_.num_agpr, 0
	.set _ZL22dequantize_block_iq1_mIN3c104HalfEEvPKvPT_.numbered_sgpr, 8
	.set _ZL22dequantize_block_iq1_mIN3c104HalfEEvPKvPT_.num_named_barrier, 0
	.set _ZL22dequantize_block_iq1_mIN3c104HalfEEvPKvPT_.private_seg_size, 0
	.set _ZL22dequantize_block_iq1_mIN3c104HalfEEvPKvPT_.uses_vcc, 1
	.set _ZL22dequantize_block_iq1_mIN3c104HalfEEvPKvPT_.uses_flat_scratch, 0
	.set _ZL22dequantize_block_iq1_mIN3c104HalfEEvPKvPT_.has_dyn_sized_stack, 0
	.set _ZL22dequantize_block_iq1_mIN3c104HalfEEvPKvPT_.has_recursion, 0
	.set _ZL22dequantize_block_iq1_mIN3c104HalfEEvPKvPT_.has_indirect_call, 0
	.section	.AMDGPU.csdata,"",@progbits
; Kernel info:
; codeLenInByte = 736
; TotalNumSgprs: 10
; NumVgprs: 14
; ScratchSize: 0
; MemoryBound: 0
; FloatMode: 240
; IeeeMode: 1
; LDSByteSize: 0 bytes/workgroup (compile time only)
; SGPRBlocks: 0
; VGPRBlocks: 1
; NumSGPRsForWavesPerEU: 10
; NumVGPRsForWavesPerEU: 14
; Occupancy: 16
; WaveLimiterHint : 0
; COMPUTE_PGM_RSRC2:SCRATCH_EN: 0
; COMPUTE_PGM_RSRC2:USER_SGPR: 2
; COMPUTE_PGM_RSRC2:TRAP_HANDLER: 0
; COMPUTE_PGM_RSRC2:TGID_X_EN: 1
; COMPUTE_PGM_RSRC2:TGID_Y_EN: 0
; COMPUTE_PGM_RSRC2:TGID_Z_EN: 0
; COMPUTE_PGM_RSRC2:TIDIG_COMP_CNT: 0
	.section	.text._ZL16dequantize_blockILi32ELi2EXadL_ZL15dequantize_q4_0PKviiR7__half2EEN3c108BFloat16EEvS1_PT2_l,"axG",@progbits,_ZL16dequantize_blockILi32ELi2EXadL_ZL15dequantize_q4_0PKviiR7__half2EEN3c108BFloat16EEvS1_PT2_l,comdat
	.globl	_ZL16dequantize_blockILi32ELi2EXadL_ZL15dequantize_q4_0PKviiR7__half2EEN3c108BFloat16EEvS1_PT2_l ; -- Begin function _ZL16dequantize_blockILi32ELi2EXadL_ZL15dequantize_q4_0PKviiR7__half2EEN3c108BFloat16EEvS1_PT2_l
	.p2align	8
	.type	_ZL16dequantize_blockILi32ELi2EXadL_ZL15dequantize_q4_0PKviiR7__half2EEN3c108BFloat16EEvS1_PT2_l,@function
_ZL16dequantize_blockILi32ELi2EXadL_ZL15dequantize_q4_0PKviiR7__half2EEN3c108BFloat16EEvS1_PT2_l: ; @_ZL16dequantize_blockILi32ELi2EXadL_ZL15dequantize_q4_0PKviiR7__half2EEN3c108BFloat16EEvS1_PT2_l
; %bb.0:
	s_clause 0x1
	s_load_b32 s4, s[0:1], 0x24
	s_load_b64 s[2:3], s[0:1], 0x10
	v_mov_b32_e32 v1, 0
	s_wait_kmcnt 0x0
	s_and_b32 s4, s4, 0xffff
	s_delay_alu instid0(VALU_DEP_1) | instid1(SALU_CYCLE_1)
	v_mad_co_u64_u32 v[4:5], null, s4, ttmp9, v[0:1]
	s_delay_alu instid0(VALU_DEP_1) | instskip(NEXT) | instid1(VALU_DEP_1)
	v_lshlrev_b64_e32 v[2:3], 1, v[4:5]
	v_cmp_gt_i64_e32 vcc_lo, s[2:3], v[2:3]
	s_and_saveexec_b32 s2, vcc_lo
	s_cbranch_execz .LBB38_2
; %bb.1:
	s_load_b128 s[0:3], s[0:1], 0x0
	v_alignbit_b32 v0, v5, v4, 4
	v_and_b32_e32 v7, 15, v4
	s_wait_kmcnt 0x0
	s_delay_alu instid0(VALU_DEP_2) | instskip(NEXT) | instid1(VALU_DEP_1)
	v_mad_co_i64_i32 v[5:6], null, v0, 18, s[0:1]
	v_add_co_u32 v3, vcc_lo, v5, v7
	s_delay_alu instid0(VALU_DEP_1)
	v_add_co_ci_u32_e64 v4, null, 0, v6, vcc_lo
	s_clause 0x1
	global_load_u8 v0, v[3:4], off offset:2
	global_load_u16 v3, v[5:6], off
	s_wait_loadcnt 0x1
	v_and_b32_e32 v4, 15, v0
	v_lshrrev_b32_e32 v0, 4, v0
	s_wait_loadcnt 0x0
	v_lshl_or_b32 v3, v3, 16, v3
	s_delay_alu instid0(VALU_DEP_3) | instskip(NEXT) | instid1(VALU_DEP_3)
	v_cvt_f32_ubyte0_e32 v4, v4
	v_cvt_f32_ubyte0_e32 v0, v0
	s_delay_alu instid0(VALU_DEP_2) | instskip(NEXT) | instid1(VALU_DEP_2)
	v_cvt_f16_f32_e32 v4, v4
	v_cvt_f16_f32_e32 v0, v0
	s_delay_alu instid0(VALU_DEP_1) | instskip(NEXT) | instid1(VALU_DEP_1)
	v_pack_b32_f16 v0, v4, v0
	v_pk_add_f16 v0, 0xc800, v0 op_sel_hi:[0,1]
	s_delay_alu instid0(VALU_DEP_1) | instskip(SKIP_2) | instid1(VALU_DEP_3)
	v_pk_mul_f16 v3, v0, v3
	v_mov_b32_e32 v0, v1
	v_and_or_b32 v1, 0xffffffe0, v2, v7
	v_cvt_f32_f16_e32 v4, v3
	v_lshrrev_b32_e32 v5, 16, v3
	s_delay_alu instid0(VALU_DEP_3) | instskip(SKIP_1) | instid1(VALU_DEP_4)
	v_ashrrev_i64 v[0:1], 31, v[0:1]
	v_cmp_o_f16_e32 vcc_lo, v3, v3
	v_bfe_u32 v6, v4, 16, 1
	s_delay_alu instid0(VALU_DEP_4) | instskip(NEXT) | instid1(VALU_DEP_2)
	v_cvt_f32_f16_e32 v8, v5
	v_add3_u32 v4, v4, v6, 0x7fff
	s_delay_alu instid0(VALU_DEP_2) | instskip(NEXT) | instid1(VALU_DEP_2)
	v_bfe_u32 v6, v8, 16, 1
	v_lshrrev_b32_e32 v2, 16, v4
	s_delay_alu instid0(VALU_DEP_2) | instskip(SKIP_1) | instid1(VALU_DEP_2)
	v_add3_u32 v4, v8, v6, 0x7fff
	s_wait_alu 0xfffd
	v_cndmask_b32_e32 v2, 0x7fc0, v2, vcc_lo
	v_add_co_u32 v0, vcc_lo, s2, v0
	s_delay_alu instid0(VALU_DEP_3)
	v_lshrrev_b32_e32 v3, 16, v4
	s_wait_alu 0xfffd
	v_add_co_ci_u32_e64 v1, null, s3, v1, vcc_lo
	v_cmp_o_f16_e32 vcc_lo, v5, v5
	s_wait_alu 0xfffd
	v_cndmask_b32_e32 v3, 0x7fc0, v3, vcc_lo
	s_clause 0x1
	global_store_b16 v[0:1], v2, off
	global_store_b16 v[0:1], v3, off offset:32
.LBB38_2:
	s_endpgm
	.section	.rodata,"a",@progbits
	.p2align	6, 0x0
	.amdhsa_kernel _ZL16dequantize_blockILi32ELi2EXadL_ZL15dequantize_q4_0PKviiR7__half2EEN3c108BFloat16EEvS1_PT2_l
		.amdhsa_group_segment_fixed_size 0
		.amdhsa_private_segment_fixed_size 0
		.amdhsa_kernarg_size 280
		.amdhsa_user_sgpr_count 2
		.amdhsa_user_sgpr_dispatch_ptr 0
		.amdhsa_user_sgpr_queue_ptr 0
		.amdhsa_user_sgpr_kernarg_segment_ptr 1
		.amdhsa_user_sgpr_dispatch_id 0
		.amdhsa_user_sgpr_private_segment_size 0
		.amdhsa_wavefront_size32 1
		.amdhsa_uses_dynamic_stack 0
		.amdhsa_enable_private_segment 0
		.amdhsa_system_sgpr_workgroup_id_x 1
		.amdhsa_system_sgpr_workgroup_id_y 0
		.amdhsa_system_sgpr_workgroup_id_z 0
		.amdhsa_system_sgpr_workgroup_info 0
		.amdhsa_system_vgpr_workitem_id 0
		.amdhsa_next_free_vgpr 9
		.amdhsa_next_free_sgpr 5
		.amdhsa_reserve_vcc 1
		.amdhsa_float_round_mode_32 0
		.amdhsa_float_round_mode_16_64 0
		.amdhsa_float_denorm_mode_32 3
		.amdhsa_float_denorm_mode_16_64 3
		.amdhsa_fp16_overflow 0
		.amdhsa_workgroup_processor_mode 1
		.amdhsa_memory_ordered 1
		.amdhsa_forward_progress 1
		.amdhsa_inst_pref_size 4
		.amdhsa_round_robin_scheduling 0
		.amdhsa_exception_fp_ieee_invalid_op 0
		.amdhsa_exception_fp_denorm_src 0
		.amdhsa_exception_fp_ieee_div_zero 0
		.amdhsa_exception_fp_ieee_overflow 0
		.amdhsa_exception_fp_ieee_underflow 0
		.amdhsa_exception_fp_ieee_inexact 0
		.amdhsa_exception_int_div_zero 0
	.end_amdhsa_kernel
	.section	.text._ZL16dequantize_blockILi32ELi2EXadL_ZL15dequantize_q4_0PKviiR7__half2EEN3c108BFloat16EEvS1_PT2_l,"axG",@progbits,_ZL16dequantize_blockILi32ELi2EXadL_ZL15dequantize_q4_0PKviiR7__half2EEN3c108BFloat16EEvS1_PT2_l,comdat
.Lfunc_end38:
	.size	_ZL16dequantize_blockILi32ELi2EXadL_ZL15dequantize_q4_0PKviiR7__half2EEN3c108BFloat16EEvS1_PT2_l, .Lfunc_end38-_ZL16dequantize_blockILi32ELi2EXadL_ZL15dequantize_q4_0PKviiR7__half2EEN3c108BFloat16EEvS1_PT2_l
                                        ; -- End function
	.set _ZL16dequantize_blockILi32ELi2EXadL_ZL15dequantize_q4_0PKviiR7__half2EEN3c108BFloat16EEvS1_PT2_l.num_vgpr, 9
	.set _ZL16dequantize_blockILi32ELi2EXadL_ZL15dequantize_q4_0PKviiR7__half2EEN3c108BFloat16EEvS1_PT2_l.num_agpr, 0
	.set _ZL16dequantize_blockILi32ELi2EXadL_ZL15dequantize_q4_0PKviiR7__half2EEN3c108BFloat16EEvS1_PT2_l.numbered_sgpr, 5
	.set _ZL16dequantize_blockILi32ELi2EXadL_ZL15dequantize_q4_0PKviiR7__half2EEN3c108BFloat16EEvS1_PT2_l.num_named_barrier, 0
	.set _ZL16dequantize_blockILi32ELi2EXadL_ZL15dequantize_q4_0PKviiR7__half2EEN3c108BFloat16EEvS1_PT2_l.private_seg_size, 0
	.set _ZL16dequantize_blockILi32ELi2EXadL_ZL15dequantize_q4_0PKviiR7__half2EEN3c108BFloat16EEvS1_PT2_l.uses_vcc, 1
	.set _ZL16dequantize_blockILi32ELi2EXadL_ZL15dequantize_q4_0PKviiR7__half2EEN3c108BFloat16EEvS1_PT2_l.uses_flat_scratch, 0
	.set _ZL16dequantize_blockILi32ELi2EXadL_ZL15dequantize_q4_0PKviiR7__half2EEN3c108BFloat16EEvS1_PT2_l.has_dyn_sized_stack, 0
	.set _ZL16dequantize_blockILi32ELi2EXadL_ZL15dequantize_q4_0PKviiR7__half2EEN3c108BFloat16EEvS1_PT2_l.has_recursion, 0
	.set _ZL16dequantize_blockILi32ELi2EXadL_ZL15dequantize_q4_0PKviiR7__half2EEN3c108BFloat16EEvS1_PT2_l.has_indirect_call, 0
	.section	.AMDGPU.csdata,"",@progbits
; Kernel info:
; codeLenInByte = 424
; TotalNumSgprs: 7
; NumVgprs: 9
; ScratchSize: 0
; MemoryBound: 0
; FloatMode: 240
; IeeeMode: 1
; LDSByteSize: 0 bytes/workgroup (compile time only)
; SGPRBlocks: 0
; VGPRBlocks: 1
; NumSGPRsForWavesPerEU: 7
; NumVGPRsForWavesPerEU: 9
; Occupancy: 16
; WaveLimiterHint : 0
; COMPUTE_PGM_RSRC2:SCRATCH_EN: 0
; COMPUTE_PGM_RSRC2:USER_SGPR: 2
; COMPUTE_PGM_RSRC2:TRAP_HANDLER: 0
; COMPUTE_PGM_RSRC2:TGID_X_EN: 1
; COMPUTE_PGM_RSRC2:TGID_Y_EN: 0
; COMPUTE_PGM_RSRC2:TGID_Z_EN: 0
; COMPUTE_PGM_RSRC2:TIDIG_COMP_CNT: 0
	.section	.text._ZL16dequantize_blockILi32ELi2EXadL_ZL15dequantize_q4_1PKviiR7__half2EEN3c108BFloat16EEvS1_PT2_l,"axG",@progbits,_ZL16dequantize_blockILi32ELi2EXadL_ZL15dequantize_q4_1PKviiR7__half2EEN3c108BFloat16EEvS1_PT2_l,comdat
	.globl	_ZL16dequantize_blockILi32ELi2EXadL_ZL15dequantize_q4_1PKviiR7__half2EEN3c108BFloat16EEvS1_PT2_l ; -- Begin function _ZL16dequantize_blockILi32ELi2EXadL_ZL15dequantize_q4_1PKviiR7__half2EEN3c108BFloat16EEvS1_PT2_l
	.p2align	8
	.type	_ZL16dequantize_blockILi32ELi2EXadL_ZL15dequantize_q4_1PKviiR7__half2EEN3c108BFloat16EEvS1_PT2_l,@function
_ZL16dequantize_blockILi32ELi2EXadL_ZL15dequantize_q4_1PKviiR7__half2EEN3c108BFloat16EEvS1_PT2_l: ; @_ZL16dequantize_blockILi32ELi2EXadL_ZL15dequantize_q4_1PKviiR7__half2EEN3c108BFloat16EEvS1_PT2_l
; %bb.0:
	s_clause 0x1
	s_load_b32 s4, s[0:1], 0x24
	s_load_b64 s[2:3], s[0:1], 0x10
	v_mov_b32_e32 v1, 0
	s_wait_kmcnt 0x0
	s_and_b32 s4, s4, 0xffff
	s_delay_alu instid0(VALU_DEP_1) | instid1(SALU_CYCLE_1)
	v_mad_co_u64_u32 v[4:5], null, s4, ttmp9, v[0:1]
	s_delay_alu instid0(VALU_DEP_1) | instskip(NEXT) | instid1(VALU_DEP_1)
	v_lshlrev_b64_e32 v[2:3], 1, v[4:5]
	v_cmp_gt_i64_e32 vcc_lo, s[2:3], v[2:3]
	s_and_saveexec_b32 s2, vcc_lo
	s_cbranch_execz .LBB39_2
; %bb.1:
	s_load_b128 s[0:3], s[0:1], 0x0
	v_alignbit_b32 v0, v5, v4, 4
	v_and_b32_e32 v7, 15, v4
	s_wait_kmcnt 0x0
	s_delay_alu instid0(VALU_DEP_2) | instskip(NEXT) | instid1(VALU_DEP_1)
	v_mad_co_i64_i32 v[5:6], null, v0, 20, s[0:1]
	v_add_co_u32 v3, vcc_lo, v5, v7
	s_delay_alu instid0(VALU_DEP_1)
	v_add_co_ci_u32_e64 v4, null, 0, v6, vcc_lo
	s_clause 0x1
	global_load_u8 v0, v[3:4], off offset:4
	global_load_b32 v3, v[5:6], off
	s_wait_loadcnt 0x1
	v_and_b32_e32 v4, 15, v0
	v_lshrrev_b32_e32 v0, 4, v0
	s_wait_loadcnt 0x0
	v_lshrrev_b32_e32 v5, 16, v3
	v_and_b32_e32 v6, 0xffff, v3
	v_cvt_f32_ubyte0_e32 v4, v4
	v_cvt_f32_ubyte0_e32 v0, v0
	s_delay_alu instid0(VALU_DEP_4) | instskip(NEXT) | instid1(VALU_DEP_4)
	v_and_or_b32 v3, 0xffff0000, v3, v5
	v_mul_u32_u24_e32 v6, 0x10001, v6
	s_delay_alu instid0(VALU_DEP_4) | instskip(NEXT) | instid1(VALU_DEP_4)
	v_cvt_f16_f32_e32 v4, v4
	v_cvt_f16_f32_e32 v0, v0
	s_delay_alu instid0(VALU_DEP_1) | instskip(NEXT) | instid1(VALU_DEP_1)
	v_pack_b32_f16 v0, v4, v0
	v_pk_fma_f16 v3, v0, v6, v3
	v_mov_b32_e32 v0, v1
	v_and_or_b32 v1, 0xffffffe0, v2, v7
	s_delay_alu instid0(VALU_DEP_3) | instskip(SKIP_1) | instid1(VALU_DEP_3)
	v_cvt_f32_f16_e32 v4, v3
	v_lshrrev_b32_e32 v5, 16, v3
	v_ashrrev_i64 v[0:1], 31, v[0:1]
	v_cmp_o_f16_e32 vcc_lo, v3, v3
	s_delay_alu instid0(VALU_DEP_4) | instskip(NEXT) | instid1(VALU_DEP_4)
	v_bfe_u32 v6, v4, 16, 1
	v_cvt_f32_f16_e32 v8, v5
	s_delay_alu instid0(VALU_DEP_2) | instskip(NEXT) | instid1(VALU_DEP_2)
	v_add3_u32 v4, v4, v6, 0x7fff
	v_bfe_u32 v6, v8, 16, 1
	s_delay_alu instid0(VALU_DEP_2) | instskip(NEXT) | instid1(VALU_DEP_2)
	v_lshrrev_b32_e32 v2, 16, v4
	v_add3_u32 v4, v8, v6, 0x7fff
	s_wait_alu 0xfffd
	s_delay_alu instid0(VALU_DEP_2) | instskip(SKIP_1) | instid1(VALU_DEP_3)
	v_cndmask_b32_e32 v2, 0x7fc0, v2, vcc_lo
	v_add_co_u32 v0, vcc_lo, s2, v0
	v_lshrrev_b32_e32 v3, 16, v4
	s_wait_alu 0xfffd
	v_add_co_ci_u32_e64 v1, null, s3, v1, vcc_lo
	v_cmp_o_f16_e32 vcc_lo, v5, v5
	s_wait_alu 0xfffd
	v_cndmask_b32_e32 v3, 0x7fc0, v3, vcc_lo
	s_clause 0x1
	global_store_b16 v[0:1], v2, off
	global_store_b16 v[0:1], v3, off offset:32
.LBB39_2:
	s_endpgm
	.section	.rodata,"a",@progbits
	.p2align	6, 0x0
	.amdhsa_kernel _ZL16dequantize_blockILi32ELi2EXadL_ZL15dequantize_q4_1PKviiR7__half2EEN3c108BFloat16EEvS1_PT2_l
		.amdhsa_group_segment_fixed_size 0
		.amdhsa_private_segment_fixed_size 0
		.amdhsa_kernarg_size 280
		.amdhsa_user_sgpr_count 2
		.amdhsa_user_sgpr_dispatch_ptr 0
		.amdhsa_user_sgpr_queue_ptr 0
		.amdhsa_user_sgpr_kernarg_segment_ptr 1
		.amdhsa_user_sgpr_dispatch_id 0
		.amdhsa_user_sgpr_private_segment_size 0
		.amdhsa_wavefront_size32 1
		.amdhsa_uses_dynamic_stack 0
		.amdhsa_enable_private_segment 0
		.amdhsa_system_sgpr_workgroup_id_x 1
		.amdhsa_system_sgpr_workgroup_id_y 0
		.amdhsa_system_sgpr_workgroup_id_z 0
		.amdhsa_system_sgpr_workgroup_info 0
		.amdhsa_system_vgpr_workitem_id 0
		.amdhsa_next_free_vgpr 9
		.amdhsa_next_free_sgpr 5
		.amdhsa_reserve_vcc 1
		.amdhsa_float_round_mode_32 0
		.amdhsa_float_round_mode_16_64 0
		.amdhsa_float_denorm_mode_32 3
		.amdhsa_float_denorm_mode_16_64 3
		.amdhsa_fp16_overflow 0
		.amdhsa_workgroup_processor_mode 1
		.amdhsa_memory_ordered 1
		.amdhsa_forward_progress 1
		.amdhsa_inst_pref_size 4
		.amdhsa_round_robin_scheduling 0
		.amdhsa_exception_fp_ieee_invalid_op 0
		.amdhsa_exception_fp_denorm_src 0
		.amdhsa_exception_fp_ieee_div_zero 0
		.amdhsa_exception_fp_ieee_overflow 0
		.amdhsa_exception_fp_ieee_underflow 0
		.amdhsa_exception_fp_ieee_inexact 0
		.amdhsa_exception_int_div_zero 0
	.end_amdhsa_kernel
	.section	.text._ZL16dequantize_blockILi32ELi2EXadL_ZL15dequantize_q4_1PKviiR7__half2EEN3c108BFloat16EEvS1_PT2_l,"axG",@progbits,_ZL16dequantize_blockILi32ELi2EXadL_ZL15dequantize_q4_1PKviiR7__half2EEN3c108BFloat16EEvS1_PT2_l,comdat
.Lfunc_end39:
	.size	_ZL16dequantize_blockILi32ELi2EXadL_ZL15dequantize_q4_1PKviiR7__half2EEN3c108BFloat16EEvS1_PT2_l, .Lfunc_end39-_ZL16dequantize_blockILi32ELi2EXadL_ZL15dequantize_q4_1PKviiR7__half2EEN3c108BFloat16EEvS1_PT2_l
                                        ; -- End function
	.set _ZL16dequantize_blockILi32ELi2EXadL_ZL15dequantize_q4_1PKviiR7__half2EEN3c108BFloat16EEvS1_PT2_l.num_vgpr, 9
	.set _ZL16dequantize_blockILi32ELi2EXadL_ZL15dequantize_q4_1PKviiR7__half2EEN3c108BFloat16EEvS1_PT2_l.num_agpr, 0
	.set _ZL16dequantize_blockILi32ELi2EXadL_ZL15dequantize_q4_1PKviiR7__half2EEN3c108BFloat16EEvS1_PT2_l.numbered_sgpr, 5
	.set _ZL16dequantize_blockILi32ELi2EXadL_ZL15dequantize_q4_1PKviiR7__half2EEN3c108BFloat16EEvS1_PT2_l.num_named_barrier, 0
	.set _ZL16dequantize_blockILi32ELi2EXadL_ZL15dequantize_q4_1PKviiR7__half2EEN3c108BFloat16EEvS1_PT2_l.private_seg_size, 0
	.set _ZL16dequantize_blockILi32ELi2EXadL_ZL15dequantize_q4_1PKviiR7__half2EEN3c108BFloat16EEvS1_PT2_l.uses_vcc, 1
	.set _ZL16dequantize_blockILi32ELi2EXadL_ZL15dequantize_q4_1PKviiR7__half2EEN3c108BFloat16EEvS1_PT2_l.uses_flat_scratch, 0
	.set _ZL16dequantize_blockILi32ELi2EXadL_ZL15dequantize_q4_1PKviiR7__half2EEN3c108BFloat16EEvS1_PT2_l.has_dyn_sized_stack, 0
	.set _ZL16dequantize_blockILi32ELi2EXadL_ZL15dequantize_q4_1PKviiR7__half2EEN3c108BFloat16EEvS1_PT2_l.has_recursion, 0
	.set _ZL16dequantize_blockILi32ELi2EXadL_ZL15dequantize_q4_1PKviiR7__half2EEN3c108BFloat16EEvS1_PT2_l.has_indirect_call, 0
	.section	.AMDGPU.csdata,"",@progbits
; Kernel info:
; codeLenInByte = 432
; TotalNumSgprs: 7
; NumVgprs: 9
; ScratchSize: 0
; MemoryBound: 0
; FloatMode: 240
; IeeeMode: 1
; LDSByteSize: 0 bytes/workgroup (compile time only)
; SGPRBlocks: 0
; VGPRBlocks: 1
; NumSGPRsForWavesPerEU: 7
; NumVGPRsForWavesPerEU: 9
; Occupancy: 16
; WaveLimiterHint : 0
; COMPUTE_PGM_RSRC2:SCRATCH_EN: 0
; COMPUTE_PGM_RSRC2:USER_SGPR: 2
; COMPUTE_PGM_RSRC2:TRAP_HANDLER: 0
; COMPUTE_PGM_RSRC2:TGID_X_EN: 1
; COMPUTE_PGM_RSRC2:TGID_Y_EN: 0
; COMPUTE_PGM_RSRC2:TGID_Z_EN: 0
; COMPUTE_PGM_RSRC2:TIDIG_COMP_CNT: 0
	.section	.text._ZL16dequantize_blockILi32ELi2EXadL_ZL15dequantize_q5_0PKviiR7__half2EEN3c108BFloat16EEvS1_PT2_l,"axG",@progbits,_ZL16dequantize_blockILi32ELi2EXadL_ZL15dequantize_q5_0PKviiR7__half2EEN3c108BFloat16EEvS1_PT2_l,comdat
	.globl	_ZL16dequantize_blockILi32ELi2EXadL_ZL15dequantize_q5_0PKviiR7__half2EEN3c108BFloat16EEvS1_PT2_l ; -- Begin function _ZL16dequantize_blockILi32ELi2EXadL_ZL15dequantize_q5_0PKviiR7__half2EEN3c108BFloat16EEvS1_PT2_l
	.p2align	8
	.type	_ZL16dequantize_blockILi32ELi2EXadL_ZL15dequantize_q5_0PKviiR7__half2EEN3c108BFloat16EEvS1_PT2_l,@function
_ZL16dequantize_blockILi32ELi2EXadL_ZL15dequantize_q5_0PKviiR7__half2EEN3c108BFloat16EEvS1_PT2_l: ; @_ZL16dequantize_blockILi32ELi2EXadL_ZL15dequantize_q5_0PKviiR7__half2EEN3c108BFloat16EEvS1_PT2_l
; %bb.0:
	s_clause 0x1
	s_load_b32 s4, s[0:1], 0x24
	s_load_b64 s[2:3], s[0:1], 0x10
	v_mov_b32_e32 v1, 0
	s_wait_kmcnt 0x0
	s_and_b32 s4, s4, 0xffff
	s_delay_alu instid0(VALU_DEP_1) | instid1(SALU_CYCLE_1)
	v_mad_co_u64_u32 v[2:3], null, s4, ttmp9, v[0:1]
	s_delay_alu instid0(VALU_DEP_1) | instskip(NEXT) | instid1(VALU_DEP_1)
	v_lshlrev_b64_e32 v[0:1], 1, v[2:3]
	v_cmp_gt_i64_e32 vcc_lo, s[2:3], v[0:1]
	s_and_saveexec_b32 s2, vcc_lo
	s_cbranch_execz .LBB40_2
; %bb.1:
	s_load_b128 s[0:3], s[0:1], 0x0
	v_alignbit_b32 v1, v3, v2, 4
	v_and_b32_e32 v5, 15, v2
	s_wait_kmcnt 0x0
	s_delay_alu instid0(VALU_DEP_2) | instskip(SKIP_4) | instid1(VALU_DEP_1)
	v_mad_co_i64_i32 v[3:4], null, v1, 22, s[0:1]
	s_clause 0x1
	global_load_b32 v6, v[3:4], off
	global_load_u16 v7, v[3:4], off offset:4
	v_add_co_u32 v1, vcc_lo, v3, v5
	v_add_co_ci_u32_e64 v2, null, 0, v4, vcc_lo
	v_add_nc_u32_e32 v3, 12, v5
	global_load_u8 v1, v[1:2], off offset:6
	s_wait_loadcnt 0x1
	v_perm_b32 v2, v6, v7, 0x1000706
	s_delay_alu instid0(VALU_DEP_1)
	v_lshrrev_b32_e32 v4, v5, v2
	v_lshrrev_b32_e32 v2, v3, v2
	s_wait_loadcnt 0x0
	v_and_b32_e32 v3, 15, v1
	v_lshrrev_b16 v1, 4, v1
	v_lshlrev_b32_e32 v4, 4, v4
	s_delay_alu instid0(VALU_DEP_2) | instskip(NEXT) | instid1(VALU_DEP_2)
	v_and_or_b32 v1, v2, 16, v1
	v_and_or_b32 v2, v4, 16, v3
	v_and_b32_e32 v3, 0xffff, v6
	s_delay_alu instid0(VALU_DEP_3) | instskip(NEXT) | instid1(VALU_DEP_3)
	v_cvt_f32_ubyte0_e32 v1, v1
	v_cvt_f32_ubyte0_e32 v2, v2
	s_delay_alu instid0(VALU_DEP_2) | instskip(NEXT) | instid1(VALU_DEP_2)
	v_cvt_f16_f32_e32 v1, v1
	v_cvt_f16_f32_e32 v2, v2
	s_delay_alu instid0(VALU_DEP_1) | instskip(SKIP_1) | instid1(VALU_DEP_2)
	v_pack_b32_f16 v1, v2, v1
	v_lshl_or_b32 v2, v6, 16, v3
	v_pk_add_f16 v1, 0xcc00, v1 op_sel_hi:[0,1]
	s_delay_alu instid0(VALU_DEP_1) | instskip(NEXT) | instid1(VALU_DEP_1)
	v_pk_mul_f16 v2, v1, v2
	v_cvt_f32_f16_e32 v1, v2
	v_cmp_o_f16_e32 vcc_lo, v2, v2
	v_lshrrev_b32_e32 v3, 16, v2
	s_delay_alu instid0(VALU_DEP_3) | instskip(NEXT) | instid1(VALU_DEP_2)
	v_bfe_u32 v4, v1, 16, 1
	v_cvt_f32_f16_e32 v6, v3
	s_delay_alu instid0(VALU_DEP_2) | instskip(NEXT) | instid1(VALU_DEP_1)
	v_add3_u32 v4, v1, v4, 0x7fff
	v_lshrrev_b32_e32 v4, 16, v4
	s_wait_alu 0xfffd
	s_delay_alu instid0(VALU_DEP_1) | instskip(SKIP_2) | instid1(VALU_DEP_2)
	v_cndmask_b32_e32 v2, 0x7fc0, v4, vcc_lo
	v_and_or_b32 v0, 0xffffffe0, v0, v5
	v_bfe_u32 v5, v6, 16, 1
	v_ashrrev_i32_e32 v1, 31, v0
	s_delay_alu instid0(VALU_DEP_2) | instskip(NEXT) | instid1(VALU_DEP_2)
	v_add3_u32 v5, v6, v5, 0x7fff
	v_lshlrev_b64_e32 v[0:1], 1, v[0:1]
	s_delay_alu instid0(VALU_DEP_2) | instskip(NEXT) | instid1(VALU_DEP_2)
	v_lshrrev_b32_e32 v4, 16, v5
	v_add_co_u32 v0, vcc_lo, s2, v0
	s_wait_alu 0xfffd
	s_delay_alu instid0(VALU_DEP_3)
	v_add_co_ci_u32_e64 v1, null, s3, v1, vcc_lo
	v_cmp_o_f16_e32 vcc_lo, v3, v3
	s_wait_alu 0xfffd
	v_cndmask_b32_e32 v3, 0x7fc0, v4, vcc_lo
	s_clause 0x1
	global_store_b16 v[0:1], v2, off
	global_store_b16 v[0:1], v3, off offset:32
.LBB40_2:
	s_endpgm
	.section	.rodata,"a",@progbits
	.p2align	6, 0x0
	.amdhsa_kernel _ZL16dequantize_blockILi32ELi2EXadL_ZL15dequantize_q5_0PKviiR7__half2EEN3c108BFloat16EEvS1_PT2_l
		.amdhsa_group_segment_fixed_size 0
		.amdhsa_private_segment_fixed_size 0
		.amdhsa_kernarg_size 280
		.amdhsa_user_sgpr_count 2
		.amdhsa_user_sgpr_dispatch_ptr 0
		.amdhsa_user_sgpr_queue_ptr 0
		.amdhsa_user_sgpr_kernarg_segment_ptr 1
		.amdhsa_user_sgpr_dispatch_id 0
		.amdhsa_user_sgpr_private_segment_size 0
		.amdhsa_wavefront_size32 1
		.amdhsa_uses_dynamic_stack 0
		.amdhsa_enable_private_segment 0
		.amdhsa_system_sgpr_workgroup_id_x 1
		.amdhsa_system_sgpr_workgroup_id_y 0
		.amdhsa_system_sgpr_workgroup_id_z 0
		.amdhsa_system_sgpr_workgroup_info 0
		.amdhsa_system_vgpr_workitem_id 0
		.amdhsa_next_free_vgpr 8
		.amdhsa_next_free_sgpr 5
		.amdhsa_reserve_vcc 1
		.amdhsa_float_round_mode_32 0
		.amdhsa_float_round_mode_16_64 0
		.amdhsa_float_denorm_mode_32 3
		.amdhsa_float_denorm_mode_16_64 3
		.amdhsa_fp16_overflow 0
		.amdhsa_workgroup_processor_mode 1
		.amdhsa_memory_ordered 1
		.amdhsa_forward_progress 1
		.amdhsa_inst_pref_size 4
		.amdhsa_round_robin_scheduling 0
		.amdhsa_exception_fp_ieee_invalid_op 0
		.amdhsa_exception_fp_denorm_src 0
		.amdhsa_exception_fp_ieee_div_zero 0
		.amdhsa_exception_fp_ieee_overflow 0
		.amdhsa_exception_fp_ieee_underflow 0
		.amdhsa_exception_fp_ieee_inexact 0
		.amdhsa_exception_int_div_zero 0
	.end_amdhsa_kernel
	.section	.text._ZL16dequantize_blockILi32ELi2EXadL_ZL15dequantize_q5_0PKviiR7__half2EEN3c108BFloat16EEvS1_PT2_l,"axG",@progbits,_ZL16dequantize_blockILi32ELi2EXadL_ZL15dequantize_q5_0PKviiR7__half2EEN3c108BFloat16EEvS1_PT2_l,comdat
.Lfunc_end40:
	.size	_ZL16dequantize_blockILi32ELi2EXadL_ZL15dequantize_q5_0PKviiR7__half2EEN3c108BFloat16EEvS1_PT2_l, .Lfunc_end40-_ZL16dequantize_blockILi32ELi2EXadL_ZL15dequantize_q5_0PKviiR7__half2EEN3c108BFloat16EEvS1_PT2_l
                                        ; -- End function
	.set _ZL16dequantize_blockILi32ELi2EXadL_ZL15dequantize_q5_0PKviiR7__half2EEN3c108BFloat16EEvS1_PT2_l.num_vgpr, 8
	.set _ZL16dequantize_blockILi32ELi2EXadL_ZL15dequantize_q5_0PKviiR7__half2EEN3c108BFloat16EEvS1_PT2_l.num_agpr, 0
	.set _ZL16dequantize_blockILi32ELi2EXadL_ZL15dequantize_q5_0PKviiR7__half2EEN3c108BFloat16EEvS1_PT2_l.numbered_sgpr, 5
	.set _ZL16dequantize_blockILi32ELi2EXadL_ZL15dequantize_q5_0PKviiR7__half2EEN3c108BFloat16EEvS1_PT2_l.num_named_barrier, 0
	.set _ZL16dequantize_blockILi32ELi2EXadL_ZL15dequantize_q5_0PKviiR7__half2EEN3c108BFloat16EEvS1_PT2_l.private_seg_size, 0
	.set _ZL16dequantize_blockILi32ELi2EXadL_ZL15dequantize_q5_0PKviiR7__half2EEN3c108BFloat16EEvS1_PT2_l.uses_vcc, 1
	.set _ZL16dequantize_blockILi32ELi2EXadL_ZL15dequantize_q5_0PKviiR7__half2EEN3c108BFloat16EEvS1_PT2_l.uses_flat_scratch, 0
	.set _ZL16dequantize_blockILi32ELi2EXadL_ZL15dequantize_q5_0PKviiR7__half2EEN3c108BFloat16EEvS1_PT2_l.has_dyn_sized_stack, 0
	.set _ZL16dequantize_blockILi32ELi2EXadL_ZL15dequantize_q5_0PKviiR7__half2EEN3c108BFloat16EEvS1_PT2_l.has_recursion, 0
	.set _ZL16dequantize_blockILi32ELi2EXadL_ZL15dequantize_q5_0PKviiR7__half2EEN3c108BFloat16EEvS1_PT2_l.has_indirect_call, 0
	.section	.AMDGPU.csdata,"",@progbits
; Kernel info:
; codeLenInByte = 496
; TotalNumSgprs: 7
; NumVgprs: 8
; ScratchSize: 0
; MemoryBound: 0
; FloatMode: 240
; IeeeMode: 1
; LDSByteSize: 0 bytes/workgroup (compile time only)
; SGPRBlocks: 0
; VGPRBlocks: 0
; NumSGPRsForWavesPerEU: 7
; NumVGPRsForWavesPerEU: 8
; Occupancy: 16
; WaveLimiterHint : 0
; COMPUTE_PGM_RSRC2:SCRATCH_EN: 0
; COMPUTE_PGM_RSRC2:USER_SGPR: 2
; COMPUTE_PGM_RSRC2:TRAP_HANDLER: 0
; COMPUTE_PGM_RSRC2:TGID_X_EN: 1
; COMPUTE_PGM_RSRC2:TGID_Y_EN: 0
; COMPUTE_PGM_RSRC2:TGID_Z_EN: 0
; COMPUTE_PGM_RSRC2:TIDIG_COMP_CNT: 0
	.section	.text._ZL16dequantize_blockILi32ELi2EXadL_ZL15dequantize_q5_1PKviiR7__half2EEN3c108BFloat16EEvS1_PT2_l,"axG",@progbits,_ZL16dequantize_blockILi32ELi2EXadL_ZL15dequantize_q5_1PKviiR7__half2EEN3c108BFloat16EEvS1_PT2_l,comdat
	.globl	_ZL16dequantize_blockILi32ELi2EXadL_ZL15dequantize_q5_1PKviiR7__half2EEN3c108BFloat16EEvS1_PT2_l ; -- Begin function _ZL16dequantize_blockILi32ELi2EXadL_ZL15dequantize_q5_1PKviiR7__half2EEN3c108BFloat16EEvS1_PT2_l
	.p2align	8
	.type	_ZL16dequantize_blockILi32ELi2EXadL_ZL15dequantize_q5_1PKviiR7__half2EEN3c108BFloat16EEvS1_PT2_l,@function
_ZL16dequantize_blockILi32ELi2EXadL_ZL15dequantize_q5_1PKviiR7__half2EEN3c108BFloat16EEvS1_PT2_l: ; @_ZL16dequantize_blockILi32ELi2EXadL_ZL15dequantize_q5_1PKviiR7__half2EEN3c108BFloat16EEvS1_PT2_l
; %bb.0:
	s_clause 0x1
	s_load_b32 s4, s[0:1], 0x24
	s_load_b64 s[2:3], s[0:1], 0x10
	v_mov_b32_e32 v1, 0
	s_wait_kmcnt 0x0
	s_and_b32 s4, s4, 0xffff
	s_delay_alu instid0(VALU_DEP_1) | instid1(SALU_CYCLE_1)
	v_mad_co_u64_u32 v[2:3], null, s4, ttmp9, v[0:1]
	s_delay_alu instid0(VALU_DEP_1) | instskip(NEXT) | instid1(VALU_DEP_1)
	v_lshlrev_b64_e32 v[0:1], 1, v[2:3]
	v_cmp_gt_i64_e32 vcc_lo, s[2:3], v[0:1]
	s_and_saveexec_b32 s2, vcc_lo
	s_cbranch_execz .LBB41_2
; %bb.1:
	s_load_b128 s[0:3], s[0:1], 0x0
	v_alignbit_b32 v1, v3, v2, 4
	v_and_b32_e32 v5, 15, v2
	s_wait_kmcnt 0x0
	s_delay_alu instid0(VALU_DEP_2) | instskip(SKIP_2) | instid1(VALU_DEP_1)
	v_mad_co_i64_i32 v[3:4], null, v1, 24, s[0:1]
	global_load_b64 v[1:2], v[3:4], off
	v_add_co_u32 v3, vcc_lo, v3, v5
	v_add_co_ci_u32_e64 v4, null, 0, v4, vcc_lo
	global_load_u8 v3, v[3:4], off offset:8
	v_add_nc_u32_e32 v4, 12, v5
	s_wait_loadcnt 0x1
	v_lshrrev_b32_e32 v6, v5, v2
	s_delay_alu instid0(VALU_DEP_2) | instskip(NEXT) | instid1(VALU_DEP_2)
	v_lshrrev_b32_e32 v2, v4, v2
	v_lshlrev_b32_e32 v4, 4, v6
	s_wait_loadcnt 0x0
	v_and_b32_e32 v6, 15, v3
	v_lshrrev_b16 v3, 4, v3
	s_delay_alu instid0(VALU_DEP_2) | instskip(NEXT) | instid1(VALU_DEP_2)
	v_and_or_b32 v4, v4, 16, v6
	v_and_or_b32 v2, v2, 16, v3
	v_and_b32_e32 v6, 0xffff, v1
	s_delay_alu instid0(VALU_DEP_3) | instskip(NEXT) | instid1(VALU_DEP_3)
	v_cvt_f32_ubyte0_e32 v3, v4
	v_cvt_f32_ubyte0_e32 v2, v2
	v_lshrrev_b32_e32 v4, 16, v1
	s_delay_alu instid0(VALU_DEP_4) | instskip(NEXT) | instid1(VALU_DEP_4)
	v_mul_u32_u24_e32 v6, 0x10001, v6
	v_cvt_f16_f32_e32 v3, v3
	s_delay_alu instid0(VALU_DEP_4) | instskip(NEXT) | instid1(VALU_DEP_4)
	v_cvt_f16_f32_e32 v2, v2
	v_and_or_b32 v1, 0xffff0000, v1, v4
	s_delay_alu instid0(VALU_DEP_2) | instskip(NEXT) | instid1(VALU_DEP_1)
	v_pack_b32_f16 v2, v3, v2
	v_pk_fma_f16 v2, v2, v6, v1
	s_delay_alu instid0(VALU_DEP_1) | instskip(SKIP_2) | instid1(VALU_DEP_3)
	v_cvt_f32_f16_e32 v1, v2
	v_cmp_o_f16_e32 vcc_lo, v2, v2
	v_lshrrev_b32_e32 v3, 16, v2
	v_bfe_u32 v4, v1, 16, 1
	s_delay_alu instid0(VALU_DEP_2) | instskip(NEXT) | instid1(VALU_DEP_2)
	v_cvt_f32_f16_e32 v6, v3
	v_add3_u32 v4, v1, v4, 0x7fff
	s_delay_alu instid0(VALU_DEP_1) | instskip(SKIP_1) | instid1(VALU_DEP_1)
	v_lshrrev_b32_e32 v4, 16, v4
	s_wait_alu 0xfffd
	v_cndmask_b32_e32 v2, 0x7fc0, v4, vcc_lo
	v_and_or_b32 v0, 0xffffffe0, v0, v5
	v_bfe_u32 v5, v6, 16, 1
	s_delay_alu instid0(VALU_DEP_2) | instskip(NEXT) | instid1(VALU_DEP_2)
	v_ashrrev_i32_e32 v1, 31, v0
	v_add3_u32 v5, v6, v5, 0x7fff
	s_delay_alu instid0(VALU_DEP_2) | instskip(NEXT) | instid1(VALU_DEP_2)
	v_lshlrev_b64_e32 v[0:1], 1, v[0:1]
	v_lshrrev_b32_e32 v4, 16, v5
	s_delay_alu instid0(VALU_DEP_2) | instskip(SKIP_1) | instid1(VALU_DEP_3)
	v_add_co_u32 v0, vcc_lo, s2, v0
	s_wait_alu 0xfffd
	v_add_co_ci_u32_e64 v1, null, s3, v1, vcc_lo
	v_cmp_o_f16_e32 vcc_lo, v3, v3
	s_wait_alu 0xfffd
	v_cndmask_b32_e32 v3, 0x7fc0, v4, vcc_lo
	s_clause 0x1
	global_store_b16 v[0:1], v2, off
	global_store_b16 v[0:1], v3, off offset:32
.LBB41_2:
	s_endpgm
	.section	.rodata,"a",@progbits
	.p2align	6, 0x0
	.amdhsa_kernel _ZL16dequantize_blockILi32ELi2EXadL_ZL15dequantize_q5_1PKviiR7__half2EEN3c108BFloat16EEvS1_PT2_l
		.amdhsa_group_segment_fixed_size 0
		.amdhsa_private_segment_fixed_size 0
		.amdhsa_kernarg_size 280
		.amdhsa_user_sgpr_count 2
		.amdhsa_user_sgpr_dispatch_ptr 0
		.amdhsa_user_sgpr_queue_ptr 0
		.amdhsa_user_sgpr_kernarg_segment_ptr 1
		.amdhsa_user_sgpr_dispatch_id 0
		.amdhsa_user_sgpr_private_segment_size 0
		.amdhsa_wavefront_size32 1
		.amdhsa_uses_dynamic_stack 0
		.amdhsa_enable_private_segment 0
		.amdhsa_system_sgpr_workgroup_id_x 1
		.amdhsa_system_sgpr_workgroup_id_y 0
		.amdhsa_system_sgpr_workgroup_id_z 0
		.amdhsa_system_sgpr_workgroup_info 0
		.amdhsa_system_vgpr_workitem_id 0
		.amdhsa_next_free_vgpr 7
		.amdhsa_next_free_sgpr 5
		.amdhsa_reserve_vcc 1
		.amdhsa_float_round_mode_32 0
		.amdhsa_float_round_mode_16_64 0
		.amdhsa_float_denorm_mode_32 3
		.amdhsa_float_denorm_mode_16_64 3
		.amdhsa_fp16_overflow 0
		.amdhsa_workgroup_processor_mode 1
		.amdhsa_memory_ordered 1
		.amdhsa_forward_progress 1
		.amdhsa_inst_pref_size 4
		.amdhsa_round_robin_scheduling 0
		.amdhsa_exception_fp_ieee_invalid_op 0
		.amdhsa_exception_fp_denorm_src 0
		.amdhsa_exception_fp_ieee_div_zero 0
		.amdhsa_exception_fp_ieee_overflow 0
		.amdhsa_exception_fp_ieee_underflow 0
		.amdhsa_exception_fp_ieee_inexact 0
		.amdhsa_exception_int_div_zero 0
	.end_amdhsa_kernel
	.section	.text._ZL16dequantize_blockILi32ELi2EXadL_ZL15dequantize_q5_1PKviiR7__half2EEN3c108BFloat16EEvS1_PT2_l,"axG",@progbits,_ZL16dequantize_blockILi32ELi2EXadL_ZL15dequantize_q5_1PKviiR7__half2EEN3c108BFloat16EEvS1_PT2_l,comdat
.Lfunc_end41:
	.size	_ZL16dequantize_blockILi32ELi2EXadL_ZL15dequantize_q5_1PKviiR7__half2EEN3c108BFloat16EEvS1_PT2_l, .Lfunc_end41-_ZL16dequantize_blockILi32ELi2EXadL_ZL15dequantize_q5_1PKviiR7__half2EEN3c108BFloat16EEvS1_PT2_l
                                        ; -- End function
	.set _ZL16dequantize_blockILi32ELi2EXadL_ZL15dequantize_q5_1PKviiR7__half2EEN3c108BFloat16EEvS1_PT2_l.num_vgpr, 7
	.set _ZL16dequantize_blockILi32ELi2EXadL_ZL15dequantize_q5_1PKviiR7__half2EEN3c108BFloat16EEvS1_PT2_l.num_agpr, 0
	.set _ZL16dequantize_blockILi32ELi2EXadL_ZL15dequantize_q5_1PKviiR7__half2EEN3c108BFloat16EEvS1_PT2_l.numbered_sgpr, 5
	.set _ZL16dequantize_blockILi32ELi2EXadL_ZL15dequantize_q5_1PKviiR7__half2EEN3c108BFloat16EEvS1_PT2_l.num_named_barrier, 0
	.set _ZL16dequantize_blockILi32ELi2EXadL_ZL15dequantize_q5_1PKviiR7__half2EEN3c108BFloat16EEvS1_PT2_l.private_seg_size, 0
	.set _ZL16dequantize_blockILi32ELi2EXadL_ZL15dequantize_q5_1PKviiR7__half2EEN3c108BFloat16EEvS1_PT2_l.uses_vcc, 1
	.set _ZL16dequantize_blockILi32ELi2EXadL_ZL15dequantize_q5_1PKviiR7__half2EEN3c108BFloat16EEvS1_PT2_l.uses_flat_scratch, 0
	.set _ZL16dequantize_blockILi32ELi2EXadL_ZL15dequantize_q5_1PKviiR7__half2EEN3c108BFloat16EEvS1_PT2_l.has_dyn_sized_stack, 0
	.set _ZL16dequantize_blockILi32ELi2EXadL_ZL15dequantize_q5_1PKviiR7__half2EEN3c108BFloat16EEvS1_PT2_l.has_recursion, 0
	.set _ZL16dequantize_blockILi32ELi2EXadL_ZL15dequantize_q5_1PKviiR7__half2EEN3c108BFloat16EEvS1_PT2_l.has_indirect_call, 0
	.section	.AMDGPU.csdata,"",@progbits
; Kernel info:
; codeLenInByte = 472
; TotalNumSgprs: 7
; NumVgprs: 7
; ScratchSize: 0
; MemoryBound: 0
; FloatMode: 240
; IeeeMode: 1
; LDSByteSize: 0 bytes/workgroup (compile time only)
; SGPRBlocks: 0
; VGPRBlocks: 0
; NumSGPRsForWavesPerEU: 7
; NumVGPRsForWavesPerEU: 7
; Occupancy: 16
; WaveLimiterHint : 0
; COMPUTE_PGM_RSRC2:SCRATCH_EN: 0
; COMPUTE_PGM_RSRC2:USER_SGPR: 2
; COMPUTE_PGM_RSRC2:TRAP_HANDLER: 0
; COMPUTE_PGM_RSRC2:TGID_X_EN: 1
; COMPUTE_PGM_RSRC2:TGID_Y_EN: 0
; COMPUTE_PGM_RSRC2:TGID_Z_EN: 0
; COMPUTE_PGM_RSRC2:TIDIG_COMP_CNT: 0
	.section	.text._ZL16dequantize_blockILi32ELi1EXadL_ZL15dequantize_q8_0PKviiR7__half2EEN3c108BFloat16EEvS1_PT2_l,"axG",@progbits,_ZL16dequantize_blockILi32ELi1EXadL_ZL15dequantize_q8_0PKviiR7__half2EEN3c108BFloat16EEvS1_PT2_l,comdat
	.globl	_ZL16dequantize_blockILi32ELi1EXadL_ZL15dequantize_q8_0PKviiR7__half2EEN3c108BFloat16EEvS1_PT2_l ; -- Begin function _ZL16dequantize_blockILi32ELi1EXadL_ZL15dequantize_q8_0PKviiR7__half2EEN3c108BFloat16EEvS1_PT2_l
	.p2align	8
	.type	_ZL16dequantize_blockILi32ELi1EXadL_ZL15dequantize_q8_0PKviiR7__half2EEN3c108BFloat16EEvS1_PT2_l,@function
_ZL16dequantize_blockILi32ELi1EXadL_ZL15dequantize_q8_0PKviiR7__half2EEN3c108BFloat16EEvS1_PT2_l: ; @_ZL16dequantize_blockILi32ELi1EXadL_ZL15dequantize_q8_0PKviiR7__half2EEN3c108BFloat16EEvS1_PT2_l
; %bb.0:
	s_clause 0x1
	s_load_b32 s4, s[0:1], 0x24
	s_load_b64 s[2:3], s[0:1], 0x10
	v_mov_b32_e32 v1, 0
	s_wait_kmcnt 0x0
	s_and_b32 s4, s4, 0xffff
	s_delay_alu instid0(VALU_DEP_1) | instid1(SALU_CYCLE_1)
	v_mad_co_u64_u32 v[2:3], null, s4, ttmp9, v[0:1]
	s_delay_alu instid0(VALU_DEP_1) | instskip(NEXT) | instid1(VALU_DEP_1)
	v_lshlrev_b64_e32 v[4:5], 1, v[2:3]
	v_cmp_gt_i64_e32 vcc_lo, s[2:3], v[4:5]
	s_and_saveexec_b32 s2, vcc_lo
	s_cbranch_execz .LBB42_2
; %bb.1:
	s_load_b128 s[0:3], s[0:1], 0x0
	v_alignbit_b32 v0, v3, v2, 4
	v_lshlrev_b32_e32 v2, 1, v2
	s_wait_kmcnt 0x0
	s_delay_alu instid0(VALU_DEP_2) | instskip(SKIP_1) | instid1(VALU_DEP_1)
	v_mad_co_i64_i32 v[5:6], null, v0, 34, s[0:1]
	v_and_b32_e32 v0, 30, v4
	v_add_co_u32 v3, vcc_lo, v5, v0
	s_delay_alu instid0(VALU_DEP_1)
	v_add_co_ci_u32_e64 v4, null, 0, v6, vcc_lo
	s_clause 0x1
	global_load_u16 v0, v[3:4], off offset:2
	global_load_u16 v3, v[5:6], off
	s_wait_loadcnt 0x1
	v_ashrrev_i16 v4, 8, v0
	v_bfe_i32 v0, v0, 0, 8
	s_wait_loadcnt 0x0
	v_lshl_or_b32 v3, v3, 16, v3
	s_delay_alu instid0(VALU_DEP_3) | instskip(NEXT) | instid1(VALU_DEP_3)
	v_cvt_f16_i16_e32 v4, v4
	v_cvt_f16_i16_e32 v0, v0
	s_delay_alu instid0(VALU_DEP_1) | instskip(NEXT) | instid1(VALU_DEP_1)
	v_pack_b32_f16 v0, v0, v4
	v_pk_mul_f16 v3, v0, v3
	s_delay_alu instid0(VALU_DEP_1) | instskip(SKIP_2) | instid1(VALU_DEP_3)
	v_cvt_f32_f16_e32 v0, v3
	v_lshrrev_b32_e32 v4, 16, v3
	v_cmp_o_f16_e32 vcc_lo, v3, v3
	v_lshrrev_b32_e32 v6, 16, v0
	s_delay_alu instid0(VALU_DEP_3) | instskip(NEXT) | instid1(VALU_DEP_2)
	v_cvt_f32_f16_e32 v5, v4
	v_and_b32_e32 v6, 1, v6
	s_delay_alu instid0(VALU_DEP_2) | instskip(NEXT) | instid1(VALU_DEP_2)
	v_lshrrev_b32_e32 v7, 16, v5
	v_add3_u32 v0, v0, v6, 0x7fff
	s_delay_alu instid0(VALU_DEP_1) | instskip(NEXT) | instid1(VALU_DEP_3)
	v_lshrrev_b32_e32 v6, 16, v0
	v_and_b32_e32 v7, 1, v7
	v_ashrrev_i64 v[0:1], 31, v[1:2]
	s_wait_alu 0xfffd
	s_delay_alu instid0(VALU_DEP_3) | instskip(NEXT) | instid1(VALU_DEP_3)
	v_cndmask_b32_e32 v2, 0x7fc0, v6, vcc_lo
	v_add3_u32 v5, v5, v7, 0x7fff
	v_cmp_o_f16_e32 vcc_lo, v4, v4
	s_delay_alu instid0(VALU_DEP_2) | instskip(SKIP_1) | instid1(VALU_DEP_1)
	v_lshrrev_b32_e32 v5, 16, v5
	s_wait_alu 0xfffd
	v_cndmask_b32_e32 v3, 0x7fc0, v5, vcc_lo
	v_add_co_u32 v0, vcc_lo, s2, v0
	s_wait_alu 0xfffd
	v_add_co_ci_u32_e64 v1, null, s3, v1, vcc_lo
	s_delay_alu instid0(VALU_DEP_3)
	v_perm_b32 v2, v3, v2, 0x5040100
	global_store_b32 v[0:1], v2, off
.LBB42_2:
	s_endpgm
	.section	.rodata,"a",@progbits
	.p2align	6, 0x0
	.amdhsa_kernel _ZL16dequantize_blockILi32ELi1EXadL_ZL15dequantize_q8_0PKviiR7__half2EEN3c108BFloat16EEvS1_PT2_l
		.amdhsa_group_segment_fixed_size 0
		.amdhsa_private_segment_fixed_size 0
		.amdhsa_kernarg_size 280
		.amdhsa_user_sgpr_count 2
		.amdhsa_user_sgpr_dispatch_ptr 0
		.amdhsa_user_sgpr_queue_ptr 0
		.amdhsa_user_sgpr_kernarg_segment_ptr 1
		.amdhsa_user_sgpr_dispatch_id 0
		.amdhsa_user_sgpr_private_segment_size 0
		.amdhsa_wavefront_size32 1
		.amdhsa_uses_dynamic_stack 0
		.amdhsa_enable_private_segment 0
		.amdhsa_system_sgpr_workgroup_id_x 1
		.amdhsa_system_sgpr_workgroup_id_y 0
		.amdhsa_system_sgpr_workgroup_id_z 0
		.amdhsa_system_sgpr_workgroup_info 0
		.amdhsa_system_vgpr_workitem_id 0
		.amdhsa_next_free_vgpr 8
		.amdhsa_next_free_sgpr 5
		.amdhsa_reserve_vcc 1
		.amdhsa_float_round_mode_32 0
		.amdhsa_float_round_mode_16_64 0
		.amdhsa_float_denorm_mode_32 3
		.amdhsa_float_denorm_mode_16_64 3
		.amdhsa_fp16_overflow 0
		.amdhsa_workgroup_processor_mode 1
		.amdhsa_memory_ordered 1
		.amdhsa_forward_progress 1
		.amdhsa_inst_pref_size 4
		.amdhsa_round_robin_scheduling 0
		.amdhsa_exception_fp_ieee_invalid_op 0
		.amdhsa_exception_fp_denorm_src 0
		.amdhsa_exception_fp_ieee_div_zero 0
		.amdhsa_exception_fp_ieee_overflow 0
		.amdhsa_exception_fp_ieee_underflow 0
		.amdhsa_exception_fp_ieee_inexact 0
		.amdhsa_exception_int_div_zero 0
	.end_amdhsa_kernel
	.section	.text._ZL16dequantize_blockILi32ELi1EXadL_ZL15dequantize_q8_0PKviiR7__half2EEN3c108BFloat16EEvS1_PT2_l,"axG",@progbits,_ZL16dequantize_blockILi32ELi1EXadL_ZL15dequantize_q8_0PKviiR7__half2EEN3c108BFloat16EEvS1_PT2_l,comdat
.Lfunc_end42:
	.size	_ZL16dequantize_blockILi32ELi1EXadL_ZL15dequantize_q8_0PKviiR7__half2EEN3c108BFloat16EEvS1_PT2_l, .Lfunc_end42-_ZL16dequantize_blockILi32ELi1EXadL_ZL15dequantize_q8_0PKviiR7__half2EEN3c108BFloat16EEvS1_PT2_l
                                        ; -- End function
	.set _ZL16dequantize_blockILi32ELi1EXadL_ZL15dequantize_q8_0PKviiR7__half2EEN3c108BFloat16EEvS1_PT2_l.num_vgpr, 8
	.set _ZL16dequantize_blockILi32ELi1EXadL_ZL15dequantize_q8_0PKviiR7__half2EEN3c108BFloat16EEvS1_PT2_l.num_agpr, 0
	.set _ZL16dequantize_blockILi32ELi1EXadL_ZL15dequantize_q8_0PKviiR7__half2EEN3c108BFloat16EEvS1_PT2_l.numbered_sgpr, 5
	.set _ZL16dequantize_blockILi32ELi1EXadL_ZL15dequantize_q8_0PKviiR7__half2EEN3c108BFloat16EEvS1_PT2_l.num_named_barrier, 0
	.set _ZL16dequantize_blockILi32ELi1EXadL_ZL15dequantize_q8_0PKviiR7__half2EEN3c108BFloat16EEvS1_PT2_l.private_seg_size, 0
	.set _ZL16dequantize_blockILi32ELi1EXadL_ZL15dequantize_q8_0PKviiR7__half2EEN3c108BFloat16EEvS1_PT2_l.uses_vcc, 1
	.set _ZL16dequantize_blockILi32ELi1EXadL_ZL15dequantize_q8_0PKviiR7__half2EEN3c108BFloat16EEvS1_PT2_l.uses_flat_scratch, 0
	.set _ZL16dequantize_blockILi32ELi1EXadL_ZL15dequantize_q8_0PKviiR7__half2EEN3c108BFloat16EEvS1_PT2_l.has_dyn_sized_stack, 0
	.set _ZL16dequantize_blockILi32ELi1EXadL_ZL15dequantize_q8_0PKviiR7__half2EEN3c108BFloat16EEvS1_PT2_l.has_recursion, 0
	.set _ZL16dequantize_blockILi32ELi1EXadL_ZL15dequantize_q8_0PKviiR7__half2EEN3c108BFloat16EEvS1_PT2_l.has_indirect_call, 0
	.section	.AMDGPU.csdata,"",@progbits
; Kernel info:
; codeLenInByte = 396
; TotalNumSgprs: 7
; NumVgprs: 8
; ScratchSize: 0
; MemoryBound: 0
; FloatMode: 240
; IeeeMode: 1
; LDSByteSize: 0 bytes/workgroup (compile time only)
; SGPRBlocks: 0
; VGPRBlocks: 0
; NumSGPRsForWavesPerEU: 7
; NumVGPRsForWavesPerEU: 8
; Occupancy: 16
; WaveLimiterHint : 0
; COMPUTE_PGM_RSRC2:SCRATCH_EN: 0
; COMPUTE_PGM_RSRC2:USER_SGPR: 2
; COMPUTE_PGM_RSRC2:TRAP_HANDLER: 0
; COMPUTE_PGM_RSRC2:TGID_X_EN: 1
; COMPUTE_PGM_RSRC2:TGID_Y_EN: 0
; COMPUTE_PGM_RSRC2:TGID_Z_EN: 0
; COMPUTE_PGM_RSRC2:TIDIG_COMP_CNT: 0
	.section	.text._ZL21dequantize_block_q2_KIN3c108BFloat16EEvPKvPT_,"axG",@progbits,_ZL21dequantize_block_q2_KIN3c108BFloat16EEvPKvPT_,comdat
	.globl	_ZL21dequantize_block_q2_KIN3c108BFloat16EEvPKvPT_ ; -- Begin function _ZL21dequantize_block_q2_KIN3c108BFloat16EEvPKvPT_
	.p2align	8
	.type	_ZL21dequantize_block_q2_KIN3c108BFloat16EEvPKvPT_,@function
_ZL21dequantize_block_q2_KIN3c108BFloat16EEvPKvPT_: ; @_ZL21dequantize_block_q2_KIN3c108BFloat16EEvPKvPT_
; %bb.0:
	s_load_b128 s[0:3], s[0:1], 0x0
	v_lshrrev_b32_e32 v1, 5, v0
	v_bfe_u32 v2, v0, 4, 1
	s_mov_b32 s4, ttmp9
	s_mov_b32 s5, 0
	s_delay_alu instid0(SALU_CYCLE_1) | instskip(NEXT) | instid1(VALU_DEP_1)
	s_mul_u64 s[6:7], s[4:5], 0x54
	v_lshl_or_b32 v2, v1, 3, v2
	s_lshl_b32 s4, ttmp9, 8
	v_lshlrev_b32_e32 v1, 8, v1
	s_wait_kmcnt 0x0
	s_add_nc_u64 s[0:1], s[0:1], s[6:7]
	s_clause 0x4
	global_load_u8 v3, v2, s[0:1]
	global_load_u8 v4, v0, s[0:1] offset:16
	global_load_u8 v5, v2, s[0:1] offset:2
	global_load_u8 v6, v2, s[0:1] offset:4
	global_load_u8 v2, v2, s[0:1] offset:6
	s_load_b32 s6, s[0:1], 0x50
	s_lshl_b64 s[0:1], s[4:5], 1
	v_and_b32_e32 v0, 31, v0
	s_add_nc_u64 s[0:1], s[2:3], s[0:1]
	s_delay_alu instid0(SALU_CYCLE_1) | instskip(NEXT) | instid1(VALU_DEP_2)
	v_add_co_u32 v1, s0, s0, v1
	v_lshlrev_b32_e32 v0, 1, v0
	s_wait_alu 0xf1ff
	v_add_co_ci_u32_e64 v14, null, s1, 0, s0
	s_delay_alu instid0(VALU_DEP_2) | instskip(NEXT) | instid1(VALU_DEP_1)
	v_add_co_u32 v0, vcc_lo, v1, v0
	v_add_co_ci_u32_e64 v1, null, 0, v14, vcc_lo
	s_wait_kmcnt 0x0
	s_lshr_b32 s4, s6, 16
	s_wait_loadcnt 0x4
	v_and_b32_e32 v7, 15, v3
	s_wait_loadcnt 0x3
	v_and_b32_e32 v8, 3, v4
	;; [unrolled: 2-line block ×3, first 2 shown]
	v_lshrrev_b16 v3, 4, v3
	s_wait_loadcnt 0x0
	v_and_b32_e32 v13, 15, v2
	v_and_b32_e32 v7, 0xffff, v7
	v_bfe_u32 v10, v4, 2, 2
	v_and_b32_e32 v11, 15, v6
	v_bfe_u32 v12, v4, 4, 2
	v_lshrrev_b32_e32 v4, 6, v4
	v_and_b32_e32 v9, 0xffff, v9
	v_and_b32_e32 v13, 0xffff, v13
	v_mul_u32_u24_e32 v7, v8, v7
	v_lshrrev_b16 v5, 4, v5
	v_lshrrev_b16 v2, 4, v2
	v_cvt_f16_u16_e32 v3, v3
	v_and_b32_e32 v11, 0xffff, v11
	v_mul_u32_u24_e32 v8, v10, v9
	v_mul_u32_u24_e32 v4, v4, v13
	v_cvt_f32_ubyte0_e32 v7, v7
	v_lshrrev_b16 v6, 4, v6
	v_cvt_f16_u16_e32 v5, v5
	v_cvt_f16_u16_e32 v2, v2
	v_mul_f16_e32 v3, s4, v3
	v_mul_u32_u24_e32 v9, v12, v11
	v_cvt_f32_ubyte0_e32 v8, v8
	v_cvt_f32_ubyte0_e32 v4, v4
	v_cvt_f16_f32_e32 v7, v7
	v_cvt_f16_u16_e32 v6, v6
	v_mul_f16_e32 v5, s4, v5
	v_cvt_f32_ubyte0_e32 v9, v9
	v_mul_f16_e32 v2, s4, v2
	v_cvt_f16_f32_e32 v8, v8
	v_cvt_f16_f32_e32 v4, v4
	v_fma_f16 v3, s6, v7, -v3
	v_mul_f16_e32 v6, s4, v6
	v_cvt_f16_f32_e32 v9, v9
	v_fma_f16 v5, s6, v8, -v5
	v_fma_f16 v2, s6, v4, -v2
	v_cvt_f32_f16_e32 v4, v3
	v_cmp_o_f16_e32 vcc_lo, v3, v3
	v_fma_f16 v6, s6, v9, -v6
	v_cvt_f32_f16_e32 v7, v5
	v_cvt_f32_f16_e32 v9, v2
	v_bfe_u32 v10, v4, 16, 1
	s_delay_alu instid0(VALU_DEP_4) | instskip(NEXT) | instid1(VALU_DEP_4)
	v_cvt_f32_f16_e32 v8, v6
	v_bfe_u32 v11, v7, 16, 1
	s_delay_alu instid0(VALU_DEP_4) | instskip(NEXT) | instid1(VALU_DEP_4)
	v_bfe_u32 v13, v9, 16, 1
	v_add3_u32 v4, v4, v10, 0x7fff
	s_delay_alu instid0(VALU_DEP_4) | instskip(NEXT) | instid1(VALU_DEP_4)
	v_bfe_u32 v12, v8, 16, 1
	v_add3_u32 v7, v7, v11, 0x7fff
	s_delay_alu instid0(VALU_DEP_4) | instskip(NEXT) | instid1(VALU_DEP_4)
	v_add3_u32 v9, v9, v13, 0x7fff
	v_lshrrev_b32_e32 v4, 16, v4
	s_delay_alu instid0(VALU_DEP_4) | instskip(NEXT) | instid1(VALU_DEP_4)
	v_add3_u32 v8, v8, v12, 0x7fff
	v_lshrrev_b32_e32 v7, 16, v7
	s_delay_alu instid0(VALU_DEP_4)
	v_lshrrev_b32_e32 v9, 16, v9
	s_wait_alu 0xfffd
	v_cndmask_b32_e32 v3, 0x7fc0, v4, vcc_lo
	v_cmp_o_f16_e32 vcc_lo, v5, v5
	v_lshrrev_b32_e32 v8, 16, v8
	s_wait_alu 0xfffd
	v_cndmask_b32_e32 v4, 0x7fc0, v7, vcc_lo
	v_cmp_o_f16_e32 vcc_lo, v6, v6
	s_wait_alu 0xfffd
	v_cndmask_b32_e32 v5, 0x7fc0, v8, vcc_lo
	v_cmp_o_f16_e32 vcc_lo, v2, v2
	s_wait_alu 0xfffd
	v_cndmask_b32_e32 v2, 0x7fc0, v9, vcc_lo
	s_clause 0x3
	global_store_b16 v[0:1], v3, off
	global_store_b16 v[0:1], v4, off offset:64
	global_store_b16 v[0:1], v5, off offset:128
	;; [unrolled: 1-line block ×3, first 2 shown]
	s_endpgm
	.section	.rodata,"a",@progbits
	.p2align	6, 0x0
	.amdhsa_kernel _ZL21dequantize_block_q2_KIN3c108BFloat16EEvPKvPT_
		.amdhsa_group_segment_fixed_size 0
		.amdhsa_private_segment_fixed_size 0
		.amdhsa_kernarg_size 16
		.amdhsa_user_sgpr_count 2
		.amdhsa_user_sgpr_dispatch_ptr 0
		.amdhsa_user_sgpr_queue_ptr 0
		.amdhsa_user_sgpr_kernarg_segment_ptr 1
		.amdhsa_user_sgpr_dispatch_id 0
		.amdhsa_user_sgpr_private_segment_size 0
		.amdhsa_wavefront_size32 1
		.amdhsa_uses_dynamic_stack 0
		.amdhsa_enable_private_segment 0
		.amdhsa_system_sgpr_workgroup_id_x 1
		.amdhsa_system_sgpr_workgroup_id_y 0
		.amdhsa_system_sgpr_workgroup_id_z 0
		.amdhsa_system_sgpr_workgroup_info 0
		.amdhsa_system_vgpr_workitem_id 0
		.amdhsa_next_free_vgpr 15
		.amdhsa_next_free_sgpr 8
		.amdhsa_reserve_vcc 1
		.amdhsa_float_round_mode_32 0
		.amdhsa_float_round_mode_16_64 0
		.amdhsa_float_denorm_mode_32 3
		.amdhsa_float_denorm_mode_16_64 3
		.amdhsa_fp16_overflow 0
		.amdhsa_workgroup_processor_mode 1
		.amdhsa_memory_ordered 1
		.amdhsa_forward_progress 1
		.amdhsa_inst_pref_size 6
		.amdhsa_round_robin_scheduling 0
		.amdhsa_exception_fp_ieee_invalid_op 0
		.amdhsa_exception_fp_denorm_src 0
		.amdhsa_exception_fp_ieee_div_zero 0
		.amdhsa_exception_fp_ieee_overflow 0
		.amdhsa_exception_fp_ieee_underflow 0
		.amdhsa_exception_fp_ieee_inexact 0
		.amdhsa_exception_int_div_zero 0
	.end_amdhsa_kernel
	.section	.text._ZL21dequantize_block_q2_KIN3c108BFloat16EEvPKvPT_,"axG",@progbits,_ZL21dequantize_block_q2_KIN3c108BFloat16EEvPKvPT_,comdat
.Lfunc_end43:
	.size	_ZL21dequantize_block_q2_KIN3c108BFloat16EEvPKvPT_, .Lfunc_end43-_ZL21dequantize_block_q2_KIN3c108BFloat16EEvPKvPT_
                                        ; -- End function
	.set _ZL21dequantize_block_q2_KIN3c108BFloat16EEvPKvPT_.num_vgpr, 15
	.set _ZL21dequantize_block_q2_KIN3c108BFloat16EEvPKvPT_.num_agpr, 0
	.set _ZL21dequantize_block_q2_KIN3c108BFloat16EEvPKvPT_.numbered_sgpr, 8
	.set _ZL21dequantize_block_q2_KIN3c108BFloat16EEvPKvPT_.num_named_barrier, 0
	.set _ZL21dequantize_block_q2_KIN3c108BFloat16EEvPKvPT_.private_seg_size, 0
	.set _ZL21dequantize_block_q2_KIN3c108BFloat16EEvPKvPT_.uses_vcc, 1
	.set _ZL21dequantize_block_q2_KIN3c108BFloat16EEvPKvPT_.uses_flat_scratch, 0
	.set _ZL21dequantize_block_q2_KIN3c108BFloat16EEvPKvPT_.has_dyn_sized_stack, 0
	.set _ZL21dequantize_block_q2_KIN3c108BFloat16EEvPKvPT_.has_recursion, 0
	.set _ZL21dequantize_block_q2_KIN3c108BFloat16EEvPKvPT_.has_indirect_call, 0
	.section	.AMDGPU.csdata,"",@progbits
; Kernel info:
; codeLenInByte = 692
; TotalNumSgprs: 10
; NumVgprs: 15
; ScratchSize: 0
; MemoryBound: 0
; FloatMode: 240
; IeeeMode: 1
; LDSByteSize: 0 bytes/workgroup (compile time only)
; SGPRBlocks: 0
; VGPRBlocks: 1
; NumSGPRsForWavesPerEU: 10
; NumVGPRsForWavesPerEU: 15
; Occupancy: 16
; WaveLimiterHint : 0
; COMPUTE_PGM_RSRC2:SCRATCH_EN: 0
; COMPUTE_PGM_RSRC2:USER_SGPR: 2
; COMPUTE_PGM_RSRC2:TRAP_HANDLER: 0
; COMPUTE_PGM_RSRC2:TGID_X_EN: 1
; COMPUTE_PGM_RSRC2:TGID_Y_EN: 0
; COMPUTE_PGM_RSRC2:TGID_Z_EN: 0
; COMPUTE_PGM_RSRC2:TIDIG_COMP_CNT: 0
	.section	.text._ZL21dequantize_block_q3_KIN3c108BFloat16EEvPKvPT_,"axG",@progbits,_ZL21dequantize_block_q3_KIN3c108BFloat16EEvPKvPT_,comdat
	.globl	_ZL21dequantize_block_q3_KIN3c108BFloat16EEvPKvPT_ ; -- Begin function _ZL21dequantize_block_q3_KIN3c108BFloat16EEvPKvPT_
	.p2align	8
	.type	_ZL21dequantize_block_q3_KIN3c108BFloat16EEvPKvPT_,@function
_ZL21dequantize_block_q3_KIN3c108BFloat16EEvPKvPT_: ; @_ZL21dequantize_block_q3_KIN3c108BFloat16EEvPKvPT_
; %bb.0:
	v_lshrrev_b32_e32 v3, 5, v0
	v_lshrrev_b32_e32 v6, 3, v0
	s_mov_b32 s7, 0
	s_mov_b32 s6, ttmp9
	s_load_b64 s[4:5], s[0:1], 0x0
	v_lshlrev_b32_e32 v1, 2, v3
	v_bfe_u32 v7, v0, 2, 1
	s_mov_b32 s2, ttmp9
                                        ; implicit-def: $vgpr9
                                        ; implicit-def: $vgpr8
	s_mov_b32 s3, exec_lo
	s_delay_alu instid0(VALU_DEP_2) | instskip(SKIP_1) | instid1(VALU_DEP_2)
	v_sub_nc_u32_e32 v4, v6, v1
	v_dual_mov_b32 v1, s6 :: v_dual_mov_b32 v2, s7
	v_lshlrev_b32_e32 v5, 1, v4
	s_delay_alu instid0(VALU_DEP_1) | instskip(NEXT) | instid1(VALU_DEP_1)
	v_lshl_add_u32 v11, v3, 3, v5
	v_or_b32_e32 v10, v11, v7
	s_delay_alu instid0(VALU_DEP_1)
	v_cmpx_lt_i32_e32 3, v10
	s_xor_b32 s8, exec_lo, s3
	s_cbranch_execz .LBB44_10
; %bb.1:
	v_dual_mov_b32 v1, s6 :: v_dual_mov_b32 v2, s7
                                        ; implicit-def: $vgpr9
                                        ; implicit-def: $vgpr8
	s_mov_b32 s3, exec_lo
	v_cmpx_lt_u32_e32 7, v11
	s_xor_b32 s9, exec_lo, s3
	s_cbranch_execz .LBB44_7
; %bb.2:
	s_mov_b32 s3, 0
                                        ; implicit-def: $vgpr8
	s_delay_alu instid0(SALU_CYCLE_1)
	s_mul_u64 s[10:11], s[2:3], 0x6e
	s_wait_kmcnt 0x0
	s_add_nc_u64 s[10:11], s[4:5], s[10:11]
	global_load_u8 v9, v10, s[10:11] offset:88
	v_add_co_u32 v1, s10, s10, v10
	s_wait_alu 0xf1ff
	v_add_co_ci_u32_e64 v2, null, s11, 0, s10
	s_mov_b32 s10, exec_lo
	v_cmpx_lt_u32_e32 11, v11
	s_wait_alu 0xfffe
	s_xor_b32 s10, exec_lo, s10
	s_cbranch_execz .LBB44_4
; %bb.3:
	global_load_u8 v1, v[1:2], off offset:92
	s_wait_loadcnt 0x0
	v_lshrrev_b16 v8, 2, v1
                                        ; implicit-def: $vgpr1_vgpr2
.LBB44_4:
	s_wait_alu 0xfffe
	s_and_not1_saveexec_b32 s10, s10
	s_cbranch_execz .LBB44_6
; %bb.5:
	global_load_u8 v8, v[1:2], off offset:96
.LBB44_6:
	s_wait_alu 0xfffe
	s_or_b32 exec_lo, exec_lo, s10
	s_wait_loadcnt 0x0
	v_lshrrev_b16 v9, 4, v9
	v_dual_mov_b32 v1, s2 :: v_dual_mov_b32 v2, s3
                                        ; implicit-def: $vgpr10
.LBB44_7:
	s_and_not1_saveexec_b32 s3, s9
	s_cbranch_execz .LBB44_9
; %bb.8:
	s_mul_u64 s[10:11], s[6:7], 0x6e
	s_wait_kmcnt 0x0
	s_wait_alu 0xfffe
	s_add_nc_u64 s[10:11], s[4:5], s[10:11]
	s_clause 0x1
	global_load_u8 v2, v10, s[10:11] offset:96
	global_load_u8 v8, v10, s[10:11] offset:100
	s_wait_loadcnt 0x1
	v_and_b32_e32 v9, 15, v2
	s_wait_loadcnt 0x0
	v_lshlrev_b16 v8, 2, v8
.LBB44_9:
	s_wait_alu 0xfffe
	s_or_b32 exec_lo, exec_lo, s3
                                        ; implicit-def: $vgpr10
.LBB44_10:
	s_or_saveexec_b32 s3, s8
	s_load_b64 s[0:1], s[0:1], 0x8
	s_xor_b32 exec_lo, exec_lo, s3
	s_cbranch_execz .LBB44_12
; %bb.11:
	s_mul_u64 s[6:7], s[6:7], 0x6e
	v_ashrrev_i32_e32 v2, 31, v10
	s_wait_kmcnt 0x0
	s_wait_alu 0xfffe
	s_add_nc_u64 s[6:7], s[4:5], s[6:7]
	s_wait_alu 0xfffe
	v_add_co_u32 v8, vcc_lo, s6, v10
	s_delay_alu instid0(VALU_DEP_1)
	v_add_co_ci_u32_e64 v9, null, s7, v2, vcc_lo
	s_clause 0x1
	global_load_u8 v2, v[8:9], off offset:96
	global_load_u8 v8, v[8:9], off offset:104
	s_wait_loadcnt 0x1
	v_and_b32_e32 v9, 15, v2
	s_wait_loadcnt 0x0
	v_lshlrev_b16 v8, 4, v8
.LBB44_12:
	s_or_b32 exec_lo, exec_lo, s3
	v_lshlrev_b32_e32 v10, 2, v0
	s_wait_kmcnt 0x0
	v_mad_co_u64_u32 v[1:2], null, 0x6e, v1, s[4:5]
	v_and_b32_e32 v0, 0x3e0, v0
	v_lshlrev_b32_e64 v6, v6, 1
	v_and_b32_e32 v10, 12, v10
	s_lshl_b32 s2, s2, 8
	s_mov_b32 s3, 0
	v_lshlrev_b32_e32 v3, 8, v3
	v_add_co_u32 v0, vcc_lo, v1, v0
	v_lshl_or_b32 v7, v7, 4, v10
	s_wait_alu 0xfffd
	v_add_co_ci_u32_e64 v11, null, 0, v2, vcc_lo
	s_wait_alu 0xfffe
	s_lshl_b64 s[2:3], s[2:3], 1
	v_add_co_u32 v10, vcc_lo, v0, v7
	s_wait_alu 0xfffd
	v_add_co_ci_u32_e64 v11, null, 0, v11, vcc_lo
	v_add_co_u32 v12, vcc_lo, v1, v7
	s_wait_alu 0xfffd
	v_add_co_ci_u32_e64 v13, null, 0, v2, vcc_lo
	s_clause 0x2
	global_load_b32 v0, v[10:11], off offset:32
	global_load_b32 v10, v[12:13], off
	global_load_u16 v1, v[1:2], off offset:108
	v_and_b32_e32 v2, 48, v8
	s_wait_alu 0xfffe
	s_add_nc_u64 s[0:1], s[0:1], s[2:3]
	v_lshlrev_b32_e32 v7, 1, v7
	v_add_co_u32 v3, s0, s0, v3
	v_or_b32_e32 v2, v2, v9
	s_delay_alu instid0(VALU_DEP_1) | instskip(NEXT) | instid1(VALU_DEP_1)
	v_and_b32_e32 v2, 0xff, v2
	v_subrev_nc_u32_e32 v2, 32, v2
	s_delay_alu instid0(VALU_DEP_1) | instskip(NEXT) | instid1(VALU_DEP_1)
	v_cvt_f32_i32_e32 v2, v2
	v_cvt_f16_f32_e32 v2, v2
	s_wait_loadcnt 0x2
	v_bfe_u32 v11, v0, 8, 8
	s_wait_loadcnt 0x1
	v_bfe_u32 v14, v10, 8, 8
	v_and_b32_e32 v13, 0xff, v10
	v_lshrrev_b32_e32 v8, 24, v0
	v_and_b32_e32 v9, 0xff, v0
	v_lshrrev_b32_e32 v12, 24, v10
	v_and_b32_e32 v14, v6, v14
	v_bfe_u32 v0, v0, 16, 8
	v_bfe_u32 v10, v10, 16, 8
	v_lshrrev_b32_e32 v11, v5, v11
	v_and_b32_e32 v13, v6, v13
	v_cmp_eq_u32_e32 vcc_lo, 0, v14
	v_lshrrev_b32_e32 v9, v5, v9
	v_lshrrev_b32_e32 v8, v5, v8
	;; [unrolled: 1-line block ×3, first 2 shown]
	v_and_b32_e32 v5, v6, v12
	v_and_b32_e32 v6, v6, v10
	;; [unrolled: 1-line block ×3, first 2 shown]
	s_wait_alu 0xfffd
	v_cndmask_b32_e64 v11, 0, -4, vcc_lo
	v_cmp_eq_u32_e32 vcc_lo, 0, v13
	v_and_b32_e32 v9, 3, v9
	v_and_b32_e32 v8, 3, v8
	;; [unrolled: 1-line block ×3, first 2 shown]
	v_or_b32_e32 v10, v11, v10
	s_wait_alu 0xfffd
	v_cndmask_b32_e64 v12, 0, -4, vcc_lo
	v_cmp_eq_u32_e32 vcc_lo, 0, v5
	s_wait_loadcnt 0x0
	v_mul_f16_e32 v1, v1, v2
	s_wait_alu 0xf1ff
	v_add_co_ci_u32_e64 v11, null, s1, 0, s0
	v_or_b32_e32 v9, v12, v9
	s_wait_alu 0xfffd
	v_cndmask_b32_e64 v5, 0, -4, vcc_lo
	v_cmp_eq_u32_e32 vcc_lo, 0, v6
	s_delay_alu instid0(VALU_DEP_2) | instskip(SKIP_3) | instid1(VALU_DEP_3)
	v_or_b32_e32 v5, v5, v8
	s_wait_alu 0xfffd
	v_cndmask_b32_e64 v6, 0, -4, vcc_lo
	v_cvt_f32_i32_e32 v8, v9
	v_cvt_f32_i32_e32 v5, v5
	s_delay_alu instid0(VALU_DEP_3) | instskip(SKIP_1) | instid1(VALU_DEP_4)
	v_or_b32_e32 v0, v6, v0
	v_cvt_f32_i32_e32 v6, v10
	v_cvt_f16_f32_e32 v8, v8
	s_delay_alu instid0(VALU_DEP_4) | instskip(NEXT) | instid1(VALU_DEP_4)
	v_cvt_f16_f32_e32 v5, v5
	v_cvt_f32_i32_e32 v0, v0
	s_delay_alu instid0(VALU_DEP_4) | instskip(NEXT) | instid1(VALU_DEP_2)
	v_cvt_f16_f32_e32 v6, v6
	v_cvt_f16_f32_e32 v0, v0
	s_delay_alu instid0(VALU_DEP_2) | instskip(NEXT) | instid1(VALU_DEP_2)
	v_pack_b32_f16 v2, v8, v6
	v_pack_b32_f16 v5, v0, v5
	s_delay_alu instid0(VALU_DEP_2) | instskip(SKIP_1) | instid1(VALU_DEP_3)
	v_pk_mul_f16 v2, v1, v2 op_sel_hi:[0,1]
	v_lshlrev_b32_e32 v0, 5, v4
	v_pk_mul_f16 v4, v1, v5 op_sel_hi:[0,1]
	s_delay_alu instid0(VALU_DEP_3) | instskip(SKIP_1) | instid1(VALU_DEP_4)
	v_cvt_f32_f16_e32 v6, v2
	v_lshrrev_b32_e32 v5, 16, v2
	v_ashrrev_i32_e32 v1, 31, v0
	s_delay_alu instid0(VALU_DEP_4) | instskip(NEXT) | instid1(VALU_DEP_4)
	v_cvt_f32_f16_e32 v9, v4
	v_lshrrev_b32_e32 v12, 16, v6
	v_lshrrev_b32_e32 v8, 16, v4
	v_cvt_f32_f16_e32 v10, v5
	v_lshlrev_b64_e32 v[0:1], 1, v[0:1]
	v_lshrrev_b32_e32 v14, 16, v9
	v_and_b32_e32 v12, 1, v12
	v_cvt_f32_f16_e32 v13, v8
	v_lshrrev_b32_e32 v15, 16, v10
	s_delay_alu instid0(VALU_DEP_4) | instskip(NEXT) | instid1(VALU_DEP_4)
	v_and_b32_e32 v14, 1, v14
	v_add3_u32 v6, v6, v12, 0x7fff
	v_add_co_u32 v0, vcc_lo, v3, v0
	v_lshrrev_b32_e32 v16, 16, v13
	v_and_b32_e32 v15, 1, v15
	v_add3_u32 v9, v9, v14, 0x7fff
	s_wait_alu 0xfffd
	v_add_co_ci_u32_e64 v1, null, v11, v1, vcc_lo
	v_lshrrev_b32_e32 v3, 16, v6
	v_cmp_o_f16_e32 vcc_lo, v2, v2
	v_and_b32_e32 v12, 1, v16
	v_add3_u32 v10, v10, v15, 0x7fff
	v_lshrrev_b32_e32 v9, 16, v9
	s_wait_alu 0xfffd
	v_cndmask_b32_e32 v2, 0x7fc0, v3, vcc_lo
	v_cmp_o_f16_e32 vcc_lo, v4, v4
	v_add3_u32 v6, v13, v12, 0x7fff
	v_lshrrev_b32_e32 v10, 16, v10
	s_wait_alu 0xfffd
	v_cndmask_b32_e32 v4, 0x7fc0, v9, vcc_lo
	v_cmp_o_f16_e32 vcc_lo, v5, v5
	v_lshrrev_b32_e32 v3, 16, v6
	s_wait_alu 0xfffd
	v_cndmask_b32_e32 v5, 0x7fc0, v10, vcc_lo
	v_cmp_o_f16_e32 vcc_lo, v8, v8
	s_delay_alu instid0(VALU_DEP_2)
	v_perm_b32 v2, v5, v2, 0x5040100
	s_wait_alu 0xfffd
	v_cndmask_b32_e32 v3, 0x7fc0, v3, vcc_lo
	v_add_co_u32 v0, vcc_lo, v0, v7
	s_wait_alu 0xfffd
	v_add_co_ci_u32_e64 v1, null, 0, v1, vcc_lo
	s_delay_alu instid0(VALU_DEP_3)
	v_perm_b32 v3, v3, v4, 0x5040100
	global_store_b64 v[0:1], v[2:3], off
	s_endpgm
	.section	.rodata,"a",@progbits
	.p2align	6, 0x0
	.amdhsa_kernel _ZL21dequantize_block_q3_KIN3c108BFloat16EEvPKvPT_
		.amdhsa_group_segment_fixed_size 0
		.amdhsa_private_segment_fixed_size 0
		.amdhsa_kernarg_size 16
		.amdhsa_user_sgpr_count 2
		.amdhsa_user_sgpr_dispatch_ptr 0
		.amdhsa_user_sgpr_queue_ptr 0
		.amdhsa_user_sgpr_kernarg_segment_ptr 1
		.amdhsa_user_sgpr_dispatch_id 0
		.amdhsa_user_sgpr_private_segment_size 0
		.amdhsa_wavefront_size32 1
		.amdhsa_uses_dynamic_stack 0
		.amdhsa_enable_private_segment 0
		.amdhsa_system_sgpr_workgroup_id_x 1
		.amdhsa_system_sgpr_workgroup_id_y 0
		.amdhsa_system_sgpr_workgroup_id_z 0
		.amdhsa_system_sgpr_workgroup_info 0
		.amdhsa_system_vgpr_workitem_id 0
		.amdhsa_next_free_vgpr 17
		.amdhsa_next_free_sgpr 12
		.amdhsa_reserve_vcc 1
		.amdhsa_float_round_mode_32 0
		.amdhsa_float_round_mode_16_64 0
		.amdhsa_float_denorm_mode_32 3
		.amdhsa_float_denorm_mode_16_64 3
		.amdhsa_fp16_overflow 0
		.amdhsa_workgroup_processor_mode 1
		.amdhsa_memory_ordered 1
		.amdhsa_forward_progress 1
		.amdhsa_inst_pref_size 11
		.amdhsa_round_robin_scheduling 0
		.amdhsa_exception_fp_ieee_invalid_op 0
		.amdhsa_exception_fp_denorm_src 0
		.amdhsa_exception_fp_ieee_div_zero 0
		.amdhsa_exception_fp_ieee_overflow 0
		.amdhsa_exception_fp_ieee_underflow 0
		.amdhsa_exception_fp_ieee_inexact 0
		.amdhsa_exception_int_div_zero 0
	.end_amdhsa_kernel
	.section	.text._ZL21dequantize_block_q3_KIN3c108BFloat16EEvPKvPT_,"axG",@progbits,_ZL21dequantize_block_q3_KIN3c108BFloat16EEvPKvPT_,comdat
.Lfunc_end44:
	.size	_ZL21dequantize_block_q3_KIN3c108BFloat16EEvPKvPT_, .Lfunc_end44-_ZL21dequantize_block_q3_KIN3c108BFloat16EEvPKvPT_
                                        ; -- End function
	.set _ZL21dequantize_block_q3_KIN3c108BFloat16EEvPKvPT_.num_vgpr, 17
	.set _ZL21dequantize_block_q3_KIN3c108BFloat16EEvPKvPT_.num_agpr, 0
	.set _ZL21dequantize_block_q3_KIN3c108BFloat16EEvPKvPT_.numbered_sgpr, 12
	.set _ZL21dequantize_block_q3_KIN3c108BFloat16EEvPKvPT_.num_named_barrier, 0
	.set _ZL21dequantize_block_q3_KIN3c108BFloat16EEvPKvPT_.private_seg_size, 0
	.set _ZL21dequantize_block_q3_KIN3c108BFloat16EEvPKvPT_.uses_vcc, 1
	.set _ZL21dequantize_block_q3_KIN3c108BFloat16EEvPKvPT_.uses_flat_scratch, 0
	.set _ZL21dequantize_block_q3_KIN3c108BFloat16EEvPKvPT_.has_dyn_sized_stack, 0
	.set _ZL21dequantize_block_q3_KIN3c108BFloat16EEvPKvPT_.has_recursion, 0
	.set _ZL21dequantize_block_q3_KIN3c108BFloat16EEvPKvPT_.has_indirect_call, 0
	.section	.AMDGPU.csdata,"",@progbits
; Kernel info:
; codeLenInByte = 1296
; TotalNumSgprs: 14
; NumVgprs: 17
; ScratchSize: 0
; MemoryBound: 0
; FloatMode: 240
; IeeeMode: 1
; LDSByteSize: 0 bytes/workgroup (compile time only)
; SGPRBlocks: 0
; VGPRBlocks: 2
; NumSGPRsForWavesPerEU: 14
; NumVGPRsForWavesPerEU: 17
; Occupancy: 16
; WaveLimiterHint : 0
; COMPUTE_PGM_RSRC2:SCRATCH_EN: 0
; COMPUTE_PGM_RSRC2:USER_SGPR: 2
; COMPUTE_PGM_RSRC2:TRAP_HANDLER: 0
; COMPUTE_PGM_RSRC2:TGID_X_EN: 1
; COMPUTE_PGM_RSRC2:TGID_Y_EN: 0
; COMPUTE_PGM_RSRC2:TGID_Z_EN: 0
; COMPUTE_PGM_RSRC2:TIDIG_COMP_CNT: 0
	.section	.text._ZL21dequantize_block_q4_KIN3c108BFloat16EEvPKvPT_,"axG",@progbits,_ZL21dequantize_block_q4_KIN3c108BFloat16EEvPKvPT_,comdat
	.globl	_ZL21dequantize_block_q4_KIN3c108BFloat16EEvPKvPT_ ; -- Begin function _ZL21dequantize_block_q4_KIN3c108BFloat16EEvPKvPT_
	.p2align	8
	.type	_ZL21dequantize_block_q4_KIN3c108BFloat16EEvPKvPT_,@function
_ZL21dequantize_block_q4_KIN3c108BFloat16EEvPKvPT_: ; @_ZL21dequantize_block_q4_KIN3c108BFloat16EEvPKvPT_
; %bb.0:
	s_load_b64 s[4:5], s[0:1], 0x0
	v_lshrrev_b32_e32 v3, 3, v0
	s_mov_b32 s2, ttmp9
	s_mov_b32 s3, 0
	v_cmp_lt_u32_e32 vcc_lo, 15, v0
	s_mul_u64 s[2:3], s[2:3], 0x90
	v_lshlrev_b32_e32 v1, 1, v3
                                        ; implicit-def: $vgpr5
                                        ; implicit-def: $vgpr4
	s_wait_kmcnt 0x0
	s_add_nc_u64 s[2:3], s[4:5], s[2:3]
	s_delay_alu instid0(VALU_DEP_1) | instid1(SALU_CYCLE_1)
	v_add_co_u32 v1, s4, s2, v1
	s_delay_alu instid0(VALU_DEP_1)
	v_add_co_ci_u32_e64 v2, null, s3, 0, s4
	s_and_saveexec_b32 s4, vcc_lo
	s_wait_alu 0xfffe
	s_xor_b32 s4, exec_lo, s4
	s_cbranch_execz .LBB45_2
; %bb.1:
	s_clause 0x2
	global_load_u8 v4, v[1:2], off
	global_load_u8 v5, v[1:2], off offset:4
	global_load_u8 v6, v[1:2], off offset:8
	s_wait_loadcnt 0x2
	v_lshrrev_b16 v4, 2, v4
	s_wait_loadcnt 0x1
	v_lshrrev_b16 v5, 2, v5
	s_wait_loadcnt 0x0
	v_and_b32_e32 v7, 15, v6
	v_lshrrev_b16 v6, 4, v6
	v_and_b32_e32 v4, 48, v4
	v_and_b32_e32 v5, 48, v5
	s_delay_alu instid0(VALU_DEP_2) | instskip(NEXT) | instid1(VALU_DEP_2)
	v_or_b32_e32 v4, v4, v7
	v_or_b32_e32 v5, v5, v6
.LBB45_2:
	s_wait_alu 0xfffe
	s_and_not1_saveexec_b32 s4, s4
	s_cbranch_execz .LBB45_4
; %bb.3:
	s_clause 0x1
	global_load_u8 v4, v[1:2], off offset:4
	global_load_u8 v5, v[1:2], off offset:8
	s_wait_loadcnt 0x1
	v_and_b32_e32 v4, 63, v4
	s_wait_loadcnt 0x0
	v_and_b32_e32 v5, 63, v5
.LBB45_4:
	s_wait_alu 0xfffe
	s_or_b32 exec_lo, exec_lo, s4
	s_load_b32 s4, s[2:3], 0x0
                                        ; implicit-def: $vgpr6
                                        ; implicit-def: $vgpr7
	s_and_saveexec_b32 s5, vcc_lo
	s_wait_alu 0xfffe
	s_xor_b32 s5, exec_lo, s5
	s_cbranch_execz .LBB45_6
; %bb.5:
	s_clause 0x2
	global_load_u8 v6, v[1:2], off offset:1
	global_load_u8 v7, v[1:2], off offset:5
	global_load_u8 v1, v[1:2], off offset:9
	s_wait_loadcnt 0x2
	v_lshrrev_b16 v2, 2, v6
	s_wait_loadcnt 0x1
	v_lshrrev_b16 v6, 2, v7
	s_wait_loadcnt 0x0
	v_and_b32_e32 v7, 15, v1
	v_lshrrev_b16 v1, 4, v1
	v_and_b32_e32 v2, 48, v2
	v_and_b32_e32 v6, 48, v6
	s_delay_alu instid0(VALU_DEP_2) | instskip(NEXT) | instid1(VALU_DEP_2)
	v_or_b32_e32 v7, v2, v7
	v_or_b32_e32 v6, v6, v1
                                        ; implicit-def: $vgpr1_vgpr2
.LBB45_6:
	s_wait_alu 0xfffe
	s_or_saveexec_b32 s5, s5
	s_load_b64 s[0:1], s[0:1], 0x8
	s_xor_b32 exec_lo, exec_lo, s5
	s_cbranch_execz .LBB45_8
; %bb.7:
	s_clause 0x1
	global_load_u8 v6, v[1:2], off offset:5
	global_load_u8 v1, v[1:2], off offset:9
	s_wait_loadcnt 0x1
	v_and_b32_e32 v7, 63, v6
	s_wait_loadcnt 0x0
	v_and_b32_e32 v6, 63, v1
.LBB45_8:
	s_or_b32 exec_lo, exec_lo, s5
	v_lshlrev_b32_e32 v0, 2, v0
	v_lshlrev_b32_e32 v1, 5, v3
	v_and_b32_e32 v4, 0xff, v4
	s_wait_kmcnt 0x0
	s_lshr_b32 s5, s4, 16
	v_and_b32_e32 v6, 0xff, v6
	v_and_b32_e32 v2, 28, v0
	v_add_co_u32 v0, s2, s2, v1
	s_wait_alu 0xf1ff
	v_add_co_ci_u32_e64 v1, null, s3, 0, s2
	v_cvt_f16_u16_e32 v4, v4
	s_delay_alu instid0(VALU_DEP_3) | instskip(NEXT) | instid1(VALU_DEP_1)
	v_add_co_u32 v0, vcc_lo, v0, v2
	v_add_co_ci_u32_e64 v1, null, 0, v1, vcc_lo
	s_delay_alu instid0(VALU_DEP_3)
	v_mul_f16_e32 v4, s4, v4
	v_cvt_f16_u16_e32 v6, v6
	s_mov_b32 s3, 0
	global_load_b32 v0, v[0:1], off offset:16
	v_and_b32_e32 v1, 0xff, v5
	v_and_b32_e32 v5, 0xff, v7
	s_wait_alu 0xfffe
	v_mul_f16_e32 v6, s5, v6
	s_lshl_b32 s2, ttmp9, 8
	v_cvt_f16_u16_e32 v1, v1
	v_cvt_f16_u16_e32 v5, v5
	s_wait_alu 0xfffe
	s_lshl_b64 s[2:3], s[2:3], 1
	s_wait_alu 0xfffe
	s_add_nc_u64 s[0:1], s[0:1], s[2:3]
	v_mul_f16_e32 v1, s5, v1
	v_mul_f16_e32 v5, s4, v5
	s_wait_loadcnt 0x0
	v_lshrrev_b32_e32 v9, 8, v0
	v_lshrrev_b32_e32 v8, 16, v0
	v_and_b32_e32 v10, 15, v0
	v_lshrrev_b32_e32 v11, 24, v0
	v_lshrrev_b16 v12, 4, v0
	v_and_b32_e32 v13, 15, v9
	v_lshrrev_b32_e32 v0, 20, v0
	v_cvt_f16_u16_e32 v10, v10
	v_lshrrev_b16 v9, 4, v9
	v_and_b32_e32 v8, 15, v8
	v_and_b32_e32 v14, 15, v11
	v_cvt_f16_u16_e32 v13, v13
	v_and_b32_e32 v12, 15, v12
	v_and_b32_e32 v0, 15, v0
	v_lshrrev_b16 v11, 4, v11
	v_and_b32_e32 v9, 15, v9
	v_cvt_f16_u16_e32 v14, v14
	v_cvt_f16_u16_e32 v8, v8
	v_pack_b32_f16 v10, v10, v13
	v_cvt_f16_u16_e32 v11, v11
	v_cvt_f16_u16_e32 v0, v0
	;; [unrolled: 1-line block ×4, first 2 shown]
	v_pack_b32_f16 v8, v8, v14
	v_pk_fma_f16 v10, v4, v10, v1 op_sel_hi:[0,1,0] neg_lo:[0,0,1] neg_hi:[0,0,1]
	v_pack_b32_f16 v0, v0, v11
	s_delay_alu instid0(VALU_DEP_4) | instskip(NEXT) | instid1(VALU_DEP_4)
	v_pack_b32_f16 v9, v12, v9
	v_pk_fma_f16 v1, v4, v8, v1 op_sel_hi:[0,1,0] neg_lo:[0,0,1] neg_hi:[0,0,1]
	s_delay_alu instid0(VALU_DEP_4) | instskip(NEXT) | instid1(VALU_DEP_4)
	v_cvt_f32_f16_e32 v8, v10
	v_pk_fma_f16 v0, v5, v0, v6 op_sel_hi:[0,1,0] neg_lo:[0,0,1] neg_hi:[0,0,1]
	v_lshrrev_b32_e32 v4, 16, v10
	v_pk_fma_f16 v5, v5, v9, v6 op_sel_hi:[0,1,0] neg_lo:[0,0,1] neg_hi:[0,0,1]
	v_cvt_f32_f16_e32 v9, v1
	v_lshrrev_b32_e32 v14, 16, v8
	v_cvt_f32_f16_e32 v12, v0
	v_cvt_f32_f16_e32 v13, v4
	v_cmp_o_f16_e32 vcc_lo, v10, v10
	v_lshrrev_b32_e32 v18, 16, v9
	v_and_b32_e32 v14, 1, v14
	v_lshrrev_b32_e32 v20, 16, v12
	v_lshrrev_b32_e32 v21, 16, v13
	;; [unrolled: 1-line block ×3, first 2 shown]
	v_and_b32_e32 v18, 1, v18
	v_add3_u32 v8, v8, v14, 0x7fff
	v_and_b32_e32 v20, 1, v20
	v_lshrrev_b32_e32 v15, 16, v5
	v_cvt_f32_f16_e32 v16, v5
	v_add3_u32 v9, v9, v18, 0x7fff
	v_lshrrev_b32_e32 v8, 16, v8
	v_and_b32_e32 v21, 1, v21
	v_add3_u32 v12, v12, v20, 0x7fff
	v_lshrrev_b32_e32 v11, 16, v0
	v_lshrrev_b32_e32 v9, 16, v9
	s_wait_alu 0xfffd
	v_cndmask_b32_e32 v8, 0x7fc0, v8, vcc_lo
	v_cmp_o_f16_e32 vcc_lo, v1, v1
	v_cvt_f32_f16_e32 v17, v6
	v_cvt_f32_f16_e32 v22, v15
	v_lshrrev_b32_e32 v23, 16, v16
	v_add3_u32 v13, v13, v21, 0x7fff
	v_lshrrev_b32_e32 v12, 16, v12
	s_wait_alu 0xfffd
	v_cndmask_b32_e32 v9, 0x7fc0, v9, vcc_lo
	v_cmp_o_f16_e32 vcc_lo, v0, v0
	v_lshlrev_b32_e32 v3, 7, v3
	v_cvt_f32_f16_e32 v19, v11
	v_lshrrev_b32_e32 v24, 16, v17
	v_lshrrev_b32_e32 v14, 16, v22
	;; [unrolled: 1-line block ×3, first 2 shown]
	s_wait_alu 0xfffd
	v_cndmask_b32_e32 v12, 0x7fc0, v12, vcc_lo
	v_cmp_o_f16_e32 vcc_lo, v4, v4
	v_and_b32_e32 v23, 1, v23
	v_lshrrev_b32_e32 v25, 16, v19
	v_and_b32_e32 v24, 1, v24
	v_and_b32_e32 v14, 1, v14
	s_wait_alu 0xfffd
	v_cndmask_b32_e32 v4, 0x7fc0, v13, vcc_lo
	v_add3_u32 v16, v16, v23, 0x7fff
	v_and_b32_e32 v18, 1, v25
	v_add3_u32 v17, v17, v24, 0x7fff
	v_add3_u32 v10, v22, v14, 0x7fff
	v_cmp_o_f16_e32 vcc_lo, v5, v5
	v_lshrrev_b32_e32 v14, 16, v16
	v_add3_u32 v18, v19, v18, 0x7fff
	v_lshrrev_b32_e32 v16, 16, v17
	v_lshrrev_b32_e32 v0, 16, v10
	v_add_co_u32 v3, s0, s0, v3
	s_wait_alu 0xfffd
	v_cndmask_b32_e32 v10, 0x7fc0, v14, vcc_lo
	v_cmp_o_f16_e32 vcc_lo, v6, v6
	v_lshrrev_b32_e32 v1, 16, v18
	s_wait_alu 0xf1ff
	v_add_co_ci_u32_e64 v7, null, s1, 0, s0
	s_wait_alu 0xfffd
	v_cndmask_b32_e32 v5, 0x7fc0, v16, vcc_lo
	v_cmp_o_f16_e32 vcc_lo, v11, v11
	s_wait_alu 0xfffd
	v_cndmask_b32_e32 v6, 0x7fc0, v1, vcc_lo
	v_cmp_o_f16_e32 vcc_lo, v15, v15
	s_wait_alu 0xfffd
	v_dual_cndmask_b32 v11, 0x7fc0, v0 :: v_dual_lshlrev_b32 v2, 1, v2
	s_delay_alu instid0(VALU_DEP_1)
	v_add_co_u32 v0, vcc_lo, v3, v2
	s_wait_alu 0xfffd
	v_add_co_ci_u32_e64 v1, null, 0, v7, vcc_lo
	v_perm_b32 v3, v5, v9, 0x5040100
	v_perm_b32 v2, v4, v8, 0x5040100
	v_perm_b32 v5, v6, v12, 0x5040100
	v_perm_b32 v4, v11, v10, 0x5040100
	s_clause 0x1
	global_store_b64 v[0:1], v[2:3], off
	global_store_b64 v[0:1], v[4:5], off offset:64
	s_endpgm
	.section	.rodata,"a",@progbits
	.p2align	6, 0x0
	.amdhsa_kernel _ZL21dequantize_block_q4_KIN3c108BFloat16EEvPKvPT_
		.amdhsa_group_segment_fixed_size 0
		.amdhsa_private_segment_fixed_size 0
		.amdhsa_kernarg_size 16
		.amdhsa_user_sgpr_count 2
		.amdhsa_user_sgpr_dispatch_ptr 0
		.amdhsa_user_sgpr_queue_ptr 0
		.amdhsa_user_sgpr_kernarg_segment_ptr 1
		.amdhsa_user_sgpr_dispatch_id 0
		.amdhsa_user_sgpr_private_segment_size 0
		.amdhsa_wavefront_size32 1
		.amdhsa_uses_dynamic_stack 0
		.amdhsa_enable_private_segment 0
		.amdhsa_system_sgpr_workgroup_id_x 1
		.amdhsa_system_sgpr_workgroup_id_y 0
		.amdhsa_system_sgpr_workgroup_id_z 0
		.amdhsa_system_sgpr_workgroup_info 0
		.amdhsa_system_vgpr_workitem_id 0
		.amdhsa_next_free_vgpr 26
		.amdhsa_next_free_sgpr 6
		.amdhsa_reserve_vcc 1
		.amdhsa_float_round_mode_32 0
		.amdhsa_float_round_mode_16_64 0
		.amdhsa_float_denorm_mode_32 3
		.amdhsa_float_denorm_mode_16_64 3
		.amdhsa_fp16_overflow 0
		.amdhsa_workgroup_processor_mode 1
		.amdhsa_memory_ordered 1
		.amdhsa_forward_progress 1
		.amdhsa_inst_pref_size 11
		.amdhsa_round_robin_scheduling 0
		.amdhsa_exception_fp_ieee_invalid_op 0
		.amdhsa_exception_fp_denorm_src 0
		.amdhsa_exception_fp_ieee_div_zero 0
		.amdhsa_exception_fp_ieee_overflow 0
		.amdhsa_exception_fp_ieee_underflow 0
		.amdhsa_exception_fp_ieee_inexact 0
		.amdhsa_exception_int_div_zero 0
	.end_amdhsa_kernel
	.section	.text._ZL21dequantize_block_q4_KIN3c108BFloat16EEvPKvPT_,"axG",@progbits,_ZL21dequantize_block_q4_KIN3c108BFloat16EEvPKvPT_,comdat
.Lfunc_end45:
	.size	_ZL21dequantize_block_q4_KIN3c108BFloat16EEvPKvPT_, .Lfunc_end45-_ZL21dequantize_block_q4_KIN3c108BFloat16EEvPKvPT_
                                        ; -- End function
	.set _ZL21dequantize_block_q4_KIN3c108BFloat16EEvPKvPT_.num_vgpr, 26
	.set _ZL21dequantize_block_q4_KIN3c108BFloat16EEvPKvPT_.num_agpr, 0
	.set _ZL21dequantize_block_q4_KIN3c108BFloat16EEvPKvPT_.numbered_sgpr, 6
	.set _ZL21dequantize_block_q4_KIN3c108BFloat16EEvPKvPT_.num_named_barrier, 0
	.set _ZL21dequantize_block_q4_KIN3c108BFloat16EEvPKvPT_.private_seg_size, 0
	.set _ZL21dequantize_block_q4_KIN3c108BFloat16EEvPKvPT_.uses_vcc, 1
	.set _ZL21dequantize_block_q4_KIN3c108BFloat16EEvPKvPT_.uses_flat_scratch, 0
	.set _ZL21dequantize_block_q4_KIN3c108BFloat16EEvPKvPT_.has_dyn_sized_stack, 0
	.set _ZL21dequantize_block_q4_KIN3c108BFloat16EEvPKvPT_.has_recursion, 0
	.set _ZL21dequantize_block_q4_KIN3c108BFloat16EEvPKvPT_.has_indirect_call, 0
	.section	.AMDGPU.csdata,"",@progbits
; Kernel info:
; codeLenInByte = 1288
; TotalNumSgprs: 8
; NumVgprs: 26
; ScratchSize: 0
; MemoryBound: 0
; FloatMode: 240
; IeeeMode: 1
; LDSByteSize: 0 bytes/workgroup (compile time only)
; SGPRBlocks: 0
; VGPRBlocks: 3
; NumSGPRsForWavesPerEU: 8
; NumVGPRsForWavesPerEU: 26
; Occupancy: 16
; WaveLimiterHint : 0
; COMPUTE_PGM_RSRC2:SCRATCH_EN: 0
; COMPUTE_PGM_RSRC2:USER_SGPR: 2
; COMPUTE_PGM_RSRC2:TRAP_HANDLER: 0
; COMPUTE_PGM_RSRC2:TGID_X_EN: 1
; COMPUTE_PGM_RSRC2:TGID_Y_EN: 0
; COMPUTE_PGM_RSRC2:TGID_Z_EN: 0
; COMPUTE_PGM_RSRC2:TIDIG_COMP_CNT: 0
	.section	.text._ZL21dequantize_block_q5_KIN3c108BFloat16EEvPKvPT_,"axG",@progbits,_ZL21dequantize_block_q5_KIN3c108BFloat16EEvPKvPT_,comdat
	.globl	_ZL21dequantize_block_q5_KIN3c108BFloat16EEvPKvPT_ ; -- Begin function _ZL21dequantize_block_q5_KIN3c108BFloat16EEvPKvPT_
	.p2align	8
	.type	_ZL21dequantize_block_q5_KIN3c108BFloat16EEvPKvPT_,@function
_ZL21dequantize_block_q5_KIN3c108BFloat16EEvPKvPT_: ; @_ZL21dequantize_block_q5_KIN3c108BFloat16EEvPKvPT_
; %bb.0:
	s_load_b64 s[4:5], s[0:1], 0x0
	v_lshrrev_b32_e32 v3, 4, v0
	s_mov_b32 s2, ttmp9
	s_mov_b32 s3, 0
	v_cmp_lt_u32_e32 vcc_lo, 31, v0
	s_mul_u64 s[2:3], s[2:3], 0xb0
	v_lshlrev_b32_e32 v4, 1, v3
                                        ; implicit-def: $vgpr6
                                        ; implicit-def: $vgpr5
	s_wait_kmcnt 0x0
	s_add_nc_u64 s[2:3], s[4:5], s[2:3]
	s_delay_alu instid0(VALU_DEP_1) | instid1(SALU_CYCLE_1)
	v_add_co_u32 v1, s4, s2, v4
	s_delay_alu instid0(VALU_DEP_1)
	v_add_co_ci_u32_e64 v2, null, s3, 0, s4
	s_and_saveexec_b32 s4, vcc_lo
	s_wait_alu 0xfffe
	s_xor_b32 s4, exec_lo, s4
	s_cbranch_execz .LBB46_2
; %bb.1:
	s_clause 0x2
	global_load_u8 v5, v[1:2], off
	global_load_u8 v6, v[1:2], off offset:4
	global_load_u8 v7, v[1:2], off offset:8
	s_wait_loadcnt 0x2
	v_lshrrev_b16 v5, 2, v5
	s_wait_loadcnt 0x1
	v_lshrrev_b16 v6, 2, v6
	s_wait_loadcnt 0x0
	v_and_b32_e32 v8, 15, v7
	v_lshrrev_b16 v7, 4, v7
	v_and_b32_e32 v5, 48, v5
	v_and_b32_e32 v6, 48, v6
	s_delay_alu instid0(VALU_DEP_2) | instskip(NEXT) | instid1(VALU_DEP_2)
	v_or_b32_e32 v5, v5, v8
	v_or_b32_e32 v6, v6, v7
.LBB46_2:
	s_wait_alu 0xfffe
	s_and_not1_saveexec_b32 s4, s4
	s_cbranch_execz .LBB46_4
; %bb.3:
	s_clause 0x1
	global_load_u8 v5, v[1:2], off offset:4
	global_load_u8 v6, v[1:2], off offset:8
	s_wait_loadcnt 0x1
	v_and_b32_e32 v5, 63, v5
	s_wait_loadcnt 0x0
	v_and_b32_e32 v6, 63, v6
.LBB46_4:
	s_wait_alu 0xfffe
	s_or_b32 exec_lo, exec_lo, s4
	s_load_b32 s4, s[2:3], 0x0
                                        ; implicit-def: $vgpr8
                                        ; implicit-def: $vgpr7
	s_and_saveexec_b32 s5, vcc_lo
	s_wait_alu 0xfffe
	s_xor_b32 s5, exec_lo, s5
	s_cbranch_execz .LBB46_6
; %bb.5:
	s_clause 0x2
	global_load_u8 v7, v[1:2], off offset:1
	global_load_u8 v8, v[1:2], off offset:5
	;; [unrolled: 1-line block ×3, first 2 shown]
	s_wait_loadcnt 0x2
	v_lshrrev_b16 v2, 2, v7
	s_wait_loadcnt 0x1
	v_lshrrev_b16 v7, 2, v8
	s_wait_loadcnt 0x0
	v_and_b32_e32 v8, 15, v1
	v_lshrrev_b16 v1, 4, v1
	v_and_b32_e32 v2, 48, v2
	v_and_b32_e32 v9, 48, v7
	s_delay_alu instid0(VALU_DEP_2) | instskip(NEXT) | instid1(VALU_DEP_2)
	v_or_b32_e32 v7, v2, v8
	v_or_b32_e32 v8, v9, v1
                                        ; implicit-def: $vgpr1_vgpr2
.LBB46_6:
	s_wait_alu 0xfffe
	s_or_saveexec_b32 s5, s5
	s_load_b64 s[0:1], s[0:1], 0x8
	s_xor_b32 exec_lo, exec_lo, s5
	s_cbranch_execz .LBB46_8
; %bb.7:
	s_clause 0x1
	global_load_u8 v7, v[1:2], off offset:5
	global_load_u8 v1, v[1:2], off offset:9
	s_wait_loadcnt 0x1
	v_and_b32_e32 v7, 63, v7
	s_wait_loadcnt 0x0
	v_and_b32_e32 v8, 63, v1
.LBB46_8:
	s_or_b32 exec_lo, exec_lo, s5
	v_lshlrev_b32_e32 v0, 1, v0
	v_lshlrev_b32_e32 v1, 5, v3
	v_lshlrev_b32_e64 v9, v4, 1
	v_lshlrev_b32_e64 v4, v4, 2
	v_and_b32_e32 v6, 0xff, v6
	v_and_b32_e32 v2, 30, v0
	v_add_co_u32 v0, s5, s2, v1
	s_wait_alu 0xf1ff
	v_add_co_ci_u32_e64 v1, null, s3, 0, s5
	v_and_b32_e32 v5, 0xff, v5
	s_delay_alu instid0(VALU_DEP_3) | instskip(NEXT) | instid1(VALU_DEP_1)
	v_add_co_u32 v0, vcc_lo, v0, v2
	v_add_co_ci_u32_e64 v1, null, 0, v1, vcc_lo
	v_and_b32_e32 v7, 0xff, v7
	v_and_b32_e32 v8, 0xff, v8
	s_clause 0x1
	global_load_u16 v0, v[0:1], off offset:48
	global_load_u16 v1, v2, s[2:3] offset:16
	v_cvt_f16_u16_e32 v6, v6
	v_cvt_f16_u16_e32 v5, v5
	s_wait_kmcnt 0x0
	s_lshr_b32 s2, s4, 16
	v_cvt_f16_u16_e32 v7, v7
	v_cvt_f16_u16_e32 v8, v8
	s_wait_alu 0xfffe
	v_mul_f16_e32 v6, s2, v6
	v_mul_f16_e32 v5, s4, v5
	s_mov_b32 s3, 0
	v_mul_f16_e32 v7, s4, v7
	v_mul_f16_e32 v8, s2, v8
	s_lshl_b32 s2, ttmp9, 8
	v_lshlrev_b32_e32 v3, 7, v3
	s_wait_alu 0xfffe
	s_lshl_b64 s[2:3], s[2:3], 1
	s_wait_alu 0xfffe
	s_add_nc_u64 s[0:1], s[0:1], s[2:3]
	s_delay_alu instid0(SALU_CYCLE_1)
	v_add_co_u32 v3, s0, s0, v3
	s_wait_loadcnt 0x1
	v_lshrrev_b16 v10, 8, v0
	s_wait_loadcnt 0x0
	v_lshrrev_b16 v12, 8, v1
	v_and_b32_e32 v1, 0xff, v1
	v_and_b32_e32 v11, 15, v0
	v_lshrrev_b16 v13, 4, v0
	v_and_b32_e32 v10, 15, v10
	v_and_b32_e32 v12, 0xffff, v12
	;; [unrolled: 1-line block ×4, first 2 shown]
	v_lshrrev_b16 v0, 12, v0
	v_and_b32_e32 v11, 0xffff, v11
	v_and_b32_e32 v9, v9, v12
	v_cmp_eq_u32_e32 vcc_lo, 0, v14
	v_and_b32_e32 v4, v4, v12
	v_and_b32_e32 v13, 15, v13
	;; [unrolled: 1-line block ×4, first 2 shown]
	s_wait_alu 0xfffd
	v_cndmask_b32_e64 v14, 16, 0, vcc_lo
	v_cmp_eq_u32_e32 vcc_lo, 0, v9
	v_and_b32_e32 v13, 0xffff, v13
	s_delay_alu instid0(VALU_DEP_3)
	v_or_b32_e32 v11, v14, v11
	s_wait_alu 0xfffd
	v_cndmask_b32_e64 v9, 16, 0, vcc_lo
	v_cmp_eq_u32_e32 vcc_lo, 0, v1
	s_wait_alu 0xf1ff
	v_add_co_ci_u32_e64 v14, null, s1, 0, s0
	s_delay_alu instid0(VALU_DEP_3) | instskip(SKIP_3) | instid1(VALU_DEP_3)
	v_or_b32_e32 v9, v9, v10
	s_wait_alu 0xfffd
	v_cndmask_b32_e64 v1, 16, 0, vcc_lo
	v_cmp_eq_u32_e32 vcc_lo, 0, v4
	v_cvt_f32_ubyte0_e32 v9, v9
	s_delay_alu instid0(VALU_DEP_3) | instskip(SKIP_2) | instid1(VALU_DEP_3)
	v_or_b32_e32 v1, v1, v13
	s_wait_alu 0xfffd
	v_cndmask_b32_e64 v4, 16, 0, vcc_lo
	v_cvt_f16_f32_e32 v9, v9
	s_delay_alu instid0(VALU_DEP_3) | instskip(NEXT) | instid1(VALU_DEP_3)
	v_cvt_f32_ubyte0_e32 v1, v1
	v_or_b32_e32 v0, v4, v0
	v_cvt_f32_ubyte0_e32 v4, v11
	s_delay_alu instid0(VALU_DEP_3) | instskip(NEXT) | instid1(VALU_DEP_3)
	v_cvt_f16_f32_e32 v1, v1
	v_cvt_f32_ubyte0_e32 v0, v0
	s_delay_alu instid0(VALU_DEP_3) | instskip(NEXT) | instid1(VALU_DEP_2)
	v_cvt_f16_f32_e32 v4, v4
	v_cvt_f16_f32_e32 v0, v0
	s_delay_alu instid0(VALU_DEP_2) | instskip(NEXT) | instid1(VALU_DEP_2)
	v_pack_b32_f16 v4, v4, v9
	v_pack_b32_f16 v0, v1, v0
	s_delay_alu instid0(VALU_DEP_2) | instskip(NEXT) | instid1(VALU_DEP_2)
	v_pk_fma_f16 v1, v5, v4, v6 op_sel_hi:[0,1,0] neg_lo:[0,0,1] neg_hi:[0,0,1]
	v_pk_fma_f16 v0, v7, v0, v8 op_sel_hi:[0,1,0] neg_lo:[0,0,1] neg_hi:[0,0,1]
	s_delay_alu instid0(VALU_DEP_2) | instskip(SKIP_2) | instid1(VALU_DEP_4)
	v_cvt_f32_f16_e32 v5, v1
	v_lshrrev_b32_e32 v4, 16, v1
	v_cmp_o_f16_e32 vcc_lo, v1, v1
	v_cvt_f32_f16_e32 v7, v0
	s_delay_alu instid0(VALU_DEP_4) | instskip(SKIP_2) | instid1(VALU_DEP_4)
	v_lshrrev_b32_e32 v9, 16, v5
	v_lshrrev_b32_e32 v6, 16, v0
	v_cvt_f32_f16_e32 v8, v4
	v_lshrrev_b32_e32 v11, 16, v7
	s_delay_alu instid0(VALU_DEP_4) | instskip(NEXT) | instid1(VALU_DEP_4)
	v_and_b32_e32 v9, 1, v9
	v_cvt_f32_f16_e32 v10, v6
	s_delay_alu instid0(VALU_DEP_4) | instskip(NEXT) | instid1(VALU_DEP_4)
	v_lshrrev_b32_e32 v12, 16, v8
	v_and_b32_e32 v11, 1, v11
	s_delay_alu instid0(VALU_DEP_4) | instskip(NEXT) | instid1(VALU_DEP_4)
	v_add3_u32 v5, v5, v9, 0x7fff
	v_lshrrev_b32_e32 v13, 16, v10
	s_delay_alu instid0(VALU_DEP_4) | instskip(NEXT) | instid1(VALU_DEP_4)
	v_and_b32_e32 v12, 1, v12
	v_add3_u32 v7, v7, v11, 0x7fff
	s_delay_alu instid0(VALU_DEP_4) | instskip(NEXT) | instid1(VALU_DEP_4)
	v_lshrrev_b32_e32 v5, 16, v5
	v_and_b32_e32 v9, 1, v13
	s_delay_alu instid0(VALU_DEP_4) | instskip(NEXT) | instid1(VALU_DEP_4)
	v_add3_u32 v8, v8, v12, 0x7fff
	v_lshrrev_b32_e32 v7, 16, v7
	s_wait_alu 0xfffd
	v_cndmask_b32_e32 v5, 0x7fc0, v5, vcc_lo
	v_cmp_o_f16_e32 vcc_lo, v0, v0
	v_add3_u32 v9, v10, v9, 0x7fff
	v_lshrrev_b32_e32 v8, 16, v8
	s_wait_alu 0xfffd
	v_cndmask_b32_e32 v7, 0x7fc0, v7, vcc_lo
	v_cmp_o_f16_e32 vcc_lo, v4, v4
	v_lshrrev_b32_e32 v1, 16, v9
	v_lshlrev_b32_e32 v2, 1, v2
	s_wait_alu 0xfffd
	v_cndmask_b32_e32 v4, 0x7fc0, v8, vcc_lo
	v_cmp_o_f16_e32 vcc_lo, v6, v6
	s_wait_alu 0xfffd
	v_cndmask_b32_e32 v6, 0x7fc0, v1, vcc_lo
	v_add_co_u32 v0, vcc_lo, v3, v2
	s_wait_alu 0xfffd
	v_add_co_ci_u32_e64 v1, null, 0, v14, vcc_lo
	v_perm_b32 v2, v4, v5, 0x5040100
	v_perm_b32 v3, v6, v7, 0x5040100
	s_clause 0x1
	global_store_b32 v[0:1], v2, off
	global_store_b32 v[0:1], v3, off offset:64
	s_endpgm
	.section	.rodata,"a",@progbits
	.p2align	6, 0x0
	.amdhsa_kernel _ZL21dequantize_block_q5_KIN3c108BFloat16EEvPKvPT_
		.amdhsa_group_segment_fixed_size 0
		.amdhsa_private_segment_fixed_size 0
		.amdhsa_kernarg_size 16
		.amdhsa_user_sgpr_count 2
		.amdhsa_user_sgpr_dispatch_ptr 0
		.amdhsa_user_sgpr_queue_ptr 0
		.amdhsa_user_sgpr_kernarg_segment_ptr 1
		.amdhsa_user_sgpr_dispatch_id 0
		.amdhsa_user_sgpr_private_segment_size 0
		.amdhsa_wavefront_size32 1
		.amdhsa_uses_dynamic_stack 0
		.amdhsa_enable_private_segment 0
		.amdhsa_system_sgpr_workgroup_id_x 1
		.amdhsa_system_sgpr_workgroup_id_y 0
		.amdhsa_system_sgpr_workgroup_id_z 0
		.amdhsa_system_sgpr_workgroup_info 0
		.amdhsa_system_vgpr_workitem_id 0
		.amdhsa_next_free_vgpr 15
		.amdhsa_next_free_sgpr 6
		.amdhsa_reserve_vcc 1
		.amdhsa_float_round_mode_32 0
		.amdhsa_float_round_mode_16_64 0
		.amdhsa_float_denorm_mode_32 3
		.amdhsa_float_denorm_mode_16_64 3
		.amdhsa_fp16_overflow 0
		.amdhsa_workgroup_processor_mode 1
		.amdhsa_memory_ordered 1
		.amdhsa_forward_progress 1
		.amdhsa_inst_pref_size 10
		.amdhsa_round_robin_scheduling 0
		.amdhsa_exception_fp_ieee_invalid_op 0
		.amdhsa_exception_fp_denorm_src 0
		.amdhsa_exception_fp_ieee_div_zero 0
		.amdhsa_exception_fp_ieee_overflow 0
		.amdhsa_exception_fp_ieee_underflow 0
		.amdhsa_exception_fp_ieee_inexact 0
		.amdhsa_exception_int_div_zero 0
	.end_amdhsa_kernel
	.section	.text._ZL21dequantize_block_q5_KIN3c108BFloat16EEvPKvPT_,"axG",@progbits,_ZL21dequantize_block_q5_KIN3c108BFloat16EEvPKvPT_,comdat
.Lfunc_end46:
	.size	_ZL21dequantize_block_q5_KIN3c108BFloat16EEvPKvPT_, .Lfunc_end46-_ZL21dequantize_block_q5_KIN3c108BFloat16EEvPKvPT_
                                        ; -- End function
	.set _ZL21dequantize_block_q5_KIN3c108BFloat16EEvPKvPT_.num_vgpr, 15
	.set _ZL21dequantize_block_q5_KIN3c108BFloat16EEvPKvPT_.num_agpr, 0
	.set _ZL21dequantize_block_q5_KIN3c108BFloat16EEvPKvPT_.numbered_sgpr, 6
	.set _ZL21dequantize_block_q5_KIN3c108BFloat16EEvPKvPT_.num_named_barrier, 0
	.set _ZL21dequantize_block_q5_KIN3c108BFloat16EEvPKvPT_.private_seg_size, 0
	.set _ZL21dequantize_block_q5_KIN3c108BFloat16EEvPKvPT_.uses_vcc, 1
	.set _ZL21dequantize_block_q5_KIN3c108BFloat16EEvPKvPT_.uses_flat_scratch, 0
	.set _ZL21dequantize_block_q5_KIN3c108BFloat16EEvPKvPT_.has_dyn_sized_stack, 0
	.set _ZL21dequantize_block_q5_KIN3c108BFloat16EEvPKvPT_.has_recursion, 0
	.set _ZL21dequantize_block_q5_KIN3c108BFloat16EEvPKvPT_.has_indirect_call, 0
	.section	.AMDGPU.csdata,"",@progbits
; Kernel info:
; codeLenInByte = 1256
; TotalNumSgprs: 8
; NumVgprs: 15
; ScratchSize: 0
; MemoryBound: 0
; FloatMode: 240
; IeeeMode: 1
; LDSByteSize: 0 bytes/workgroup (compile time only)
; SGPRBlocks: 0
; VGPRBlocks: 1
; NumSGPRsForWavesPerEU: 8
; NumVGPRsForWavesPerEU: 15
; Occupancy: 16
; WaveLimiterHint : 0
; COMPUTE_PGM_RSRC2:SCRATCH_EN: 0
; COMPUTE_PGM_RSRC2:USER_SGPR: 2
; COMPUTE_PGM_RSRC2:TRAP_HANDLER: 0
; COMPUTE_PGM_RSRC2:TGID_X_EN: 1
; COMPUTE_PGM_RSRC2:TGID_Y_EN: 0
; COMPUTE_PGM_RSRC2:TGID_Z_EN: 0
; COMPUTE_PGM_RSRC2:TIDIG_COMP_CNT: 0
	.section	.text._ZL21dequantize_block_q6_KIN3c108BFloat16EEvPKvPT_,"axG",@progbits,_ZL21dequantize_block_q6_KIN3c108BFloat16EEvPKvPT_,comdat
	.globl	_ZL21dequantize_block_q6_KIN3c108BFloat16EEvPKvPT_ ; -- Begin function _ZL21dequantize_block_q6_KIN3c108BFloat16EEvPKvPT_
	.p2align	8
	.type	_ZL21dequantize_block_q6_KIN3c108BFloat16EEvPKvPT_,@function
_ZL21dequantize_block_q6_KIN3c108BFloat16EEvPKvPT_: ; @_ZL21dequantize_block_q6_KIN3c108BFloat16EEvPKvPT_
; %bb.0:
	s_load_b128 s[0:3], s[0:1], 0x0
	v_lshrrev_b32_e32 v3, 5, v0
	s_lshl_b32 s6, ttmp9, 8
	s_mov_b32 s7, 0
	v_dual_mov_b32 v9, 0 :: v_dual_and_b32 v4, 31, v0
	s_lshl_b64 s[4:5], s[6:7], 1
	s_mov_b32 s6, ttmp9
	v_lshlrev_b32_e32 v1, 6, v3
	s_mul_u64 s[6:7], s[6:7], 0xd2
	s_wait_kmcnt 0x0
	s_add_nc_u64 s[0:1], s[0:1], s[6:7]
	s_delay_alu instid0(VALU_DEP_1) | instid1(SALU_CYCLE_1)
	v_add_co_u32 v1, s6, s0, v1
	s_delay_alu instid0(VALU_DEP_1) | instskip(SKIP_2) | instid1(VALU_DEP_1)
	v_add_co_ci_u32_e64 v2, null, s1, 0, s6
	global_load_u8 v5, v0, s[0:1] offset:128
	v_add_co_u32 v1, vcc_lo, v1, v4
	v_add_co_ci_u32_e64 v2, null, 0, v2, vcc_lo
	v_bfe_u32 v0, v0, 4, 1
	s_clause 0x1
	global_load_u8 v6, v[1:2], off
	global_load_u8 v1, v[1:2], off offset:32
	v_lshl_or_b32 v0, v3, 3, v0
	s_clause 0x4
	global_load_i8 v2, v0, s[0:1] offset:192
	global_load_i8 v7, v0, s[0:1] offset:194
	;; [unrolled: 1-line block ×4, first 2 shown]
	global_load_u16 v9, v9, s[0:1] offset:208
	v_lshlrev_b32_e32 v3, 8, v3
	s_add_nc_u64 s[0:1], s[2:3], s[4:5]
	s_wait_alu 0xfffe
	s_delay_alu instid0(VALU_DEP_1)
	v_add_co_u32 v3, s0, s0, v3
	s_wait_loadcnt 0x7
	v_lshlrev_b16 v10, 4, v5
	v_lshlrev_b16 v11, 2, v5
	v_lshrrev_b16 v12, 2, v5
	v_and_b32_e32 v5, 48, v5
	s_delay_alu instid0(VALU_DEP_4) | instskip(NEXT) | instid1(VALU_DEP_4)
	v_and_b32_e32 v10, 48, v10
	v_and_b32_e32 v11, 48, v11
	s_wait_loadcnt 0x6
	v_and_b32_e32 v13, 15, v6
	v_and_b32_e32 v12, 48, v12
	s_wait_loadcnt 0x5
	v_and_b32_e32 v14, 15, v1
	v_lshrrev_b16 v6, 4, v6
	v_lshrrev_b16 v1, 4, v1
	v_or_b32_e32 v10, v13, v10
	s_delay_alu instid0(VALU_DEP_4) | instskip(NEXT) | instid1(VALU_DEP_4)
	v_or_b32_e32 v11, v14, v11
	v_or_b32_e32 v5, v6, v5
	s_delay_alu instid0(VALU_DEP_4) | instskip(NEXT) | instid1(VALU_DEP_4)
	v_or_b32_e32 v1, v1, v12
	v_and_b32_e32 v6, 0xffff, v10
	s_wait_alu 0xf1ff
	v_add_co_ci_u32_e64 v14, null, s1, 0, s0
	v_and_b32_e32 v10, 0xffff, v11
	v_and_b32_e32 v1, 0xffff, v1
	v_subrev_nc_u32_e32 v6, 32, v6
	v_and_b32_e32 v5, 0xffff, v5
	s_delay_alu instid0(VALU_DEP_4) | instskip(NEXT) | instid1(VALU_DEP_4)
	v_subrev_nc_u32_e32 v10, 32, v10
	v_subrev_nc_u32_e32 v1, 32, v1
	s_wait_loadcnt 0x4
	v_mul_i32_i24_e32 v2, v6, v2
	v_subrev_nc_u32_e32 v5, 32, v5
	s_wait_loadcnt 0x3
	v_mul_i32_i24_e32 v6, v10, v7
	s_wait_loadcnt 0x1
	v_mul_i32_i24_e32 v0, v1, v0
	v_cvt_f32_i32_e32 v1, v2
	v_mul_i32_i24_e32 v5, v5, v8
	v_cvt_f32_i32_e32 v2, v6
	s_delay_alu instid0(VALU_DEP_4) | instskip(NEXT) | instid1(VALU_DEP_4)
	v_cvt_f32_i32_e32 v0, v0
	v_cvt_f16_f32_e32 v1, v1
	s_delay_alu instid0(VALU_DEP_4) | instskip(NEXT) | instid1(VALU_DEP_4)
	v_cvt_f32_i32_e32 v5, v5
	v_cvt_f16_f32_e32 v2, v2
	s_delay_alu instid0(VALU_DEP_4)
	v_cvt_f16_f32_e32 v0, v0
	s_wait_loadcnt 0x0
	v_mul_f16_e32 v6, v9, v1
	v_cvt_f16_f32_e32 v5, v5
	v_mul_f16_e32 v2, v9, v2
	v_mul_f16_e32 v7, v9, v0
	s_delay_alu instid0(VALU_DEP_4) | instskip(NEXT) | instid1(VALU_DEP_4)
	v_cvt_f32_f16_e32 v1, v6
	v_mul_f16_e32 v5, v9, v5
	v_lshlrev_b32_e32 v0, 1, v4
	v_cvt_f32_f16_e32 v4, v2
	v_cvt_f32_f16_e32 v9, v7
	v_bfe_u32 v10, v1, 16, 1
	v_cvt_f32_f16_e32 v8, v5
	v_add_co_u32 v0, vcc_lo, v3, v0
	v_bfe_u32 v11, v4, 16, 1
	s_delay_alu instid0(VALU_DEP_4) | instskip(NEXT) | instid1(VALU_DEP_4)
	v_add3_u32 v10, v1, v10, 0x7fff
	v_bfe_u32 v12, v8, 16, 1
	s_wait_alu 0xfffd
	v_add_co_ci_u32_e64 v1, null, 0, v14, vcc_lo
	v_add3_u32 v4, v4, v11, 0x7fff
	v_lshrrev_b32_e32 v3, 16, v10
	v_cmp_o_f16_e32 vcc_lo, v6, v6
	v_bfe_u32 v13, v9, 16, 1
	v_add3_u32 v8, v8, v12, 0x7fff
	v_lshrrev_b32_e32 v4, 16, v4
	s_wait_alu 0xfffd
	v_cndmask_b32_e32 v3, 0x7fc0, v3, vcc_lo
	v_cmp_o_f16_e32 vcc_lo, v2, v2
	v_add3_u32 v9, v9, v13, 0x7fff
	v_lshrrev_b32_e32 v8, 16, v8
	s_wait_alu 0xfffd
	v_cndmask_b32_e32 v2, 0x7fc0, v4, vcc_lo
	v_cmp_o_f16_e32 vcc_lo, v5, v5
	v_lshrrev_b32_e32 v9, 16, v9
	s_wait_alu 0xfffd
	v_cndmask_b32_e32 v4, 0x7fc0, v8, vcc_lo
	v_cmp_o_f16_e32 vcc_lo, v7, v7
	s_wait_alu 0xfffd
	v_cndmask_b32_e32 v5, 0x7fc0, v9, vcc_lo
	s_clause 0x3
	global_store_b16 v[0:1], v3, off
	global_store_b16 v[0:1], v2, off offset:64
	global_store_b16 v[0:1], v4, off offset:128
	;; [unrolled: 1-line block ×3, first 2 shown]
	s_endpgm
	.section	.rodata,"a",@progbits
	.p2align	6, 0x0
	.amdhsa_kernel _ZL21dequantize_block_q6_KIN3c108BFloat16EEvPKvPT_
		.amdhsa_group_segment_fixed_size 0
		.amdhsa_private_segment_fixed_size 0
		.amdhsa_kernarg_size 16
		.amdhsa_user_sgpr_count 2
		.amdhsa_user_sgpr_dispatch_ptr 0
		.amdhsa_user_sgpr_queue_ptr 0
		.amdhsa_user_sgpr_kernarg_segment_ptr 1
		.amdhsa_user_sgpr_dispatch_id 0
		.amdhsa_user_sgpr_private_segment_size 0
		.amdhsa_wavefront_size32 1
		.amdhsa_uses_dynamic_stack 0
		.amdhsa_enable_private_segment 0
		.amdhsa_system_sgpr_workgroup_id_x 1
		.amdhsa_system_sgpr_workgroup_id_y 0
		.amdhsa_system_sgpr_workgroup_id_z 0
		.amdhsa_system_sgpr_workgroup_info 0
		.amdhsa_system_vgpr_workitem_id 0
		.amdhsa_next_free_vgpr 15
		.amdhsa_next_free_sgpr 8
		.amdhsa_reserve_vcc 1
		.amdhsa_float_round_mode_32 0
		.amdhsa_float_round_mode_16_64 0
		.amdhsa_float_denorm_mode_32 3
		.amdhsa_float_denorm_mode_16_64 3
		.amdhsa_fp16_overflow 0
		.amdhsa_workgroup_processor_mode 1
		.amdhsa_memory_ordered 1
		.amdhsa_forward_progress 1
		.amdhsa_inst_pref_size 6
		.amdhsa_round_robin_scheduling 0
		.amdhsa_exception_fp_ieee_invalid_op 0
		.amdhsa_exception_fp_denorm_src 0
		.amdhsa_exception_fp_ieee_div_zero 0
		.amdhsa_exception_fp_ieee_overflow 0
		.amdhsa_exception_fp_ieee_underflow 0
		.amdhsa_exception_fp_ieee_inexact 0
		.amdhsa_exception_int_div_zero 0
	.end_amdhsa_kernel
	.section	.text._ZL21dequantize_block_q6_KIN3c108BFloat16EEvPKvPT_,"axG",@progbits,_ZL21dequantize_block_q6_KIN3c108BFloat16EEvPKvPT_,comdat
.Lfunc_end47:
	.size	_ZL21dequantize_block_q6_KIN3c108BFloat16EEvPKvPT_, .Lfunc_end47-_ZL21dequantize_block_q6_KIN3c108BFloat16EEvPKvPT_
                                        ; -- End function
	.set _ZL21dequantize_block_q6_KIN3c108BFloat16EEvPKvPT_.num_vgpr, 15
	.set _ZL21dequantize_block_q6_KIN3c108BFloat16EEvPKvPT_.num_agpr, 0
	.set _ZL21dequantize_block_q6_KIN3c108BFloat16EEvPKvPT_.numbered_sgpr, 8
	.set _ZL21dequantize_block_q6_KIN3c108BFloat16EEvPKvPT_.num_named_barrier, 0
	.set _ZL21dequantize_block_q6_KIN3c108BFloat16EEvPKvPT_.private_seg_size, 0
	.set _ZL21dequantize_block_q6_KIN3c108BFloat16EEvPKvPT_.uses_vcc, 1
	.set _ZL21dequantize_block_q6_KIN3c108BFloat16EEvPKvPT_.uses_flat_scratch, 0
	.set _ZL21dequantize_block_q6_KIN3c108BFloat16EEvPKvPT_.has_dyn_sized_stack, 0
	.set _ZL21dequantize_block_q6_KIN3c108BFloat16EEvPKvPT_.has_recursion, 0
	.set _ZL21dequantize_block_q6_KIN3c108BFloat16EEvPKvPT_.has_indirect_call, 0
	.section	.AMDGPU.csdata,"",@progbits
; Kernel info:
; codeLenInByte = 764
; TotalNumSgprs: 10
; NumVgprs: 15
; ScratchSize: 0
; MemoryBound: 0
; FloatMode: 240
; IeeeMode: 1
; LDSByteSize: 0 bytes/workgroup (compile time only)
; SGPRBlocks: 0
; VGPRBlocks: 1
; NumSGPRsForWavesPerEU: 10
; NumVGPRsForWavesPerEU: 15
; Occupancy: 16
; WaveLimiterHint : 0
; COMPUTE_PGM_RSRC2:SCRATCH_EN: 0
; COMPUTE_PGM_RSRC2:USER_SGPR: 2
; COMPUTE_PGM_RSRC2:TRAP_HANDLER: 0
; COMPUTE_PGM_RSRC2:TGID_X_EN: 1
; COMPUTE_PGM_RSRC2:TGID_Y_EN: 0
; COMPUTE_PGM_RSRC2:TGID_Z_EN: 0
; COMPUTE_PGM_RSRC2:TIDIG_COMP_CNT: 0
	.section	.text._ZL24dequantize_block_iq2_xxsIN3c108BFloat16EEvPKvPT_,"axG",@progbits,_ZL24dequantize_block_iq2_xxsIN3c108BFloat16EEvPKvPT_,comdat
	.globl	_ZL24dequantize_block_iq2_xxsIN3c108BFloat16EEvPKvPT_ ; -- Begin function _ZL24dequantize_block_iq2_xxsIN3c108BFloat16EEvPKvPT_
	.p2align	8
	.type	_ZL24dequantize_block_iq2_xxsIN3c108BFloat16EEvPKvPT_,@function
_ZL24dequantize_block_iq2_xxsIN3c108BFloat16EEvPKvPT_: ; @_ZL24dequantize_block_iq2_xxsIN3c108BFloat16EEvPKvPT_
; %bb.0:
	s_load_b128 s[0:3], s[0:1], 0x0
	v_dual_mov_b32 v6, 0 :: v_dual_and_b32 v3, 7, v0
	s_lshl_b32 s4, ttmp9, 8
	s_mov_b32 s5, 0
	v_lshrrev_b32_e32 v5, 3, v0
	s_lshl_b64 s[6:7], s[4:5], 1
	s_mov_b32 s4, ttmp9
	v_lshlrev_b32_e32 v4, 3, v3
	s_mul_u64 s[4:5], s[4:5], 0x42
	s_wait_kmcnt 0x0
	s_add_nc_u64 s[0:1], s[0:1], s[4:5]
	s_delay_alu instid0(VALU_DEP_1) | instid1(SALU_CYCLE_1)
	v_add_co_u32 v1, s4, s0, v4
	s_delay_alu instid0(VALU_DEP_1) | instskip(NEXT) | instid1(VALU_DEP_2)
	v_add_co_ci_u32_e64 v2, null, s1, 0, s4
	v_add_co_u32 v1, vcc_lo, v1, v5
	s_delay_alu instid0(VALU_DEP_1)
	v_add_co_ci_u32_e64 v2, null, 0, v2, vcc_lo
	s_clause 0x2
	global_load_u16 v6, v6, s[0:1]
	global_load_b32 v4, v4, s[0:1] offset:6
	global_load_u8 v1, v[1:2], off offset:2
	v_mul_u32_u24_e32 v2, 7, v5
	s_getpc_b64 s[0:1]
	s_wait_alu 0xfffe
	s_sext_i32_i16 s1, s1
	s_add_co_u32 s0, s0, _ZL11iq2xxs_grid@rel32@lo+12
	s_wait_alu 0xfffe
	s_add_co_ci_u32 s1, s1, _ZL11iq2xxs_grid@rel32@hi+24
	s_getpc_b64 s[4:5]
	s_wait_alu 0xfffe
	s_sext_i32_i16 s5, s5
	s_add_co_u32 s4, s4, _ZL12ksigns_iq2xs@rel32@lo+12
	s_wait_alu 0xfffe
	s_add_co_ci_u32 s5, s5, _ZL12ksigns_iq2xs@rel32@hi+24
	s_wait_loadcnt 0x2
	v_cvt_f32_f16_e32 v6, v6
	s_wait_loadcnt 0x1
	v_bfe_u32 v5, v4, v2, 7
	v_lshrrev_b32_e32 v4, 28, v4
	s_delay_alu instid0(VALU_DEP_1) | instskip(SKIP_1) | instid1(VALU_DEP_1)
	v_cvt_f32_ubyte0_e32 v4, v4
	s_wait_loadcnt 0x0
	v_dual_add_f32 v4, 0.5, v4 :: v_dual_lshlrev_b32 v1, 3, v1
	global_load_u8 v7, v5, s[4:5]
	global_load_b64 v[1:2], v1, s[0:1]
	v_lshlrev_b32_e32 v3, 6, v3
	s_add_nc_u64 s[0:1], s[2:3], s[6:7]
	v_mul_f32_e32 v4, v4, v6
	s_wait_alu 0xfffe
	s_delay_alu instid0(VALU_DEP_2)
	v_add_co_u32 v3, s0, s0, v3
	s_wait_alu 0xf1ff
	v_add_co_ci_u32_e64 v6, null, s1, 0, s0
	s_wait_loadcnt 0x1
	v_dual_mul_f32 v4, 0x3e800000, v4 :: v_dual_and_b32 v13, 4, v7
	s_wait_loadcnt 0x0
	v_cvt_f32_ubyte3_e32 v9, v1
	v_and_b32_e32 v12, 8, v7
	v_cvt_f32_ubyte2_e32 v10, v1
	v_cvt_f32_ubyte1_e32 v11, v1
	v_cvt_f32_ubyte0_e32 v1, v1
	v_and_b32_e32 v0, 0x3f8, v0
	v_cvt_f32_ubyte0_e32 v16, v2
	v_cvt_f32_ubyte1_e32 v18, v2
	v_cvt_f32_ubyte2_e32 v19, v2
	v_cvt_f32_ubyte3_e32 v2, v2
	v_mul_f32_e32 v9, v4, v9
	v_cmp_eq_u16_e32 vcc_lo, 0, v12
	v_bfe_i32 v8, v7, 0, 8
	v_and_b32_e32 v14, 2, v7
	v_dual_mul_f32 v10, v4, v10 :: v_dual_and_b32 v15, 1, v7
	v_dual_mul_f32 v16, v4, v16 :: v_dual_and_b32 v17, 16, v7
	;; [unrolled: 1-line block ×3, first 2 shown]
	v_dual_mul_f32 v1, v4, v1 :: v_dual_lshlrev_b32 v0, 1, v0
	v_mul_f32_e32 v11, v4, v11
	v_mul_f32_e32 v19, v4, v19
	;; [unrolled: 1-line block ×3, first 2 shown]
	s_wait_alu 0xfffd
	v_cndmask_b32_e64 v4, -v9, v9, vcc_lo
	v_cmp_eq_u16_e32 vcc_lo, 0, v13
	s_wait_alu 0xfffd
	v_cndmask_b32_e64 v9, -v10, v10, vcc_lo
	v_cmp_eq_u16_e32 vcc_lo, 0, v14
	v_bfe_u32 v14, v4, 16, 1
	s_delay_alu instid0(VALU_DEP_3)
	v_bfe_u32 v13, v9, 16, 1
	s_wait_alu 0xfffd
	v_cndmask_b32_e64 v10, -v11, v11, vcc_lo
	v_cmp_eq_u16_e32 vcc_lo, 0, v15
	v_add3_u32 v14, v4, v14, 0x7fff
	v_add3_u32 v13, v9, v13, 0x7fff
	s_delay_alu instid0(VALU_DEP_4)
	v_bfe_u32 v12, v10, 16, 1
	s_wait_alu 0xfffd
	v_cndmask_b32_e64 v1, -v1, v1, vcc_lo
	v_cmp_eq_u16_e32 vcc_lo, 0, v17
	v_lshrrev_b32_e32 v14, 16, v14
	v_lshrrev_b32_e32 v13, 16, v13
	v_add3_u32 v12, v10, v12, 0x7fff
	s_wait_alu 0xfffd
	v_cndmask_b32_e64 v11, -v16, v16, vcc_lo
	v_cmp_eq_u16_e32 vcc_lo, 0, v7
	s_delay_alu instid0(VALU_DEP_3) | instskip(NEXT) | instid1(VALU_DEP_3)
	v_lshrrev_b32_e32 v12, 16, v12
	v_bfe_u32 v15, v11, 16, 1
	s_wait_alu 0xfffd
	v_cndmask_b32_e64 v7, -v18, v18, vcc_lo
	v_cmp_gt_u32_e32 vcc_lo, 64, v5
	s_delay_alu instid0(VALU_DEP_3) | instskip(NEXT) | instid1(VALU_DEP_3)
	v_add3_u32 v15, v11, v15, 0x7fff
	v_lshrrev_b32_e32 v17, 16, v7
	s_wait_alu 0xfffd
	v_cndmask_b32_e64 v5, -v19, v19, vcc_lo
	v_cmp_gt_i16_e32 vcc_lo, 0, v8
	v_bfe_u32 v8, v1, 16, 1
	v_lshrrev_b32_e32 v15, 16, v15
	v_and_b32_e32 v17, 1, v17
	v_lshrrev_b32_e32 v16, 16, v5
	s_wait_alu 0xfffd
	v_cndmask_b32_e64 v2, v2, -v2, vcc_lo
	v_add3_u32 v8, v1, v8, 0x7fff
	v_cmp_o_f32_e32 vcc_lo, v1, v1
	v_add3_u32 v17, v7, v17, 0x7fff
	v_and_b32_e32 v16, 1, v16
	v_bfe_u32 v18, v2, 16, 1
	v_lshrrev_b32_e32 v8, 16, v8
	s_delay_alu instid0(VALU_DEP_3) | instskip(NEXT) | instid1(VALU_DEP_3)
	v_add3_u32 v16, v5, v16, 0x7fff
	v_add3_u32 v18, v2, v18, 0x7fff
	s_wait_alu 0xfffd
	s_delay_alu instid0(VALU_DEP_3) | instskip(SKIP_1) | instid1(VALU_DEP_3)
	v_cndmask_b32_e32 v8, 0x7fc0, v8, vcc_lo
	v_cmp_o_f32_e32 vcc_lo, v10, v10
	v_lshrrev_b32_e32 v18, 16, v18
	s_wait_alu 0xfffd
	v_cndmask_b32_e32 v10, 0x7fc0, v12, vcc_lo
	v_cmp_o_f32_e32 vcc_lo, v9, v9
	v_lshrrev_b32_e32 v12, 16, v16
	s_wait_alu 0xfffd
	;; [unrolled: 4-line block ×3, first 2 shown]
	v_cndmask_b32_e32 v9, 0x7fc0, v14, vcc_lo
	v_cmp_o_f32_e32 vcc_lo, v11, v11
	s_delay_alu instid0(VALU_DEP_2)
	v_perm_b32 v1, v9, v1, 0x5040100
	s_wait_alu 0xfffd
	v_cndmask_b32_e32 v11, 0x7fc0, v15, vcc_lo
	v_cmp_o_f32_e32 vcc_lo, v2, v2
	s_wait_alu 0xfffd
	v_cndmask_b32_e32 v2, 0x7fc0, v18, vcc_lo
	v_cmp_o_f32_e32 vcc_lo, v7, v7
	;; [unrolled: 3-line block ×3, first 2 shown]
	s_wait_alu 0xfffd
	v_cndmask_b32_e32 v12, 0x7fc0, v12, vcc_lo
	v_add_co_u32 v4, vcc_lo, v3, v0
	s_wait_alu 0xfffd
	v_add_co_ci_u32_e64 v5, null, 0, v6, vcc_lo
	v_perm_b32 v0, v10, v8, 0x5040100
	v_perm_b32 v3, v2, v12, 0x5040100
	;; [unrolled: 1-line block ×3, first 2 shown]
	global_store_b128 v[4:5], v[0:3], off
	s_endpgm
	.section	.rodata,"a",@progbits
	.p2align	6, 0x0
	.amdhsa_kernel _ZL24dequantize_block_iq2_xxsIN3c108BFloat16EEvPKvPT_
		.amdhsa_group_segment_fixed_size 0
		.amdhsa_private_segment_fixed_size 0
		.amdhsa_kernarg_size 16
		.amdhsa_user_sgpr_count 2
		.amdhsa_user_sgpr_dispatch_ptr 0
		.amdhsa_user_sgpr_queue_ptr 0
		.amdhsa_user_sgpr_kernarg_segment_ptr 1
		.amdhsa_user_sgpr_dispatch_id 0
		.amdhsa_user_sgpr_private_segment_size 0
		.amdhsa_wavefront_size32 1
		.amdhsa_uses_dynamic_stack 0
		.amdhsa_enable_private_segment 0
		.amdhsa_system_sgpr_workgroup_id_x 1
		.amdhsa_system_sgpr_workgroup_id_y 0
		.amdhsa_system_sgpr_workgroup_id_z 0
		.amdhsa_system_sgpr_workgroup_info 0
		.amdhsa_system_vgpr_workitem_id 0
		.amdhsa_next_free_vgpr 20
		.amdhsa_next_free_sgpr 8
		.amdhsa_reserve_vcc 1
		.amdhsa_float_round_mode_32 0
		.amdhsa_float_round_mode_16_64 0
		.amdhsa_float_denorm_mode_32 3
		.amdhsa_float_denorm_mode_16_64 3
		.amdhsa_fp16_overflow 0
		.amdhsa_workgroup_processor_mode 1
		.amdhsa_memory_ordered 1
		.amdhsa_forward_progress 1
		.amdhsa_inst_pref_size 8
		.amdhsa_round_robin_scheduling 0
		.amdhsa_exception_fp_ieee_invalid_op 0
		.amdhsa_exception_fp_denorm_src 0
		.amdhsa_exception_fp_ieee_div_zero 0
		.amdhsa_exception_fp_ieee_overflow 0
		.amdhsa_exception_fp_ieee_underflow 0
		.amdhsa_exception_fp_ieee_inexact 0
		.amdhsa_exception_int_div_zero 0
	.end_amdhsa_kernel
	.section	.text._ZL24dequantize_block_iq2_xxsIN3c108BFloat16EEvPKvPT_,"axG",@progbits,_ZL24dequantize_block_iq2_xxsIN3c108BFloat16EEvPKvPT_,comdat
.Lfunc_end48:
	.size	_ZL24dequantize_block_iq2_xxsIN3c108BFloat16EEvPKvPT_, .Lfunc_end48-_ZL24dequantize_block_iq2_xxsIN3c108BFloat16EEvPKvPT_
                                        ; -- End function
	.set _ZL24dequantize_block_iq2_xxsIN3c108BFloat16EEvPKvPT_.num_vgpr, 20
	.set _ZL24dequantize_block_iq2_xxsIN3c108BFloat16EEvPKvPT_.num_agpr, 0
	.set _ZL24dequantize_block_iq2_xxsIN3c108BFloat16EEvPKvPT_.numbered_sgpr, 8
	.set _ZL24dequantize_block_iq2_xxsIN3c108BFloat16EEvPKvPT_.num_named_barrier, 0
	.set _ZL24dequantize_block_iq2_xxsIN3c108BFloat16EEvPKvPT_.private_seg_size, 0
	.set _ZL24dequantize_block_iq2_xxsIN3c108BFloat16EEvPKvPT_.uses_vcc, 1
	.set _ZL24dequantize_block_iq2_xxsIN3c108BFloat16EEvPKvPT_.uses_flat_scratch, 0
	.set _ZL24dequantize_block_iq2_xxsIN3c108BFloat16EEvPKvPT_.has_dyn_sized_stack, 0
	.set _ZL24dequantize_block_iq2_xxsIN3c108BFloat16EEvPKvPT_.has_recursion, 0
	.set _ZL24dequantize_block_iq2_xxsIN3c108BFloat16EEvPKvPT_.has_indirect_call, 0
	.section	.AMDGPU.csdata,"",@progbits
; Kernel info:
; codeLenInByte = 1000
; TotalNumSgprs: 10
; NumVgprs: 20
; ScratchSize: 0
; MemoryBound: 0
; FloatMode: 240
; IeeeMode: 1
; LDSByteSize: 0 bytes/workgroup (compile time only)
; SGPRBlocks: 0
; VGPRBlocks: 2
; NumSGPRsForWavesPerEU: 10
; NumVGPRsForWavesPerEU: 20
; Occupancy: 16
; WaveLimiterHint : 0
; COMPUTE_PGM_RSRC2:SCRATCH_EN: 0
; COMPUTE_PGM_RSRC2:USER_SGPR: 2
; COMPUTE_PGM_RSRC2:TRAP_HANDLER: 0
; COMPUTE_PGM_RSRC2:TGID_X_EN: 1
; COMPUTE_PGM_RSRC2:TGID_Y_EN: 0
; COMPUTE_PGM_RSRC2:TGID_Z_EN: 0
; COMPUTE_PGM_RSRC2:TIDIG_COMP_CNT: 0
	.section	.text._ZL23dequantize_block_iq2_xsIN3c108BFloat16EEvPKvPT_,"axG",@progbits,_ZL23dequantize_block_iq2_xsIN3c108BFloat16EEvPKvPT_,comdat
	.globl	_ZL23dequantize_block_iq2_xsIN3c108BFloat16EEvPKvPT_ ; -- Begin function _ZL23dequantize_block_iq2_xsIN3c108BFloat16EEvPKvPT_
	.p2align	8
	.type	_ZL23dequantize_block_iq2_xsIN3c108BFloat16EEvPKvPT_,@function
_ZL23dequantize_block_iq2_xsIN3c108BFloat16EEvPKvPT_: ; @_ZL23dequantize_block_iq2_xsIN3c108BFloat16EEvPKvPT_
; %bb.0:
	s_load_b128 s[0:3], s[0:1], 0x0
	v_and_b32_e32 v3, 7, v0
	s_lshl_b32 s4, ttmp9, 8
	s_mov_b32 s5, 0
	v_lshrrev_b32_e32 v4, 2, v0
	s_lshl_b64 s[6:7], s[4:5], 1
	s_mov_b32 s4, ttmp9
	v_lshlrev_b32_e32 v1, 3, v3
	s_mul_u64 s[4:5], s[4:5], 0x4a
	v_and_b32_e32 v2, 0xfe, v4
	v_and_b32_e32 v4, 0xfc, v4
	s_wait_kmcnt 0x0
	s_add_nc_u64 s[0:1], s[0:1], s[4:5]
	s_delay_alu instid0(SALU_CYCLE_1) | instskip(NEXT) | instid1(VALU_DEP_1)
	v_add_co_u32 v1, s4, s0, v1
	v_add_co_ci_u32_e64 v5, null, s1, 0, s4
	s_delay_alu instid0(VALU_DEP_2) | instskip(NEXT) | instid1(VALU_DEP_1)
	v_add_co_u32 v1, vcc_lo, v1, v2
	v_add_co_ci_u32_e64 v2, null, 0, v5, vcc_lo
	global_load_u16 v5, v[1:2], off offset:2
	v_mov_b32_e32 v1, 0
	s_clause 0x1
	global_load_u16 v6, v1, s[0:1]
	global_load_u8 v7, v3, s[0:1] offset:66
	s_getpc_b64 s[0:1]
	s_wait_alu 0xfffe
	s_sext_i32_i16 s1, s1
	s_add_co_u32 s0, s0, _ZL12ksigns_iq2xs@rel32@lo+12
	s_wait_alu 0xfffe
	s_add_co_ci_u32 s1, s1, _ZL12ksigns_iq2xs@rel32@hi+24
	s_wait_loadcnt 0x1
	v_cvt_f32_f16_e32 v6, v6
	s_wait_loadcnt 0x0
	v_bfe_u32 v4, v7, v4, 4
	s_delay_alu instid0(VALU_DEP_1) | instskip(NEXT) | instid1(VALU_DEP_1)
	v_cvt_f32_ubyte0_e32 v4, v4
	v_add_f32_e32 v4, 0.5, v4
	s_delay_alu instid0(VALU_DEP_1) | instskip(NEXT) | instid1(VALU_DEP_1)
	v_dual_mul_f32 v4, v4, v6 :: v_dual_lshlrev_b32 v3, 6, v3
	v_mul_f32_e32 v4, 0x3e800000, v4
	v_and_b32_e32 v1, 0xffff, v5
	v_and_b32_e32 v2, 0x1ff, v5
	s_delay_alu instid0(VALU_DEP_2) | instskip(NEXT) | instid1(VALU_DEP_2)
	v_lshrrev_b32_e32 v1, 9, v1
	v_and_b32_e32 v2, 0xffff, v2
	global_load_u8 v8, v1, s[0:1]
	v_lshlrev_b32_e32 v1, 3, v2
	s_getpc_b64 s[0:1]
	s_wait_alu 0xfffe
	s_sext_i32_i16 s1, s1
	s_add_co_u32 s0, s0, _ZL10iq2xs_grid@rel32@lo+12
	s_wait_alu 0xfffe
	s_add_co_ci_u32 s1, s1, _ZL10iq2xs_grid@rel32@hi+24
	global_load_b64 v[1:2], v1, s[0:1]
	s_add_nc_u64 s[0:1], s[2:3], s[6:7]
	s_wait_alu 0xfffe
	v_add_co_u32 v3, s0, s0, v3
	s_wait_alu 0xf1ff
	v_add_co_ci_u32_e64 v6, null, s1, 0, s0
	s_wait_loadcnt 0x1
	v_and_b32_e32 v10, 4, v8
	v_and_b32_e32 v12, 1, v8
	v_bfe_i32 v7, v8, 0, 8
	s_wait_loadcnt 0x0
	v_cvt_f32_ubyte3_e32 v14, v1
	v_and_b32_e32 v9, 8, v8
	v_cvt_f32_ubyte2_e32 v15, v1
	v_cvt_f32_ubyte1_e32 v16, v1
	v_cvt_f32_ubyte0_e32 v1, v1
	v_cvt_f32_ubyte0_e32 v17, v2
	v_and_b32_e32 v0, 0x3f8, v0
	v_cvt_f32_ubyte1_e32 v18, v2
	v_cvt_f32_ubyte2_e32 v19, v2
	v_cvt_f32_ubyte3_e32 v2, v2
	v_mul_f32_e32 v14, v4, v14
	v_cmp_eq_u16_e32 vcc_lo, 0, v9
	v_dual_mul_f32 v18, v4, v18 :: v_dual_and_b32 v11, 2, v8
	s_delay_alu instid0(VALU_DEP_4)
	v_dual_mul_f32 v2, v4, v2 :: v_dual_and_b32 v13, 16, v8
	v_mul_f32_e32 v1, v4, v1
	v_mul_f32_e32 v16, v4, v16
	v_mul_f32_e32 v15, v4, v15
	v_dual_mul_f32 v17, v4, v17 :: v_dual_lshlrev_b32 v0, 1, v0
	v_mul_f32_e32 v19, v4, v19
	s_wait_alu 0xfffd
	v_cndmask_b32_e64 v4, -v14, v14, vcc_lo
	v_cmp_eq_u16_e32 vcc_lo, 0, v10
	s_delay_alu instid0(VALU_DEP_2) | instskip(SKIP_3) | instid1(VALU_DEP_3)
	v_bfe_u32 v14, v4, 16, 1
	s_wait_alu 0xfffd
	v_cndmask_b32_e64 v9, -v15, v15, vcc_lo
	v_cmp_eq_u16_e32 vcc_lo, 0, v11
	v_add3_u32 v14, v4, v14, 0x7fff
	s_wait_alu 0xfffd
	v_cndmask_b32_e64 v10, -v16, v16, vcc_lo
	v_cmp_eq_u16_e32 vcc_lo, 0, v12
	s_delay_alu instid0(VALU_DEP_3) | instskip(SKIP_1) | instid1(VALU_DEP_4)
	v_lshrrev_b32_e32 v14, 16, v14
	v_and_b32_e32 v8, 32, v8
	v_bfe_u32 v12, v10, 16, 1
	s_wait_alu 0xfffd
	v_cndmask_b32_e64 v1, -v1, v1, vcc_lo
	v_cmp_eq_u16_e32 vcc_lo, 0, v13
	v_bfe_u32 v13, v9, 16, 1
	v_add3_u32 v12, v10, v12, 0x7fff
	s_wait_alu 0xfffd
	v_cndmask_b32_e64 v11, -v17, v17, vcc_lo
	v_cmp_eq_u16_e32 vcc_lo, 0, v8
	v_add3_u32 v13, v9, v13, 0x7fff
	v_lshrrev_b32_e32 v12, 16, v12
	s_delay_alu instid0(VALU_DEP_4)
	v_bfe_u32 v15, v11, 16, 1
	s_wait_alu 0xfffd
	v_cndmask_b32_e64 v8, -v18, v18, vcc_lo
	v_cmp_gt_i16_e32 vcc_lo, 0, v5
	v_lshrrev_b32_e32 v13, 16, v13
	v_add3_u32 v15, v11, v15, 0x7fff
	s_delay_alu instid0(VALU_DEP_4)
	v_lshrrev_b32_e32 v17, 16, v8
	s_wait_alu 0xfffd
	v_cndmask_b32_e64 v5, v19, -v19, vcc_lo
	v_cmp_gt_i16_e32 vcc_lo, 0, v7
	v_bfe_u32 v7, v1, 16, 1
	v_lshrrev_b32_e32 v15, 16, v15
	s_delay_alu instid0(VALU_DEP_4) | instskip(SKIP_4) | instid1(VALU_DEP_3)
	v_lshrrev_b32_e32 v16, 16, v5
	s_wait_alu 0xfffd
	v_cndmask_b32_e64 v2, v2, -v2, vcc_lo
	v_add3_u32 v7, v1, v7, 0x7fff
	v_cmp_o_f32_e32 vcc_lo, v1, v1
	v_bfe_u32 v18, v2, 16, 1
	s_delay_alu instid0(VALU_DEP_3) | instskip(NEXT) | instid1(VALU_DEP_2)
	v_lshrrev_b32_e32 v7, 16, v7
	v_add3_u32 v18, v2, v18, 0x7fff
	s_wait_alu 0xfffd
	s_delay_alu instid0(VALU_DEP_2) | instskip(SKIP_1) | instid1(VALU_DEP_3)
	v_cndmask_b32_e32 v7, 0x7fc0, v7, vcc_lo
	v_cmp_o_f32_e32 vcc_lo, v10, v10
	v_lshrrev_b32_e32 v18, 16, v18
	s_wait_alu 0xfffd
	v_cndmask_b32_e32 v10, 0x7fc0, v12, vcc_lo
	v_cmp_o_f32_e32 vcc_lo, v9, v9
	s_wait_alu 0xfffd
	v_cndmask_b32_e32 v1, 0x7fc0, v13, vcc_lo
	v_cmp_o_f32_e32 vcc_lo, v4, v4
	;; [unrolled: 3-line block ×3, first 2 shown]
	v_and_b32_e32 v16, 1, v16
	s_delay_alu instid0(VALU_DEP_3)
	v_perm_b32 v1, v9, v1, 0x5040100
	s_wait_alu 0xfffd
	v_cndmask_b32_e32 v11, 0x7fc0, v15, vcc_lo
	v_cmp_o_f32_e32 vcc_lo, v2, v2
	v_and_b32_e32 v17, 1, v17
	v_add3_u32 v16, v5, v16, 0x7fff
	s_wait_alu 0xfffd
	v_cndmask_b32_e32 v2, 0x7fc0, v18, vcc_lo
	s_delay_alu instid0(VALU_DEP_3) | instskip(SKIP_2) | instid1(VALU_DEP_3)
	v_add3_u32 v17, v8, v17, 0x7fff
	v_cmp_o_f32_e32 vcc_lo, v8, v8
	v_lshrrev_b32_e32 v12, 16, v16
	v_lshrrev_b32_e32 v4, 16, v17
	s_wait_alu 0xfffd
	s_delay_alu instid0(VALU_DEP_1)
	v_cndmask_b32_e32 v8, 0x7fc0, v4, vcc_lo
	v_cmp_o_f32_e32 vcc_lo, v5, v5
	s_wait_alu 0xfffd
	v_cndmask_b32_e32 v12, 0x7fc0, v12, vcc_lo
	v_add_co_u32 v4, vcc_lo, v3, v0
	s_wait_alu 0xfffd
	v_add_co_ci_u32_e64 v5, null, 0, v6, vcc_lo
	v_perm_b32 v0, v10, v7, 0x5040100
	v_perm_b32 v3, v2, v12, 0x5040100
	v_perm_b32 v2, v8, v11, 0x5040100
	global_store_b128 v[4:5], v[0:3], off
	s_endpgm
	.section	.rodata,"a",@progbits
	.p2align	6, 0x0
	.amdhsa_kernel _ZL23dequantize_block_iq2_xsIN3c108BFloat16EEvPKvPT_
		.amdhsa_group_segment_fixed_size 0
		.amdhsa_private_segment_fixed_size 0
		.amdhsa_kernarg_size 16
		.amdhsa_user_sgpr_count 2
		.amdhsa_user_sgpr_dispatch_ptr 0
		.amdhsa_user_sgpr_queue_ptr 0
		.amdhsa_user_sgpr_kernarg_segment_ptr 1
		.amdhsa_user_sgpr_dispatch_id 0
		.amdhsa_user_sgpr_private_segment_size 0
		.amdhsa_wavefront_size32 1
		.amdhsa_uses_dynamic_stack 0
		.amdhsa_enable_private_segment 0
		.amdhsa_system_sgpr_workgroup_id_x 1
		.amdhsa_system_sgpr_workgroup_id_y 0
		.amdhsa_system_sgpr_workgroup_id_z 0
		.amdhsa_system_sgpr_workgroup_info 0
		.amdhsa_system_vgpr_workitem_id 0
		.amdhsa_next_free_vgpr 20
		.amdhsa_next_free_sgpr 8
		.amdhsa_reserve_vcc 1
		.amdhsa_float_round_mode_32 0
		.amdhsa_float_round_mode_16_64 0
		.amdhsa_float_denorm_mode_32 3
		.amdhsa_float_denorm_mode_16_64 3
		.amdhsa_fp16_overflow 0
		.amdhsa_workgroup_processor_mode 1
		.amdhsa_memory_ordered 1
		.amdhsa_forward_progress 1
		.amdhsa_inst_pref_size 9
		.amdhsa_round_robin_scheduling 0
		.amdhsa_exception_fp_ieee_invalid_op 0
		.amdhsa_exception_fp_denorm_src 0
		.amdhsa_exception_fp_ieee_div_zero 0
		.amdhsa_exception_fp_ieee_overflow 0
		.amdhsa_exception_fp_ieee_underflow 0
		.amdhsa_exception_fp_ieee_inexact 0
		.amdhsa_exception_int_div_zero 0
	.end_amdhsa_kernel
	.section	.text._ZL23dequantize_block_iq2_xsIN3c108BFloat16EEvPKvPT_,"axG",@progbits,_ZL23dequantize_block_iq2_xsIN3c108BFloat16EEvPKvPT_,comdat
.Lfunc_end49:
	.size	_ZL23dequantize_block_iq2_xsIN3c108BFloat16EEvPKvPT_, .Lfunc_end49-_ZL23dequantize_block_iq2_xsIN3c108BFloat16EEvPKvPT_
                                        ; -- End function
	.set _ZL23dequantize_block_iq2_xsIN3c108BFloat16EEvPKvPT_.num_vgpr, 20
	.set _ZL23dequantize_block_iq2_xsIN3c108BFloat16EEvPKvPT_.num_agpr, 0
	.set _ZL23dequantize_block_iq2_xsIN3c108BFloat16EEvPKvPT_.numbered_sgpr, 8
	.set _ZL23dequantize_block_iq2_xsIN3c108BFloat16EEvPKvPT_.num_named_barrier, 0
	.set _ZL23dequantize_block_iq2_xsIN3c108BFloat16EEvPKvPT_.private_seg_size, 0
	.set _ZL23dequantize_block_iq2_xsIN3c108BFloat16EEvPKvPT_.uses_vcc, 1
	.set _ZL23dequantize_block_iq2_xsIN3c108BFloat16EEvPKvPT_.uses_flat_scratch, 0
	.set _ZL23dequantize_block_iq2_xsIN3c108BFloat16EEvPKvPT_.has_dyn_sized_stack, 0
	.set _ZL23dequantize_block_iq2_xsIN3c108BFloat16EEvPKvPT_.has_recursion, 0
	.set _ZL23dequantize_block_iq2_xsIN3c108BFloat16EEvPKvPT_.has_indirect_call, 0
	.section	.AMDGPU.csdata,"",@progbits
; Kernel info:
; codeLenInByte = 1048
; TotalNumSgprs: 10
; NumVgprs: 20
; ScratchSize: 0
; MemoryBound: 0
; FloatMode: 240
; IeeeMode: 1
; LDSByteSize: 0 bytes/workgroup (compile time only)
; SGPRBlocks: 0
; VGPRBlocks: 2
; NumSGPRsForWavesPerEU: 10
; NumVGPRsForWavesPerEU: 20
; Occupancy: 16
; WaveLimiterHint : 0
; COMPUTE_PGM_RSRC2:SCRATCH_EN: 0
; COMPUTE_PGM_RSRC2:USER_SGPR: 2
; COMPUTE_PGM_RSRC2:TRAP_HANDLER: 0
; COMPUTE_PGM_RSRC2:TGID_X_EN: 1
; COMPUTE_PGM_RSRC2:TGID_Y_EN: 0
; COMPUTE_PGM_RSRC2:TGID_Z_EN: 0
; COMPUTE_PGM_RSRC2:TIDIG_COMP_CNT: 0
	.section	.text._ZL24dequantize_block_iq3_xxsIN3c108BFloat16EEvPKvPT_,"axG",@progbits,_ZL24dequantize_block_iq3_xxsIN3c108BFloat16EEvPKvPT_,comdat
	.globl	_ZL24dequantize_block_iq3_xxsIN3c108BFloat16EEvPKvPT_ ; -- Begin function _ZL24dequantize_block_iq3_xxsIN3c108BFloat16EEvPKvPT_
	.p2align	8
	.type	_ZL24dequantize_block_iq3_xxsIN3c108BFloat16EEvPKvPT_,@function
_ZL24dequantize_block_iq3_xxsIN3c108BFloat16EEvPKvPT_: ; @_ZL24dequantize_block_iq3_xxsIN3c108BFloat16EEvPKvPT_
; %bb.0:
	s_load_b128 s[0:3], s[0:1], 0x0
	v_and_b32_e32 v4, 7, v0
	s_lshl_b32 s4, ttmp9, 8
	s_mov_b32 s5, 0
	v_lshrrev_b32_e32 v3, 3, v0
	s_lshl_b64 s[6:7], s[4:5], 1
	s_mov_b32 s4, ttmp9
	v_lshlrev_b32_e32 v1, 3, v4
	s_mul_u64 s[4:5], s[4:5], 0x62
	v_lshlrev_b32_e32 v2, 1, v3
	v_mul_u32_u24_e32 v3, 7, v3
	s_wait_kmcnt 0x0
	s_add_nc_u64 s[0:1], s[0:1], s[4:5]
	s_delay_alu instid0(SALU_CYCLE_1) | instskip(NEXT) | instid1(VALU_DEP_1)
	v_add_co_u32 v1, s4, s0, v1
	v_add_co_ci_u32_e64 v5, null, s1, 0, s4
	s_delay_alu instid0(VALU_DEP_2) | instskip(NEXT) | instid1(VALU_DEP_1)
	v_add_co_u32 v1, vcc_lo, v1, v2
	v_add_co_ci_u32_e64 v2, null, 0, v5, vcc_lo
	v_dual_mov_b32 v5, 0 :: v_dual_lshlrev_b32 v6, 2, v4
	s_clause 0x2
	global_load_u16 v1, v[1:2], off offset:2
	global_load_u16 v2, v5, s[0:1]
	global_load_b32 v5, v6, s[0:1] offset:66
	s_getpc_b64 s[0:1]
	s_wait_alu 0xfffe
	s_sext_i32_i16 s1, s1
	s_add_co_u32 s0, s0, _ZL12ksigns_iq2xs@rel32@lo+12
	s_wait_alu 0xfffe
	s_add_co_ci_u32 s1, s1, _ZL12ksigns_iq2xs@rel32@hi+24
	s_wait_loadcnt 0x2
	v_lshrrev_b16 v6, 8, v1
	s_wait_loadcnt 0x1
	v_cvt_f32_f16_e32 v2, v2
	s_wait_loadcnt 0x0
	v_bfe_u32 v3, v5, v3, 7
	v_lshrrev_b32_e32 v5, 28, v5
	global_load_u8 v7, v3, s[0:1]
	v_cvt_f32_ubyte0_e32 v5, v5
	s_getpc_b64 s[0:1]
	s_wait_alu 0xfffe
	s_sext_i32_i16 s1, s1
	s_add_co_u32 s0, s0, _ZL11iq3xxs_grid@rel32@lo+12
	s_wait_alu 0xfffe
	s_add_co_ci_u32 s1, s1, _ZL11iq3xxs_grid@rel32@hi+24
	v_add_f32_e32 v5, 0.5, v5
	s_delay_alu instid0(VALU_DEP_1) | instskip(NEXT) | instid1(VALU_DEP_1)
	v_dual_mul_f32 v2, v5, v2 :: v_dual_and_b32 v1, 0xff, v1
	v_mul_f32_e32 v2, 0.5, v2
	v_and_b32_e32 v6, 0xffff, v6
	s_delay_alu instid0(VALU_DEP_3) | instskip(NEXT) | instid1(VALU_DEP_2)
	v_lshlrev_b32_e32 v1, 2, v1
	v_lshlrev_b32_e32 v6, 2, v6
	s_clause 0x1
	global_load_b32 v6, v6, s[0:1]
	global_load_b32 v1, v1, s[0:1]
	s_add_nc_u64 s[0:1], s[2:3], s[6:7]
	s_wait_loadcnt 0x2
	v_and_b32_e32 v10, 32, v7
	v_and_b32_e32 v12, 4, v7
	v_bfe_i32 v8, v7, 0, 8
	s_wait_loadcnt 0x1
	v_cvt_f32_ubyte0_e32 v14, v6
	v_cvt_f32_ubyte2_e32 v16, v6
	v_and_b32_e32 v9, 16, v7
	v_cvt_f32_ubyte1_e32 v15, v6
	s_wait_loadcnt 0x0
	v_cvt_f32_ubyte3_e32 v17, v1
	v_cvt_f32_ubyte2_e32 v18, v1
	v_cvt_f32_ubyte1_e32 v19, v1
	v_cvt_f32_ubyte0_e32 v1, v1
	v_cvt_f32_ubyte3_e32 v6, v6
	v_mul_f32_e32 v14, v2, v14
	v_mul_f32_e32 v16, v2, v16
	v_cmp_eq_u16_e32 vcc_lo, 0, v9
	v_dual_mul_f32 v17, v2, v17 :: v_dual_and_b32 v0, 0x3f8, v0
	v_dual_mul_f32 v18, v2, v18 :: v_dual_and_b32 v11, 8, v7
	v_and_b32_e32 v13, 2, v7
	v_mul_f32_e32 v15, v2, v15
	v_mul_f32_e32 v1, v2, v1
	;; [unrolled: 1-line block ×4, first 2 shown]
	s_wait_alu 0xfffd
	v_cndmask_b32_e64 v6, -v14, v14, vcc_lo
	v_cmp_eq_u16_e32 vcc_lo, 0, v10
	s_wait_alu 0xfffd
	v_cndmask_b32_e64 v9, -v15, v15, vcc_lo
	v_cmp_gt_u32_e32 vcc_lo, 64, v3
	s_wait_alu 0xfffd
	v_cndmask_b32_e64 v3, -v16, v16, vcc_lo
	v_cmp_eq_u16_e32 vcc_lo, 0, v11
	s_wait_alu 0xfffd
	v_cndmask_b32_e64 v10, -v17, v17, vcc_lo
	v_cmp_eq_u16_e32 vcc_lo, 0, v12
	s_delay_alu instid0(VALU_DEP_2)
	v_bfe_u32 v17, v10, 16, 1
	s_wait_alu 0xfffd
	v_cndmask_b32_e64 v11, -v18, v18, vcc_lo
	v_cmp_eq_u16_e32 vcc_lo, 0, v13
	v_lshrrev_b32_e32 v13, 16, v9
	v_add3_u32 v17, v10, v17, 0x7fff
	s_delay_alu instid0(VALU_DEP_4) | instskip(SKIP_2) | instid1(VALU_DEP_3)
	v_bfe_u32 v16, v11, 16, 1
	s_wait_alu 0xfffd
	v_cndmask_b32_e64 v12, -v19, v19, vcc_lo
	v_lshrrev_b32_e32 v17, 16, v17
	v_and_b32_e32 v7, 1, v7
	s_delay_alu instid0(VALU_DEP_3) | instskip(SKIP_1) | instid1(VALU_DEP_3)
	v_bfe_u32 v15, v12, 16, 1
	v_add3_u32 v16, v11, v16, 0x7fff
	v_cmp_eq_u16_e32 vcc_lo, 0, v7
	v_bfe_u32 v7, v6, 16, 1
	s_delay_alu instid0(VALU_DEP_4) | instskip(NEXT) | instid1(VALU_DEP_4)
	v_add3_u32 v15, v12, v15, 0x7fff
	v_lshrrev_b32_e32 v16, 16, v16
	s_wait_alu 0xfffd
	v_cndmask_b32_e64 v1, -v1, v1, vcc_lo
	v_cmp_gt_i16_e32 vcc_lo, 0, v8
	v_add3_u32 v7, v6, v7, 0x7fff
	v_lshrrev_b32_e32 v15, 16, v15
	v_lshrrev_b32_e32 v8, 16, v3
	v_bfe_u32 v14, v1, 16, 1
	s_wait_alu 0xfffd
	v_cndmask_b32_e64 v2, v2, -v2, vcc_lo
	v_lshrrev_b32_e32 v7, 16, v7
	v_cmp_o_f32_e32 vcc_lo, v6, v6
	v_and_b32_e32 v13, 1, v13
	v_add3_u32 v14, v1, v14, 0x7fff
	v_bfe_u32 v18, v2, 16, 1
	v_and_b32_e32 v8, 1, v8
	s_wait_alu 0xfffd
	v_cndmask_b32_e32 v6, 0x7fc0, v7, vcc_lo
	v_add3_u32 v13, v9, v13, 0x7fff
	v_lshrrev_b32_e32 v14, 16, v14
	v_cmp_o_f32_e32 vcc_lo, v1, v1
	v_lshlrev_b32_e32 v4, 6, v4
	v_add3_u32 v18, v2, v18, 0x7fff
	v_lshrrev_b32_e32 v7, 16, v13
	v_add3_u32 v8, v3, v8, 0x7fff
	s_wait_alu 0xfffd
	v_cndmask_b32_e32 v13, 0x7fc0, v14, vcc_lo
	v_cmp_o_f32_e32 vcc_lo, v12, v12
	v_lshrrev_b32_e32 v18, 16, v18
	s_wait_alu 0xfffe
	v_add_co_u32 v4, s0, s0, v4
	v_lshrrev_b32_e32 v8, 16, v8
	s_wait_alu 0xfffd
	v_cndmask_b32_e32 v12, 0x7fc0, v15, vcc_lo
	v_cmp_o_f32_e32 vcc_lo, v11, v11
	s_wait_alu 0xf1ff
	v_add_co_ci_u32_e64 v5, null, s1, 0, s0
	s_wait_alu 0xfffd
	v_cndmask_b32_e32 v1, 0x7fc0, v16, vcc_lo
	v_cmp_o_f32_e32 vcc_lo, v10, v10
	s_wait_alu 0xfffd
	v_cndmask_b32_e32 v10, 0x7fc0, v17, vcc_lo
	v_cmp_o_f32_e32 vcc_lo, v2, v2
	s_delay_alu instid0(VALU_DEP_2)
	v_perm_b32 v1, v10, v1, 0x5040100
	s_wait_alu 0xfffd
	v_cndmask_b32_e32 v2, 0x7fc0, v18, vcc_lo
	v_cmp_o_f32_e32 vcc_lo, v9, v9
	s_wait_alu 0xfffd
	v_dual_cndmask_b32 v7, 0x7fc0, v7 :: v_dual_lshlrev_b32 v0, 1, v0
	v_cmp_o_f32_e32 vcc_lo, v3, v3
	s_wait_alu 0xfffd
	v_cndmask_b32_e32 v3, 0x7fc0, v8, vcc_lo
	s_delay_alu instid0(VALU_DEP_3)
	v_add_co_u32 v4, vcc_lo, v4, v0
	s_wait_alu 0xfffd
	v_add_co_ci_u32_e64 v5, null, 0, v5, vcc_lo
	v_perm_b32 v0, v12, v13, 0x5040100
	v_perm_b32 v3, v2, v3, 0x5040100
	;; [unrolled: 1-line block ×3, first 2 shown]
	global_store_b128 v[4:5], v[0:3], off
	s_endpgm
	.section	.rodata,"a",@progbits
	.p2align	6, 0x0
	.amdhsa_kernel _ZL24dequantize_block_iq3_xxsIN3c108BFloat16EEvPKvPT_
		.amdhsa_group_segment_fixed_size 0
		.amdhsa_private_segment_fixed_size 0
		.amdhsa_kernarg_size 16
		.amdhsa_user_sgpr_count 2
		.amdhsa_user_sgpr_dispatch_ptr 0
		.amdhsa_user_sgpr_queue_ptr 0
		.amdhsa_user_sgpr_kernarg_segment_ptr 1
		.amdhsa_user_sgpr_dispatch_id 0
		.amdhsa_user_sgpr_private_segment_size 0
		.amdhsa_wavefront_size32 1
		.amdhsa_uses_dynamic_stack 0
		.amdhsa_enable_private_segment 0
		.amdhsa_system_sgpr_workgroup_id_x 1
		.amdhsa_system_sgpr_workgroup_id_y 0
		.amdhsa_system_sgpr_workgroup_id_z 0
		.amdhsa_system_sgpr_workgroup_info 0
		.amdhsa_system_vgpr_workitem_id 0
		.amdhsa_next_free_vgpr 20
		.amdhsa_next_free_sgpr 8
		.amdhsa_reserve_vcc 1
		.amdhsa_float_round_mode_32 0
		.amdhsa_float_round_mode_16_64 0
		.amdhsa_float_denorm_mode_32 3
		.amdhsa_float_denorm_mode_16_64 3
		.amdhsa_fp16_overflow 0
		.amdhsa_workgroup_processor_mode 1
		.amdhsa_memory_ordered 1
		.amdhsa_forward_progress 1
		.amdhsa_inst_pref_size 9
		.amdhsa_round_robin_scheduling 0
		.amdhsa_exception_fp_ieee_invalid_op 0
		.amdhsa_exception_fp_denorm_src 0
		.amdhsa_exception_fp_ieee_div_zero 0
		.amdhsa_exception_fp_ieee_overflow 0
		.amdhsa_exception_fp_ieee_underflow 0
		.amdhsa_exception_fp_ieee_inexact 0
		.amdhsa_exception_int_div_zero 0
	.end_amdhsa_kernel
	.section	.text._ZL24dequantize_block_iq3_xxsIN3c108BFloat16EEvPKvPT_,"axG",@progbits,_ZL24dequantize_block_iq3_xxsIN3c108BFloat16EEvPKvPT_,comdat
.Lfunc_end50:
	.size	_ZL24dequantize_block_iq3_xxsIN3c108BFloat16EEvPKvPT_, .Lfunc_end50-_ZL24dequantize_block_iq3_xxsIN3c108BFloat16EEvPKvPT_
                                        ; -- End function
	.set _ZL24dequantize_block_iq3_xxsIN3c108BFloat16EEvPKvPT_.num_vgpr, 20
	.set _ZL24dequantize_block_iq3_xxsIN3c108BFloat16EEvPKvPT_.num_agpr, 0
	.set _ZL24dequantize_block_iq3_xxsIN3c108BFloat16EEvPKvPT_.numbered_sgpr, 8
	.set _ZL24dequantize_block_iq3_xxsIN3c108BFloat16EEvPKvPT_.num_named_barrier, 0
	.set _ZL24dequantize_block_iq3_xxsIN3c108BFloat16EEvPKvPT_.private_seg_size, 0
	.set _ZL24dequantize_block_iq3_xxsIN3c108BFloat16EEvPKvPT_.uses_vcc, 1
	.set _ZL24dequantize_block_iq3_xxsIN3c108BFloat16EEvPKvPT_.uses_flat_scratch, 0
	.set _ZL24dequantize_block_iq3_xxsIN3c108BFloat16EEvPKvPT_.has_dyn_sized_stack, 0
	.set _ZL24dequantize_block_iq3_xxsIN3c108BFloat16EEvPKvPT_.has_recursion, 0
	.set _ZL24dequantize_block_iq3_xxsIN3c108BFloat16EEvPKvPT_.has_indirect_call, 0
	.section	.AMDGPU.csdata,"",@progbits
; Kernel info:
; codeLenInByte = 1044
; TotalNumSgprs: 10
; NumVgprs: 20
; ScratchSize: 0
; MemoryBound: 0
; FloatMode: 240
; IeeeMode: 1
; LDSByteSize: 0 bytes/workgroup (compile time only)
; SGPRBlocks: 0
; VGPRBlocks: 2
; NumSGPRsForWavesPerEU: 10
; NumVGPRsForWavesPerEU: 20
; Occupancy: 16
; WaveLimiterHint : 0
; COMPUTE_PGM_RSRC2:SCRATCH_EN: 0
; COMPUTE_PGM_RSRC2:USER_SGPR: 2
; COMPUTE_PGM_RSRC2:TRAP_HANDLER: 0
; COMPUTE_PGM_RSRC2:TGID_X_EN: 1
; COMPUTE_PGM_RSRC2:TGID_Y_EN: 0
; COMPUTE_PGM_RSRC2:TGID_Z_EN: 0
; COMPUTE_PGM_RSRC2:TIDIG_COMP_CNT: 0
	.section	.text._ZL22dequantize_block_iq1_sIN3c108BFloat16EEvPKvPT_,"axG",@progbits,_ZL22dequantize_block_iq1_sIN3c108BFloat16EEvPKvPT_,comdat
	.globl	_ZL22dequantize_block_iq1_sIN3c108BFloat16EEvPKvPT_ ; -- Begin function _ZL22dequantize_block_iq1_sIN3c108BFloat16EEvPKvPT_
	.p2align	8
	.type	_ZL22dequantize_block_iq1_sIN3c108BFloat16EEvPKvPT_,@function
_ZL22dequantize_block_iq1_sIN3c108BFloat16EEvPKvPT_: ; @_ZL22dequantize_block_iq1_sIN3c108BFloat16EEvPKvPT_
; %bb.0:
	s_load_b128 s[0:3], s[0:1], 0x0
	v_and_b32_e32 v3, 7, v0
	s_mov_b32 s4, ttmp9
	s_mov_b32 s5, 0
	v_lshrrev_b32_e32 v6, 3, v0
	s_mul_u64 s[6:7], s[4:5], 50
	v_lshlrev_b32_e32 v1, 1, v3
	s_wait_kmcnt 0x0
	s_add_nc_u64 s[0:1], s[0:1], s[6:7]
	s_delay_alu instid0(VALU_DEP_1) | instid1(SALU_CYCLE_1)
	v_add_co_u32 v2, s6, s0, v1
	s_delay_alu instid0(VALU_DEP_1) | instskip(SKIP_2) | instid1(VALU_DEP_1)
	v_add_co_ci_u32_e64 v4, null, s1, 0, s6
	global_load_u16 v5, v1, s[0:1] offset:34
	v_add_co_u32 v1, vcc_lo, v2, v1
	v_add_co_ci_u32_e64 v2, null, 0, v4, vcc_lo
	s_delay_alu instid0(VALU_DEP_2) | instskip(SKIP_1) | instid1(VALU_DEP_2)
	v_add_co_u32 v1, vcc_lo, v1, v6
	s_wait_alu 0xfffd
	v_add_co_ci_u32_e64 v2, null, 0, v2, vcc_lo
	global_load_u8 v1, v[1:2], off offset:2
	v_mul_u32_u24_e32 v2, 3, v6
	v_mov_b32_e32 v6, 0xbf600000
	s_wait_loadcnt 0x1
	v_and_b32_e32 v4, 0xffff, v5
	v_cmp_lt_i16_e32 vcc_lo, -1, v5
	s_delay_alu instid0(VALU_DEP_2) | instskip(SKIP_1) | instid1(VALU_DEP_2)
	v_lshrrev_b32_e32 v2, v2, v4
	v_mov_b32_e32 v4, 0
	v_lshlrev_b32_e32 v2, 8, v2
	s_wait_loadcnt 0x0
	s_delay_alu instid0(VALU_DEP_1)
	v_and_or_b32 v1, 0x700, v2, v1
	global_load_u16 v2, v4, s[0:1]
	v_lshrrev_b16 v4, 11, v5
	s_wait_alu 0xfffd
	v_cndmask_b32_e32 v5, 0xbf900000, v6, vcc_lo
	s_getpc_b64 s[0:1]
	s_wait_alu 0xfffe
	s_sext_i32_i16 s1, s1
	s_add_co_u32 s0, s0, _ZL13iq1s_grid_gpu@rel32@lo+12
	s_wait_alu 0xfffe
	s_add_co_ci_u32 s1, s1, _ZL13iq1s_grid_gpu@rel32@hi+24
	v_and_b32_e32 v4, 14, v4
	s_delay_alu instid0(VALU_DEP_1) | instskip(NEXT) | instid1(VALU_DEP_1)
	v_or_b32_e32 v4, 1, v4
	v_cvt_f32_ubyte0_e32 v4, v4
	s_wait_loadcnt 0x0
	v_cvt_f32_f16_e32 v2, v2
	s_delay_alu instid0(VALU_DEP_1)
	v_dual_mul_f32 v2, v2, v4 :: v_dual_lshlrev_b32 v1, 3, v1
	global_load_b32 v1, v1, s[0:1]
	s_lshl_b64 s[0:1], s[4:5], 9
	s_wait_alu 0xfffe
	s_add_nc_u64 s[0:1], s[2:3], s[0:1]
	s_wait_loadcnt 0x0
	v_bfe_u32 v10, v1, 4, 4
	v_and_b32_e32 v6, 15, v1
	v_bfe_u32 v8, v1, 8, 4
	v_bfe_u32 v9, v1, 16, 4
	;; [unrolled: 1-line block ×3, first 2 shown]
	v_cvt_f32_ubyte0_e32 v10, v10
	v_lshrrev_b32_e32 v12, 28, v1
	v_cvt_f32_ubyte0_e32 v6, v6
	v_cvt_f32_ubyte0_e32 v8, v8
	;; [unrolled: 1-line block ×3, first 2 shown]
	v_add_f32_e32 v10, v5, v10
	v_and_b32_e32 v4, 0xf0f0f0f, v1
	v_bfe_u32 v1, v1, 20, 4
	v_cvt_f32_ubyte0_e32 v11, v11
	v_dual_add_f32 v8, v5, v8 :: v_dual_lshlrev_b32 v3, 6, v3
	s_delay_alu instid0(VALU_DEP_4) | instskip(NEXT) | instid1(VALU_DEP_4)
	v_cvt_f32_ubyte3_e32 v4, v4
	v_cvt_f32_ubyte0_e32 v1, v1
	v_and_b32_e32 v0, 0x3f8, v0
	v_cvt_f32_ubyte0_e32 v12, v12
	v_add_f32_e32 v9, v5, v9
	v_add_f32_e32 v11, v5, v11
	;; [unrolled: 1-line block ×6, first 2 shown]
	s_wait_alu 0xfffe
	v_add_co_u32 v3, s0, s0, v3
	v_dual_mul_f32 v1, v2, v1 :: v_dual_lshlrev_b32 v0, 1, v0
	v_mul_f32_e32 v5, v2, v6
	v_mul_f32_e32 v6, v2, v8
	s_wait_alu 0xf1ff
	v_add_co_ci_u32_e64 v7, null, s1, 0, s0
	v_lshrrev_b32_e32 v18, 16, v1
	v_cmp_o_f32_e32 vcc_lo, v5, v5
	s_delay_alu instid0(VALU_DEP_2) | instskip(NEXT) | instid1(VALU_DEP_1)
	v_and_b32_e32 v18, 1, v18
	v_add3_u32 v18, v1, v18, 0x7fff
	s_delay_alu instid0(VALU_DEP_1) | instskip(SKIP_4) | instid1(VALU_DEP_4)
	v_lshrrev_b32_e32 v18, 16, v18
	v_mul_f32_e32 v8, v2, v9
	v_mul_f32_e32 v9, v2, v10
	;; [unrolled: 1-line block ×3, first 2 shown]
	v_lshrrev_b32_e32 v11, 16, v6
	v_lshrrev_b32_e32 v14, 16, v8
	s_delay_alu instid0(VALU_DEP_4) | instskip(NEXT) | instid1(VALU_DEP_4)
	v_lshrrev_b32_e32 v16, 16, v9
	v_lshrrev_b32_e32 v15, 16, v10
	s_delay_alu instid0(VALU_DEP_4) | instskip(NEXT) | instid1(VALU_DEP_4)
	v_dual_mul_f32 v4, v2, v4 :: v_dual_and_b32 v11, 1, v11
	v_and_b32_e32 v14, 1, v14
	s_delay_alu instid0(VALU_DEP_4) | instskip(NEXT) | instid1(VALU_DEP_4)
	v_and_b32_e32 v16, 1, v16
	v_dual_mul_f32 v2, v2, v12 :: v_dual_and_b32 v15, 1, v15
	v_lshrrev_b32_e32 v12, 16, v5
	v_lshrrev_b32_e32 v13, 16, v4
	v_add3_u32 v14, v8, v14, 0x7fff
	v_add3_u32 v16, v9, v16, 0x7fff
	v_lshrrev_b32_e32 v17, 16, v2
	v_and_b32_e32 v12, 1, v12
	v_and_b32_e32 v13, 1, v13
	v_lshrrev_b32_e32 v14, 16, v14
	v_add3_u32 v15, v10, v15, 0x7fff
	v_and_b32_e32 v17, 1, v17
	v_add3_u32 v12, v5, v12, 0x7fff
	v_add3_u32 v11, v6, v11, 0x7fff
	;; [unrolled: 1-line block ×3, first 2 shown]
	v_lshrrev_b32_e32 v16, 16, v16
	v_lshrrev_b32_e32 v15, 16, v15
	;; [unrolled: 1-line block ×5, first 2 shown]
	v_add3_u32 v17, v2, v17, 0x7fff
	s_wait_alu 0xfffd
	v_cndmask_b32_e32 v12, 0x7fc0, v12, vcc_lo
	v_cmp_o_f32_e32 vcc_lo, v6, v6
	s_delay_alu instid0(VALU_DEP_3)
	v_lshrrev_b32_e32 v17, 16, v17
	s_wait_alu 0xfffd
	v_cndmask_b32_e32 v6, 0x7fc0, v11, vcc_lo
	v_cmp_o_f32_e32 vcc_lo, v8, v8
	s_wait_alu 0xfffd
	v_cndmask_b32_e32 v8, 0x7fc0, v14, vcc_lo
	v_cmp_o_f32_e32 vcc_lo, v4, v4
	;; [unrolled: 3-line block ×6, first 2 shown]
	s_wait_alu 0xfffd
	v_cndmask_b32_e32 v2, 0x7fc0, v17, vcc_lo
	v_add_co_u32 v4, vcc_lo, v3, v0
	s_wait_alu 0xfffd
	v_add_co_ci_u32_e64 v5, null, 0, v7, vcc_lo
	s_delay_alu instid0(VALU_DEP_3)
	v_perm_b32 v3, v2, v1, 0x5040100
	v_perm_b32 v2, v10, v9, 0x5040100
	;; [unrolled: 1-line block ×4, first 2 shown]
	global_store_b128 v[4:5], v[0:3], off
	s_endpgm
	.section	.rodata,"a",@progbits
	.p2align	6, 0x0
	.amdhsa_kernel _ZL22dequantize_block_iq1_sIN3c108BFloat16EEvPKvPT_
		.amdhsa_group_segment_fixed_size 0
		.amdhsa_private_segment_fixed_size 0
		.amdhsa_kernarg_size 16
		.amdhsa_user_sgpr_count 2
		.amdhsa_user_sgpr_dispatch_ptr 0
		.amdhsa_user_sgpr_queue_ptr 0
		.amdhsa_user_sgpr_kernarg_segment_ptr 1
		.amdhsa_user_sgpr_dispatch_id 0
		.amdhsa_user_sgpr_private_segment_size 0
		.amdhsa_wavefront_size32 1
		.amdhsa_uses_dynamic_stack 0
		.amdhsa_enable_private_segment 0
		.amdhsa_system_sgpr_workgroup_id_x 1
		.amdhsa_system_sgpr_workgroup_id_y 0
		.amdhsa_system_sgpr_workgroup_id_z 0
		.amdhsa_system_sgpr_workgroup_info 0
		.amdhsa_system_vgpr_workitem_id 0
		.amdhsa_next_free_vgpr 19
		.amdhsa_next_free_sgpr 8
		.amdhsa_reserve_vcc 1
		.amdhsa_float_round_mode_32 0
		.amdhsa_float_round_mode_16_64 0
		.amdhsa_float_denorm_mode_32 3
		.amdhsa_float_denorm_mode_16_64 3
		.amdhsa_fp16_overflow 0
		.amdhsa_workgroup_processor_mode 1
		.amdhsa_memory_ordered 1
		.amdhsa_forward_progress 1
		.amdhsa_inst_pref_size 8
		.amdhsa_round_robin_scheduling 0
		.amdhsa_exception_fp_ieee_invalid_op 0
		.amdhsa_exception_fp_denorm_src 0
		.amdhsa_exception_fp_ieee_div_zero 0
		.amdhsa_exception_fp_ieee_overflow 0
		.amdhsa_exception_fp_ieee_underflow 0
		.amdhsa_exception_fp_ieee_inexact 0
		.amdhsa_exception_int_div_zero 0
	.end_amdhsa_kernel
	.section	.text._ZL22dequantize_block_iq1_sIN3c108BFloat16EEvPKvPT_,"axG",@progbits,_ZL22dequantize_block_iq1_sIN3c108BFloat16EEvPKvPT_,comdat
.Lfunc_end51:
	.size	_ZL22dequantize_block_iq1_sIN3c108BFloat16EEvPKvPT_, .Lfunc_end51-_ZL22dequantize_block_iq1_sIN3c108BFloat16EEvPKvPT_
                                        ; -- End function
	.set _ZL22dequantize_block_iq1_sIN3c108BFloat16EEvPKvPT_.num_vgpr, 19
	.set _ZL22dequantize_block_iq1_sIN3c108BFloat16EEvPKvPT_.num_agpr, 0
	.set _ZL22dequantize_block_iq1_sIN3c108BFloat16EEvPKvPT_.numbered_sgpr, 8
	.set _ZL22dequantize_block_iq1_sIN3c108BFloat16EEvPKvPT_.num_named_barrier, 0
	.set _ZL22dequantize_block_iq1_sIN3c108BFloat16EEvPKvPT_.private_seg_size, 0
	.set _ZL22dequantize_block_iq1_sIN3c108BFloat16EEvPKvPT_.uses_vcc, 1
	.set _ZL22dequantize_block_iq1_sIN3c108BFloat16EEvPKvPT_.uses_flat_scratch, 0
	.set _ZL22dequantize_block_iq1_sIN3c108BFloat16EEvPKvPT_.has_dyn_sized_stack, 0
	.set _ZL22dequantize_block_iq1_sIN3c108BFloat16EEvPKvPT_.has_recursion, 0
	.set _ZL22dequantize_block_iq1_sIN3c108BFloat16EEvPKvPT_.has_indirect_call, 0
	.section	.AMDGPU.csdata,"",@progbits
; Kernel info:
; codeLenInByte = 948
; TotalNumSgprs: 10
; NumVgprs: 19
; ScratchSize: 0
; MemoryBound: 0
; FloatMode: 240
; IeeeMode: 1
; LDSByteSize: 0 bytes/workgroup (compile time only)
; SGPRBlocks: 0
; VGPRBlocks: 2
; NumSGPRsForWavesPerEU: 10
; NumVGPRsForWavesPerEU: 19
; Occupancy: 16
; WaveLimiterHint : 0
; COMPUTE_PGM_RSRC2:SCRATCH_EN: 0
; COMPUTE_PGM_RSRC2:USER_SGPR: 2
; COMPUTE_PGM_RSRC2:TRAP_HANDLER: 0
; COMPUTE_PGM_RSRC2:TGID_X_EN: 1
; COMPUTE_PGM_RSRC2:TGID_Y_EN: 0
; COMPUTE_PGM_RSRC2:TGID_Z_EN: 0
; COMPUTE_PGM_RSRC2:TIDIG_COMP_CNT: 0
	.section	.text._ZL23dequantize_block_iq4_nlIN3c108BFloat16EEvPKvPT_,"axG",@progbits,_ZL23dequantize_block_iq4_nlIN3c108BFloat16EEvPKvPT_,comdat
	.globl	_ZL23dequantize_block_iq4_nlIN3c108BFloat16EEvPKvPT_ ; -- Begin function _ZL23dequantize_block_iq4_nlIN3c108BFloat16EEvPKvPT_
	.p2align	8
	.type	_ZL23dequantize_block_iq4_nlIN3c108BFloat16EEvPKvPT_,@function
_ZL23dequantize_block_iq4_nlIN3c108BFloat16EEvPKvPT_: ; @_ZL23dequantize_block_iq4_nlIN3c108BFloat16EEvPKvPT_
; %bb.0:
	s_load_b128 s[0:3], s[0:1], 0x0
	s_lshl_b32 s4, ttmp9, 3
	s_mov_b32 s5, 0
	v_and_b32_e32 v4, 7, v0
	s_mul_u64 s[6:7], s[4:5], 18
	v_lshrrev_b32_e32 v2, 1, v0
	s_delay_alu instid0(VALU_DEP_1) | instskip(SKIP_2) | instid1(SALU_CYCLE_1)
	v_and_b32_e32 v5, 0x1fc, v2
	s_wait_kmcnt 0x0
	s_add_nc_u64 s[0:1], s[0:1], s[6:7]
	v_mad_co_u64_u32 v[0:1], null, v4, 18, s[0:1]
	s_getpc_b64 s[0:1]
	s_wait_alu 0xfffe
	s_sext_i32_i16 s1, s1
	s_add_co_u32 s0, s0, _ZL13kvalues_iq4nl@rel32@lo+12
	s_wait_alu 0xfffe
	s_add_co_ci_u32 s1, s1, _ZL13kvalues_iq4nl@rel32@hi+24
	s_lshl_b32 s4, ttmp9, 8
	v_add_co_u32 v2, vcc_lo, v0, v5
	s_delay_alu instid0(VALU_DEP_1)
	v_add_co_ci_u32_e64 v3, null, 0, v1, vcc_lo
	s_clause 0x1
	global_load_b32 v2, v[2:3], off offset:2
	global_load_u16 v0, v[0:1], off
	s_wait_loadcnt 0x1
	v_bfe_u32 v6, v2, 8, 4
	v_and_b32_e32 v1, 15, v2
	v_bfe_u32 v7, v2, 12, 4
	v_bfe_u32 v3, v2, 4, 4
	;; [unrolled: 1-line block ×5, first 2 shown]
	v_lshrrev_b32_e32 v2, 28, v2
	s_clause 0x7
	global_load_i8 v6, v6, s[0:1]
	global_load_i8 v1, v1, s[0:1]
	global_load_i8 v7, v7, s[0:1]
	global_load_i8 v3, v3, s[0:1]
	global_load_i8 v10, v10, s[0:1]
	global_load_i8 v8, v8, s[0:1]
	global_load_i8 v2, v2, s[0:1]
	global_load_i8 v9, v9, s[0:1]
	s_wait_loadcnt 0x8
	v_cvt_f32_f16_e32 v0, v0
	s_lshl_b64 s[0:1], s[4:5], 1
	s_wait_alu 0xfffe
	s_add_nc_u64 s[0:1], s[2:3], s[0:1]
	s_wait_loadcnt 0x7
	v_cvt_f32_i32_e32 v6, v6
	s_wait_loadcnt 0x6
	v_cvt_f32_i32_e32 v1, v1
	;; [unrolled: 2-line block ×8, first 2 shown]
	v_mul_f32_e32 v1, v0, v1
	v_mul_f32_e32 v6, v0, v6
	v_dual_mul_f32 v8, v0, v8 :: v_dual_lshlrev_b32 v5, 1, v5
	v_dual_mul_f32 v3, v0, v3 :: v_dual_lshlrev_b32 v4, 6, v4
	v_mul_f32_e32 v7, v0, v7
	v_mul_f32_e32 v10, v0, v10
	v_lshrrev_b32_e32 v12, 16, v1
	v_mul_f32_e32 v9, v0, v9
	v_mul_f32_e32 v0, v0, v2
	v_lshrrev_b32_e32 v2, 16, v6
	v_lshrrev_b32_e32 v14, 16, v3
	v_and_b32_e32 v12, 1, v12
	v_cmp_o_f32_e32 vcc_lo, v1, v1
	v_lshrrev_b32_e32 v18, 16, v9
	v_and_b32_e32 v2, 1, v2
	v_lshrrev_b32_e32 v13, 16, v7
	v_add3_u32 v12, v1, v12, 0x7fff
	v_lshrrev_b32_e32 v16, 16, v8
	s_wait_alu 0xfffe
	v_add_co_u32 v4, s0, s0, v4
	v_and_b32_e32 v13, 1, v13
	v_lshrrev_b32_e32 v15, 16, v10
	v_add3_u32 v2, v6, v2, 0x7fff
	v_lshrrev_b32_e32 v12, 16, v12
	s_wait_alu 0xf1ff
	v_add_co_ci_u32_e64 v11, null, s1, 0, s0
	v_add3_u32 v13, v7, v13, 0x7fff
	v_and_b32_e32 v15, 1, v15
	v_lshrrev_b32_e32 v17, 16, v0
	v_lshrrev_b32_e32 v2, 16, v2
	s_wait_alu 0xfffd
	v_cndmask_b32_e32 v12, 0x7fc0, v12, vcc_lo
	v_lshrrev_b32_e32 v13, 16, v13
	v_and_b32_e32 v14, 1, v14
	v_cmp_o_f32_e32 vcc_lo, v6, v6
	v_and_b32_e32 v17, 1, v17
	v_add3_u32 v15, v10, v15, 0x7fff
	s_delay_alu instid0(VALU_DEP_4)
	v_add3_u32 v14, v3, v14, 0x7fff
	s_wait_alu 0xfffd
	v_cndmask_b32_e32 v2, 0x7fc0, v2, vcc_lo
	v_cmp_o_f32_e32 vcc_lo, v3, v3
	v_lshrrev_b32_e32 v15, 16, v15
	v_add3_u32 v17, v0, v17, 0x7fff
	v_lshrrev_b32_e32 v14, 16, v14
	v_perm_b32 v2, v2, v12, 0x5040100
	s_delay_alu instid0(VALU_DEP_3) | instskip(SKIP_1) | instid1(VALU_DEP_3)
	v_lshrrev_b32_e32 v17, 16, v17
	s_wait_alu 0xfffd
	v_cndmask_b32_e32 v6, 0x7fc0, v14, vcc_lo
	v_cmp_o_f32_e32 vcc_lo, v7, v7
	s_wait_alu 0xfffd
	v_cndmask_b32_e32 v7, 0x7fc0, v13, vcc_lo
	v_cmp_o_f32_e32 vcc_lo, v8, v8
	v_and_b32_e32 v18, 1, v18
	s_delay_alu instid0(VALU_DEP_1) | instskip(NEXT) | instid1(VALU_DEP_1)
	v_add3_u32 v18, v9, v18, 0x7fff
	v_lshrrev_b32_e32 v18, 16, v18
	v_and_b32_e32 v16, 1, v16
	s_delay_alu instid0(VALU_DEP_1) | instskip(NEXT) | instid1(VALU_DEP_1)
	v_add3_u32 v16, v8, v16, 0x7fff
	v_lshrrev_b32_e32 v16, 16, v16
	s_wait_alu 0xfffd
	s_delay_alu instid0(VALU_DEP_1) | instskip(SKIP_4) | instid1(VALU_DEP_2)
	v_cndmask_b32_e32 v3, 0x7fc0, v16, vcc_lo
	v_cmp_o_f32_e32 vcc_lo, v10, v10
	s_wait_alu 0xfffd
	v_cndmask_b32_e32 v8, 0x7fc0, v15, vcc_lo
	v_cmp_o_f32_e32 vcc_lo, v9, v9
	v_perm_b32 v3, v8, v3, 0x5040100
	s_wait_alu 0xfffd
	v_cndmask_b32_e32 v9, 0x7fc0, v18, vcc_lo
	v_cmp_o_f32_e32 vcc_lo, v0, v0
	s_wait_alu 0xfffd
	v_cndmask_b32_e32 v10, 0x7fc0, v17, vcc_lo
	v_add_co_u32 v0, vcc_lo, v4, v5
	s_wait_alu 0xfffd
	v_add_co_ci_u32_e64 v1, null, 0, v11, vcc_lo
	s_delay_alu instid0(VALU_DEP_3)
	v_perm_b32 v5, v10, v9, 0x5040100
	v_perm_b32 v4, v7, v6, 0x5040100
	s_clause 0x1
	global_store_b64 v[0:1], v[2:3], off
	global_store_b64 v[0:1], v[4:5], off offset:32
	s_endpgm
	.section	.rodata,"a",@progbits
	.p2align	6, 0x0
	.amdhsa_kernel _ZL23dequantize_block_iq4_nlIN3c108BFloat16EEvPKvPT_
		.amdhsa_group_segment_fixed_size 0
		.amdhsa_private_segment_fixed_size 0
		.amdhsa_kernarg_size 16
		.amdhsa_user_sgpr_count 2
		.amdhsa_user_sgpr_dispatch_ptr 0
		.amdhsa_user_sgpr_queue_ptr 0
		.amdhsa_user_sgpr_kernarg_segment_ptr 1
		.amdhsa_user_sgpr_dispatch_id 0
		.amdhsa_user_sgpr_private_segment_size 0
		.amdhsa_wavefront_size32 1
		.amdhsa_uses_dynamic_stack 0
		.amdhsa_enable_private_segment 0
		.amdhsa_system_sgpr_workgroup_id_x 1
		.amdhsa_system_sgpr_workgroup_id_y 0
		.amdhsa_system_sgpr_workgroup_id_z 0
		.amdhsa_system_sgpr_workgroup_info 0
		.amdhsa_system_vgpr_workitem_id 0
		.amdhsa_next_free_vgpr 19
		.amdhsa_next_free_sgpr 8
		.amdhsa_reserve_vcc 1
		.amdhsa_float_round_mode_32 0
		.amdhsa_float_round_mode_16_64 0
		.amdhsa_float_denorm_mode_32 3
		.amdhsa_float_denorm_mode_16_64 3
		.amdhsa_fp16_overflow 0
		.amdhsa_workgroup_processor_mode 1
		.amdhsa_memory_ordered 1
		.amdhsa_forward_progress 1
		.amdhsa_inst_pref_size 7
		.amdhsa_round_robin_scheduling 0
		.amdhsa_exception_fp_ieee_invalid_op 0
		.amdhsa_exception_fp_denorm_src 0
		.amdhsa_exception_fp_ieee_div_zero 0
		.amdhsa_exception_fp_ieee_overflow 0
		.amdhsa_exception_fp_ieee_underflow 0
		.amdhsa_exception_fp_ieee_inexact 0
		.amdhsa_exception_int_div_zero 0
	.end_amdhsa_kernel
	.section	.text._ZL23dequantize_block_iq4_nlIN3c108BFloat16EEvPKvPT_,"axG",@progbits,_ZL23dequantize_block_iq4_nlIN3c108BFloat16EEvPKvPT_,comdat
.Lfunc_end52:
	.size	_ZL23dequantize_block_iq4_nlIN3c108BFloat16EEvPKvPT_, .Lfunc_end52-_ZL23dequantize_block_iq4_nlIN3c108BFloat16EEvPKvPT_
                                        ; -- End function
	.set _ZL23dequantize_block_iq4_nlIN3c108BFloat16EEvPKvPT_.num_vgpr, 19
	.set _ZL23dequantize_block_iq4_nlIN3c108BFloat16EEvPKvPT_.num_agpr, 0
	.set _ZL23dequantize_block_iq4_nlIN3c108BFloat16EEvPKvPT_.numbered_sgpr, 8
	.set _ZL23dequantize_block_iq4_nlIN3c108BFloat16EEvPKvPT_.num_named_barrier, 0
	.set _ZL23dequantize_block_iq4_nlIN3c108BFloat16EEvPKvPT_.private_seg_size, 0
	.set _ZL23dequantize_block_iq4_nlIN3c108BFloat16EEvPKvPT_.uses_vcc, 1
	.set _ZL23dequantize_block_iq4_nlIN3c108BFloat16EEvPKvPT_.uses_flat_scratch, 0
	.set _ZL23dequantize_block_iq4_nlIN3c108BFloat16EEvPKvPT_.has_dyn_sized_stack, 0
	.set _ZL23dequantize_block_iq4_nlIN3c108BFloat16EEvPKvPT_.has_recursion, 0
	.set _ZL23dequantize_block_iq4_nlIN3c108BFloat16EEvPKvPT_.has_indirect_call, 0
	.section	.AMDGPU.csdata,"",@progbits
; Kernel info:
; codeLenInByte = 892
; TotalNumSgprs: 10
; NumVgprs: 19
; ScratchSize: 0
; MemoryBound: 0
; FloatMode: 240
; IeeeMode: 1
; LDSByteSize: 0 bytes/workgroup (compile time only)
; SGPRBlocks: 0
; VGPRBlocks: 2
; NumSGPRsForWavesPerEU: 10
; NumVGPRsForWavesPerEU: 19
; Occupancy: 16
; WaveLimiterHint : 0
; COMPUTE_PGM_RSRC2:SCRATCH_EN: 0
; COMPUTE_PGM_RSRC2:USER_SGPR: 2
; COMPUTE_PGM_RSRC2:TRAP_HANDLER: 0
; COMPUTE_PGM_RSRC2:TGID_X_EN: 1
; COMPUTE_PGM_RSRC2:TGID_Y_EN: 0
; COMPUTE_PGM_RSRC2:TGID_Z_EN: 0
; COMPUTE_PGM_RSRC2:TIDIG_COMP_CNT: 0
	.section	.text._ZL22dequantize_block_iq3_sIN3c108BFloat16EEvPKvPT_,"axG",@progbits,_ZL22dequantize_block_iq3_sIN3c108BFloat16EEvPKvPT_,comdat
	.globl	_ZL22dequantize_block_iq3_sIN3c108BFloat16EEvPKvPT_ ; -- Begin function _ZL22dequantize_block_iq3_sIN3c108BFloat16EEvPKvPT_
	.p2align	8
	.type	_ZL22dequantize_block_iq3_sIN3c108BFloat16EEvPKvPT_,@function
_ZL22dequantize_block_iq3_sIN3c108BFloat16EEvPKvPT_: ; @_ZL22dequantize_block_iq3_sIN3c108BFloat16EEvPKvPT_
; %bb.0:
	s_load_b128 s[0:3], s[0:1], 0x0
	v_dual_mov_b32 v9, 0 :: v_dual_and_b32 v4, 7, v0
	s_lshl_b32 s6, ttmp9, 8
	s_mov_b32 s7, 0
	v_lshrrev_b32_e32 v3, 3, v0
	s_lshl_b64 s[4:5], s[6:7], 1
	s_mov_b32 s6, ttmp9
	v_lshlrev_b32_e32 v1, 3, v4
	s_mul_u64 s[6:7], s[6:7], 0x6e
	v_lshlrev_b32_e32 v5, 1, v3
	v_bfe_u32 v6, v0, 1, 2
	v_lshl_add_u32 v3, v4, 2, v3
	s_delay_alu instid0(VALU_DEP_3) | instskip(SKIP_2) | instid1(SALU_CYCLE_1)
	v_sub_nc_u32_e32 v7, 7, v5
	s_wait_kmcnt 0x0
	s_add_nc_u64 s[0:1], s[0:1], s[6:7]
	v_add_co_u32 v1, s6, s0, v1
	s_delay_alu instid0(VALU_DEP_1) | instskip(NEXT) | instid1(VALU_DEP_2)
	v_add_co_ci_u32_e64 v2, null, s1, 0, s6
	v_add_co_u32 v1, vcc_lo, v1, v5
	s_delay_alu instid0(VALU_DEP_1)
	v_add_co_ci_u32_e64 v2, null, 0, v2, vcc_lo
	v_sub_nc_u32_e32 v5, 8, v5
	s_clause 0x4
	global_load_u16 v1, v[1:2], off offset:2
	global_load_u8 v2, v6, s[0:1] offset:106
	global_load_u8 v3, v3, s[0:1] offset:74
	;; [unrolled: 1-line block ×3, first 2 shown]
	global_load_u16 v9, v9, s[0:1]
	s_getpc_b64 s[0:1]
	s_wait_alu 0xfffe
	s_sext_i32_i16 s1, s1
	s_add_co_u32 s0, s0, _ZL10iq3xs_grid@rel32@lo+12
	s_wait_alu 0xfffe
	s_add_co_ci_u32 s1, s1, _ZL10iq3xs_grid@rel32@hi+24
	s_wait_loadcnt 0x4
	v_lshrrev_b16 v8, 8, v1
	s_wait_loadcnt 0x2
	v_and_b32_e32 v10, 32, v3
	s_wait_loadcnt 0x1
	v_lshlrev_b32_e32 v7, v7, v6
	v_lshlrev_b32_e32 v5, v5, v6
	v_and_b32_e32 v8, 0xffff, v8
	v_and_b32_e32 v12, 4, v3
	;; [unrolled: 1-line block ×3, first 2 shown]
	s_delay_alu instid0(VALU_DEP_3) | instskip(SKIP_4) | instid1(VALU_DEP_2)
	v_and_or_b32 v6, 0x100, v7, v8
	s_wait_loadcnt 0x0
	v_cvt_f32_f16_e32 v7, v9
	v_and_b32_e32 v1, 0xff, v1
	v_bfe_i32 v8, v3, 0, 8
	v_and_or_b32 v1, 0x100, v5, v1
	v_lshlrev_b32_e32 v5, 2, v6
	v_lshlrev_b32_e32 v6, 2, v0
	s_delay_alu instid0(VALU_DEP_1) | instskip(NEXT) | instid1(VALU_DEP_1)
	v_and_b32_e32 v6, 4, v6
	v_bfe_u32 v2, v2, v6, 4
	s_delay_alu instid0(VALU_DEP_1) | instskip(NEXT) | instid1(VALU_DEP_1)
	v_cvt_f32_ubyte0_e32 v2, v2
	v_add_f32_e32 v2, 0.5, v2
	s_delay_alu instid0(VALU_DEP_1) | instskip(NEXT) | instid1(VALU_DEP_1)
	v_mul_f32_e32 v2, v2, v7
	v_dual_mul_f32 v2, 0.5, v2 :: v_dual_and_b32 v7, 8, v3
	v_lshlrev_b32_e32 v1, 2, v1
	s_clause 0x1
	global_load_b32 v5, v5, s[0:1]
	global_load_b32 v1, v1, s[0:1]
	s_add_nc_u64 s[0:1], s[2:3], s[4:5]
	s_wait_loadcnt 0x1
	v_cvt_f32_ubyte0_e32 v14, v5
	s_wait_loadcnt 0x0
	v_cvt_f32_ubyte2_e32 v18, v1
	v_and_b32_e32 v9, 16, v3
	v_cvt_f32_ubyte1_e32 v15, v5
	v_cvt_f32_ubyte2_e32 v16, v5
	v_cvt_f32_ubyte3_e32 v17, v1
	v_cvt_f32_ubyte1_e32 v19, v1
	v_cvt_f32_ubyte0_e32 v1, v1
	v_cvt_f32_ubyte3_e32 v5, v5
	v_mul_f32_e32 v14, v2, v14
	v_mul_f32_e32 v18, v2, v18
	v_cmp_eq_u16_e32 vcc_lo, 0, v9
	v_dual_mul_f32 v17, v2, v17 :: v_dual_and_b32 v0, 0x3f8, v0
	v_and_b32_e32 v11, 64, v3
	v_mul_f32_e32 v15, v2, v15
	v_mul_f32_e32 v16, v2, v16
	;; [unrolled: 1-line block ×5, first 2 shown]
	s_wait_alu 0xfffd
	v_cndmask_b32_e64 v5, -v14, v14, vcc_lo
	v_cmp_eq_u16_e32 vcc_lo, 0, v10
	v_and_b32_e32 v3, 1, v3
	s_wait_alu 0xfffd
	v_cndmask_b32_e64 v9, -v15, v15, vcc_lo
	v_cmp_eq_u16_e32 vcc_lo, 0, v7
	s_wait_alu 0xfffd
	v_cndmask_b32_e64 v7, -v17, v17, vcc_lo
	v_cmp_eq_u16_e32 vcc_lo, 0, v12
	;; [unrolled: 3-line block ×3, first 2 shown]
	s_delay_alu instid0(VALU_DEP_2) | instskip(SKIP_3) | instid1(VALU_DEP_3)
	v_bfe_u32 v15, v10, 16, 1
	s_wait_alu 0xfffd
	v_cndmask_b32_e64 v12, -v19, v19, vcc_lo
	v_cmp_eq_u16_e32 vcc_lo, 0, v3
	v_add3_u32 v15, v10, v15, 0x7fff
	s_delay_alu instid0(VALU_DEP_3)
	v_bfe_u32 v14, v12, 16, 1
	s_wait_alu 0xfffd
	v_cndmask_b32_e64 v1, -v1, v1, vcc_lo
	v_cmp_eq_u16_e32 vcc_lo, 0, v11
	v_bfe_u32 v11, v9, 16, 1
	v_lshrrev_b32_e32 v15, 16, v15
	v_add3_u32 v14, v12, v14, 0x7fff
	v_bfe_u32 v13, v1, 16, 1
	s_wait_alu 0xfffd
	v_cndmask_b32_e64 v3, -v16, v16, vcc_lo
	v_cmp_gt_i16_e32 vcc_lo, 0, v8
	v_bfe_u32 v8, v5, 16, 1
	v_add3_u32 v11, v9, v11, 0x7fff
	v_add3_u32 v13, v1, v13, 0x7fff
	v_bfe_u32 v16, v7, 16, 1
	s_wait_alu 0xfffd
	v_cndmask_b32_e64 v2, v2, -v2, vcc_lo
	v_add3_u32 v8, v5, v8, 0x7fff
	v_cmp_o_f32_e32 vcc_lo, v5, v5
	v_lshrrev_b32_e32 v11, 16, v11
	v_lshrrev_b32_e32 v13, 16, v13
	;; [unrolled: 1-line block ×6, first 2 shown]
	v_add3_u32 v16, v7, v16, 0x7fff
	s_wait_alu 0xfffd
	v_cndmask_b32_e32 v8, 0x7fc0, v8, vcc_lo
	v_cmp_o_f32_e32 vcc_lo, v9, v9
	v_lshlrev_b32_e32 v4, 6, v4
	v_and_b32_e32 v17, 1, v17
	v_lshrrev_b32_e32 v16, 16, v16
	s_wait_alu 0xfffd
	v_cndmask_b32_e32 v9, 0x7fc0, v11, vcc_lo
	v_cmp_o_f32_e32 vcc_lo, v1, v1
	v_lshlrev_b32_e32 v0, 1, v0
	v_add3_u32 v17, v2, v17, 0x7fff
	s_wait_alu 0xfffe
	v_add_co_u32 v4, s0, s0, v4
	s_wait_alu 0xfffd
	v_cndmask_b32_e32 v11, 0x7fc0, v13, vcc_lo
	v_cmp_o_f32_e32 vcc_lo, v12, v12
	s_wait_alu 0xf1ff
	v_add_co_ci_u32_e64 v6, null, s1, 0, s0
	s_wait_alu 0xfffd
	v_cndmask_b32_e32 v12, 0x7fc0, v14, vcc_lo
	v_cmp_o_f32_e32 vcc_lo, v10, v10
	v_and_b32_e32 v18, 1, v18
	v_lshrrev_b32_e32 v10, 16, v17
	s_wait_alu 0xfffd
	v_cndmask_b32_e32 v1, 0x7fc0, v15, vcc_lo
	s_delay_alu instid0(VALU_DEP_3) | instskip(SKIP_1) | instid1(VALU_DEP_2)
	v_add3_u32 v18, v3, v18, 0x7fff
	v_cmp_o_f32_e32 vcc_lo, v7, v7
	v_lshrrev_b32_e32 v5, 16, v18
	s_wait_alu 0xfffd
	v_cndmask_b32_e32 v7, 0x7fc0, v16, vcc_lo
	v_cmp_o_f32_e32 vcc_lo, v3, v3
	s_delay_alu instid0(VALU_DEP_2)
	v_perm_b32 v1, v7, v1, 0x5040100
	s_wait_alu 0xfffd
	v_cndmask_b32_e32 v3, 0x7fc0, v5, vcc_lo
	v_cmp_o_f32_e32 vcc_lo, v2, v2
	v_perm_b32 v2, v9, v8, 0x5040100
	s_wait_alu 0xfffd
	v_cndmask_b32_e32 v10, 0x7fc0, v10, vcc_lo
	v_add_co_u32 v4, vcc_lo, v4, v0
	s_wait_alu 0xfffd
	v_add_co_ci_u32_e64 v5, null, 0, v6, vcc_lo
	s_delay_alu instid0(VALU_DEP_3)
	v_perm_b32 v3, v10, v3, 0x5040100
	v_perm_b32 v0, v12, v11, 0x5040100
	global_store_b128 v[4:5], v[0:3], off
	s_endpgm
	.section	.rodata,"a",@progbits
	.p2align	6, 0x0
	.amdhsa_kernel _ZL22dequantize_block_iq3_sIN3c108BFloat16EEvPKvPT_
		.amdhsa_group_segment_fixed_size 0
		.amdhsa_private_segment_fixed_size 0
		.amdhsa_kernarg_size 16
		.amdhsa_user_sgpr_count 2
		.amdhsa_user_sgpr_dispatch_ptr 0
		.amdhsa_user_sgpr_queue_ptr 0
		.amdhsa_user_sgpr_kernarg_segment_ptr 1
		.amdhsa_user_sgpr_dispatch_id 0
		.amdhsa_user_sgpr_private_segment_size 0
		.amdhsa_wavefront_size32 1
		.amdhsa_uses_dynamic_stack 0
		.amdhsa_enable_private_segment 0
		.amdhsa_system_sgpr_workgroup_id_x 1
		.amdhsa_system_sgpr_workgroup_id_y 0
		.amdhsa_system_sgpr_workgroup_id_z 0
		.amdhsa_system_sgpr_workgroup_info 0
		.amdhsa_system_vgpr_workitem_id 0
		.amdhsa_next_free_vgpr 20
		.amdhsa_next_free_sgpr 8
		.amdhsa_reserve_vcc 1
		.amdhsa_float_round_mode_32 0
		.amdhsa_float_round_mode_16_64 0
		.amdhsa_float_denorm_mode_32 3
		.amdhsa_float_denorm_mode_16_64 3
		.amdhsa_fp16_overflow 0
		.amdhsa_workgroup_processor_mode 1
		.amdhsa_memory_ordered 1
		.amdhsa_forward_progress 1
		.amdhsa_inst_pref_size 9
		.amdhsa_round_robin_scheduling 0
		.amdhsa_exception_fp_ieee_invalid_op 0
		.amdhsa_exception_fp_denorm_src 0
		.amdhsa_exception_fp_ieee_div_zero 0
		.amdhsa_exception_fp_ieee_overflow 0
		.amdhsa_exception_fp_ieee_underflow 0
		.amdhsa_exception_fp_ieee_inexact 0
		.amdhsa_exception_int_div_zero 0
	.end_amdhsa_kernel
	.section	.text._ZL22dequantize_block_iq3_sIN3c108BFloat16EEvPKvPT_,"axG",@progbits,_ZL22dequantize_block_iq3_sIN3c108BFloat16EEvPKvPT_,comdat
.Lfunc_end53:
	.size	_ZL22dequantize_block_iq3_sIN3c108BFloat16EEvPKvPT_, .Lfunc_end53-_ZL22dequantize_block_iq3_sIN3c108BFloat16EEvPKvPT_
                                        ; -- End function
	.set _ZL22dequantize_block_iq3_sIN3c108BFloat16EEvPKvPT_.num_vgpr, 20
	.set _ZL22dequantize_block_iq3_sIN3c108BFloat16EEvPKvPT_.num_agpr, 0
	.set _ZL22dequantize_block_iq3_sIN3c108BFloat16EEvPKvPT_.numbered_sgpr, 8
	.set _ZL22dequantize_block_iq3_sIN3c108BFloat16EEvPKvPT_.num_named_barrier, 0
	.set _ZL22dequantize_block_iq3_sIN3c108BFloat16EEvPKvPT_.private_seg_size, 0
	.set _ZL22dequantize_block_iq3_sIN3c108BFloat16EEvPKvPT_.uses_vcc, 1
	.set _ZL22dequantize_block_iq3_sIN3c108BFloat16EEvPKvPT_.uses_flat_scratch, 0
	.set _ZL22dequantize_block_iq3_sIN3c108BFloat16EEvPKvPT_.has_dyn_sized_stack, 0
	.set _ZL22dequantize_block_iq3_sIN3c108BFloat16EEvPKvPT_.has_recursion, 0
	.set _ZL22dequantize_block_iq3_sIN3c108BFloat16EEvPKvPT_.has_indirect_call, 0
	.section	.AMDGPU.csdata,"",@progbits
; Kernel info:
; codeLenInByte = 1088
; TotalNumSgprs: 10
; NumVgprs: 20
; ScratchSize: 0
; MemoryBound: 0
; FloatMode: 240
; IeeeMode: 1
; LDSByteSize: 0 bytes/workgroup (compile time only)
; SGPRBlocks: 0
; VGPRBlocks: 2
; NumSGPRsForWavesPerEU: 10
; NumVGPRsForWavesPerEU: 20
; Occupancy: 16
; WaveLimiterHint : 0
; COMPUTE_PGM_RSRC2:SCRATCH_EN: 0
; COMPUTE_PGM_RSRC2:USER_SGPR: 2
; COMPUTE_PGM_RSRC2:TRAP_HANDLER: 0
; COMPUTE_PGM_RSRC2:TGID_X_EN: 1
; COMPUTE_PGM_RSRC2:TGID_Y_EN: 0
; COMPUTE_PGM_RSRC2:TGID_Z_EN: 0
; COMPUTE_PGM_RSRC2:TIDIG_COMP_CNT: 0
	.section	.text._ZL22dequantize_block_iq2_sIN3c108BFloat16EEvPKvPT_,"axG",@progbits,_ZL22dequantize_block_iq2_sIN3c108BFloat16EEvPKvPT_,comdat
	.globl	_ZL22dequantize_block_iq2_sIN3c108BFloat16EEvPKvPT_ ; -- Begin function _ZL22dequantize_block_iq2_sIN3c108BFloat16EEvPKvPT_
	.p2align	8
	.type	_ZL22dequantize_block_iq2_sIN3c108BFloat16EEvPKvPT_,@function
_ZL22dequantize_block_iq2_sIN3c108BFloat16EEvPKvPT_: ; @_ZL22dequantize_block_iq2_sIN3c108BFloat16EEvPKvPT_
; %bb.0:
	s_load_b128 s[0:3], s[0:1], 0x0
	v_lshrrev_b32_e32 v1, 3, v0
	v_and_b32_e32 v3, 7, v0
	s_lshl_b32 s4, ttmp9, 8
	s_mov_b32 s5, 0
	s_delay_alu instid0(SALU_CYCLE_1) | instskip(SKIP_4) | instid1(VALU_DEP_1)
	s_lshl_b64 s[6:7], s[4:5], 1
	s_mov_b32 s4, ttmp9
	v_lshl_add_u32 v2, v3, 2, v1
	s_mul_u64 s[4:5], s[4:5], 0x52
	v_lshlrev_b32_e32 v1, 1, v1
	v_sub_nc_u32_e32 v1, 8, v1
	s_wait_kmcnt 0x0
	s_add_nc_u64 s[0:1], s[0:1], s[4:5]
	s_clause 0x3
	global_load_u8 v4, v3, s[0:1] offset:66
	global_load_u8 v5, v2, s[0:1] offset:2
	;; [unrolled: 1-line block ×4, first 2 shown]
	s_wait_loadcnt 0x3
	v_dual_mov_b32 v2, 0 :: v_dual_lshlrev_b32 v1, v1, v4
	global_load_u16 v4, v2, s[0:1]
	s_getpc_b64 s[0:1]
	s_sext_i32_i16 s1, s1
	s_add_co_u32 s0, s0, _ZL9iq2s_grid@rel32@lo+8
	s_add_co_ci_u32 s1, s1, _ZL9iq2s_grid@rel32@hi+16
	s_wait_loadcnt 0x2
	v_and_b32_e32 v9, 8, v6
	v_bfe_i32 v8, v6, 0, 8
	v_and_or_b32 v1, 0x300, v1, v5
	v_lshrrev_b32_e32 v5, 2, v0
	v_and_b32_e32 v11, 2, v6
	v_cmp_eq_u16_e32 vcc_lo, 0, v9
	v_and_b32_e32 v13, 32, v6
	s_delay_alu instid0(VALU_DEP_4) | instskip(SKIP_1) | instid1(VALU_DEP_1)
	v_and_b32_e32 v5, 0xfc, v5
	s_wait_loadcnt 0x1
	v_bfe_u32 v5, v7, v5, 4
	s_delay_alu instid0(VALU_DEP_1) | instskip(NEXT) | instid1(VALU_DEP_1)
	v_cvt_f32_ubyte0_e32 v5, v5
	v_dual_add_f32 v5, 0.5, v5 :: v_dual_and_b32 v0, 0x3f8, v0
	s_wait_loadcnt 0x0
	v_cvt_f32_f16_e32 v4, v4
	s_delay_alu instid0(VALU_DEP_1) | instskip(NEXT) | instid1(VALU_DEP_1)
	v_dual_mul_f32 v4, v5, v4 :: v_dual_lshlrev_b32 v1, 3, v1
	v_dual_mul_f32 v4, 0x3e800000, v4 :: v_dual_and_b32 v5, 1, v6
	global_load_b64 v[1:2], v1, s[0:1]
	s_add_nc_u64 s[0:1], s[2:3], s[6:7]
	s_wait_loadcnt 0x0
	v_cvt_f32_ubyte3_e32 v14, v1
	v_cvt_f32_ubyte2_e32 v15, v1
	v_and_b32_e32 v10, 4, v6
	v_cvt_f32_ubyte1_e32 v16, v1
	v_cvt_f32_ubyte0_e32 v1, v1
	v_cvt_f32_ubyte0_e32 v17, v2
	v_cvt_f32_ubyte1_e32 v18, v2
	v_cvt_f32_ubyte2_e32 v19, v2
	v_cvt_f32_ubyte3_e32 v2, v2
	v_dual_mul_f32 v14, v4, v14 :: v_dual_lshlrev_b32 v3, 6, v3
	s_delay_alu instid0(VALU_DEP_4)
	v_mul_f32_e32 v18, v4, v18
	v_dual_mul_f32 v1, v4, v1 :: v_dual_lshlrev_b32 v0, 1, v0
	v_dual_mul_f32 v17, v4, v17 :: v_dual_and_b32 v12, 16, v6
	v_dual_mul_f32 v19, v4, v19 :: v_dual_and_b32 v6, 64, v6
	v_mul_f32_e32 v16, v4, v16
	v_mul_f32_e32 v15, v4, v15
	;; [unrolled: 1-line block ×3, first 2 shown]
	v_cndmask_b32_e64 v4, -v14, v14, vcc_lo
	v_cmp_eq_u16_e32 vcc_lo, 0, v10
	v_add_co_u32 v3, s0, s0, v3
	s_wait_alu 0xf1ff
	v_add_co_ci_u32_e64 v7, null, s1, 0, s0
	s_wait_alu 0xfffd
	v_cndmask_b32_e64 v9, -v15, v15, vcc_lo
	v_cmp_eq_u16_e32 vcc_lo, 0, v11
	v_bfe_u32 v14, v4, 16, 1
	s_wait_alu 0xfffd
	v_cndmask_b32_e64 v10, -v16, v16, vcc_lo
	v_cmp_eq_u16_e32 vcc_lo, 0, v5
	s_delay_alu instid0(VALU_DEP_3)
	v_add3_u32 v14, v4, v14, 0x7fff
	s_wait_alu 0xfffd
	v_cndmask_b32_e64 v1, -v1, v1, vcc_lo
	v_cmp_eq_u16_e32 vcc_lo, 0, v12
	v_bfe_u32 v12, v10, 16, 1
	v_lshrrev_b32_e32 v14, 16, v14
	s_wait_alu 0xfffd
	v_cndmask_b32_e64 v5, -v17, v17, vcc_lo
	v_cmp_eq_u16_e32 vcc_lo, 0, v13
	v_bfe_u32 v13, v9, 16, 1
	v_add3_u32 v12, v10, v12, 0x7fff
	s_delay_alu instid0(VALU_DEP_4)
	v_bfe_u32 v15, v5, 16, 1
	s_wait_alu 0xfffd
	v_cndmask_b32_e64 v11, -v18, v18, vcc_lo
	v_cmp_eq_u16_e32 vcc_lo, 0, v6
	v_add3_u32 v13, v9, v13, 0x7fff
	v_lshrrev_b32_e32 v12, 16, v12
	v_add3_u32 v15, v5, v15, 0x7fff
	v_bfe_u32 v16, v11, 16, 1
	s_wait_alu 0xfffd
	v_cndmask_b32_e64 v6, -v19, v19, vcc_lo
	v_cmp_gt_i16_e32 vcc_lo, 0, v8
	v_bfe_u32 v8, v1, 16, 1
	v_lshrrev_b32_e32 v13, 16, v13
	v_add3_u32 v16, v11, v16, 0x7fff
	v_lshrrev_b32_e32 v18, 16, v6
	s_wait_alu 0xfffd
	v_cndmask_b32_e64 v2, v2, -v2, vcc_lo
	v_add3_u32 v8, v1, v8, 0x7fff
	v_cmp_o_f32_e32 vcc_lo, v1, v1
	v_lshrrev_b32_e32 v15, 16, v15
	v_lshrrev_b32_e32 v16, 16, v16
	;; [unrolled: 1-line block ×4, first 2 shown]
	s_wait_alu 0xfffd
	s_delay_alu instid0(VALU_DEP_1) | instskip(SKIP_1) | instid1(VALU_DEP_2)
	v_dual_cndmask_b32 v8, 0x7fc0, v8 :: v_dual_and_b32 v17, 1, v17
	v_cmp_o_f32_e32 vcc_lo, v10, v10
	v_add3_u32 v17, v2, v17, 0x7fff
	s_wait_alu 0xfffd
	v_cndmask_b32_e32 v10, 0x7fc0, v12, vcc_lo
	v_cmp_o_f32_e32 vcc_lo, v9, v9
	s_wait_alu 0xfffd
	v_dual_cndmask_b32 v1, 0x7fc0, v13 :: v_dual_and_b32 v18, 1, v18
	v_cmp_o_f32_e32 vcc_lo, v4, v4
	s_delay_alu instid0(VALU_DEP_2) | instskip(SKIP_3) | instid1(VALU_DEP_3)
	v_add3_u32 v18, v6, v18, 0x7fff
	s_wait_alu 0xfffd
	v_cndmask_b32_e32 v9, 0x7fc0, v14, vcc_lo
	v_cmp_o_f32_e32 vcc_lo, v5, v5
	v_lshrrev_b32_e32 v4, 16, v18
	v_lshrrev_b32_e32 v5, 16, v17
	s_delay_alu instid0(VALU_DEP_4)
	v_perm_b32 v1, v9, v1, 0x5040100
	s_wait_alu 0xfffd
	v_cndmask_b32_e32 v12, 0x7fc0, v15, vcc_lo
	v_cmp_o_f32_e32 vcc_lo, v11, v11
	s_wait_alu 0xfffd
	v_cndmask_b32_e32 v11, 0x7fc0, v16, vcc_lo
	v_cmp_o_f32_e32 vcc_lo, v6, v6
	;; [unrolled: 3-line block ×3, first 2 shown]
	v_perm_b32 v2, v11, v12, 0x5040100
	s_wait_alu 0xfffd
	v_cndmask_b32_e32 v13, 0x7fc0, v5, vcc_lo
	v_add_co_u32 v4, vcc_lo, v3, v0
	s_wait_alu 0xfffd
	v_add_co_ci_u32_e64 v5, null, 0, v7, vcc_lo
	s_delay_alu instid0(VALU_DEP_3)
	v_perm_b32 v3, v13, v6, 0x5040100
	v_perm_b32 v0, v10, v8, 0x5040100
	global_store_b128 v[4:5], v[0:3], off
	s_endpgm
	.section	.rodata,"a",@progbits
	.p2align	6, 0x0
	.amdhsa_kernel _ZL22dequantize_block_iq2_sIN3c108BFloat16EEvPKvPT_
		.amdhsa_group_segment_fixed_size 0
		.amdhsa_private_segment_fixed_size 0
		.amdhsa_kernarg_size 16
		.amdhsa_user_sgpr_count 2
		.amdhsa_user_sgpr_dispatch_ptr 0
		.amdhsa_user_sgpr_queue_ptr 0
		.amdhsa_user_sgpr_kernarg_segment_ptr 1
		.amdhsa_user_sgpr_dispatch_id 0
		.amdhsa_user_sgpr_private_segment_size 0
		.amdhsa_wavefront_size32 1
		.amdhsa_uses_dynamic_stack 0
		.amdhsa_enable_private_segment 0
		.amdhsa_system_sgpr_workgroup_id_x 1
		.amdhsa_system_sgpr_workgroup_id_y 0
		.amdhsa_system_sgpr_workgroup_id_z 0
		.amdhsa_system_sgpr_workgroup_info 0
		.amdhsa_system_vgpr_workitem_id 0
		.amdhsa_next_free_vgpr 20
		.amdhsa_next_free_sgpr 8
		.amdhsa_reserve_vcc 1
		.amdhsa_float_round_mode_32 0
		.amdhsa_float_round_mode_16_64 0
		.amdhsa_float_denorm_mode_32 3
		.amdhsa_float_denorm_mode_16_64 3
		.amdhsa_fp16_overflow 0
		.amdhsa_workgroup_processor_mode 1
		.amdhsa_memory_ordered 1
		.amdhsa_forward_progress 1
		.amdhsa_inst_pref_size 8
		.amdhsa_round_robin_scheduling 0
		.amdhsa_exception_fp_ieee_invalid_op 0
		.amdhsa_exception_fp_denorm_src 0
		.amdhsa_exception_fp_ieee_div_zero 0
		.amdhsa_exception_fp_ieee_overflow 0
		.amdhsa_exception_fp_ieee_underflow 0
		.amdhsa_exception_fp_ieee_inexact 0
		.amdhsa_exception_int_div_zero 0
	.end_amdhsa_kernel
	.section	.text._ZL22dequantize_block_iq2_sIN3c108BFloat16EEvPKvPT_,"axG",@progbits,_ZL22dequantize_block_iq2_sIN3c108BFloat16EEvPKvPT_,comdat
.Lfunc_end54:
	.size	_ZL22dequantize_block_iq2_sIN3c108BFloat16EEvPKvPT_, .Lfunc_end54-_ZL22dequantize_block_iq2_sIN3c108BFloat16EEvPKvPT_
                                        ; -- End function
	.set _ZL22dequantize_block_iq2_sIN3c108BFloat16EEvPKvPT_.num_vgpr, 20
	.set _ZL22dequantize_block_iq2_sIN3c108BFloat16EEvPKvPT_.num_agpr, 0
	.set _ZL22dequantize_block_iq2_sIN3c108BFloat16EEvPKvPT_.numbered_sgpr, 8
	.set _ZL22dequantize_block_iq2_sIN3c108BFloat16EEvPKvPT_.num_named_barrier, 0
	.set _ZL22dequantize_block_iq2_sIN3c108BFloat16EEvPKvPT_.private_seg_size, 0
	.set _ZL22dequantize_block_iq2_sIN3c108BFloat16EEvPKvPT_.uses_vcc, 1
	.set _ZL22dequantize_block_iq2_sIN3c108BFloat16EEvPKvPT_.uses_flat_scratch, 0
	.set _ZL22dequantize_block_iq2_sIN3c108BFloat16EEvPKvPT_.has_dyn_sized_stack, 0
	.set _ZL22dequantize_block_iq2_sIN3c108BFloat16EEvPKvPT_.has_recursion, 0
	.set _ZL22dequantize_block_iq2_sIN3c108BFloat16EEvPKvPT_.has_indirect_call, 0
	.section	.AMDGPU.csdata,"",@progbits
; Kernel info:
; codeLenInByte = 964
; TotalNumSgprs: 10
; NumVgprs: 20
; ScratchSize: 0
; MemoryBound: 0
; FloatMode: 240
; IeeeMode: 1
; LDSByteSize: 0 bytes/workgroup (compile time only)
; SGPRBlocks: 0
; VGPRBlocks: 2
; NumSGPRsForWavesPerEU: 10
; NumVGPRsForWavesPerEU: 20
; Occupancy: 16
; WaveLimiterHint : 0
; COMPUTE_PGM_RSRC2:SCRATCH_EN: 0
; COMPUTE_PGM_RSRC2:USER_SGPR: 2
; COMPUTE_PGM_RSRC2:TRAP_HANDLER: 0
; COMPUTE_PGM_RSRC2:TGID_X_EN: 1
; COMPUTE_PGM_RSRC2:TGID_Y_EN: 0
; COMPUTE_PGM_RSRC2:TGID_Z_EN: 0
; COMPUTE_PGM_RSRC2:TIDIG_COMP_CNT: 0
	.section	.text._ZL23dequantize_block_iq4_xsIN3c108BFloat16EEvPKvPT_,"axG",@progbits,_ZL23dequantize_block_iq4_xsIN3c108BFloat16EEvPKvPT_,comdat
	.globl	_ZL23dequantize_block_iq4_xsIN3c108BFloat16EEvPKvPT_ ; -- Begin function _ZL23dequantize_block_iq4_xsIN3c108BFloat16EEvPKvPT_
	.p2align	8
	.type	_ZL23dequantize_block_iq4_xsIN3c108BFloat16EEvPKvPT_,@function
_ZL23dequantize_block_iq4_xsIN3c108BFloat16EEvPKvPT_: ; @_ZL23dequantize_block_iq4_xsIN3c108BFloat16EEvPKvPT_
; %bb.0:
	s_load_b128 s[0:3], s[0:1], 0x0
	v_and_b32_e32 v3, 7, v0
	s_lshl_b32 s6, ttmp9, 8
	s_mov_b32 s7, 0
	v_lshrrev_b32_e32 v1, 1, v0
	s_lshl_b64 s[4:5], s[6:7], 1
	s_mov_b32 s6, ttmp9
	v_lshlrev_b32_e32 v2, 4, v3
	s_mul_u64 s[6:7], s[6:7], 0x88
	v_and_b32_e32 v4, 0x1fc, v1
	v_bfe_u32 v5, v0, 1, 2
	v_lshlrev_b32_e32 v0, 2, v0
	s_delay_alu instid0(VALU_DEP_1) | instskip(SKIP_2) | instid1(SALU_CYCLE_1)
	v_and_b32_e32 v0, 4, v0
	s_wait_kmcnt 0x0
	s_add_nc_u64 s[0:1], s[0:1], s[6:7]
	v_add_co_u32 v1, s6, s0, v2
	s_delay_alu instid0(VALU_DEP_1) | instskip(SKIP_2) | instid1(VALU_DEP_1)
	v_add_co_ci_u32_e64 v2, null, s1, 0, s6
	global_load_u8 v5, v5, s[0:1] offset:4
	v_add_co_u32 v1, vcc_lo, v1, v4
	v_add_co_ci_u32_e64 v2, null, 0, v2, vcc_lo
	global_load_b32 v1, v[1:2], off offset:8
	v_mov_b32_e32 v2, 0
	global_load_b32 v2, v2, s[0:1]
	s_getpc_b64 s[0:1]
	s_wait_alu 0xfffe
	s_sext_i32_i16 s1, s1
	s_add_co_u32 s0, s0, _ZL13kvalues_iq4nl@rel32@lo+12
	s_wait_alu 0xfffe
	s_add_co_ci_u32 s1, s1, _ZL13kvalues_iq4nl@rel32@hi+24
	s_wait_loadcnt 0x2
	v_bfe_u32 v0, v5, v0, 4
	s_wait_loadcnt 0x1
	v_bfe_u32 v8, v1, 8, 4
	v_bfe_u32 v9, v1, 12, 4
	;; [unrolled: 1-line block ×6, first 2 shown]
	s_wait_loadcnt 0x0
	v_lshrrev_b32_e32 v14, 16, v2
	v_cvt_f32_f16_e32 v2, v2
	v_lshlrev_b32_e32 v13, 1, v3
	s_delay_alu instid0(VALU_DEP_1) | instskip(NEXT) | instid1(VALU_DEP_1)
	v_lshrrev_b32_e32 v13, v13, v14
	v_lshlrev_b32_e32 v5, 4, v13
	s_delay_alu instid0(VALU_DEP_1) | instskip(NEXT) | instid1(VALU_DEP_1)
	v_and_or_b32 v0, v5, 48, v0
	v_subrev_nc_u32_e32 v0, 32, v0
	s_delay_alu instid0(VALU_DEP_1) | instskip(NEXT) | instid1(VALU_DEP_1)
	v_cvt_f32_i32_e32 v0, v0
	v_mul_f32_e32 v0, v2, v0
	v_and_b32_e32 v6, 15, v1
	v_lshrrev_b32_e32 v1, 28, v1
	s_clause 0x7
	global_load_i8 v8, v8, s[0:1]
	global_load_i8 v6, v6, s[0:1]
	;; [unrolled: 1-line block ×8, first 2 shown]
	s_add_nc_u64 s[0:1], s[2:3], s[4:5]
	s_wait_loadcnt 0x7
	v_cvt_f32_i32_e32 v2, v8
	s_wait_loadcnt 0x6
	v_cvt_f32_i32_e32 v6, v6
	;; [unrolled: 2-line block ×3, first 2 shown]
	v_lshlrev_b32_e32 v3, 6, v3
	s_wait_loadcnt 0x3
	v_cvt_f32_i32_e32 v9, v12
	v_cvt_f32_i32_e32 v7, v7
	v_mul_f32_e32 v6, v0, v6
	s_wait_loadcnt 0x2
	v_cvt_f32_i32_e32 v10, v10
	s_wait_loadcnt 0x1
	v_cvt_f32_i32_e32 v1, v1
	;; [unrolled: 2-line block ×3, first 2 shown]
	v_mul_f32_e32 v2, v0, v2
	v_mul_f32_e32 v9, v0, v9
	v_lshrrev_b32_e32 v12, 16, v6
	v_mul_f32_e32 v7, v0, v7
	v_mul_f32_e32 v8, v0, v8
	;; [unrolled: 1-line block ×4, first 2 shown]
	v_lshrrev_b32_e32 v15, 16, v9
	v_mul_f32_e32 v0, v0, v1
	v_lshrrev_b32_e32 v1, 16, v2
	v_and_b32_e32 v12, 1, v12
	v_lshrrev_b32_e32 v14, 16, v7
	v_and_b32_e32 v15, 1, v15
	;; [unrolled: 2-line block ×3, first 2 shown]
	v_add3_u32 v12, v6, v12, 0x7fff
	v_lshrrev_b32_e32 v13, 16, v8
	v_and_b32_e32 v14, 1, v14
	v_cmp_o_f32_e32 vcc_lo, v6, v6
	v_add3_u32 v1, v2, v1, 0x7fff
	v_lshrrev_b32_e32 v12, 16, v12
	v_and_b32_e32 v13, 1, v13
	v_lshrrev_b32_e32 v16, 16, v10
	v_and_b32_e32 v17, 1, v17
	v_add3_u32 v14, v7, v14, 0x7fff
	v_lshrrev_b32_e32 v1, 16, v1
	s_wait_alu 0xfffd
	v_cndmask_b32_e32 v6, 0x7fc0, v12, vcc_lo
	v_cmp_o_f32_e32 vcc_lo, v2, v2
	v_and_b32_e32 v16, 1, v16
	v_add3_u32 v13, v8, v13, 0x7fff
	v_lshrrev_b32_e32 v14, 16, v14
	v_lshrrev_b32_e32 v18, 16, v11
	s_wait_alu 0xfffd
	v_cndmask_b32_e32 v2, 0x7fc0, v1, vcc_lo
	v_cmp_o_f32_e32 vcc_lo, v7, v7
	v_add3_u32 v16, v10, v16, 0x7fff
	v_lshrrev_b32_e32 v13, 16, v13
	v_and_b32_e32 v18, 1, v18
	v_add3_u32 v15, v9, v15, 0x7fff
	s_wait_alu 0xfffd
	v_cndmask_b32_e32 v7, 0x7fc0, v14, vcc_lo
	v_cmp_o_f32_e32 vcc_lo, v8, v8
	v_lshrrev_b32_e32 v16, 16, v16
	v_add3_u32 v18, v11, v18, 0x7fff
	v_lshrrev_b32_e32 v15, 16, v15
	v_add3_u32 v17, v0, v17, 0x7fff
	s_wait_alu 0xfffd
	v_cndmask_b32_e32 v8, 0x7fc0, v13, vcc_lo
	v_cmp_o_f32_e32 vcc_lo, v10, v10
	v_lshrrev_b32_e32 v18, 16, v18
	s_wait_alu 0xfffe
	v_add_co_u32 v3, s0, s0, v3
	v_lshrrev_b32_e32 v17, 16, v17
	s_wait_alu 0xfffd
	v_cndmask_b32_e32 v10, 0x7fc0, v16, vcc_lo
	v_cmp_o_f32_e32 vcc_lo, v9, v9
	s_wait_alu 0xf1ff
	v_add_co_ci_u32_e64 v5, null, s1, 0, s0
	v_perm_b32 v2, v2, v6, 0x5040100
	s_wait_alu 0xfffd
	v_cndmask_b32_e32 v9, 0x7fc0, v15, vcc_lo
	v_cmp_o_f32_e32 vcc_lo, v11, v11
	s_wait_alu 0xfffd
	v_dual_cndmask_b32 v11, 0x7fc0, v18 :: v_dual_lshlrev_b32 v4, 1, v4
	v_cmp_o_f32_e32 vcc_lo, v0, v0
	s_wait_alu 0xfffd
	v_cndmask_b32_e32 v12, 0x7fc0, v17, vcc_lo
	s_delay_alu instid0(VALU_DEP_3)
	v_add_co_u32 v0, vcc_lo, v3, v4
	s_wait_alu 0xfffd
	v_add_co_ci_u32_e64 v1, null, 0, v5, vcc_lo
	v_perm_b32 v3, v9, v10, 0x5040100
	v_perm_b32 v5, v12, v11, 0x5040100
	;; [unrolled: 1-line block ×3, first 2 shown]
	s_clause 0x1
	global_store_b64 v[0:1], v[2:3], off
	global_store_b64 v[0:1], v[4:5], off offset:32
	s_endpgm
	.section	.rodata,"a",@progbits
	.p2align	6, 0x0
	.amdhsa_kernel _ZL23dequantize_block_iq4_xsIN3c108BFloat16EEvPKvPT_
		.amdhsa_group_segment_fixed_size 0
		.amdhsa_private_segment_fixed_size 0
		.amdhsa_kernarg_size 16
		.amdhsa_user_sgpr_count 2
		.amdhsa_user_sgpr_dispatch_ptr 0
		.amdhsa_user_sgpr_queue_ptr 0
		.amdhsa_user_sgpr_kernarg_segment_ptr 1
		.amdhsa_user_sgpr_dispatch_id 0
		.amdhsa_user_sgpr_private_segment_size 0
		.amdhsa_wavefront_size32 1
		.amdhsa_uses_dynamic_stack 0
		.amdhsa_enable_private_segment 0
		.amdhsa_system_sgpr_workgroup_id_x 1
		.amdhsa_system_sgpr_workgroup_id_y 0
		.amdhsa_system_sgpr_workgroup_id_z 0
		.amdhsa_system_sgpr_workgroup_info 0
		.amdhsa_system_vgpr_workitem_id 0
		.amdhsa_next_free_vgpr 19
		.amdhsa_next_free_sgpr 8
		.amdhsa_reserve_vcc 1
		.amdhsa_float_round_mode_32 0
		.amdhsa_float_round_mode_16_64 0
		.amdhsa_float_denorm_mode_32 3
		.amdhsa_float_denorm_mode_16_64 3
		.amdhsa_fp16_overflow 0
		.amdhsa_workgroup_processor_mode 1
		.amdhsa_memory_ordered 1
		.amdhsa_forward_progress 1
		.amdhsa_inst_pref_size 8
		.amdhsa_round_robin_scheduling 0
		.amdhsa_exception_fp_ieee_invalid_op 0
		.amdhsa_exception_fp_denorm_src 0
		.amdhsa_exception_fp_ieee_div_zero 0
		.amdhsa_exception_fp_ieee_overflow 0
		.amdhsa_exception_fp_ieee_underflow 0
		.amdhsa_exception_fp_ieee_inexact 0
		.amdhsa_exception_int_div_zero 0
	.end_amdhsa_kernel
	.section	.text._ZL23dequantize_block_iq4_xsIN3c108BFloat16EEvPKvPT_,"axG",@progbits,_ZL23dequantize_block_iq4_xsIN3c108BFloat16EEvPKvPT_,comdat
.Lfunc_end55:
	.size	_ZL23dequantize_block_iq4_xsIN3c108BFloat16EEvPKvPT_, .Lfunc_end55-_ZL23dequantize_block_iq4_xsIN3c108BFloat16EEvPKvPT_
                                        ; -- End function
	.set _ZL23dequantize_block_iq4_xsIN3c108BFloat16EEvPKvPT_.num_vgpr, 19
	.set _ZL23dequantize_block_iq4_xsIN3c108BFloat16EEvPKvPT_.num_agpr, 0
	.set _ZL23dequantize_block_iq4_xsIN3c108BFloat16EEvPKvPT_.numbered_sgpr, 8
	.set _ZL23dequantize_block_iq4_xsIN3c108BFloat16EEvPKvPT_.num_named_barrier, 0
	.set _ZL23dequantize_block_iq4_xsIN3c108BFloat16EEvPKvPT_.private_seg_size, 0
	.set _ZL23dequantize_block_iq4_xsIN3c108BFloat16EEvPKvPT_.uses_vcc, 1
	.set _ZL23dequantize_block_iq4_xsIN3c108BFloat16EEvPKvPT_.uses_flat_scratch, 0
	.set _ZL23dequantize_block_iq4_xsIN3c108BFloat16EEvPKvPT_.has_dyn_sized_stack, 0
	.set _ZL23dequantize_block_iq4_xsIN3c108BFloat16EEvPKvPT_.has_recursion, 0
	.set _ZL23dequantize_block_iq4_xsIN3c108BFloat16EEvPKvPT_.has_indirect_call, 0
	.section	.AMDGPU.csdata,"",@progbits
; Kernel info:
; codeLenInByte = 968
; TotalNumSgprs: 10
; NumVgprs: 19
; ScratchSize: 0
; MemoryBound: 0
; FloatMode: 240
; IeeeMode: 1
; LDSByteSize: 0 bytes/workgroup (compile time only)
; SGPRBlocks: 0
; VGPRBlocks: 2
; NumSGPRsForWavesPerEU: 10
; NumVGPRsForWavesPerEU: 19
; Occupancy: 16
; WaveLimiterHint : 0
; COMPUTE_PGM_RSRC2:SCRATCH_EN: 0
; COMPUTE_PGM_RSRC2:USER_SGPR: 2
; COMPUTE_PGM_RSRC2:TRAP_HANDLER: 0
; COMPUTE_PGM_RSRC2:TGID_X_EN: 1
; COMPUTE_PGM_RSRC2:TGID_Y_EN: 0
; COMPUTE_PGM_RSRC2:TGID_Z_EN: 0
; COMPUTE_PGM_RSRC2:TIDIG_COMP_CNT: 0
	.section	.text._ZL22dequantize_block_iq1_mIN3c108BFloat16EEvPKvPT_,"axG",@progbits,_ZL22dequantize_block_iq1_mIN3c108BFloat16EEvPKvPT_,comdat
	.globl	_ZL22dequantize_block_iq1_mIN3c108BFloat16EEvPKvPT_ ; -- Begin function _ZL22dequantize_block_iq1_mIN3c108BFloat16EEvPKvPT_
	.p2align	8
	.type	_ZL22dequantize_block_iq1_mIN3c108BFloat16EEvPKvPT_,@function
_ZL22dequantize_block_iq1_mIN3c108BFloat16EEvPKvPT_: ; @_ZL22dequantize_block_iq1_mIN3c108BFloat16EEvPKvPT_
; %bb.0:
	s_load_b128 s[0:3], s[0:1], 0x0
	v_and_b32_e32 v5, 7, v0
	s_mov_b32 s4, ttmp9
	s_mov_b32 s5, 0
	v_lshrrev_b32_e32 v2, 3, v0
	s_mul_u64 s[6:7], s[4:5], 56
	v_lshlrev_b32_e32 v1, 2, v5
	v_lshrrev_b32_e32 v3, 4, v0
	v_lshlrev_b32_e32 v6, 1, v5
	s_delay_alu instid0(VALU_DEP_1) | instskip(SKIP_2) | instid1(SALU_CYCLE_1)
	v_add_nc_u32_e32 v7, v6, v3
	s_wait_kmcnt 0x0
	s_add_nc_u64 s[0:1], s[0:1], s[6:7]
	v_add_co_u32 v1, s6, s0, v1
	s_delay_alu instid0(VALU_DEP_1) | instskip(NEXT) | instid1(VALU_DEP_2)
	v_add_co_ci_u32_e64 v4, null, s1, 0, s6
	v_add_co_u32 v1, vcc_lo, v1, v2
	s_delay_alu instid0(VALU_DEP_1)
	v_add_co_ci_u32_e64 v2, null, 0, v4, vcc_lo
	s_clause 0x1
	global_load_u8 v8, v[1:2], off
	global_load_u8 v9, v7, s[0:1] offset:32
	v_add_nc_u16 v1, v6, v3
	v_dual_mov_b32 v2, 0 :: v_dual_and_b32 v7, 3, v7
	v_lshrrev_b32_e32 v6, 1, v0
	s_delay_alu instid0(VALU_DEP_3) | instskip(SKIP_3) | instid1(VALU_DEP_1)
	v_lshrrev_b16 v3, 1, v1
	global_load_b64 v[1:2], v2, s[0:1] offset:48
	v_mul_u32_u24_e32 v7, 3, v7
	v_and_b32_e32 v3, 62, v3
	v_add_co_u32 v3, s0, s0, v3
	s_wait_alu 0xf1ff
	v_add_co_ci_u32_e64 v4, null, s1, 0, s0
	s_getpc_b64 s[0:1]
	s_wait_alu 0xfffe
	s_sext_i32_i16 s1, s1
	s_add_co_u32 s0, s0, _ZL13iq1s_grid_gpu@rel32@lo+12
	s_wait_alu 0xfffe
	s_add_co_ci_u32 s1, s1, _ZL13iq1s_grid_gpu@rel32@hi+24
	global_load_u16 v3, v[3:4], off offset:48
	s_wait_loadcnt 0x1
	v_pk_lshrrev_b16 v1, 0x8000c, v1
	v_pk_lshrrev_b16 v2, 4, v2
	s_wait_loadcnt 0x0
	v_lshrrev_b32_e32 v3, v7, v3
	v_mov_b32_e32 v7, 0xbf600000
	s_delay_alu instid0(VALU_DEP_2) | instskip(NEXT) | instid1(VALU_DEP_1)
	v_lshlrev_b32_e32 v3, 1, v3
	v_and_or_b32 v3, v3, 14, 1
	s_delay_alu instid0(VALU_DEP_1) | instskip(SKIP_1) | instid1(VALU_DEP_1)
	v_cvt_f32_ubyte0_e32 v3, v3
	v_and_b32_e32 v6, 4, v6
	v_lshrrev_b32_e32 v4, v6, v9
	s_delay_alu instid0(VALU_DEP_1) | instskip(SKIP_1) | instid1(VALU_DEP_2)
	v_lshlrev_b32_e32 v6, 8, v4
	v_and_b32_e32 v4, 8, v4
	v_and_or_b32 v6, 0x700, v6, v8
	s_delay_alu instid0(VALU_DEP_2)
	v_cmp_eq_u32_e32 vcc_lo, 0, v4
	v_lshrrev_b32_e32 v8, 16, v1
	s_wait_alu 0xfffd
	v_cndmask_b32_e32 v4, 0xbf900000, v7, vcc_lo
	v_lshlrev_b32_e32 v6, 3, v6
	global_load_b32 v6, v6, s[0:1]
	s_lshl_b64 s[0:1], s[4:5], 9
	s_wait_alu 0xfffe
	s_add_nc_u64 s[0:1], s[2:3], s[0:1]
	s_wait_loadcnt 0x0
	v_bfe_u32 v9, v6, 16, 4
	v_bfe_u32 v11, v6, 12, 4
	;; [unrolled: 1-line block ×3, first 2 shown]
	v_lshrrev_b32_e32 v12, 28, v6
	s_delay_alu instid0(VALU_DEP_4)
	v_cvt_f32_ubyte0_e32 v9, v9
	v_and_b32_e32 v8, 0xf0, v8
	v_cvt_f32_ubyte0_e32 v11, v11
	v_and_b32_e32 v2, 0xf0000f00, v2
	v_cvt_f32_ubyte0_e32 v10, v10
	v_add_f32_e32 v9, v4, v9
	v_or_b32_e32 v1, v8, v1
	v_add_f32_e32 v11, v4, v11
	v_lshrrev_b32_e32 v8, 16, v2
	v_cvt_f32_ubyte0_e32 v12, v12
	v_add_f32_e32 v10, v4, v10
	v_or_b32_e32 v1, v1, v2
	s_delay_alu instid0(VALU_DEP_3) | instskip(NEXT) | instid1(VALU_DEP_2)
	v_add_f32_e32 v12, v4, v12
	v_or_b32_e32 v1, v1, v8
	v_bfe_u32 v8, v6, 8, 4
	s_delay_alu instid0(VALU_DEP_2) | instskip(NEXT) | instid1(VALU_DEP_2)
	v_cvt_f32_f16_e32 v1, v1
	v_cvt_f32_ubyte0_e32 v8, v8
	s_delay_alu instid0(VALU_DEP_2) | instskip(NEXT) | instid1(VALU_DEP_2)
	v_mul_f32_e32 v1, v1, v3
	v_dual_add_f32 v8, v4, v8 :: v_dual_and_b32 v7, 15, v6
	v_lshlrev_b32_e32 v2, 6, v5
	s_delay_alu instid0(VALU_DEP_2) | instskip(NEXT) | instid1(VALU_DEP_1)
	v_cvt_f32_ubyte0_e32 v7, v7
	v_add_f32_e32 v7, v4, v7
	v_and_b32_e32 v3, 0xf0f0f0f, v6
	v_bfe_u32 v6, v6, 20, 4
	s_delay_alu instid0(VALU_DEP_2) | instskip(NEXT) | instid1(VALU_DEP_2)
	v_cvt_f32_ubyte3_e32 v3, v3
	v_cvt_f32_ubyte0_e32 v6, v6
	s_delay_alu instid0(VALU_DEP_2) | instskip(NEXT) | instid1(VALU_DEP_2)
	v_dual_add_f32 v3, v4, v3 :: v_dual_and_b32 v0, 0x3f8, v0
	v_add_f32_e32 v4, v4, v6
	v_mul_f32_e32 v6, v1, v7
	v_mul_f32_e32 v7, v1, v8
	s_delay_alu instid0(VALU_DEP_4) | instskip(SKIP_3) | instid1(VALU_DEP_4)
	v_dual_mul_f32 v3, v1, v3 :: v_dual_lshlrev_b32 v0, 1, v0
	v_mul_f32_e32 v8, v1, v9
	v_mul_f32_e32 v9, v1, v10
	v_cmp_o_f32_e32 vcc_lo, v6, v6
	v_lshrrev_b32_e32 v13, 16, v3
	v_mul_f32_e32 v10, v1, v11
	v_lshrrev_b32_e32 v11, 16, v7
	v_mul_f32_e32 v4, v1, v4
	v_lshrrev_b32_e32 v14, 16, v8
	v_and_b32_e32 v13, 1, v13
	v_mul_f32_e32 v1, v1, v12
	v_lshrrev_b32_e32 v12, 16, v6
	v_and_b32_e32 v11, 1, v11
	v_lshrrev_b32_e32 v15, 16, v10
	v_add3_u32 v13, v3, v13, 0x7fff
	v_and_b32_e32 v14, 1, v14
	v_lshrrev_b32_e32 v17, 16, v1
	v_add3_u32 v11, v7, v11, 0x7fff
	v_lshrrev_b32_e32 v18, 16, v4
	v_lshrrev_b32_e32 v13, 16, v13
	v_and_b32_e32 v12, 1, v12
	v_add3_u32 v14, v8, v14, 0x7fff
	v_lshrrev_b32_e32 v11, 16, v11
	v_lshrrev_b32_e32 v16, 16, v9
	s_wait_alu 0xfffe
	v_add_co_u32 v2, s0, s0, v2
	v_add3_u32 v12, v6, v12, 0x7fff
	v_lshrrev_b32_e32 v14, 16, v14
	s_wait_alu 0xf1ff
	v_add_co_ci_u32_e64 v5, null, s1, 0, s0
	s_delay_alu instid0(VALU_DEP_3) | instskip(SKIP_1) | instid1(VALU_DEP_1)
	v_lshrrev_b32_e32 v12, 16, v12
	s_wait_alu 0xfffd
	v_dual_cndmask_b32 v6, 0x7fc0, v12 :: v_dual_and_b32 v15, 1, v15
	v_cmp_o_f32_e32 vcc_lo, v7, v7
	s_delay_alu instid0(VALU_DEP_2)
	v_add3_u32 v15, v10, v15, 0x7fff
	s_wait_alu 0xfffd
	v_cndmask_b32_e32 v7, 0x7fc0, v11, vcc_lo
	v_cmp_o_f32_e32 vcc_lo, v8, v8
	v_and_b32_e32 v17, 1, v17
	v_lshrrev_b32_e32 v15, 16, v15
	s_wait_alu 0xfffd
	v_cndmask_b32_e32 v8, 0x7fc0, v14, vcc_lo
	v_cmp_o_f32_e32 vcc_lo, v3, v3
	v_add3_u32 v17, v1, v17, 0x7fff
	s_wait_alu 0xfffd
	v_cndmask_b32_e32 v11, 0x7fc0, v13, vcc_lo
	v_cmp_o_f32_e32 vcc_lo, v9, v9
	v_and_b32_e32 v18, 1, v18
	v_lshrrev_b32_e32 v17, 16, v17
	s_delay_alu instid0(VALU_DEP_2) | instskip(NEXT) | instid1(VALU_DEP_1)
	v_add3_u32 v18, v4, v18, 0x7fff
	v_lshrrev_b32_e32 v18, 16, v18
	v_and_b32_e32 v16, 1, v16
	s_delay_alu instid0(VALU_DEP_1) | instskip(NEXT) | instid1(VALU_DEP_1)
	v_add3_u32 v16, v9, v16, 0x7fff
	v_lshrrev_b32_e32 v16, 16, v16
	s_wait_alu 0xfffd
	s_delay_alu instid0(VALU_DEP_1)
	v_cndmask_b32_e32 v9, 0x7fc0, v16, vcc_lo
	v_cmp_o_f32_e32 vcc_lo, v10, v10
	s_wait_alu 0xfffd
	v_cndmask_b32_e32 v10, 0x7fc0, v15, vcc_lo
	v_cmp_o_f32_e32 vcc_lo, v4, v4
	s_wait_alu 0xfffd
	;; [unrolled: 3-line block ×3, first 2 shown]
	v_cndmask_b32_e32 v1, 0x7fc0, v17, vcc_lo
	v_add_co_u32 v4, vcc_lo, v2, v0
	s_wait_alu 0xfffd
	v_add_co_ci_u32_e64 v5, null, 0, v5, vcc_lo
	s_delay_alu instid0(VALU_DEP_3)
	v_perm_b32 v3, v1, v3, 0x5040100
	v_perm_b32 v2, v10, v9, 0x5040100
	;; [unrolled: 1-line block ×4, first 2 shown]
	global_store_b128 v[4:5], v[0:3], off
	s_endpgm
	.section	.rodata,"a",@progbits
	.p2align	6, 0x0
	.amdhsa_kernel _ZL22dequantize_block_iq1_mIN3c108BFloat16EEvPKvPT_
		.amdhsa_group_segment_fixed_size 0
		.amdhsa_private_segment_fixed_size 0
		.amdhsa_kernarg_size 16
		.amdhsa_user_sgpr_count 2
		.amdhsa_user_sgpr_dispatch_ptr 0
		.amdhsa_user_sgpr_queue_ptr 0
		.amdhsa_user_sgpr_kernarg_segment_ptr 1
		.amdhsa_user_sgpr_dispatch_id 0
		.amdhsa_user_sgpr_private_segment_size 0
		.amdhsa_wavefront_size32 1
		.amdhsa_uses_dynamic_stack 0
		.amdhsa_enable_private_segment 0
		.amdhsa_system_sgpr_workgroup_id_x 1
		.amdhsa_system_sgpr_workgroup_id_y 0
		.amdhsa_system_sgpr_workgroup_id_z 0
		.amdhsa_system_sgpr_workgroup_info 0
		.amdhsa_system_vgpr_workitem_id 0
		.amdhsa_next_free_vgpr 19
		.amdhsa_next_free_sgpr 8
		.amdhsa_reserve_vcc 1
		.amdhsa_float_round_mode_32 0
		.amdhsa_float_round_mode_16_64 0
		.amdhsa_float_denorm_mode_32 3
		.amdhsa_float_denorm_mode_16_64 3
		.amdhsa_fp16_overflow 0
		.amdhsa_workgroup_processor_mode 1
		.amdhsa_memory_ordered 1
		.amdhsa_forward_progress 1
		.amdhsa_inst_pref_size 9
		.amdhsa_round_robin_scheduling 0
		.amdhsa_exception_fp_ieee_invalid_op 0
		.amdhsa_exception_fp_denorm_src 0
		.amdhsa_exception_fp_ieee_div_zero 0
		.amdhsa_exception_fp_ieee_overflow 0
		.amdhsa_exception_fp_ieee_underflow 0
		.amdhsa_exception_fp_ieee_inexact 0
		.amdhsa_exception_int_div_zero 0
	.end_amdhsa_kernel
	.section	.text._ZL22dequantize_block_iq1_mIN3c108BFloat16EEvPKvPT_,"axG",@progbits,_ZL22dequantize_block_iq1_mIN3c108BFloat16EEvPKvPT_,comdat
.Lfunc_end56:
	.size	_ZL22dequantize_block_iq1_mIN3c108BFloat16EEvPKvPT_, .Lfunc_end56-_ZL22dequantize_block_iq1_mIN3c108BFloat16EEvPKvPT_
                                        ; -- End function
	.set _ZL22dequantize_block_iq1_mIN3c108BFloat16EEvPKvPT_.num_vgpr, 19
	.set _ZL22dequantize_block_iq1_mIN3c108BFloat16EEvPKvPT_.num_agpr, 0
	.set _ZL22dequantize_block_iq1_mIN3c108BFloat16EEvPKvPT_.numbered_sgpr, 8
	.set _ZL22dequantize_block_iq1_mIN3c108BFloat16EEvPKvPT_.num_named_barrier, 0
	.set _ZL22dequantize_block_iq1_mIN3c108BFloat16EEvPKvPT_.private_seg_size, 0
	.set _ZL22dequantize_block_iq1_mIN3c108BFloat16EEvPKvPT_.uses_vcc, 1
	.set _ZL22dequantize_block_iq1_mIN3c108BFloat16EEvPKvPT_.uses_flat_scratch, 0
	.set _ZL22dequantize_block_iq1_mIN3c108BFloat16EEvPKvPT_.has_dyn_sized_stack, 0
	.set _ZL22dequantize_block_iq1_mIN3c108BFloat16EEvPKvPT_.has_recursion, 0
	.set _ZL22dequantize_block_iq1_mIN3c108BFloat16EEvPKvPT_.has_indirect_call, 0
	.section	.AMDGPU.csdata,"",@progbits
; Kernel info:
; codeLenInByte = 1084
; TotalNumSgprs: 10
; NumVgprs: 19
; ScratchSize: 0
; MemoryBound: 0
; FloatMode: 240
; IeeeMode: 1
; LDSByteSize: 0 bytes/workgroup (compile time only)
; SGPRBlocks: 0
; VGPRBlocks: 2
; NumSGPRsForWavesPerEU: 10
; NumVGPRsForWavesPerEU: 19
; Occupancy: 16
; WaveLimiterHint : 0
; COMPUTE_PGM_RSRC2:SCRATCH_EN: 0
; COMPUTE_PGM_RSRC2:USER_SGPR: 2
; COMPUTE_PGM_RSRC2:TRAP_HANDLER: 0
; COMPUTE_PGM_RSRC2:TGID_X_EN: 1
; COMPUTE_PGM_RSRC2:TGID_Y_EN: 0
; COMPUTE_PGM_RSRC2:TGID_Z_EN: 0
; COMPUTE_PGM_RSRC2:TIDIG_COMP_CNT: 0
	.section	.text._ZL13quantize_q8_1IfEvPKT_Pvii,"axG",@progbits,_ZL13quantize_q8_1IfEvPKT_Pvii,comdat
	.globl	_ZL13quantize_q8_1IfEvPKT_Pvii  ; -- Begin function _ZL13quantize_q8_1IfEvPKT_Pvii
	.p2align	8
	.type	_ZL13quantize_q8_1IfEvPKT_Pvii,@function
_ZL13quantize_q8_1IfEvPKT_Pvii:         ; @_ZL13quantize_q8_1IfEvPKT_Pvii
; %bb.0:
	s_clause 0x1
	s_load_b32 s4, s[0:1], 0x24
	s_load_b64 s[2:3], s[0:1], 0x10
	v_and_b32_e32 v1, 0x3ff, v0
	s_wait_kmcnt 0x0
	s_and_b32 s4, s4, 0xffff
	s_delay_alu instid0(VALU_DEP_1) | instid1(SALU_CYCLE_1)
	v_mad_co_u64_u32 v[1:2], null, ttmp9, s4, v[1:2]
	s_mov_b32 s4, exec_lo
	v_cmpx_gt_u32_e64 s3, v1
	s_cbranch_execz .LBB57_7
; %bb.1:
	s_add_nc_u64 s[4:5], s[0:1], 24
	v_bfe_u32 v0, v0, 10, 10
	s_load_u16 s4, s[4:5], 0xe
	s_wait_kmcnt 0x0
	s_delay_alu instid0(VALU_DEP_1)
	v_mad_co_u64_u32 v[2:3], null, ttmp7, s4, v[0:1]
	v_dual_mov_b32 v3, 0 :: v_dual_mov_b32 v0, 0
	s_mov_b32 s4, exec_lo
	v_cmpx_gt_u32_e64 s2, v1
	s_cbranch_execz .LBB57_3
; %bb.2:
	s_load_b64 s[6:7], s[0:1], 0x0
	s_delay_alu instid0(VALU_DEP_3) | instskip(SKIP_1) | instid1(VALU_DEP_1)
	v_mad_co_u64_u32 v[4:5], null, v2, s2, v[1:2]
	v_mov_b32_e32 v5, 0
	v_lshlrev_b64_e32 v[4:5], 2, v[4:5]
	s_wait_kmcnt 0x0
	s_delay_alu instid0(VALU_DEP_1) | instskip(NEXT) | instid1(VALU_DEP_1)
	v_add_co_u32 v4, vcc_lo, s6, v4
	v_add_co_ci_u32_e64 v5, null, s7, v5, vcc_lo
	global_load_b32 v0, v[4:5], off
.LBB57_3:
	s_wait_alu 0xfffe
	s_or_b32 exec_lo, exec_lo, s4
	v_mbcnt_lo_u32_b32 v4, -1, 0
	s_wait_loadcnt 0x0
	v_max_num_f32_e64 v8, |v0|, |v0|
	s_load_b64 s[0:1], s[0:1], 0x8
	s_mov_b32 s2, exec_lo
	v_and_b32_e32 v6, 0x7fffffff, v0
	v_xor_b32_e32 v5, 16, v4
	v_xor_b32_e32 v7, 8, v4
	;; [unrolled: 1-line block ×5, first 2 shown]
	v_cmp_gt_i32_e32 vcc_lo, 32, v5
	s_wait_alu 0xfffd
	v_cndmask_b32_e32 v5, v4, v5, vcc_lo
	v_cmp_gt_i32_e32 vcc_lo, 32, v7
	s_delay_alu instid0(VALU_DEP_2)
	v_lshlrev_b32_e32 v5, 2, v5
	ds_bpermute_b32 v6, v5, v6
	s_wait_dscnt 0x0
	v_max_num_f32_e32 v6, v6, v6
	ds_bpermute_b32 v5, v5, v0
	v_max_num_f32_e32 v6, v8, v6
	s_wait_alu 0xfffd
	v_cndmask_b32_e32 v7, v4, v7, vcc_lo
	v_cmp_gt_i32_e32 vcc_lo, 32, v9
	s_delay_alu instid0(VALU_DEP_2)
	v_lshlrev_b32_e32 v7, 2, v7
	s_wait_alu 0xfffd
	v_cndmask_b32_e32 v9, v4, v9, vcc_lo
	v_cmp_gt_i32_e32 vcc_lo, 32, v10
	s_wait_alu 0xfffd
	v_cndmask_b32_e32 v10, v4, v10, vcc_lo
	v_cmp_gt_i32_e32 vcc_lo, 32, v11
	s_wait_dscnt 0x0
	v_add_f32_e32 v5, v0, v5
	s_wait_alu 0xfffd
	v_cndmask_b32_e32 v4, v4, v11, vcc_lo
	s_delay_alu instid0(VALU_DEP_1)
	v_lshlrev_b32_e32 v11, 2, v4
	v_lshlrev_b32_e32 v10, 2, v10
	;; [unrolled: 1-line block ×3, first 2 shown]
	ds_bpermute_b32 v8, v7, v6
	s_wait_dscnt 0x0
	v_max_num_f32_e32 v8, v8, v8
	ds_bpermute_b32 v7, v7, v5
	v_max_num_f32_e32 v6, v6, v8
	ds_bpermute_b32 v8, v9, v6
	s_wait_dscnt 0x1
	v_add_f32_e32 v5, v5, v7
	ds_bpermute_b32 v7, v9, v5
	s_wait_dscnt 0x1
	v_max_num_f32_e32 v8, v8, v8
	s_delay_alu instid0(VALU_DEP_1) | instskip(SKIP_3) | instid1(VALU_DEP_1)
	v_max_num_f32_e32 v6, v6, v8
	ds_bpermute_b32 v8, v10, v6
	s_wait_dscnt 0x0
	v_max_num_f32_e32 v8, v8, v8
	v_max_num_f32_e32 v4, v6, v8
	ds_bpermute_b32 v6, v11, v4
	s_wait_dscnt 0x0
	v_max_num_f32_e32 v6, v6, v6
	s_delay_alu instid0(VALU_DEP_1) | instskip(SKIP_1) | instid1(VALU_DEP_2)
	v_max_num_f32_e32 v8, v4, v6
	v_add_f32_e32 v4, v5, v7
	v_div_scale_f32 v6, null, 0x42fe0000, 0x42fe0000, v8
	ds_bpermute_b32 v5, v10, v4
	v_div_scale_f32 v10, vcc_lo, v8, 0x42fe0000, v8
	v_rcp_f32_e32 v9, v6
	s_delay_alu instid0(TRANS32_DEP_1) | instskip(NEXT) | instid1(VALU_DEP_1)
	v_fma_f32 v7, -v6, v9, 1.0
	v_fmac_f32_e32 v9, v7, v9
	s_wait_dscnt 0x0
	v_add_f32_e32 v4, v4, v5
	s_delay_alu instid0(VALU_DEP_2) | instskip(SKIP_2) | instid1(VALU_DEP_1)
	v_mul_f32_e32 v7, v10, v9
	ds_bpermute_b32 v5, v11, v4
	v_fma_f32 v12, -v6, v7, v10
	v_fmac_f32_e32 v7, v12, v9
	s_delay_alu instid0(VALU_DEP_1) | instskip(SKIP_1) | instid1(VALU_DEP_1)
	v_fma_f32 v6, -v6, v7, v10
	s_wait_alu 0xfffd
	v_div_fmas_f32 v6, v6, v9, v7
	s_delay_alu instid0(VALU_DEP_1)
	v_div_fixup_f32 v6, v6, 0x42fe0000, v8
	v_cmpx_neq_f32_e32 0, v8
	s_cbranch_execz .LBB57_5
; %bb.4:
	s_delay_alu instid0(VALU_DEP_2) | instskip(SKIP_1) | instid1(VALU_DEP_2)
	v_div_scale_f32 v3, null, v6, v6, v0
	v_div_scale_f32 v9, vcc_lo, v0, v6, v0
	v_rcp_f32_e32 v7, v3
	s_delay_alu instid0(TRANS32_DEP_1) | instskip(NEXT) | instid1(VALU_DEP_1)
	v_fma_f32 v8, -v3, v7, 1.0
	v_fmac_f32_e32 v7, v8, v7
	s_delay_alu instid0(VALU_DEP_1) | instskip(NEXT) | instid1(VALU_DEP_1)
	v_mul_f32_e32 v8, v9, v7
	v_fma_f32 v10, -v3, v8, v9
	s_delay_alu instid0(VALU_DEP_1) | instskip(NEXT) | instid1(VALU_DEP_1)
	v_fmac_f32_e32 v8, v10, v7
	v_fma_f32 v3, -v3, v8, v9
	s_wait_alu 0xfffd
	s_delay_alu instid0(VALU_DEP_1) | instskip(NEXT) | instid1(VALU_DEP_1)
	v_div_fmas_f32 v3, v3, v7, v8
	v_div_fixup_f32 v0, v3, v6, v0
	s_delay_alu instid0(VALU_DEP_1) | instskip(NEXT) | instid1(VALU_DEP_1)
	v_trunc_f32_e32 v3, v0
	v_sub_f32_e32 v7, v0, v3
	s_delay_alu instid0(VALU_DEP_1) | instskip(SKIP_1) | instid1(VALU_DEP_1)
	v_cmp_ge_f32_e64 s4, |v7|, 0.5
	s_wait_alu 0xf1ff
	v_cndmask_b32_e64 v7, 0, 1.0, s4
	s_delay_alu instid0(VALU_DEP_1) | instskip(NEXT) | instid1(VALU_DEP_1)
	v_bfi_b32 v0, 0x7fffffff, v7, v0
	v_add_f32_e32 v0, v3, v0
	s_delay_alu instid0(VALU_DEP_1)
	v_cvt_i32_f32_e32 v3, v0
.LBB57_5:
	s_wait_alu 0xfffe
	s_or_b32 exec_lo, exec_lo, s2
	v_mad_co_u64_u32 v[0:1], null, v2, s3, v[1:2]
	s_delay_alu instid0(VALU_DEP_1) | instskip(NEXT) | instid1(VALU_DEP_1)
	v_ashrrev_i32_e32 v1, 31, v0
	v_lshrrev_b32_e32 v1, 27, v1
	s_delay_alu instid0(VALU_DEP_1) | instskip(NEXT) | instid1(VALU_DEP_1)
	v_add_nc_u32_e32 v1, v0, v1
	v_and_b32_e32 v2, 0xffffffe0, v1
	v_ashrrev_i32_e32 v1, 5, v1
	s_delay_alu instid0(VALU_DEP_2) | instskip(SKIP_1) | instid1(VALU_DEP_2)
	v_sub_nc_u32_e32 v2, v0, v2
	s_wait_kmcnt 0x0
	v_mad_co_i64_i32 v[0:1], null, v1, 36, s[0:1]
	s_delay_alu instid0(VALU_DEP_2) | instskip(NEXT) | instid1(VALU_DEP_2)
	v_ashrrev_i32_e32 v8, 31, v2
	v_add_co_u32 v7, vcc_lo, v0, v2
	s_wait_alu 0xfffd
	s_delay_alu instid0(VALU_DEP_2)
	v_add_co_ci_u32_e64 v8, null, v1, v8, vcc_lo
	v_cmp_gt_i32_e32 vcc_lo, 1, v2
	global_store_b8 v[7:8], v3, off offset:4
	s_and_b32 exec_lo, exec_lo, vcc_lo
	s_cbranch_execz .LBB57_7
; %bb.6:
	s_wait_dscnt 0x0
	v_add_f32_e32 v2, v4, v5
	v_cvt_f16_f32_e32 v3, v6
	s_delay_alu instid0(VALU_DEP_2) | instskip(NEXT) | instid1(VALU_DEP_1)
	v_cvt_f16_f32_e32 v2, v2
	v_pack_b32_f16 v2, v3, v2
	global_store_b32 v[0:1], v2, off
.LBB57_7:
	s_endpgm
	.section	.rodata,"a",@progbits
	.p2align	6, 0x0
	.amdhsa_kernel _ZL13quantize_q8_1IfEvPKT_Pvii
		.amdhsa_group_segment_fixed_size 0
		.amdhsa_private_segment_fixed_size 0
		.amdhsa_kernarg_size 280
		.amdhsa_user_sgpr_count 2
		.amdhsa_user_sgpr_dispatch_ptr 0
		.amdhsa_user_sgpr_queue_ptr 0
		.amdhsa_user_sgpr_kernarg_segment_ptr 1
		.amdhsa_user_sgpr_dispatch_id 0
		.amdhsa_user_sgpr_private_segment_size 0
		.amdhsa_wavefront_size32 1
		.amdhsa_uses_dynamic_stack 0
		.amdhsa_enable_private_segment 0
		.amdhsa_system_sgpr_workgroup_id_x 1
		.amdhsa_system_sgpr_workgroup_id_y 1
		.amdhsa_system_sgpr_workgroup_id_z 0
		.amdhsa_system_sgpr_workgroup_info 0
		.amdhsa_system_vgpr_workitem_id 1
		.amdhsa_next_free_vgpr 13
		.amdhsa_next_free_sgpr 8
		.amdhsa_reserve_vcc 1
		.amdhsa_float_round_mode_32 0
		.amdhsa_float_round_mode_16_64 0
		.amdhsa_float_denorm_mode_32 3
		.amdhsa_float_denorm_mode_16_64 3
		.amdhsa_fp16_overflow 0
		.amdhsa_workgroup_processor_mode 1
		.amdhsa_memory_ordered 1
		.amdhsa_forward_progress 1
		.amdhsa_inst_pref_size 8
		.amdhsa_round_robin_scheduling 0
		.amdhsa_exception_fp_ieee_invalid_op 0
		.amdhsa_exception_fp_denorm_src 0
		.amdhsa_exception_fp_ieee_div_zero 0
		.amdhsa_exception_fp_ieee_overflow 0
		.amdhsa_exception_fp_ieee_underflow 0
		.amdhsa_exception_fp_ieee_inexact 0
		.amdhsa_exception_int_div_zero 0
	.end_amdhsa_kernel
	.section	.text._ZL13quantize_q8_1IfEvPKT_Pvii,"axG",@progbits,_ZL13quantize_q8_1IfEvPKT_Pvii,comdat
.Lfunc_end57:
	.size	_ZL13quantize_q8_1IfEvPKT_Pvii, .Lfunc_end57-_ZL13quantize_q8_1IfEvPKT_Pvii
                                        ; -- End function
	.set _ZL13quantize_q8_1IfEvPKT_Pvii.num_vgpr, 13
	.set _ZL13quantize_q8_1IfEvPKT_Pvii.num_agpr, 0
	.set _ZL13quantize_q8_1IfEvPKT_Pvii.numbered_sgpr, 8
	.set _ZL13quantize_q8_1IfEvPKT_Pvii.num_named_barrier, 0
	.set _ZL13quantize_q8_1IfEvPKT_Pvii.private_seg_size, 0
	.set _ZL13quantize_q8_1IfEvPKT_Pvii.uses_vcc, 1
	.set _ZL13quantize_q8_1IfEvPKT_Pvii.uses_flat_scratch, 0
	.set _ZL13quantize_q8_1IfEvPKT_Pvii.has_dyn_sized_stack, 0
	.set _ZL13quantize_q8_1IfEvPKT_Pvii.has_recursion, 0
	.set _ZL13quantize_q8_1IfEvPKT_Pvii.has_indirect_call, 0
	.section	.AMDGPU.csdata,"",@progbits
; Kernel info:
; codeLenInByte = 968
; TotalNumSgprs: 10
; NumVgprs: 13
; ScratchSize: 0
; MemoryBound: 0
; FloatMode: 240
; IeeeMode: 1
; LDSByteSize: 0 bytes/workgroup (compile time only)
; SGPRBlocks: 0
; VGPRBlocks: 1
; NumSGPRsForWavesPerEU: 10
; NumVGPRsForWavesPerEU: 13
; Occupancy: 16
; WaveLimiterHint : 0
; COMPUTE_PGM_RSRC2:SCRATCH_EN: 0
; COMPUTE_PGM_RSRC2:USER_SGPR: 2
; COMPUTE_PGM_RSRC2:TRAP_HANDLER: 0
; COMPUTE_PGM_RSRC2:TGID_X_EN: 1
; COMPUTE_PGM_RSRC2:TGID_Y_EN: 1
; COMPUTE_PGM_RSRC2:TGID_Z_EN: 0
; COMPUTE_PGM_RSRC2:TIDIG_COMP_CNT: 1
	.section	.text._ZL13mul_mat_vec_qIfLi32ELi4E10block_q4_0Li2EXadL_ZL17vec_dot_q4_0_q8_1PKvPK10block_q8_1RKiEEEvS2_S2_PT_iii,"axG",@progbits,_ZL13mul_mat_vec_qIfLi32ELi4E10block_q4_0Li2EXadL_ZL17vec_dot_q4_0_q8_1PKvPK10block_q8_1RKiEEEvS2_S2_PT_iii,comdat
	.globl	_ZL13mul_mat_vec_qIfLi32ELi4E10block_q4_0Li2EXadL_ZL17vec_dot_q4_0_q8_1PKvPK10block_q8_1RKiEEEvS2_S2_PT_iii ; -- Begin function _ZL13mul_mat_vec_qIfLi32ELi4E10block_q4_0Li2EXadL_ZL17vec_dot_q4_0_q8_1PKvPK10block_q8_1RKiEEEvS2_S2_PT_iii
	.p2align	8
	.type	_ZL13mul_mat_vec_qIfLi32ELi4E10block_q4_0Li2EXadL_ZL17vec_dot_q4_0_q8_1PKvPK10block_q8_1RKiEEEvS2_S2_PT_iii,@function
_ZL13mul_mat_vec_qIfLi32ELi4E10block_q4_0Li2EXadL_ZL17vec_dot_q4_0_q8_1PKvPK10block_q8_1RKiEEEvS2_S2_PT_iii: ; @_ZL13mul_mat_vec_qIfLi32ELi4E10block_q4_0Li2EXadL_ZL17vec_dot_q4_0_q8_1PKvPK10block_q8_1RKiEEEvS2_S2_PT_iii
; %bb.0:
	s_clause 0x1
	s_load_u16 s2, s[0:1], 0x36
	s_load_b96 s[4:6], s[0:1], 0x18
	v_bfe_u32 v1, v0, 10, 10
	s_wait_kmcnt 0x0
	s_delay_alu instid0(VALU_DEP_1)
	v_mad_co_u64_u32 v[1:2], null, ttmp9, s2, v[1:2]
	s_cmp_lt_u32 ttmp7, s6
	s_cselect_b32 s2, -1, 0
	v_cmp_gt_u32_e32 vcc_lo, s5, v1
	s_wait_alu 0xfffe
	s_and_b32 s2, s2, vcc_lo
	s_wait_alu 0xfffe
	s_and_saveexec_b32 s3, s2
	s_cbranch_execz .LBB58_7
; %bb.1:
	s_load_b64 s[6:7], s[0:1], 0x10
	s_ashr_i32 s2, s4, 31
	v_bfe_u32 v3, v0, 1, 9
	s_wait_alu 0xfffe
	s_lshr_b32 s2, s2, 27
	v_and_b32_e32 v0, 0x3ff, v0
	v_mov_b32_e32 v2, 0
	s_wait_alu 0xfffe
	s_add_co_i32 s2, s4, s2
	s_mov_b32 s8, exec_lo
	s_wait_alu 0xfffe
	s_ashr_i32 s9, s2, 5
	s_delay_alu instid0(SALU_CYCLE_1)
	v_cmpx_gt_u32_e64 s9, v3
	s_cbranch_execz .LBB58_5
; %bb.2:
	s_load_b128 s[0:3], s[0:1], 0x0
	s_addk_co_i32 s4, 0x1ff
	v_lshlrev_b32_e32 v2, 3, v0
	s_wait_alu 0xfffe
	s_ashr_i32 s10, s4, 31
	v_mul_lo_u32 v4, v1, s9
	s_lshr_b32 s10, s10, 23
	s_delay_alu instid0(SALU_CYCLE_1)
	s_add_co_i32 s4, s4, s10
	v_dual_mov_b32 v2, 0 :: v_dual_and_b32 v5, 8, v2
	s_wait_alu 0xfffe
	s_ashr_i32 s4, s4, 9
	s_mov_b32 s10, 0
	s_wait_alu 0xfffe
	s_mul_i32 s4, ttmp7, s4
	s_wait_alu 0xfffe
	s_lshl_b32 s4, s4, 4
.LBB58_3:                               ; =>This Inner Loop Header: Depth=1
	v_add_nc_u32_e32 v6, v4, v3
	s_wait_alu 0xfffe
	v_add_nc_u32_e32 v8, s4, v3
	v_add_nc_u32_e32 v3, 16, v3
	s_wait_kmcnt 0x0
	v_mad_co_i64_i32 v[6:7], null, v6, 18, s[0:1]
	s_delay_alu instid0(VALU_DEP_3) | instskip(NEXT) | instid1(VALU_DEP_2)
	v_mad_co_i64_i32 v[8:9], null, v8, 36, s[2:3]
	v_add_co_u32 v10, vcc_lo, v6, v5
	s_wait_alu 0xfffd
	s_delay_alu instid0(VALU_DEP_3) | instskip(NEXT) | instid1(VALU_DEP_3)
	v_add_co_ci_u32_e64 v11, null, 0, v7, vcc_lo
	v_add_co_u32 v12, vcc_lo, v8, v5
	s_wait_alu 0xfffd
	s_delay_alu instid0(VALU_DEP_4)
	v_add_co_ci_u32_e64 v13, null, 0, v9, vcc_lo
	global_load_b64 v[10:11], v[10:11], off offset:2
	s_clause 0x2
	global_load_b64 v[14:15], v[12:13], off offset:4
	global_load_b64 v[12:13], v[12:13], off offset:20
	global_load_b32 v8, v[8:9], off
	global_load_u16 v6, v[6:7], off
	v_cmp_le_u32_e32 vcc_lo, s9, v3
	s_or_b32 s10, vcc_lo, s10
	s_wait_loadcnt 0x4
	v_lshrrev_b32_e32 v18, 4, v10
	v_bfe_u32 v16, v10, 24, 4
	s_wait_loadcnt 0x2
	v_lshrrev_b16 v9, 8, v12
	v_and_b32_e32 v17, 0xf0f0f0f, v10
	v_lshrrev_b32_e32 v19, 28, v10
	v_bfe_u32 v20, v10, 16, 4
	v_and_b32_e32 v21, 15, v10
	v_bfe_u32 v24, v10, 20, 4
	v_bfe_u32 v10, v10, 4, 4
	v_ashrrev_i32_e32 v25, 24, v12
	v_bfe_i32 v26, v12, 16, 8
	v_bfe_i32 v12, v12, 0, 8
	v_and_b32_e32 v28, 0xf0f0f0f, v11
	v_lshrrev_b32_e32 v29, 4, v11
	v_lshrrev_b16 v18, 8, v18
	v_lshrrev_b16 v7, 8, v14
	;; [unrolled: 1-line block ×3, first 2 shown]
	v_mul_i32_i24_e32 v10, v10, v12
	v_mul_i32_i24_e32 v12, v24, v26
	;; [unrolled: 1-line block ×3, first 2 shown]
	v_lshrrev_b16 v24, 8, v28
	v_lshrrev_b16 v25, 8, v29
	v_and_b32_e32 v18, 15, v18
	v_bfe_i32 v22, v14, 16, 8
	v_bfe_i32 v23, v14, 0, 8
	v_ashrrev_i32_e32 v14, 24, v14
	v_bfe_u32 v27, v11, 24, 4
	v_lshrrev_b32_e32 v30, 28, v11
	v_ashrrev_i32_e32 v33, 24, v15
	v_bfe_i32 v35, v15, 8, 8
	v_ashrrev_i32_e32 v37, 24, v13
	v_bfe_i32 v7, v7, 0, 8
	v_bfe_i32 v9, v9, 0, 8
	v_and_b32_e32 v17, 0xffff, v17
	v_and_b32_e32 v24, 0xffff, v24
	;; [unrolled: 1-line block ×4, first 2 shown]
	v_bfe_u32 v31, v11, 16, 4
	v_and_b32_e32 v32, 15, v11
	v_bfe_i32 v34, v15, 16, 8
	v_bfe_i32 v15, v15, 0, 8
	v_bfe_u32 v36, v11, 20, 4
	v_bfe_u32 v11, v11, 4, 4
	v_bfe_i32 v38, v13, 16, 8
	v_bfe_i32 v39, v13, 8, 8
	;; [unrolled: 1-line block ×3, first 2 shown]
	v_mul_i32_i24_e32 v27, v33, v27
	v_mul_i32_i24_e32 v28, v37, v30
	v_mad_i32_i24 v14, v16, v14, v19
	v_mul_i32_i24_e32 v7, v17, v7
	v_mul_i32_i24_e32 v16, v35, v24
	v_and_b32_e32 v17, 0xffff, v25
	v_mul_i32_i24_e32 v9, v18, v9
	v_mul_i32_i24_e32 v15, v15, v32
	;; [unrolled: 1-line block ×5, first 2 shown]
	v_mad_i32_i24 v10, v21, v23, v10
	v_mad_i32_i24 v12, v20, v22, v12
	v_add3_u32 v14, v14, v27, v28
	v_mul_i32_i24_e32 v17, v39, v17
	v_add3_u32 v7, v7, v9, v16
	s_wait_loadcnt 0x1
	v_lshrrev_b32_e32 v9, 16, v8
	v_add3_u32 v12, v12, v26, v13
	v_add3_u32 v10, v10, v15, v11
	;; [unrolled: 1-line block ×3, first 2 shown]
	s_delay_alu instid0(VALU_DEP_4) | instskip(NEXT) | instid1(VALU_DEP_2)
	v_cvt_f32_f16_e32 v9, v9
	v_add3_u32 v7, v10, v12, v7
	s_delay_alu instid0(VALU_DEP_2) | instskip(NEXT) | instid1(VALU_DEP_2)
	v_mul_f32_e32 v9, -4.0, v9
	v_cvt_f32_i32_e32 v7, v7
	s_delay_alu instid0(VALU_DEP_1) | instskip(SKIP_1) | instid1(VALU_DEP_1)
	v_fma_mix_f32 v7, v8, v7, v9 op_sel_hi:[1,0,0]
	s_wait_loadcnt 0x0
	v_fma_mix_f32 v2, v7, v6, v2 op_sel_hi:[0,1,0]
	s_and_not1_b32 exec_lo, exec_lo, s10
	s_cbranch_execnz .LBB58_3
; %bb.4:
	s_or_b32 exec_lo, exec_lo, s10
.LBB58_5:
	s_delay_alu instid0(SALU_CYCLE_1) | instskip(SKIP_1) | instid1(VALU_DEP_1)
	s_or_b32 exec_lo, exec_lo, s8
	v_mbcnt_lo_u32_b32 v3, -1, 0
	v_xor_b32_e32 v4, 16, v3
	v_xor_b32_e32 v5, 8, v3
	s_delay_alu instid0(VALU_DEP_2) | instskip(SKIP_2) | instid1(VALU_DEP_3)
	v_cmp_gt_i32_e32 vcc_lo, 32, v4
	s_wait_alu 0xfffd
	v_cndmask_b32_e32 v4, v3, v4, vcc_lo
	v_cmp_gt_i32_e32 vcc_lo, 32, v5
	s_wait_alu 0xfffd
	v_cndmask_b32_e32 v5, v3, v5, vcc_lo
	s_delay_alu instid0(VALU_DEP_1)
	v_lshlrev_b32_e32 v5, 2, v5
	v_lshlrev_b32_e32 v4, 2, v4
	ds_bpermute_b32 v4, v4, v2
	s_wait_dscnt 0x0
	v_add_f32_e32 v2, v2, v4
	ds_bpermute_b32 v4, v5, v2
	v_xor_b32_e32 v5, 4, v3
	s_delay_alu instid0(VALU_DEP_1) | instskip(SKIP_3) | instid1(VALU_DEP_1)
	v_cmp_gt_i32_e32 vcc_lo, 32, v5
	s_wait_alu 0xfffd
	v_cndmask_b32_e32 v5, v3, v5, vcc_lo
	s_wait_dscnt 0x0
	v_dual_add_f32 v2, v2, v4 :: v_dual_lshlrev_b32 v5, 2, v5
	ds_bpermute_b32 v4, v5, v2
	v_xor_b32_e32 v5, 2, v3
	s_delay_alu instid0(VALU_DEP_1) | instskip(SKIP_3) | instid1(VALU_DEP_1)
	v_cmp_gt_i32_e32 vcc_lo, 32, v5
	s_wait_dscnt 0x0
	s_wait_alu 0xfffd
	v_dual_cndmask_b32 v5, v3, v5 :: v_dual_add_f32 v2, v2, v4
	v_lshlrev_b32_e32 v5, 2, v5
	ds_bpermute_b32 v4, v5, v2
	v_xor_b32_e32 v5, 1, v3
	s_delay_alu instid0(VALU_DEP_1) | instskip(SKIP_4) | instid1(VALU_DEP_2)
	v_cmp_gt_i32_e32 vcc_lo, 32, v5
	s_wait_alu 0xfffd
	v_cndmask_b32_e32 v3, v3, v5, vcc_lo
	v_cmp_eq_u32_e32 vcc_lo, 0, v0
	s_wait_dscnt 0x0
	v_dual_add_f32 v2, v2, v4 :: v_dual_lshlrev_b32 v3, 2, v3
	ds_bpermute_b32 v3, v3, v2
	s_and_b32 exec_lo, exec_lo, vcc_lo
	s_cbranch_execz .LBB58_7
; %bb.6:
	v_mad_co_u64_u32 v[0:1], null, s5, ttmp7, v[1:2]
	s_wait_dscnt 0x0
	v_dual_mov_b32 v1, 0 :: v_dual_add_f32 v2, v2, v3
	s_delay_alu instid0(VALU_DEP_1) | instskip(SKIP_1) | instid1(VALU_DEP_1)
	v_lshlrev_b64_e32 v[0:1], 2, v[0:1]
	s_wait_kmcnt 0x0
	v_add_co_u32 v0, vcc_lo, s6, v0
	s_wait_alu 0xfffd
	s_delay_alu instid0(VALU_DEP_2)
	v_add_co_ci_u32_e64 v1, null, s7, v1, vcc_lo
	global_store_b32 v[0:1], v2, off
.LBB58_7:
	s_endpgm
	.section	.rodata,"a",@progbits
	.p2align	6, 0x0
	.amdhsa_kernel _ZL13mul_mat_vec_qIfLi32ELi4E10block_q4_0Li2EXadL_ZL17vec_dot_q4_0_q8_1PKvPK10block_q8_1RKiEEEvS2_S2_PT_iii
		.amdhsa_group_segment_fixed_size 0
		.amdhsa_private_segment_fixed_size 0
		.amdhsa_kernarg_size 296
		.amdhsa_user_sgpr_count 2
		.amdhsa_user_sgpr_dispatch_ptr 0
		.amdhsa_user_sgpr_queue_ptr 0
		.amdhsa_user_sgpr_kernarg_segment_ptr 1
		.amdhsa_user_sgpr_dispatch_id 0
		.amdhsa_user_sgpr_private_segment_size 0
		.amdhsa_wavefront_size32 1
		.amdhsa_uses_dynamic_stack 0
		.amdhsa_enable_private_segment 0
		.amdhsa_system_sgpr_workgroup_id_x 1
		.amdhsa_system_sgpr_workgroup_id_y 1
		.amdhsa_system_sgpr_workgroup_id_z 0
		.amdhsa_system_sgpr_workgroup_info 0
		.amdhsa_system_vgpr_workitem_id 1
		.amdhsa_next_free_vgpr 40
		.amdhsa_next_free_sgpr 11
		.amdhsa_reserve_vcc 1
		.amdhsa_float_round_mode_32 0
		.amdhsa_float_round_mode_16_64 0
		.amdhsa_float_denorm_mode_32 3
		.amdhsa_float_denorm_mode_16_64 3
		.amdhsa_fp16_overflow 0
		.amdhsa_workgroup_processor_mode 1
		.amdhsa_memory_ordered 1
		.amdhsa_forward_progress 1
		.amdhsa_inst_pref_size 10
		.amdhsa_round_robin_scheduling 0
		.amdhsa_exception_fp_ieee_invalid_op 0
		.amdhsa_exception_fp_denorm_src 0
		.amdhsa_exception_fp_ieee_div_zero 0
		.amdhsa_exception_fp_ieee_overflow 0
		.amdhsa_exception_fp_ieee_underflow 0
		.amdhsa_exception_fp_ieee_inexact 0
		.amdhsa_exception_int_div_zero 0
	.end_amdhsa_kernel
	.section	.text._ZL13mul_mat_vec_qIfLi32ELi4E10block_q4_0Li2EXadL_ZL17vec_dot_q4_0_q8_1PKvPK10block_q8_1RKiEEEvS2_S2_PT_iii,"axG",@progbits,_ZL13mul_mat_vec_qIfLi32ELi4E10block_q4_0Li2EXadL_ZL17vec_dot_q4_0_q8_1PKvPK10block_q8_1RKiEEEvS2_S2_PT_iii,comdat
.Lfunc_end58:
	.size	_ZL13mul_mat_vec_qIfLi32ELi4E10block_q4_0Li2EXadL_ZL17vec_dot_q4_0_q8_1PKvPK10block_q8_1RKiEEEvS2_S2_PT_iii, .Lfunc_end58-_ZL13mul_mat_vec_qIfLi32ELi4E10block_q4_0Li2EXadL_ZL17vec_dot_q4_0_q8_1PKvPK10block_q8_1RKiEEEvS2_S2_PT_iii
                                        ; -- End function
	.set _ZL13mul_mat_vec_qIfLi32ELi4E10block_q4_0Li2EXadL_ZL17vec_dot_q4_0_q8_1PKvPK10block_q8_1RKiEEEvS2_S2_PT_iii.num_vgpr, 40
	.set _ZL13mul_mat_vec_qIfLi32ELi4E10block_q4_0Li2EXadL_ZL17vec_dot_q4_0_q8_1PKvPK10block_q8_1RKiEEEvS2_S2_PT_iii.num_agpr, 0
	.set _ZL13mul_mat_vec_qIfLi32ELi4E10block_q4_0Li2EXadL_ZL17vec_dot_q4_0_q8_1PKvPK10block_q8_1RKiEEEvS2_S2_PT_iii.numbered_sgpr, 11
	.set _ZL13mul_mat_vec_qIfLi32ELi4E10block_q4_0Li2EXadL_ZL17vec_dot_q4_0_q8_1PKvPK10block_q8_1RKiEEEvS2_S2_PT_iii.num_named_barrier, 0
	.set _ZL13mul_mat_vec_qIfLi32ELi4E10block_q4_0Li2EXadL_ZL17vec_dot_q4_0_q8_1PKvPK10block_q8_1RKiEEEvS2_S2_PT_iii.private_seg_size, 0
	.set _ZL13mul_mat_vec_qIfLi32ELi4E10block_q4_0Li2EXadL_ZL17vec_dot_q4_0_q8_1PKvPK10block_q8_1RKiEEEvS2_S2_PT_iii.uses_vcc, 1
	.set _ZL13mul_mat_vec_qIfLi32ELi4E10block_q4_0Li2EXadL_ZL17vec_dot_q4_0_q8_1PKvPK10block_q8_1RKiEEEvS2_S2_PT_iii.uses_flat_scratch, 0
	.set _ZL13mul_mat_vec_qIfLi32ELi4E10block_q4_0Li2EXadL_ZL17vec_dot_q4_0_q8_1PKvPK10block_q8_1RKiEEEvS2_S2_PT_iii.has_dyn_sized_stack, 0
	.set _ZL13mul_mat_vec_qIfLi32ELi4E10block_q4_0Li2EXadL_ZL17vec_dot_q4_0_q8_1PKvPK10block_q8_1RKiEEEvS2_S2_PT_iii.has_recursion, 0
	.set _ZL13mul_mat_vec_qIfLi32ELi4E10block_q4_0Li2EXadL_ZL17vec_dot_q4_0_q8_1PKvPK10block_q8_1RKiEEEvS2_S2_PT_iii.has_indirect_call, 0
	.section	.AMDGPU.csdata,"",@progbits
; Kernel info:
; codeLenInByte = 1184
; TotalNumSgprs: 13
; NumVgprs: 40
; ScratchSize: 0
; MemoryBound: 0
; FloatMode: 240
; IeeeMode: 1
; LDSByteSize: 0 bytes/workgroup (compile time only)
; SGPRBlocks: 0
; VGPRBlocks: 4
; NumSGPRsForWavesPerEU: 13
; NumVGPRsForWavesPerEU: 40
; Occupancy: 16
; WaveLimiterHint : 0
; COMPUTE_PGM_RSRC2:SCRATCH_EN: 0
; COMPUTE_PGM_RSRC2:USER_SGPR: 2
; COMPUTE_PGM_RSRC2:TRAP_HANDLER: 0
; COMPUTE_PGM_RSRC2:TGID_X_EN: 1
; COMPUTE_PGM_RSRC2:TGID_Y_EN: 1
; COMPUTE_PGM_RSRC2:TGID_Z_EN: 0
; COMPUTE_PGM_RSRC2:TIDIG_COMP_CNT: 1
	.section	.text._ZL13mul_mat_vec_qIfLi32ELi4E10block_q4_1Li2EXadL_ZL17vec_dot_q4_1_q8_1PKvPK10block_q8_1RKiEEEvS2_S2_PT_iii,"axG",@progbits,_ZL13mul_mat_vec_qIfLi32ELi4E10block_q4_1Li2EXadL_ZL17vec_dot_q4_1_q8_1PKvPK10block_q8_1RKiEEEvS2_S2_PT_iii,comdat
	.globl	_ZL13mul_mat_vec_qIfLi32ELi4E10block_q4_1Li2EXadL_ZL17vec_dot_q4_1_q8_1PKvPK10block_q8_1RKiEEEvS2_S2_PT_iii ; -- Begin function _ZL13mul_mat_vec_qIfLi32ELi4E10block_q4_1Li2EXadL_ZL17vec_dot_q4_1_q8_1PKvPK10block_q8_1RKiEEEvS2_S2_PT_iii
	.p2align	8
	.type	_ZL13mul_mat_vec_qIfLi32ELi4E10block_q4_1Li2EXadL_ZL17vec_dot_q4_1_q8_1PKvPK10block_q8_1RKiEEEvS2_S2_PT_iii,@function
_ZL13mul_mat_vec_qIfLi32ELi4E10block_q4_1Li2EXadL_ZL17vec_dot_q4_1_q8_1PKvPK10block_q8_1RKiEEEvS2_S2_PT_iii: ; @_ZL13mul_mat_vec_qIfLi32ELi4E10block_q4_1Li2EXadL_ZL17vec_dot_q4_1_q8_1PKvPK10block_q8_1RKiEEEvS2_S2_PT_iii
; %bb.0:
	s_clause 0x1
	s_load_u16 s2, s[0:1], 0x36
	s_load_b96 s[4:6], s[0:1], 0x18
	v_bfe_u32 v1, v0, 10, 10
	s_wait_kmcnt 0x0
	s_delay_alu instid0(VALU_DEP_1)
	v_mad_co_u64_u32 v[1:2], null, ttmp9, s2, v[1:2]
	s_cmp_lt_u32 ttmp7, s6
	s_cselect_b32 s2, -1, 0
	v_cmp_gt_u32_e32 vcc_lo, s5, v1
	s_wait_alu 0xfffe
	s_and_b32 s2, s2, vcc_lo
	s_wait_alu 0xfffe
	s_and_saveexec_b32 s3, s2
	s_cbranch_execz .LBB59_7
; %bb.1:
	s_load_b64 s[6:7], s[0:1], 0x10
	s_ashr_i32 s2, s4, 31
	v_bfe_u32 v3, v0, 1, 9
	s_wait_alu 0xfffe
	s_lshr_b32 s2, s2, 27
	v_and_b32_e32 v0, 0x3ff, v0
	v_mov_b32_e32 v2, 0
	s_wait_alu 0xfffe
	s_add_co_i32 s2, s4, s2
	s_mov_b32 s8, exec_lo
	s_wait_alu 0xfffe
	s_ashr_i32 s9, s2, 5
	s_delay_alu instid0(SALU_CYCLE_1)
	v_cmpx_gt_u32_e64 s9, v3
	s_cbranch_execz .LBB59_5
; %bb.2:
	s_load_b128 s[0:3], s[0:1], 0x0
	s_addk_co_i32 s4, 0x1ff
	v_lshlrev_b32_e32 v2, 3, v0
	s_wait_alu 0xfffe
	s_ashr_i32 s10, s4, 31
	v_mul_lo_u32 v4, v1, s9
	s_lshr_b32 s10, s10, 23
	s_delay_alu instid0(SALU_CYCLE_1)
	s_add_co_i32 s4, s4, s10
	v_dual_mov_b32 v2, 0 :: v_dual_and_b32 v5, 8, v2
	s_wait_alu 0xfffe
	s_ashr_i32 s4, s4, 9
	s_mov_b32 s10, 0
	s_wait_alu 0xfffe
	s_mul_i32 s4, ttmp7, s4
	s_wait_alu 0xfffe
	s_lshl_b32 s4, s4, 4
.LBB59_3:                               ; =>This Inner Loop Header: Depth=1
	v_add_nc_u32_e32 v6, v4, v3
	s_wait_alu 0xfffe
	v_add_nc_u32_e32 v8, s4, v3
	v_add_nc_u32_e32 v3, 16, v3
	s_wait_kmcnt 0x0
	v_mad_co_i64_i32 v[6:7], null, v6, 20, s[0:1]
	s_delay_alu instid0(VALU_DEP_3) | instskip(NEXT) | instid1(VALU_DEP_2)
	v_mad_co_i64_i32 v[8:9], null, v8, 36, s[2:3]
	v_add_co_u32 v10, vcc_lo, v6, v5
	s_wait_alu 0xfffd
	s_delay_alu instid0(VALU_DEP_3) | instskip(NEXT) | instid1(VALU_DEP_3)
	v_add_co_ci_u32_e64 v11, null, 0, v7, vcc_lo
	v_add_co_u32 v12, vcc_lo, v8, v5
	s_wait_alu 0xfffd
	s_delay_alu instid0(VALU_DEP_4)
	v_add_co_ci_u32_e64 v13, null, 0, v9, vcc_lo
	s_clause 0x1
	global_load_b32 v14, v[6:7], off
	global_load_b64 v[6:7], v[10:11], off offset:4
	s_clause 0x2
	global_load_b64 v[10:11], v[12:13], off offset:4
	global_load_b64 v[12:13], v[12:13], off offset:20
	global_load_b32 v8, v[8:9], off
	v_cmp_le_u32_e32 vcc_lo, s9, v3
	s_or_b32 s10, vcc_lo, s10
	s_wait_loadcnt 0x3
	v_lshrrev_b32_e32 v17, 4, v6
	v_bfe_u32 v15, v6, 24, 4
	v_and_b32_e32 v16, 0xf0f0f0f, v6
	s_wait_loadcnt 0x0
	v_pk_mul_f16 v8, v14, v8
	v_lshrrev_b16 v14, 8, v12
	v_lshrrev_b32_e32 v18, 28, v6
	v_bfe_u32 v19, v6, 16, 4
	v_and_b32_e32 v20, 15, v6
	v_bfe_u32 v23, v6, 20, 4
	v_bfe_u32 v6, v6, 4, 4
	v_ashrrev_i32_e32 v24, 24, v12
	v_bfe_i32 v25, v12, 16, 8
	v_bfe_i32 v12, v12, 0, 8
	v_and_b32_e32 v27, 0xf0f0f0f, v7
	v_lshrrev_b32_e32 v28, 4, v7
	v_lshrrev_b16 v17, 8, v17
	v_lshrrev_b16 v9, 8, v10
	;; [unrolled: 1-line block ×3, first 2 shown]
	v_mul_i32_i24_e32 v6, v6, v12
	v_mul_i32_i24_e32 v12, v23, v25
	;; [unrolled: 1-line block ×3, first 2 shown]
	v_lshrrev_b16 v23, 8, v27
	v_lshrrev_b16 v24, 8, v28
	v_and_b32_e32 v17, 15, v17
	v_bfe_i32 v21, v10, 16, 8
	v_bfe_i32 v22, v10, 0, 8
	v_ashrrev_i32_e32 v10, 24, v10
	v_bfe_u32 v26, v7, 24, 4
	v_lshrrev_b32_e32 v29, 28, v7
	v_ashrrev_i32_e32 v32, 24, v11
	v_bfe_i32 v34, v11, 8, 8
	v_ashrrev_i32_e32 v36, 24, v13
	v_bfe_i32 v9, v9, 0, 8
	v_bfe_i32 v14, v14, 0, 8
	v_and_b32_e32 v16, 0xffff, v16
	v_and_b32_e32 v23, 0xffff, v23
	;; [unrolled: 1-line block ×4, first 2 shown]
	v_bfe_u32 v30, v7, 16, 4
	v_and_b32_e32 v31, 15, v7
	v_bfe_i32 v33, v11, 16, 8
	v_bfe_i32 v11, v11, 0, 8
	v_bfe_u32 v35, v7, 20, 4
	v_bfe_u32 v7, v7, 4, 4
	v_bfe_i32 v37, v13, 16, 8
	v_bfe_i32 v38, v13, 8, 8
	;; [unrolled: 1-line block ×3, first 2 shown]
	v_mul_i32_i24_e32 v26, v32, v26
	v_mul_i32_i24_e32 v27, v36, v29
	v_mad_i32_i24 v10, v15, v10, v18
	v_mul_i32_i24_e32 v9, v16, v9
	v_mul_i32_i24_e32 v15, v34, v23
	v_and_b32_e32 v16, 0xffff, v24
	v_mul_i32_i24_e32 v14, v17, v14
	v_mul_i32_i24_e32 v11, v11, v31
	;; [unrolled: 1-line block ×5, first 2 shown]
	v_mad_i32_i24 v6, v20, v22, v6
	v_mad_i32_i24 v12, v19, v21, v12
	v_add3_u32 v10, v10, v26, v27
	v_mul_i32_i24_e32 v16, v38, v16
	v_add3_u32 v9, v9, v14, v15
	v_lshrrev_b32_e32 v14, 16, v8
	v_add3_u32 v12, v12, v25, v13
	v_add3_u32 v6, v6, v11, v7
	s_delay_alu instid0(VALU_DEP_4) | instskip(NEXT) | instid1(VALU_DEP_4)
	v_add3_u32 v7, v9, v16, v10
	v_cvt_f32_f16_e32 v9, v14
	s_delay_alu instid0(VALU_DEP_2) | instskip(NEXT) | instid1(VALU_DEP_2)
	v_add3_u32 v6, v6, v12, v7
	v_mul_f32_e32 v7, 0.5, v9
	s_delay_alu instid0(VALU_DEP_2) | instskip(NEXT) | instid1(VALU_DEP_1)
	v_cvt_f32_i32_e32 v6, v6
	v_fma_mix_f32 v6, v6, v8, v7 op_sel_hi:[0,1,0]
	s_delay_alu instid0(VALU_DEP_1)
	v_add_f32_e32 v2, v2, v6
	s_and_not1_b32 exec_lo, exec_lo, s10
	s_cbranch_execnz .LBB59_3
; %bb.4:
	s_or_b32 exec_lo, exec_lo, s10
.LBB59_5:
	s_delay_alu instid0(SALU_CYCLE_1) | instskip(SKIP_1) | instid1(VALU_DEP_1)
	s_or_b32 exec_lo, exec_lo, s8
	v_mbcnt_lo_u32_b32 v3, -1, 0
	v_xor_b32_e32 v4, 16, v3
	v_xor_b32_e32 v5, 8, v3
	s_delay_alu instid0(VALU_DEP_2) | instskip(SKIP_2) | instid1(VALU_DEP_3)
	v_cmp_gt_i32_e32 vcc_lo, 32, v4
	s_wait_alu 0xfffd
	v_cndmask_b32_e32 v4, v3, v4, vcc_lo
	v_cmp_gt_i32_e32 vcc_lo, 32, v5
	s_wait_alu 0xfffd
	v_cndmask_b32_e32 v5, v3, v5, vcc_lo
	s_delay_alu instid0(VALU_DEP_1)
	v_lshlrev_b32_e32 v5, 2, v5
	v_lshlrev_b32_e32 v4, 2, v4
	ds_bpermute_b32 v4, v4, v2
	s_wait_dscnt 0x0
	v_add_f32_e32 v2, v2, v4
	ds_bpermute_b32 v4, v5, v2
	v_xor_b32_e32 v5, 4, v3
	s_delay_alu instid0(VALU_DEP_1) | instskip(SKIP_3) | instid1(VALU_DEP_1)
	v_cmp_gt_i32_e32 vcc_lo, 32, v5
	s_wait_alu 0xfffd
	v_cndmask_b32_e32 v5, v3, v5, vcc_lo
	s_wait_dscnt 0x0
	v_dual_add_f32 v2, v2, v4 :: v_dual_lshlrev_b32 v5, 2, v5
	ds_bpermute_b32 v4, v5, v2
	v_xor_b32_e32 v5, 2, v3
	s_delay_alu instid0(VALU_DEP_1) | instskip(SKIP_3) | instid1(VALU_DEP_1)
	v_cmp_gt_i32_e32 vcc_lo, 32, v5
	s_wait_dscnt 0x0
	s_wait_alu 0xfffd
	v_dual_cndmask_b32 v5, v3, v5 :: v_dual_add_f32 v2, v2, v4
	v_lshlrev_b32_e32 v5, 2, v5
	ds_bpermute_b32 v4, v5, v2
	v_xor_b32_e32 v5, 1, v3
	s_delay_alu instid0(VALU_DEP_1) | instskip(SKIP_4) | instid1(VALU_DEP_2)
	v_cmp_gt_i32_e32 vcc_lo, 32, v5
	s_wait_alu 0xfffd
	v_cndmask_b32_e32 v3, v3, v5, vcc_lo
	v_cmp_eq_u32_e32 vcc_lo, 0, v0
	s_wait_dscnt 0x0
	v_dual_add_f32 v2, v2, v4 :: v_dual_lshlrev_b32 v3, 2, v3
	ds_bpermute_b32 v3, v3, v2
	s_and_b32 exec_lo, exec_lo, vcc_lo
	s_cbranch_execz .LBB59_7
; %bb.6:
	v_mad_co_u64_u32 v[0:1], null, s5, ttmp7, v[1:2]
	s_wait_dscnt 0x0
	v_dual_mov_b32 v1, 0 :: v_dual_add_f32 v2, v2, v3
	s_delay_alu instid0(VALU_DEP_1) | instskip(SKIP_1) | instid1(VALU_DEP_1)
	v_lshlrev_b64_e32 v[0:1], 2, v[0:1]
	s_wait_kmcnt 0x0
	v_add_co_u32 v0, vcc_lo, s6, v0
	s_wait_alu 0xfffd
	s_delay_alu instid0(VALU_DEP_2)
	v_add_co_ci_u32_e64 v1, null, s7, v1, vcc_lo
	global_store_b32 v[0:1], v2, off
.LBB59_7:
	s_endpgm
	.section	.rodata,"a",@progbits
	.p2align	6, 0x0
	.amdhsa_kernel _ZL13mul_mat_vec_qIfLi32ELi4E10block_q4_1Li2EXadL_ZL17vec_dot_q4_1_q8_1PKvPK10block_q8_1RKiEEEvS2_S2_PT_iii
		.amdhsa_group_segment_fixed_size 0
		.amdhsa_private_segment_fixed_size 0
		.amdhsa_kernarg_size 296
		.amdhsa_user_sgpr_count 2
		.amdhsa_user_sgpr_dispatch_ptr 0
		.amdhsa_user_sgpr_queue_ptr 0
		.amdhsa_user_sgpr_kernarg_segment_ptr 1
		.amdhsa_user_sgpr_dispatch_id 0
		.amdhsa_user_sgpr_private_segment_size 0
		.amdhsa_wavefront_size32 1
		.amdhsa_uses_dynamic_stack 0
		.amdhsa_enable_private_segment 0
		.amdhsa_system_sgpr_workgroup_id_x 1
		.amdhsa_system_sgpr_workgroup_id_y 1
		.amdhsa_system_sgpr_workgroup_id_z 0
		.amdhsa_system_sgpr_workgroup_info 0
		.amdhsa_system_vgpr_workitem_id 1
		.amdhsa_next_free_vgpr 39
		.amdhsa_next_free_sgpr 11
		.amdhsa_reserve_vcc 1
		.amdhsa_float_round_mode_32 0
		.amdhsa_float_round_mode_16_64 0
		.amdhsa_float_denorm_mode_32 3
		.amdhsa_float_denorm_mode_16_64 3
		.amdhsa_fp16_overflow 0
		.amdhsa_workgroup_processor_mode 1
		.amdhsa_memory_ordered 1
		.amdhsa_forward_progress 1
		.amdhsa_inst_pref_size 10
		.amdhsa_round_robin_scheduling 0
		.amdhsa_exception_fp_ieee_invalid_op 0
		.amdhsa_exception_fp_denorm_src 0
		.amdhsa_exception_fp_ieee_div_zero 0
		.amdhsa_exception_fp_ieee_overflow 0
		.amdhsa_exception_fp_ieee_underflow 0
		.amdhsa_exception_fp_ieee_inexact 0
		.amdhsa_exception_int_div_zero 0
	.end_amdhsa_kernel
	.section	.text._ZL13mul_mat_vec_qIfLi32ELi4E10block_q4_1Li2EXadL_ZL17vec_dot_q4_1_q8_1PKvPK10block_q8_1RKiEEEvS2_S2_PT_iii,"axG",@progbits,_ZL13mul_mat_vec_qIfLi32ELi4E10block_q4_1Li2EXadL_ZL17vec_dot_q4_1_q8_1PKvPK10block_q8_1RKiEEEvS2_S2_PT_iii,comdat
.Lfunc_end59:
	.size	_ZL13mul_mat_vec_qIfLi32ELi4E10block_q4_1Li2EXadL_ZL17vec_dot_q4_1_q8_1PKvPK10block_q8_1RKiEEEvS2_S2_PT_iii, .Lfunc_end59-_ZL13mul_mat_vec_qIfLi32ELi4E10block_q4_1Li2EXadL_ZL17vec_dot_q4_1_q8_1PKvPK10block_q8_1RKiEEEvS2_S2_PT_iii
                                        ; -- End function
	.set _ZL13mul_mat_vec_qIfLi32ELi4E10block_q4_1Li2EXadL_ZL17vec_dot_q4_1_q8_1PKvPK10block_q8_1RKiEEEvS2_S2_PT_iii.num_vgpr, 39
	.set _ZL13mul_mat_vec_qIfLi32ELi4E10block_q4_1Li2EXadL_ZL17vec_dot_q4_1_q8_1PKvPK10block_q8_1RKiEEEvS2_S2_PT_iii.num_agpr, 0
	.set _ZL13mul_mat_vec_qIfLi32ELi4E10block_q4_1Li2EXadL_ZL17vec_dot_q4_1_q8_1PKvPK10block_q8_1RKiEEEvS2_S2_PT_iii.numbered_sgpr, 11
	.set _ZL13mul_mat_vec_qIfLi32ELi4E10block_q4_1Li2EXadL_ZL17vec_dot_q4_1_q8_1PKvPK10block_q8_1RKiEEEvS2_S2_PT_iii.num_named_barrier, 0
	.set _ZL13mul_mat_vec_qIfLi32ELi4E10block_q4_1Li2EXadL_ZL17vec_dot_q4_1_q8_1PKvPK10block_q8_1RKiEEEvS2_S2_PT_iii.private_seg_size, 0
	.set _ZL13mul_mat_vec_qIfLi32ELi4E10block_q4_1Li2EXadL_ZL17vec_dot_q4_1_q8_1PKvPK10block_q8_1RKiEEEvS2_S2_PT_iii.uses_vcc, 1
	.set _ZL13mul_mat_vec_qIfLi32ELi4E10block_q4_1Li2EXadL_ZL17vec_dot_q4_1_q8_1PKvPK10block_q8_1RKiEEEvS2_S2_PT_iii.uses_flat_scratch, 0
	.set _ZL13mul_mat_vec_qIfLi32ELi4E10block_q4_1Li2EXadL_ZL17vec_dot_q4_1_q8_1PKvPK10block_q8_1RKiEEEvS2_S2_PT_iii.has_dyn_sized_stack, 0
	.set _ZL13mul_mat_vec_qIfLi32ELi4E10block_q4_1Li2EXadL_ZL17vec_dot_q4_1_q8_1PKvPK10block_q8_1RKiEEEvS2_S2_PT_iii.has_recursion, 0
	.set _ZL13mul_mat_vec_qIfLi32ELi4E10block_q4_1Li2EXadL_ZL17vec_dot_q4_1_q8_1PKvPK10block_q8_1RKiEEEvS2_S2_PT_iii.has_indirect_call, 0
	.section	.AMDGPU.csdata,"",@progbits
; Kernel info:
; codeLenInByte = 1188
; TotalNumSgprs: 13
; NumVgprs: 39
; ScratchSize: 0
; MemoryBound: 0
; FloatMode: 240
; IeeeMode: 1
; LDSByteSize: 0 bytes/workgroup (compile time only)
; SGPRBlocks: 0
; VGPRBlocks: 4
; NumSGPRsForWavesPerEU: 13
; NumVGPRsForWavesPerEU: 39
; Occupancy: 16
; WaveLimiterHint : 0
; COMPUTE_PGM_RSRC2:SCRATCH_EN: 0
; COMPUTE_PGM_RSRC2:USER_SGPR: 2
; COMPUTE_PGM_RSRC2:TRAP_HANDLER: 0
; COMPUTE_PGM_RSRC2:TGID_X_EN: 1
; COMPUTE_PGM_RSRC2:TGID_Y_EN: 1
; COMPUTE_PGM_RSRC2:TGID_Z_EN: 0
; COMPUTE_PGM_RSRC2:TIDIG_COMP_CNT: 1
	.section	.text._ZL13mul_mat_vec_qIfLi32ELi4E10block_q5_0Li2EXadL_ZL17vec_dot_q5_0_q8_1PKvPK10block_q8_1RKiEEEvS2_S2_PT_iii,"axG",@progbits,_ZL13mul_mat_vec_qIfLi32ELi4E10block_q5_0Li2EXadL_ZL17vec_dot_q5_0_q8_1PKvPK10block_q8_1RKiEEEvS2_S2_PT_iii,comdat
	.globl	_ZL13mul_mat_vec_qIfLi32ELi4E10block_q5_0Li2EXadL_ZL17vec_dot_q5_0_q8_1PKvPK10block_q8_1RKiEEEvS2_S2_PT_iii ; -- Begin function _ZL13mul_mat_vec_qIfLi32ELi4E10block_q5_0Li2EXadL_ZL17vec_dot_q5_0_q8_1PKvPK10block_q8_1RKiEEEvS2_S2_PT_iii
	.p2align	8
	.type	_ZL13mul_mat_vec_qIfLi32ELi4E10block_q5_0Li2EXadL_ZL17vec_dot_q5_0_q8_1PKvPK10block_q8_1RKiEEEvS2_S2_PT_iii,@function
_ZL13mul_mat_vec_qIfLi32ELi4E10block_q5_0Li2EXadL_ZL17vec_dot_q5_0_q8_1PKvPK10block_q8_1RKiEEEvS2_S2_PT_iii: ; @_ZL13mul_mat_vec_qIfLi32ELi4E10block_q5_0Li2EXadL_ZL17vec_dot_q5_0_q8_1PKvPK10block_q8_1RKiEEEvS2_S2_PT_iii
; %bb.0:
	s_clause 0x1
	s_load_u16 s2, s[0:1], 0x36
	s_load_b96 s[4:6], s[0:1], 0x18
	v_bfe_u32 v1, v0, 10, 10
	s_wait_kmcnt 0x0
	s_delay_alu instid0(VALU_DEP_1)
	v_mad_co_u64_u32 v[1:2], null, ttmp9, s2, v[1:2]
	s_cmp_lt_u32 ttmp7, s6
	s_cselect_b32 s2, -1, 0
	v_cmp_gt_u32_e32 vcc_lo, s5, v1
	s_wait_alu 0xfffe
	s_and_b32 s2, s2, vcc_lo
	s_wait_alu 0xfffe
	s_and_saveexec_b32 s3, s2
	s_cbranch_execz .LBB60_7
; %bb.1:
	s_load_b64 s[6:7], s[0:1], 0x10
	s_ashr_i32 s2, s4, 31
	v_bfe_u32 v2, v0, 1, 9
	s_wait_alu 0xfffe
	s_lshr_b32 s2, s2, 27
	v_dual_mov_b32 v3, 0 :: v_dual_and_b32 v0, 0x3ff, v0
	s_wait_alu 0xfffe
	s_add_co_i32 s2, s4, s2
	s_mov_b32 s8, exec_lo
	s_wait_alu 0xfffe
	s_ashr_i32 s9, s2, 5
	s_delay_alu instid0(SALU_CYCLE_1)
	v_cmpx_gt_u32_e64 s9, v2
	s_cbranch_execz .LBB60_5
; %bb.2:
	s_load_b128 s[0:3], s[0:1], 0x0
	v_lshlrev_b32_e32 v3, 3, v0
	s_addk_co_i32 s4, 0x1ff
	v_mul_lo_u32 v5, v1, s9
	s_wait_alu 0xfffe
	s_ashr_i32 s10, s4, 31
	s_delay_alu instid0(SALU_CYCLE_1) | instskip(SKIP_4) | instid1(VALU_DEP_1)
	s_lshr_b32 s10, s10, 23
	v_dual_mov_b32 v3, 0 :: v_dual_and_b32 v4, 8, v3
	s_add_co_i32 s4, s4, s10
	s_wait_alu 0xfffe
	s_ashr_i32 s4, s4, 9
	v_or_b32_e32 v6, 4, v4
	s_wait_alu 0xfffe
	s_mul_i32 s4, ttmp7, s4
	s_wait_alu 0xfffe
	s_lshl_b32 s10, s4, 4
	s_mov_b32 s4, 0
.LBB60_3:                               ; =>This Inner Loop Header: Depth=1
	v_add_nc_u32_e32 v7, v5, v2
	v_add_nc_u32_e32 v9, s10, v2
	v_add_nc_u32_e32 v2, 16, v2
	s_wait_kmcnt 0x0
	s_delay_alu instid0(VALU_DEP_3) | instskip(NEXT) | instid1(VALU_DEP_3)
	v_mad_co_i64_i32 v[7:8], null, v7, 22, s[0:1]
	v_mad_co_i64_i32 v[9:10], null, v9, 36, s[2:3]
	s_delay_alu instid0(VALU_DEP_2) | instskip(SKIP_1) | instid1(VALU_DEP_3)
	v_add_co_u32 v11, vcc_lo, v7, v4
	s_wait_alu 0xfffd
	v_add_co_ci_u32_e64 v12, null, 0, v8, vcc_lo
	s_delay_alu instid0(VALU_DEP_3) | instskip(SKIP_1) | instid1(VALU_DEP_4)
	v_add_co_u32 v13, vcc_lo, v9, v4
	s_wait_alu 0xfffd
	v_add_co_ci_u32_e64 v14, null, 0, v10, vcc_lo
	s_clause 0x1
	global_load_b32 v17, v[7:8], off offset:2
	global_load_b64 v[11:12], v[11:12], off offset:6
	s_clause 0x2
	global_load_b64 v[15:16], v[13:14], off offset:4
	global_load_b64 v[13:14], v[13:14], off offset:20
	global_load_b32 v9, v[9:10], off
	global_load_u16 v7, v[7:8], off
	v_cmp_le_u32_e32 vcc_lo, s9, v2
	s_wait_alu 0xfffe
	s_or_b32 s4, vcc_lo, s4
	s_wait_loadcnt 0x5
	v_ashrrev_i32_e32 v8, v4, v17
	v_ashrrev_i32_e32 v10, v6, v17
	s_wait_loadcnt 0x4
	v_and_b32_e32 v19, 0xf0f0f0f, v11
	v_lshrrev_b32_e32 v11, 4, v11
	v_and_b32_e32 v31, 0xf0f0f0f, v12
	v_lshlrev_b32_e32 v20, 4, v8
	v_lshlrev_b32_e32 v21, 11, v8
	v_lshlrev_b32_e32 v23, 25, v8
	v_lshrrev_b32_e32 v26, 12, v8
	v_lshrrev_b32_e32 v27, 5, v8
	v_lshlrev_b32_e32 v28, 2, v8
	v_lshlrev_b32_e32 v32, 4, v10
	;; [unrolled: 1-line block ×4, first 2 shown]
	v_lshrrev_b32_e32 v39, 12, v10
	v_lshrrev_b32_e32 v40, 5, v10
	v_lshlrev_b32_e32 v41, 2, v10
	v_lshlrev_b32_e32 v22, 18, v8
	;; [unrolled: 1-line block ×4, first 2 shown]
	v_lshrrev_b32_e32 v12, 4, v12
	v_lshlrev_b32_e32 v10, 9, v10
	v_and_b32_e32 v20, 16, v20
	v_and_b32_e32 v21, 0x1000, v21
	v_and_or_b32 v23, 0x10000000, v23, v19
	v_and_b32_e32 v26, 16, v26
	v_and_b32_e32 v27, 0x1000, v27
	;; [unrolled: 1-line block ×14, first 2 shown]
	v_or3_b32 v19, v20, v19, v21
	v_lshrrev_b32_e32 v20, 24, v23
	v_or3_b32 v21, v27, v26, v28
	v_or3_b32 v23, v33, v32, v34
	;; [unrolled: 1-line block ×3, first 2 shown]
	s_wait_loadcnt 0x3
	v_lshrrev_b16 v17, 8, v15
	v_and_or_b32 v22, 0x100000, v22, v19
	v_lshrrev_b16 v19, 8, v19
	v_or3_b32 v8, v21, v8, v11
	v_or3_b32 v11, v23, v35, v31
	;; [unrolled: 1-line block ×3, first 2 shown]
	s_wait_loadcnt 0x2
	v_lshrrev_b16 v18, 8, v13
	v_ashrrev_i32_e32 v29, 24, v13
	v_bfe_i32 v30, v13, 16, 8
	v_bfe_i32 v13, v13, 0, 8
	v_ashrrev_i32_e32 v36, 24, v16
	v_bfe_i32 v17, v17, 0, 8
	v_bfe_u32 v12, v22, 16, 5
	v_and_b32_e32 v21, 31, v22
	v_and_b32_e32 v19, 0xffff, v19
	v_lshrrev_b32_e32 v22, 24, v8
	v_lshrrev_b16 v23, 8, v8
	v_bfe_u32 v26, v8, 16, 5
	v_and_b32_e32 v8, 31, v8
	v_lshrrev_b32_e32 v27, 24, v11
	v_lshrrev_b16 v33, 8, v10
	v_ashrrev_i32_e32 v24, 24, v15
	v_ashrrev_i32_e32 v42, 24, v14
	v_bfe_i32 v44, v14, 8, 8
	v_bfe_i32 v18, v18, 0, 8
	v_lshrrev_b16 v28, 8, v11
	v_lshrrev_b32_e32 v32, 24, v10
	v_mul_i32_i24_e32 v17, v19, v17
	v_and_b32_e32 v19, 0xffff, v23
	v_mul_i32_i24_e32 v8, v8, v13
	v_mul_i32_i24_e32 v13, v26, v30
	v_mul_i32_i24_e32 v22, v22, v29
	v_mul_i32_i24_e32 v26, v36, v27
	v_and_b32_e32 v27, 0xffff, v33
	v_bfe_i32 v25, v15, 16, 8
	v_bfe_i32 v15, v15, 0, 8
	;; [unrolled: 1-line block ×7, first 2 shown]
	v_bfe_u32 v31, v11, 16, 5
	v_and_b32_e32 v11, 31, v11
	v_bfe_u32 v34, v10, 16, 5
	v_and_b32_e32 v10, 31, v10
	v_and_b32_e32 v23, 0xffff, v28
	v_mul_i32_i24_e32 v28, v42, v32
	v_mul_i32_i24_e32 v18, v19, v18
	;; [unrolled: 1-line block ×3, first 2 shown]
	v_mad_i32_i24 v20, v20, v24, v22
	v_mul_i32_i24_e32 v11, v16, v11
	v_mul_i32_i24_e32 v16, v37, v31
	;; [unrolled: 1-line block ×5, first 2 shown]
	v_mad_i32_i24 v8, v21, v15, v8
	v_mad_i32_i24 v12, v12, v25, v13
	v_add3_u32 v13, v17, v18, v19
	v_add3_u32 v15, v20, v28, v26
	s_wait_loadcnt 0x1
	v_lshrrev_b32_e32 v17, 16, v9
	v_add3_u32 v8, v8, v10, v11
	v_add3_u32 v12, v12, v14, v16
	;; [unrolled: 1-line block ×3, first 2 shown]
	s_delay_alu instid0(VALU_DEP_4) | instskip(NEXT) | instid1(VALU_DEP_2)
	v_cvt_f32_f16_e32 v11, v17
	v_add3_u32 v8, v8, v12, v10
	s_delay_alu instid0(VALU_DEP_2) | instskip(NEXT) | instid1(VALU_DEP_2)
	v_mul_f32_e32 v10, 0xc1000000, v11
	v_cvt_f32_i32_e32 v8, v8
	s_delay_alu instid0(VALU_DEP_1) | instskip(SKIP_1) | instid1(VALU_DEP_1)
	v_fma_mix_f32 v8, v9, v8, v10 op_sel_hi:[1,0,0]
	s_wait_loadcnt 0x0
	v_fma_mix_f32 v3, v8, v7, v3 op_sel_hi:[0,1,0]
	s_wait_alu 0xfffe
	s_and_not1_b32 exec_lo, exec_lo, s4
	s_cbranch_execnz .LBB60_3
; %bb.4:
	s_or_b32 exec_lo, exec_lo, s4
.LBB60_5:
	s_delay_alu instid0(SALU_CYCLE_1) | instskip(SKIP_1) | instid1(VALU_DEP_1)
	s_or_b32 exec_lo, exec_lo, s8
	v_mbcnt_lo_u32_b32 v2, -1, 0
	v_xor_b32_e32 v4, 16, v2
	v_xor_b32_e32 v5, 8, v2
	s_delay_alu instid0(VALU_DEP_2) | instskip(SKIP_2) | instid1(VALU_DEP_3)
	v_cmp_gt_i32_e32 vcc_lo, 32, v4
	s_wait_alu 0xfffd
	v_cndmask_b32_e32 v4, v2, v4, vcc_lo
	v_cmp_gt_i32_e32 vcc_lo, 32, v5
	s_wait_alu 0xfffd
	v_cndmask_b32_e32 v5, v2, v5, vcc_lo
	s_delay_alu instid0(VALU_DEP_1)
	v_lshlrev_b32_e32 v5, 2, v5
	v_lshlrev_b32_e32 v4, 2, v4
	ds_bpermute_b32 v4, v4, v3
	s_wait_dscnt 0x0
	v_add_f32_e32 v3, v3, v4
	ds_bpermute_b32 v4, v5, v3
	v_xor_b32_e32 v5, 4, v2
	s_delay_alu instid0(VALU_DEP_1) | instskip(SKIP_2) | instid1(VALU_DEP_1)
	v_cmp_gt_i32_e32 vcc_lo, 32, v5
	s_wait_alu 0xfffd
	v_cndmask_b32_e32 v5, v2, v5, vcc_lo
	v_lshlrev_b32_e32 v5, 2, v5
	s_wait_dscnt 0x0
	v_add_f32_e32 v3, v3, v4
	ds_bpermute_b32 v4, v5, v3
	v_xor_b32_e32 v5, 2, v2
	s_delay_alu instid0(VALU_DEP_1) | instskip(SKIP_2) | instid1(VALU_DEP_1)
	v_cmp_gt_i32_e32 vcc_lo, 32, v5
	s_wait_alu 0xfffd
	v_cndmask_b32_e32 v5, v2, v5, vcc_lo
	v_lshlrev_b32_e32 v5, 2, v5
	s_wait_dscnt 0x0
	v_add_f32_e32 v3, v3, v4
	ds_bpermute_b32 v4, v5, v3
	v_xor_b32_e32 v5, 1, v2
	s_delay_alu instid0(VALU_DEP_1) | instskip(SKIP_4) | instid1(VALU_DEP_2)
	v_cmp_gt_i32_e32 vcc_lo, 32, v5
	s_wait_alu 0xfffd
	v_cndmask_b32_e32 v5, v2, v5, vcc_lo
	v_cmp_eq_u32_e32 vcc_lo, 0, v0
	s_wait_dscnt 0x0
	v_dual_add_f32 v2, v3, v4 :: v_dual_lshlrev_b32 v3, 2, v5
	ds_bpermute_b32 v3, v3, v2
	s_and_b32 exec_lo, exec_lo, vcc_lo
	s_cbranch_execz .LBB60_7
; %bb.6:
	v_mad_co_u64_u32 v[0:1], null, s5, ttmp7, v[1:2]
	s_wait_dscnt 0x0
	v_dual_mov_b32 v1, 0 :: v_dual_add_f32 v2, v2, v3
	s_delay_alu instid0(VALU_DEP_1) | instskip(SKIP_1) | instid1(VALU_DEP_1)
	v_lshlrev_b64_e32 v[0:1], 2, v[0:1]
	s_wait_kmcnt 0x0
	v_add_co_u32 v0, vcc_lo, s6, v0
	s_wait_alu 0xfffd
	s_delay_alu instid0(VALU_DEP_2)
	v_add_co_ci_u32_e64 v1, null, s7, v1, vcc_lo
	global_store_b32 v[0:1], v2, off
.LBB60_7:
	s_endpgm
	.section	.rodata,"a",@progbits
	.p2align	6, 0x0
	.amdhsa_kernel _ZL13mul_mat_vec_qIfLi32ELi4E10block_q5_0Li2EXadL_ZL17vec_dot_q5_0_q8_1PKvPK10block_q8_1RKiEEEvS2_S2_PT_iii
		.amdhsa_group_segment_fixed_size 0
		.amdhsa_private_segment_fixed_size 0
		.amdhsa_kernarg_size 296
		.amdhsa_user_sgpr_count 2
		.amdhsa_user_sgpr_dispatch_ptr 0
		.amdhsa_user_sgpr_queue_ptr 0
		.amdhsa_user_sgpr_kernarg_segment_ptr 1
		.amdhsa_user_sgpr_dispatch_id 0
		.amdhsa_user_sgpr_private_segment_size 0
		.amdhsa_wavefront_size32 1
		.amdhsa_uses_dynamic_stack 0
		.amdhsa_enable_private_segment 0
		.amdhsa_system_sgpr_workgroup_id_x 1
		.amdhsa_system_sgpr_workgroup_id_y 1
		.amdhsa_system_sgpr_workgroup_id_z 0
		.amdhsa_system_sgpr_workgroup_info 0
		.amdhsa_system_vgpr_workitem_id 1
		.amdhsa_next_free_vgpr 45
		.amdhsa_next_free_sgpr 11
		.amdhsa_reserve_vcc 1
		.amdhsa_float_round_mode_32 0
		.amdhsa_float_round_mode_16_64 0
		.amdhsa_float_denorm_mode_32 3
		.amdhsa_float_denorm_mode_16_64 3
		.amdhsa_fp16_overflow 0
		.amdhsa_workgroup_processor_mode 1
		.amdhsa_memory_ordered 1
		.amdhsa_forward_progress 1
		.amdhsa_inst_pref_size 12
		.amdhsa_round_robin_scheduling 0
		.amdhsa_exception_fp_ieee_invalid_op 0
		.amdhsa_exception_fp_denorm_src 0
		.amdhsa_exception_fp_ieee_div_zero 0
		.amdhsa_exception_fp_ieee_overflow 0
		.amdhsa_exception_fp_ieee_underflow 0
		.amdhsa_exception_fp_ieee_inexact 0
		.amdhsa_exception_int_div_zero 0
	.end_amdhsa_kernel
	.section	.text._ZL13mul_mat_vec_qIfLi32ELi4E10block_q5_0Li2EXadL_ZL17vec_dot_q5_0_q8_1PKvPK10block_q8_1RKiEEEvS2_S2_PT_iii,"axG",@progbits,_ZL13mul_mat_vec_qIfLi32ELi4E10block_q5_0Li2EXadL_ZL17vec_dot_q5_0_q8_1PKvPK10block_q8_1RKiEEEvS2_S2_PT_iii,comdat
.Lfunc_end60:
	.size	_ZL13mul_mat_vec_qIfLi32ELi4E10block_q5_0Li2EXadL_ZL17vec_dot_q5_0_q8_1PKvPK10block_q8_1RKiEEEvS2_S2_PT_iii, .Lfunc_end60-_ZL13mul_mat_vec_qIfLi32ELi4E10block_q5_0Li2EXadL_ZL17vec_dot_q5_0_q8_1PKvPK10block_q8_1RKiEEEvS2_S2_PT_iii
                                        ; -- End function
	.set _ZL13mul_mat_vec_qIfLi32ELi4E10block_q5_0Li2EXadL_ZL17vec_dot_q5_0_q8_1PKvPK10block_q8_1RKiEEEvS2_S2_PT_iii.num_vgpr, 45
	.set _ZL13mul_mat_vec_qIfLi32ELi4E10block_q5_0Li2EXadL_ZL17vec_dot_q5_0_q8_1PKvPK10block_q8_1RKiEEEvS2_S2_PT_iii.num_agpr, 0
	.set _ZL13mul_mat_vec_qIfLi32ELi4E10block_q5_0Li2EXadL_ZL17vec_dot_q5_0_q8_1PKvPK10block_q8_1RKiEEEvS2_S2_PT_iii.numbered_sgpr, 11
	.set _ZL13mul_mat_vec_qIfLi32ELi4E10block_q5_0Li2EXadL_ZL17vec_dot_q5_0_q8_1PKvPK10block_q8_1RKiEEEvS2_S2_PT_iii.num_named_barrier, 0
	.set _ZL13mul_mat_vec_qIfLi32ELi4E10block_q5_0Li2EXadL_ZL17vec_dot_q5_0_q8_1PKvPK10block_q8_1RKiEEEvS2_S2_PT_iii.private_seg_size, 0
	.set _ZL13mul_mat_vec_qIfLi32ELi4E10block_q5_0Li2EXadL_ZL17vec_dot_q5_0_q8_1PKvPK10block_q8_1RKiEEEvS2_S2_PT_iii.uses_vcc, 1
	.set _ZL13mul_mat_vec_qIfLi32ELi4E10block_q5_0Li2EXadL_ZL17vec_dot_q5_0_q8_1PKvPK10block_q8_1RKiEEEvS2_S2_PT_iii.uses_flat_scratch, 0
	.set _ZL13mul_mat_vec_qIfLi32ELi4E10block_q5_0Li2EXadL_ZL17vec_dot_q5_0_q8_1PKvPK10block_q8_1RKiEEEvS2_S2_PT_iii.has_dyn_sized_stack, 0
	.set _ZL13mul_mat_vec_qIfLi32ELi4E10block_q5_0Li2EXadL_ZL17vec_dot_q5_0_q8_1PKvPK10block_q8_1RKiEEEvS2_S2_PT_iii.has_recursion, 0
	.set _ZL13mul_mat_vec_qIfLi32ELi4E10block_q5_0Li2EXadL_ZL17vec_dot_q5_0_q8_1PKvPK10block_q8_1RKiEEEvS2_S2_PT_iii.has_indirect_call, 0
	.section	.AMDGPU.csdata,"",@progbits
; Kernel info:
; codeLenInByte = 1460
; TotalNumSgprs: 13
; NumVgprs: 45
; ScratchSize: 0
; MemoryBound: 0
; FloatMode: 240
; IeeeMode: 1
; LDSByteSize: 0 bytes/workgroup (compile time only)
; SGPRBlocks: 0
; VGPRBlocks: 5
; NumSGPRsForWavesPerEU: 13
; NumVGPRsForWavesPerEU: 45
; Occupancy: 16
; WaveLimiterHint : 0
; COMPUTE_PGM_RSRC2:SCRATCH_EN: 0
; COMPUTE_PGM_RSRC2:USER_SGPR: 2
; COMPUTE_PGM_RSRC2:TRAP_HANDLER: 0
; COMPUTE_PGM_RSRC2:TGID_X_EN: 1
; COMPUTE_PGM_RSRC2:TGID_Y_EN: 1
; COMPUTE_PGM_RSRC2:TGID_Z_EN: 0
; COMPUTE_PGM_RSRC2:TIDIG_COMP_CNT: 1
	.section	.text._ZL13mul_mat_vec_qIfLi32ELi4E10block_q5_1Li2EXadL_ZL17vec_dot_q5_1_q8_1PKvPK10block_q8_1RKiEEEvS2_S2_PT_iii,"axG",@progbits,_ZL13mul_mat_vec_qIfLi32ELi4E10block_q5_1Li2EXadL_ZL17vec_dot_q5_1_q8_1PKvPK10block_q8_1RKiEEEvS2_S2_PT_iii,comdat
	.globl	_ZL13mul_mat_vec_qIfLi32ELi4E10block_q5_1Li2EXadL_ZL17vec_dot_q5_1_q8_1PKvPK10block_q8_1RKiEEEvS2_S2_PT_iii ; -- Begin function _ZL13mul_mat_vec_qIfLi32ELi4E10block_q5_1Li2EXadL_ZL17vec_dot_q5_1_q8_1PKvPK10block_q8_1RKiEEEvS2_S2_PT_iii
	.p2align	8
	.type	_ZL13mul_mat_vec_qIfLi32ELi4E10block_q5_1Li2EXadL_ZL17vec_dot_q5_1_q8_1PKvPK10block_q8_1RKiEEEvS2_S2_PT_iii,@function
_ZL13mul_mat_vec_qIfLi32ELi4E10block_q5_1Li2EXadL_ZL17vec_dot_q5_1_q8_1PKvPK10block_q8_1RKiEEEvS2_S2_PT_iii: ; @_ZL13mul_mat_vec_qIfLi32ELi4E10block_q5_1Li2EXadL_ZL17vec_dot_q5_1_q8_1PKvPK10block_q8_1RKiEEEvS2_S2_PT_iii
; %bb.0:
	s_clause 0x1
	s_load_u16 s2, s[0:1], 0x36
	s_load_b96 s[4:6], s[0:1], 0x18
	v_bfe_u32 v1, v0, 10, 10
	s_wait_kmcnt 0x0
	s_delay_alu instid0(VALU_DEP_1)
	v_mad_co_u64_u32 v[1:2], null, ttmp9, s2, v[1:2]
	s_cmp_lt_u32 ttmp7, s6
	s_cselect_b32 s2, -1, 0
	v_cmp_gt_u32_e32 vcc_lo, s5, v1
	s_wait_alu 0xfffe
	s_and_b32 s2, s2, vcc_lo
	s_wait_alu 0xfffe
	s_and_saveexec_b32 s3, s2
	s_cbranch_execz .LBB61_7
; %bb.1:
	s_load_b64 s[6:7], s[0:1], 0x10
	s_ashr_i32 s2, s4, 31
	v_bfe_u32 v2, v0, 1, 9
	s_wait_alu 0xfffe
	s_lshr_b32 s2, s2, 27
	v_dual_mov_b32 v3, 0 :: v_dual_and_b32 v0, 0x3ff, v0
	s_wait_alu 0xfffe
	s_add_co_i32 s2, s4, s2
	s_mov_b32 s8, exec_lo
	s_wait_alu 0xfffe
	s_ashr_i32 s9, s2, 5
	s_delay_alu instid0(SALU_CYCLE_1)
	v_cmpx_gt_u32_e64 s9, v2
	s_cbranch_execz .LBB61_5
; %bb.2:
	s_load_b128 s[0:3], s[0:1], 0x0
	v_lshlrev_b32_e32 v3, 3, v0
	s_addk_co_i32 s4, 0x1ff
	v_mul_lo_u32 v5, v1, s9
	s_wait_alu 0xfffe
	s_ashr_i32 s10, s4, 31
	s_delay_alu instid0(SALU_CYCLE_1) | instskip(SKIP_4) | instid1(VALU_DEP_1)
	s_lshr_b32 s10, s10, 23
	v_dual_mov_b32 v3, 0 :: v_dual_and_b32 v4, 8, v3
	s_add_co_i32 s4, s4, s10
	s_wait_alu 0xfffe
	s_ashr_i32 s4, s4, 9
	v_or_b32_e32 v6, 4, v4
	s_wait_alu 0xfffe
	s_mul_i32 s4, ttmp7, s4
	s_wait_alu 0xfffe
	s_lshl_b32 s10, s4, 4
	s_mov_b32 s4, 0
.LBB61_3:                               ; =>This Inner Loop Header: Depth=1
	v_add_nc_u32_e32 v7, v5, v2
	v_add_nc_u32_e32 v9, s10, v2
	;; [unrolled: 1-line block ×3, first 2 shown]
	s_wait_kmcnt 0x0
	s_delay_alu instid0(VALU_DEP_3) | instskip(NEXT) | instid1(VALU_DEP_3)
	v_mad_co_i64_i32 v[7:8], null, v7, 24, s[0:1]
	v_mad_co_i64_i32 v[9:10], null, v9, 36, s[2:3]
	s_delay_alu instid0(VALU_DEP_2) | instskip(SKIP_1) | instid1(VALU_DEP_3)
	v_add_co_u32 v11, vcc_lo, v7, v4
	s_wait_alu 0xfffd
	v_add_co_ci_u32_e64 v12, null, 0, v8, vcc_lo
	s_delay_alu instid0(VALU_DEP_3) | instskip(SKIP_1) | instid1(VALU_DEP_4)
	v_add_co_u32 v13, vcc_lo, v9, v4
	s_wait_alu 0xfffd
	v_add_co_ci_u32_e64 v14, null, 0, v10, vcc_lo
	s_clause 0x1
	global_load_b64 v[7:8], v[7:8], off
	global_load_b64 v[11:12], v[11:12], off offset:8
	s_clause 0x2
	global_load_b64 v[15:16], v[13:14], off offset:4
	global_load_b64 v[13:14], v[13:14], off offset:20
	global_load_b32 v9, v[9:10], off
	v_cmp_le_u32_e32 vcc_lo, s9, v2
	s_wait_alu 0xfffe
	s_or_b32 s4, vcc_lo, s4
	s_wait_loadcnt 0x4
	v_ashrrev_i32_e32 v10, v4, v8
	v_ashrrev_i32_e32 v8, v6, v8
	s_wait_loadcnt 0x3
	v_and_b32_e32 v18, 0xf0f0f0f, v11
	v_lshrrev_b32_e32 v11, 4, v11
	v_and_b32_e32 v30, 0xf0f0f0f, v12
	v_lshlrev_b32_e32 v19, 4, v10
	v_lshlrev_b32_e32 v20, 11, v10
	;; [unrolled: 1-line block ×3, first 2 shown]
	v_lshrrev_b32_e32 v25, 12, v10
	v_lshrrev_b32_e32 v26, 5, v10
	v_lshlrev_b32_e32 v27, 2, v10
	v_lshlrev_b32_e32 v31, 4, v8
	;; [unrolled: 1-line block ×4, first 2 shown]
	v_lshrrev_b32_e32 v38, 12, v8
	v_lshrrev_b32_e32 v39, 5, v8
	v_lshlrev_b32_e32 v40, 2, v8
	v_lshlrev_b32_e32 v21, 18, v10
	;; [unrolled: 1-line block ×4, first 2 shown]
	v_lshrrev_b32_e32 v12, 4, v12
	v_lshlrev_b32_e32 v8, 9, v8
	v_and_b32_e32 v19, 16, v19
	v_and_b32_e32 v20, 0x1000, v20
	v_and_or_b32 v22, 0x10000000, v22, v18
	v_and_b32_e32 v25, 16, v25
	v_and_b32_e32 v26, 0x1000, v26
	;; [unrolled: 1-line block ×14, first 2 shown]
	v_or3_b32 v18, v19, v18, v20
	v_lshrrev_b32_e32 v19, 24, v22
	v_or3_b32 v20, v26, v25, v27
	v_or3_b32 v22, v32, v31, v33
	;; [unrolled: 1-line block ×3, first 2 shown]
	s_wait_loadcnt 0x0
	v_pk_mul_f16 v7, v7, v9
	v_lshrrev_b16 v9, 8, v15
	v_and_or_b32 v21, 0x100000, v21, v18
	v_lshrrev_b16 v18, 8, v18
	v_or3_b32 v10, v20, v10, v11
	v_or3_b32 v11, v22, v34, v30
	;; [unrolled: 1-line block ×3, first 2 shown]
	v_lshrrev_b16 v17, 8, v13
	v_ashrrev_i32_e32 v28, 24, v13
	v_bfe_i32 v29, v13, 16, 8
	v_bfe_i32 v13, v13, 0, 8
	v_ashrrev_i32_e32 v35, 24, v16
	v_bfe_i32 v9, v9, 0, 8
	v_bfe_u32 v12, v21, 16, 5
	v_and_b32_e32 v20, 31, v21
	v_and_b32_e32 v18, 0xffff, v18
	v_lshrrev_b32_e32 v21, 24, v10
	v_lshrrev_b16 v22, 8, v10
	v_bfe_u32 v25, v10, 16, 5
	v_and_b32_e32 v10, 31, v10
	v_lshrrev_b32_e32 v26, 24, v11
	v_lshrrev_b16 v32, 8, v8
	v_ashrrev_i32_e32 v23, 24, v15
	v_ashrrev_i32_e32 v41, 24, v14
	v_bfe_i32 v43, v14, 8, 8
	v_bfe_i32 v17, v17, 0, 8
	v_lshrrev_b16 v27, 8, v11
	v_lshrrev_b32_e32 v31, 24, v8
	v_mul_i32_i24_e32 v9, v18, v9
	v_and_b32_e32 v18, 0xffff, v22
	v_mul_i32_i24_e32 v10, v10, v13
	v_mul_i32_i24_e32 v13, v25, v29
	;; [unrolled: 1-line block ×4, first 2 shown]
	v_and_b32_e32 v26, 0xffff, v32
	v_bfe_i32 v24, v15, 16, 8
	v_bfe_i32 v15, v15, 0, 8
	;; [unrolled: 1-line block ×7, first 2 shown]
	v_bfe_u32 v30, v11, 16, 5
	v_and_b32_e32 v11, 31, v11
	v_bfe_u32 v33, v8, 16, 5
	v_and_b32_e32 v8, 31, v8
	v_and_b32_e32 v22, 0xffff, v27
	v_mul_i32_i24_e32 v27, v41, v31
	v_mul_i32_i24_e32 v17, v18, v17
	;; [unrolled: 1-line block ×3, first 2 shown]
	v_mad_i32_i24 v19, v19, v23, v21
	v_mul_i32_i24_e32 v11, v16, v11
	v_mul_i32_i24_e32 v16, v36, v30
	v_mul_i32_i24_e32 v8, v14, v8
	v_mul_i32_i24_e32 v14, v42, v33
	v_mul_i32_i24_e32 v21, v37, v22
	v_mad_i32_i24 v10, v20, v15, v10
	v_mad_i32_i24 v12, v12, v24, v13
	v_add3_u32 v9, v9, v17, v18
	v_add3_u32 v13, v19, v27, v25
	v_lshrrev_b32_e32 v15, 16, v7
	v_add3_u32 v8, v10, v8, v11
	v_add3_u32 v12, v12, v14, v16
	s_delay_alu instid0(VALU_DEP_4) | instskip(NEXT) | instid1(VALU_DEP_4)
	v_add3_u32 v9, v9, v21, v13
	v_cvt_f32_f16_e32 v10, v15
	s_delay_alu instid0(VALU_DEP_2) | instskip(NEXT) | instid1(VALU_DEP_2)
	v_add3_u32 v8, v8, v12, v9
	v_mul_f32_e32 v9, 0.5, v10
	s_delay_alu instid0(VALU_DEP_2) | instskip(NEXT) | instid1(VALU_DEP_1)
	v_cvt_f32_i32_e32 v8, v8
	v_fma_mix_f32 v7, v8, v7, v9 op_sel_hi:[0,1,0]
	s_delay_alu instid0(VALU_DEP_1)
	v_add_f32_e32 v3, v3, v7
	s_wait_alu 0xfffe
	s_and_not1_b32 exec_lo, exec_lo, s4
	s_cbranch_execnz .LBB61_3
; %bb.4:
	s_or_b32 exec_lo, exec_lo, s4
.LBB61_5:
	s_delay_alu instid0(SALU_CYCLE_1) | instskip(SKIP_1) | instid1(VALU_DEP_1)
	s_or_b32 exec_lo, exec_lo, s8
	v_mbcnt_lo_u32_b32 v2, -1, 0
	v_xor_b32_e32 v4, 16, v2
	v_xor_b32_e32 v5, 8, v2
	s_delay_alu instid0(VALU_DEP_2) | instskip(SKIP_2) | instid1(VALU_DEP_3)
	v_cmp_gt_i32_e32 vcc_lo, 32, v4
	s_wait_alu 0xfffd
	v_cndmask_b32_e32 v4, v2, v4, vcc_lo
	v_cmp_gt_i32_e32 vcc_lo, 32, v5
	s_wait_alu 0xfffd
	v_cndmask_b32_e32 v5, v2, v5, vcc_lo
	s_delay_alu instid0(VALU_DEP_1)
	v_lshlrev_b32_e32 v5, 2, v5
	v_lshlrev_b32_e32 v4, 2, v4
	ds_bpermute_b32 v4, v4, v3
	s_wait_dscnt 0x0
	v_add_f32_e32 v3, v3, v4
	ds_bpermute_b32 v4, v5, v3
	v_xor_b32_e32 v5, 4, v2
	s_delay_alu instid0(VALU_DEP_1) | instskip(SKIP_2) | instid1(VALU_DEP_1)
	v_cmp_gt_i32_e32 vcc_lo, 32, v5
	s_wait_alu 0xfffd
	v_cndmask_b32_e32 v5, v2, v5, vcc_lo
	v_lshlrev_b32_e32 v5, 2, v5
	s_wait_dscnt 0x0
	v_add_f32_e32 v3, v3, v4
	ds_bpermute_b32 v4, v5, v3
	v_xor_b32_e32 v5, 2, v2
	s_delay_alu instid0(VALU_DEP_1) | instskip(SKIP_2) | instid1(VALU_DEP_1)
	v_cmp_gt_i32_e32 vcc_lo, 32, v5
	s_wait_alu 0xfffd
	v_cndmask_b32_e32 v5, v2, v5, vcc_lo
	v_lshlrev_b32_e32 v5, 2, v5
	s_wait_dscnt 0x0
	v_add_f32_e32 v3, v3, v4
	ds_bpermute_b32 v4, v5, v3
	v_xor_b32_e32 v5, 1, v2
	s_delay_alu instid0(VALU_DEP_1) | instskip(SKIP_4) | instid1(VALU_DEP_2)
	v_cmp_gt_i32_e32 vcc_lo, 32, v5
	s_wait_alu 0xfffd
	v_cndmask_b32_e32 v5, v2, v5, vcc_lo
	v_cmp_eq_u32_e32 vcc_lo, 0, v0
	s_wait_dscnt 0x0
	v_dual_add_f32 v2, v3, v4 :: v_dual_lshlrev_b32 v3, 2, v5
	ds_bpermute_b32 v3, v3, v2
	s_and_b32 exec_lo, exec_lo, vcc_lo
	s_cbranch_execz .LBB61_7
; %bb.6:
	v_mad_co_u64_u32 v[0:1], null, s5, ttmp7, v[1:2]
	s_wait_dscnt 0x0
	v_dual_mov_b32 v1, 0 :: v_dual_add_f32 v2, v2, v3
	s_delay_alu instid0(VALU_DEP_1) | instskip(SKIP_1) | instid1(VALU_DEP_1)
	v_lshlrev_b64_e32 v[0:1], 2, v[0:1]
	s_wait_kmcnt 0x0
	v_add_co_u32 v0, vcc_lo, s6, v0
	s_wait_alu 0xfffd
	s_delay_alu instid0(VALU_DEP_2)
	v_add_co_ci_u32_e64 v1, null, s7, v1, vcc_lo
	global_store_b32 v[0:1], v2, off
.LBB61_7:
	s_endpgm
	.section	.rodata,"a",@progbits
	.p2align	6, 0x0
	.amdhsa_kernel _ZL13mul_mat_vec_qIfLi32ELi4E10block_q5_1Li2EXadL_ZL17vec_dot_q5_1_q8_1PKvPK10block_q8_1RKiEEEvS2_S2_PT_iii
		.amdhsa_group_segment_fixed_size 0
		.amdhsa_private_segment_fixed_size 0
		.amdhsa_kernarg_size 296
		.amdhsa_user_sgpr_count 2
		.amdhsa_user_sgpr_dispatch_ptr 0
		.amdhsa_user_sgpr_queue_ptr 0
		.amdhsa_user_sgpr_kernarg_segment_ptr 1
		.amdhsa_user_sgpr_dispatch_id 0
		.amdhsa_user_sgpr_private_segment_size 0
		.amdhsa_wavefront_size32 1
		.amdhsa_uses_dynamic_stack 0
		.amdhsa_enable_private_segment 0
		.amdhsa_system_sgpr_workgroup_id_x 1
		.amdhsa_system_sgpr_workgroup_id_y 1
		.amdhsa_system_sgpr_workgroup_id_z 0
		.amdhsa_system_sgpr_workgroup_info 0
		.amdhsa_system_vgpr_workitem_id 1
		.amdhsa_next_free_vgpr 44
		.amdhsa_next_free_sgpr 11
		.amdhsa_reserve_vcc 1
		.amdhsa_float_round_mode_32 0
		.amdhsa_float_round_mode_16_64 0
		.amdhsa_float_denorm_mode_32 3
		.amdhsa_float_denorm_mode_16_64 3
		.amdhsa_fp16_overflow 0
		.amdhsa_workgroup_processor_mode 1
		.amdhsa_memory_ordered 1
		.amdhsa_forward_progress 1
		.amdhsa_inst_pref_size 12
		.amdhsa_round_robin_scheduling 0
		.amdhsa_exception_fp_ieee_invalid_op 0
		.amdhsa_exception_fp_denorm_src 0
		.amdhsa_exception_fp_ieee_div_zero 0
		.amdhsa_exception_fp_ieee_overflow 0
		.amdhsa_exception_fp_ieee_underflow 0
		.amdhsa_exception_fp_ieee_inexact 0
		.amdhsa_exception_int_div_zero 0
	.end_amdhsa_kernel
	.section	.text._ZL13mul_mat_vec_qIfLi32ELi4E10block_q5_1Li2EXadL_ZL17vec_dot_q5_1_q8_1PKvPK10block_q8_1RKiEEEvS2_S2_PT_iii,"axG",@progbits,_ZL13mul_mat_vec_qIfLi32ELi4E10block_q5_1Li2EXadL_ZL17vec_dot_q5_1_q8_1PKvPK10block_q8_1RKiEEEvS2_S2_PT_iii,comdat
.Lfunc_end61:
	.size	_ZL13mul_mat_vec_qIfLi32ELi4E10block_q5_1Li2EXadL_ZL17vec_dot_q5_1_q8_1PKvPK10block_q8_1RKiEEEvS2_S2_PT_iii, .Lfunc_end61-_ZL13mul_mat_vec_qIfLi32ELi4E10block_q5_1Li2EXadL_ZL17vec_dot_q5_1_q8_1PKvPK10block_q8_1RKiEEEvS2_S2_PT_iii
                                        ; -- End function
	.set _ZL13mul_mat_vec_qIfLi32ELi4E10block_q5_1Li2EXadL_ZL17vec_dot_q5_1_q8_1PKvPK10block_q8_1RKiEEEvS2_S2_PT_iii.num_vgpr, 44
	.set _ZL13mul_mat_vec_qIfLi32ELi4E10block_q5_1Li2EXadL_ZL17vec_dot_q5_1_q8_1PKvPK10block_q8_1RKiEEEvS2_S2_PT_iii.num_agpr, 0
	.set _ZL13mul_mat_vec_qIfLi32ELi4E10block_q5_1Li2EXadL_ZL17vec_dot_q5_1_q8_1PKvPK10block_q8_1RKiEEEvS2_S2_PT_iii.numbered_sgpr, 11
	.set _ZL13mul_mat_vec_qIfLi32ELi4E10block_q5_1Li2EXadL_ZL17vec_dot_q5_1_q8_1PKvPK10block_q8_1RKiEEEvS2_S2_PT_iii.num_named_barrier, 0
	.set _ZL13mul_mat_vec_qIfLi32ELi4E10block_q5_1Li2EXadL_ZL17vec_dot_q5_1_q8_1PKvPK10block_q8_1RKiEEEvS2_S2_PT_iii.private_seg_size, 0
	.set _ZL13mul_mat_vec_qIfLi32ELi4E10block_q5_1Li2EXadL_ZL17vec_dot_q5_1_q8_1PKvPK10block_q8_1RKiEEEvS2_S2_PT_iii.uses_vcc, 1
	.set _ZL13mul_mat_vec_qIfLi32ELi4E10block_q5_1Li2EXadL_ZL17vec_dot_q5_1_q8_1PKvPK10block_q8_1RKiEEEvS2_S2_PT_iii.uses_flat_scratch, 0
	.set _ZL13mul_mat_vec_qIfLi32ELi4E10block_q5_1Li2EXadL_ZL17vec_dot_q5_1_q8_1PKvPK10block_q8_1RKiEEEvS2_S2_PT_iii.has_dyn_sized_stack, 0
	.set _ZL13mul_mat_vec_qIfLi32ELi4E10block_q5_1Li2EXadL_ZL17vec_dot_q5_1_q8_1PKvPK10block_q8_1RKiEEEvS2_S2_PT_iii.has_recursion, 0
	.set _ZL13mul_mat_vec_qIfLi32ELi4E10block_q5_1Li2EXadL_ZL17vec_dot_q5_1_q8_1PKvPK10block_q8_1RKiEEEvS2_S2_PT_iii.has_indirect_call, 0
	.section	.AMDGPU.csdata,"",@progbits
; Kernel info:
; codeLenInByte = 1440
; TotalNumSgprs: 13
; NumVgprs: 44
; ScratchSize: 0
; MemoryBound: 0
; FloatMode: 240
; IeeeMode: 1
; LDSByteSize: 0 bytes/workgroup (compile time only)
; SGPRBlocks: 0
; VGPRBlocks: 5
; NumSGPRsForWavesPerEU: 13
; NumVGPRsForWavesPerEU: 44
; Occupancy: 16
; WaveLimiterHint : 0
; COMPUTE_PGM_RSRC2:SCRATCH_EN: 0
; COMPUTE_PGM_RSRC2:USER_SGPR: 2
; COMPUTE_PGM_RSRC2:TRAP_HANDLER: 0
; COMPUTE_PGM_RSRC2:TGID_X_EN: 1
; COMPUTE_PGM_RSRC2:TGID_Y_EN: 1
; COMPUTE_PGM_RSRC2:TGID_Z_EN: 0
; COMPUTE_PGM_RSRC2:TIDIG_COMP_CNT: 1
	.section	.text._ZL13mul_mat_vec_qIfLi32ELi8E10block_q8_0Li2EXadL_ZL17vec_dot_q8_0_q8_1PKvPK10block_q8_1RKiEEEvS2_S2_PT_iii,"axG",@progbits,_ZL13mul_mat_vec_qIfLi32ELi8E10block_q8_0Li2EXadL_ZL17vec_dot_q8_0_q8_1PKvPK10block_q8_1RKiEEEvS2_S2_PT_iii,comdat
	.globl	_ZL13mul_mat_vec_qIfLi32ELi8E10block_q8_0Li2EXadL_ZL17vec_dot_q8_0_q8_1PKvPK10block_q8_1RKiEEEvS2_S2_PT_iii ; -- Begin function _ZL13mul_mat_vec_qIfLi32ELi8E10block_q8_0Li2EXadL_ZL17vec_dot_q8_0_q8_1PKvPK10block_q8_1RKiEEEvS2_S2_PT_iii
	.p2align	8
	.type	_ZL13mul_mat_vec_qIfLi32ELi8E10block_q8_0Li2EXadL_ZL17vec_dot_q8_0_q8_1PKvPK10block_q8_1RKiEEEvS2_S2_PT_iii,@function
_ZL13mul_mat_vec_qIfLi32ELi8E10block_q8_0Li2EXadL_ZL17vec_dot_q8_0_q8_1PKvPK10block_q8_1RKiEEEvS2_S2_PT_iii: ; @_ZL13mul_mat_vec_qIfLi32ELi8E10block_q8_0Li2EXadL_ZL17vec_dot_q8_0_q8_1PKvPK10block_q8_1RKiEEEvS2_S2_PT_iii
; %bb.0:
	s_clause 0x1
	s_load_u16 s2, s[0:1], 0x36
	s_load_b96 s[4:6], s[0:1], 0x18
	v_bfe_u32 v1, v0, 10, 10
	s_wait_kmcnt 0x0
	s_delay_alu instid0(VALU_DEP_1)
	v_mad_co_u64_u32 v[1:2], null, ttmp9, s2, v[1:2]
	s_cmp_lt_u32 ttmp7, s6
	s_cselect_b32 s2, -1, 0
	v_cmp_gt_u32_e32 vcc_lo, s5, v1
	s_wait_alu 0xfffe
	s_and_b32 s2, s2, vcc_lo
	s_wait_alu 0xfffe
	s_and_saveexec_b32 s3, s2
	s_cbranch_execz .LBB62_7
; %bb.1:
	s_load_b64 s[6:7], s[0:1], 0x10
	s_ashr_i32 s2, s4, 31
	v_bfe_u32 v3, v0, 2, 8
	s_wait_alu 0xfffe
	s_lshr_b32 s2, s2, 27
	v_and_b32_e32 v0, 0x3ff, v0
	v_mov_b32_e32 v2, 0
	s_wait_alu 0xfffe
	s_add_co_i32 s2, s4, s2
	s_mov_b32 s8, exec_lo
	s_wait_alu 0xfffe
	s_ashr_i32 s9, s2, 5
	s_delay_alu instid0(SALU_CYCLE_1)
	v_cmpx_gt_u32_e64 s9, v3
	s_cbranch_execz .LBB62_5
; %bb.2:
	s_load_b128 s[0:3], s[0:1], 0x0
	s_addk_co_i32 s4, 0x1ff
	v_lshlrev_b32_e32 v2, 3, v0
	s_wait_alu 0xfffe
	s_ashr_i32 s10, s4, 31
	v_mul_lo_u32 v4, v1, s9
	s_lshr_b32 s10, s10, 23
	s_delay_alu instid0(SALU_CYCLE_1)
	s_add_co_i32 s4, s4, s10
	v_dual_mov_b32 v2, 0 :: v_dual_and_b32 v5, 24, v2
	s_wait_alu 0xfffe
	s_ashr_i32 s4, s4, 9
	s_mov_b32 s10, 0
	s_wait_alu 0xfffe
	s_mul_i32 s4, ttmp7, s4
	s_wait_alu 0xfffe
	s_lshl_b32 s4, s4, 4
.LBB62_3:                               ; =>This Inner Loop Header: Depth=1
	s_wait_alu 0xfffe
	v_add_nc_u32_e32 v6, s4, v3
	v_add_nc_u32_e32 v8, v4, v3
	s_wait_kmcnt 0x0
	s_delay_alu instid0(VALU_DEP_2) | instskip(NEXT) | instid1(VALU_DEP_2)
	v_mad_co_i64_i32 v[6:7], null, v6, 36, s[2:3]
	v_mad_co_i64_i32 v[8:9], null, v8, 34, s[0:1]
	s_delay_alu instid0(VALU_DEP_2) | instskip(SKIP_1) | instid1(VALU_DEP_3)
	v_add_co_u32 v10, vcc_lo, v6, v5
	s_wait_alu 0xfffd
	v_add_co_ci_u32_e64 v11, null, 0, v7, vcc_lo
	s_delay_alu instid0(VALU_DEP_3) | instskip(SKIP_1) | instid1(VALU_DEP_4)
	v_add_co_u32 v12, vcc_lo, v8, v5
	s_wait_alu 0xfffd
	v_add_co_ci_u32_e64 v13, null, 0, v9, vcc_lo
	global_load_b64 v[10:11], v[10:11], off offset:4
	s_clause 0x2
	global_load_b32 v14, v[12:13], off offset:2
	global_load_b32 v12, v[12:13], off offset:6
	global_load_u16 v8, v[8:9], off
	global_load_b32 v6, v[6:7], off
	s_wait_loadcnt 0x4
	v_lshrrev_b16 v7, 8, v10
	s_wait_loadcnt 0x3
	v_lshrrev_b16 v9, 8, v14
	v_bfe_i32 v13, v14, 0, 8
	v_ashrrev_i32_e32 v15, 24, v14
	v_bfe_i32 v14, v14, 16, 8
	v_bfe_i32 v16, v10, 0, 8
	v_ashrrev_i32_e32 v17, 24, v10
	v_bfe_i32 v10, v10, 16, 8
	s_wait_loadcnt 0x2
	v_bfe_i32 v18, v12, 0, 8
	v_bfe_i32 v20, v12, 8, 8
	;; [unrolled: 1-line block ×4, first 2 shown]
	v_ashrrev_i32_e32 v12, 24, v12
	v_ashrrev_i32_e32 v23, 24, v11
	v_bfe_i32 v9, v9, 0, 8
	v_bfe_i32 v7, v7, 0, 8
	v_mul_i32_i24_e32 v10, v10, v14
	v_mul_i32_i24_e32 v14, v17, v15
	v_bfe_i32 v19, v11, 0, 8
	v_bfe_i32 v11, v11, 16, 8
	v_mul_i32_i24_e32 v15, v21, v20
	v_mul_i32_i24_e32 v12, v23, v12
	v_mad_i32_i24 v10, v16, v13, v10
	v_mad_i32_i24 v7, v7, v9, v14
	v_mul_i32_i24_e32 v9, v11, v22
	v_mad_i32_i24 v11, v19, v18, v15
	s_wait_loadcnt 0x1
	v_cvt_f32_f16_e32 v8, v8
	s_wait_loadcnt 0x0
	v_cvt_f32_f16_e32 v6, v6
	v_add3_u32 v7, v10, v7, v12
	s_delay_alu instid0(VALU_DEP_2) | instskip(NEXT) | instid1(VALU_DEP_2)
	v_dual_mul_f32 v6, v8, v6 :: v_dual_add_nc_u32 v3, 8, v3
	v_add3_u32 v7, v7, v11, v9
	s_delay_alu instid0(VALU_DEP_2) | instskip(NEXT) | instid1(VALU_DEP_2)
	v_cmp_le_u32_e32 vcc_lo, s9, v3
	v_cvt_f32_i32_e32 v7, v7
	s_or_b32 s10, vcc_lo, s10
	s_delay_alu instid0(VALU_DEP_1)
	v_fmac_f32_e32 v2, v6, v7
	s_and_not1_b32 exec_lo, exec_lo, s10
	s_cbranch_execnz .LBB62_3
; %bb.4:
	s_or_b32 exec_lo, exec_lo, s10
.LBB62_5:
	s_delay_alu instid0(SALU_CYCLE_1) | instskip(SKIP_1) | instid1(VALU_DEP_1)
	s_or_b32 exec_lo, exec_lo, s8
	v_mbcnt_lo_u32_b32 v3, -1, 0
	v_xor_b32_e32 v4, 16, v3
	v_xor_b32_e32 v5, 8, v3
	s_delay_alu instid0(VALU_DEP_2) | instskip(SKIP_2) | instid1(VALU_DEP_3)
	v_cmp_gt_i32_e32 vcc_lo, 32, v4
	s_wait_alu 0xfffd
	v_cndmask_b32_e32 v4, v3, v4, vcc_lo
	v_cmp_gt_i32_e32 vcc_lo, 32, v5
	s_wait_alu 0xfffd
	v_cndmask_b32_e32 v5, v3, v5, vcc_lo
	s_delay_alu instid0(VALU_DEP_1)
	v_lshlrev_b32_e32 v5, 2, v5
	v_lshlrev_b32_e32 v4, 2, v4
	ds_bpermute_b32 v4, v4, v2
	s_wait_dscnt 0x0
	v_add_f32_e32 v2, v2, v4
	ds_bpermute_b32 v4, v5, v2
	v_xor_b32_e32 v5, 4, v3
	s_delay_alu instid0(VALU_DEP_1) | instskip(SKIP_3) | instid1(VALU_DEP_1)
	v_cmp_gt_i32_e32 vcc_lo, 32, v5
	s_wait_alu 0xfffd
	v_cndmask_b32_e32 v5, v3, v5, vcc_lo
	s_wait_dscnt 0x0
	v_dual_add_f32 v2, v2, v4 :: v_dual_lshlrev_b32 v5, 2, v5
	ds_bpermute_b32 v4, v5, v2
	v_xor_b32_e32 v5, 2, v3
	s_delay_alu instid0(VALU_DEP_1) | instskip(SKIP_3) | instid1(VALU_DEP_1)
	v_cmp_gt_i32_e32 vcc_lo, 32, v5
	s_wait_dscnt 0x0
	s_wait_alu 0xfffd
	v_dual_cndmask_b32 v5, v3, v5 :: v_dual_add_f32 v2, v2, v4
	v_lshlrev_b32_e32 v5, 2, v5
	ds_bpermute_b32 v4, v5, v2
	v_xor_b32_e32 v5, 1, v3
	s_delay_alu instid0(VALU_DEP_1) | instskip(SKIP_4) | instid1(VALU_DEP_2)
	v_cmp_gt_i32_e32 vcc_lo, 32, v5
	s_wait_alu 0xfffd
	v_cndmask_b32_e32 v3, v3, v5, vcc_lo
	v_cmp_eq_u32_e32 vcc_lo, 0, v0
	s_wait_dscnt 0x0
	v_dual_add_f32 v2, v2, v4 :: v_dual_lshlrev_b32 v3, 2, v3
	ds_bpermute_b32 v3, v3, v2
	s_and_b32 exec_lo, exec_lo, vcc_lo
	s_cbranch_execz .LBB62_7
; %bb.6:
	v_mad_co_u64_u32 v[0:1], null, s5, ttmp7, v[1:2]
	s_wait_dscnt 0x0
	v_dual_mov_b32 v1, 0 :: v_dual_add_f32 v2, v2, v3
	s_delay_alu instid0(VALU_DEP_1) | instskip(SKIP_1) | instid1(VALU_DEP_1)
	v_lshlrev_b64_e32 v[0:1], 2, v[0:1]
	s_wait_kmcnt 0x0
	v_add_co_u32 v0, vcc_lo, s6, v0
	s_wait_alu 0xfffd
	s_delay_alu instid0(VALU_DEP_2)
	v_add_co_ci_u32_e64 v1, null, s7, v1, vcc_lo
	global_store_b32 v[0:1], v2, off
.LBB62_7:
	s_endpgm
	.section	.rodata,"a",@progbits
	.p2align	6, 0x0
	.amdhsa_kernel _ZL13mul_mat_vec_qIfLi32ELi8E10block_q8_0Li2EXadL_ZL17vec_dot_q8_0_q8_1PKvPK10block_q8_1RKiEEEvS2_S2_PT_iii
		.amdhsa_group_segment_fixed_size 0
		.amdhsa_private_segment_fixed_size 0
		.amdhsa_kernarg_size 296
		.amdhsa_user_sgpr_count 2
		.amdhsa_user_sgpr_dispatch_ptr 0
		.amdhsa_user_sgpr_queue_ptr 0
		.amdhsa_user_sgpr_kernarg_segment_ptr 1
		.amdhsa_user_sgpr_dispatch_id 0
		.amdhsa_user_sgpr_private_segment_size 0
		.amdhsa_wavefront_size32 1
		.amdhsa_uses_dynamic_stack 0
		.amdhsa_enable_private_segment 0
		.amdhsa_system_sgpr_workgroup_id_x 1
		.amdhsa_system_sgpr_workgroup_id_y 1
		.amdhsa_system_sgpr_workgroup_id_z 0
		.amdhsa_system_sgpr_workgroup_info 0
		.amdhsa_system_vgpr_workitem_id 1
		.amdhsa_next_free_vgpr 24
		.amdhsa_next_free_sgpr 11
		.amdhsa_reserve_vcc 1
		.amdhsa_float_round_mode_32 0
		.amdhsa_float_round_mode_16_64 0
		.amdhsa_float_denorm_mode_32 3
		.amdhsa_float_denorm_mode_16_64 3
		.amdhsa_fp16_overflow 0
		.amdhsa_workgroup_processor_mode 1
		.amdhsa_memory_ordered 1
		.amdhsa_forward_progress 1
		.amdhsa_inst_pref_size 8
		.amdhsa_round_robin_scheduling 0
		.amdhsa_exception_fp_ieee_invalid_op 0
		.amdhsa_exception_fp_denorm_src 0
		.amdhsa_exception_fp_ieee_div_zero 0
		.amdhsa_exception_fp_ieee_overflow 0
		.amdhsa_exception_fp_ieee_underflow 0
		.amdhsa_exception_fp_ieee_inexact 0
		.amdhsa_exception_int_div_zero 0
	.end_amdhsa_kernel
	.section	.text._ZL13mul_mat_vec_qIfLi32ELi8E10block_q8_0Li2EXadL_ZL17vec_dot_q8_0_q8_1PKvPK10block_q8_1RKiEEEvS2_S2_PT_iii,"axG",@progbits,_ZL13mul_mat_vec_qIfLi32ELi8E10block_q8_0Li2EXadL_ZL17vec_dot_q8_0_q8_1PKvPK10block_q8_1RKiEEEvS2_S2_PT_iii,comdat
.Lfunc_end62:
	.size	_ZL13mul_mat_vec_qIfLi32ELi8E10block_q8_0Li2EXadL_ZL17vec_dot_q8_0_q8_1PKvPK10block_q8_1RKiEEEvS2_S2_PT_iii, .Lfunc_end62-_ZL13mul_mat_vec_qIfLi32ELi8E10block_q8_0Li2EXadL_ZL17vec_dot_q8_0_q8_1PKvPK10block_q8_1RKiEEEvS2_S2_PT_iii
                                        ; -- End function
	.set _ZL13mul_mat_vec_qIfLi32ELi8E10block_q8_0Li2EXadL_ZL17vec_dot_q8_0_q8_1PKvPK10block_q8_1RKiEEEvS2_S2_PT_iii.num_vgpr, 24
	.set _ZL13mul_mat_vec_qIfLi32ELi8E10block_q8_0Li2EXadL_ZL17vec_dot_q8_0_q8_1PKvPK10block_q8_1RKiEEEvS2_S2_PT_iii.num_agpr, 0
	.set _ZL13mul_mat_vec_qIfLi32ELi8E10block_q8_0Li2EXadL_ZL17vec_dot_q8_0_q8_1PKvPK10block_q8_1RKiEEEvS2_S2_PT_iii.numbered_sgpr, 11
	.set _ZL13mul_mat_vec_qIfLi32ELi8E10block_q8_0Li2EXadL_ZL17vec_dot_q8_0_q8_1PKvPK10block_q8_1RKiEEEvS2_S2_PT_iii.num_named_barrier, 0
	.set _ZL13mul_mat_vec_qIfLi32ELi8E10block_q8_0Li2EXadL_ZL17vec_dot_q8_0_q8_1PKvPK10block_q8_1RKiEEEvS2_S2_PT_iii.private_seg_size, 0
	.set _ZL13mul_mat_vec_qIfLi32ELi8E10block_q8_0Li2EXadL_ZL17vec_dot_q8_0_q8_1PKvPK10block_q8_1RKiEEEvS2_S2_PT_iii.uses_vcc, 1
	.set _ZL13mul_mat_vec_qIfLi32ELi8E10block_q8_0Li2EXadL_ZL17vec_dot_q8_0_q8_1PKvPK10block_q8_1RKiEEEvS2_S2_PT_iii.uses_flat_scratch, 0
	.set _ZL13mul_mat_vec_qIfLi32ELi8E10block_q8_0Li2EXadL_ZL17vec_dot_q8_0_q8_1PKvPK10block_q8_1RKiEEEvS2_S2_PT_iii.has_dyn_sized_stack, 0
	.set _ZL13mul_mat_vec_qIfLi32ELi8E10block_q8_0Li2EXadL_ZL17vec_dot_q8_0_q8_1PKvPK10block_q8_1RKiEEEvS2_S2_PT_iii.has_recursion, 0
	.set _ZL13mul_mat_vec_qIfLi32ELi8E10block_q8_0Li2EXadL_ZL17vec_dot_q8_0_q8_1PKvPK10block_q8_1RKiEEEvS2_S2_PT_iii.has_indirect_call, 0
	.section	.AMDGPU.csdata,"",@progbits
; Kernel info:
; codeLenInByte = 936
; TotalNumSgprs: 13
; NumVgprs: 24
; ScratchSize: 0
; MemoryBound: 0
; FloatMode: 240
; IeeeMode: 1
; LDSByteSize: 0 bytes/workgroup (compile time only)
; SGPRBlocks: 0
; VGPRBlocks: 2
; NumSGPRsForWavesPerEU: 13
; NumVGPRsForWavesPerEU: 24
; Occupancy: 16
; WaveLimiterHint : 0
; COMPUTE_PGM_RSRC2:SCRATCH_EN: 0
; COMPUTE_PGM_RSRC2:USER_SGPR: 2
; COMPUTE_PGM_RSRC2:TRAP_HANDLER: 0
; COMPUTE_PGM_RSRC2:TGID_X_EN: 1
; COMPUTE_PGM_RSRC2:TGID_Y_EN: 1
; COMPUTE_PGM_RSRC2:TGID_Z_EN: 0
; COMPUTE_PGM_RSRC2:TIDIG_COMP_CNT: 1
	.section	.text._ZL13mul_mat_vec_qIfLi256ELi16E10block_q2_KLi1EXadL_ZL17vec_dot_q2_K_q8_1PKvPK10block_q8_1RKiEEEvS2_S2_PT_iii,"axG",@progbits,_ZL13mul_mat_vec_qIfLi256ELi16E10block_q2_KLi1EXadL_ZL17vec_dot_q2_K_q8_1PKvPK10block_q8_1RKiEEEvS2_S2_PT_iii,comdat
	.globl	_ZL13mul_mat_vec_qIfLi256ELi16E10block_q2_KLi1EXadL_ZL17vec_dot_q2_K_q8_1PKvPK10block_q8_1RKiEEEvS2_S2_PT_iii ; -- Begin function _ZL13mul_mat_vec_qIfLi256ELi16E10block_q2_KLi1EXadL_ZL17vec_dot_q2_K_q8_1PKvPK10block_q8_1RKiEEEvS2_S2_PT_iii
	.p2align	8
	.type	_ZL13mul_mat_vec_qIfLi256ELi16E10block_q2_KLi1EXadL_ZL17vec_dot_q2_K_q8_1PKvPK10block_q8_1RKiEEEvS2_S2_PT_iii,@function
_ZL13mul_mat_vec_qIfLi256ELi16E10block_q2_KLi1EXadL_ZL17vec_dot_q2_K_q8_1PKvPK10block_q8_1RKiEEEvS2_S2_PT_iii: ; @_ZL13mul_mat_vec_qIfLi256ELi16E10block_q2_KLi1EXadL_ZL17vec_dot_q2_K_q8_1PKvPK10block_q8_1RKiEEEvS2_S2_PT_iii
; %bb.0:
	s_clause 0x1
	s_load_u16 s2, s[0:1], 0x36
	s_load_b96 s[4:6], s[0:1], 0x18
	v_bfe_u32 v1, v0, 10, 10
	s_wait_kmcnt 0x0
	s_delay_alu instid0(VALU_DEP_1)
	v_mad_co_u64_u32 v[1:2], null, ttmp9, s2, v[1:2]
	s_cmp_lt_u32 ttmp7, s6
	s_cselect_b32 s2, -1, 0
	v_cmp_gt_u32_e32 vcc_lo, s5, v1
	s_wait_alu 0xfffe
	s_and_b32 s2, s2, vcc_lo
	s_wait_alu 0xfffe
	s_and_saveexec_b32 s3, s2
	s_cbranch_execz .LBB63_7
; %bb.1:
	s_load_b64 s[6:7], s[0:1], 0x10
	s_ashr_i32 s2, s4, 31
	v_bfe_u32 v8, v0, 4, 6
	s_wait_alu 0xfffe
	s_lshr_b32 s2, s2, 24
	v_dual_mov_b32 v3, 0 :: v_dual_and_b32 v0, 0x3ff, v0
	s_wait_alu 0xfffe
	s_add_co_i32 s2, s4, s2
	s_mov_b32 s8, exec_lo
	s_wait_alu 0xfffe
	s_ashr_i32 s9, s2, 8
	s_delay_alu instid0(SALU_CYCLE_1)
	v_cmpx_gt_u32_e64 s9, v8
	s_cbranch_execz .LBB63_5
; %bb.2:
	v_and_b32_e32 v3, 15, v0
	s_load_b128 s[0:3], s[0:1], 0x0
	v_lshrrev_b32_e32 v4, 1, v0
	s_addk_co_i32 s4, 0x1ff
	v_lshlrev_b32_e32 v12, 3, v8
	v_sub_co_u32 v2, vcc_lo, v3, 8
	s_wait_alu 0xfffe
	s_ashr_i32 s10, s4, 31
	v_lshlrev_b32_e32 v10, 2, v3
	s_lshr_b32 s10, s10, 23
	v_cndmask_b32_e32 v2, v2, v3, vcc_lo
	v_and_b32_e32 v4, 4, v4
	s_add_co_i32 s4, s4, s10
	v_mul_lo_u32 v9, v1, s9
	s_wait_alu 0xfffe
	s_ashr_i32 s4, s4, 9
	v_sub_nc_u32_e32 v5, v3, v2
	v_mov_b32_e32 v3, 0
	v_cmp_lt_u32_e32 vcc_lo, 3, v2
	s_wait_alu 0xfffe
	s_mul_i32 s4, ttmp7, s4
	s_wait_alu 0xfffe
	v_lshl_add_u32 v12, s4, 4, v12
	v_lshlrev_b64_e32 v[6:7], 2, v[2:3]
	s_wait_alu 0xfffd
	v_add_co_ci_u32_e64 v11, null, 0, v5, vcc_lo
	s_wait_kmcnt 0x0
	v_mad_co_u64_u32 v[4:5], null, v4, 36, s[2:3]
	s_mov_b32 s2, 0
	v_ashrrev_i32_e32 v2, 31, v11
.LBB63_3:                               ; =>This Inner Loop Header: Depth=1
	v_add_nc_u32_e32 v15, v9, v8
	v_mad_co_i64_i32 v[13:14], null, v12, 36, v[4:5]
	v_add_nc_u32_e32 v8, 2, v8
	v_add_nc_u32_e32 v12, 16, v12
	s_delay_alu instid0(VALU_DEP_4) | instskip(NEXT) | instid1(VALU_DEP_4)
	v_mad_co_i64_i32 v[15:16], null, 0x54, v15, s[0:1]
	v_add_co_u32 v17, vcc_lo, v13, v6
	s_wait_alu 0xfffd
	v_add_co_ci_u32_e64 v18, null, v14, v7, vcc_lo
	s_clause 0x6
	global_load_b32 v21, v[13:14], off
	global_load_b32 v22, v[13:14], off offset:36
	global_load_b32 v23, v[13:14], off offset:72
	;; [unrolled: 1-line block ×6, first 2 shown]
	v_add_co_u32 v17, vcc_lo, v15, v10
	s_wait_alu 0xfffd
	v_add_co_ci_u32_e64 v18, null, 0, v16, vcc_lo
	v_add_co_u32 v19, vcc_lo, v15, v11
	s_wait_alu 0xfffd
	v_add_co_ci_u32_e64 v20, null, v16, v2, vcc_lo
	s_clause 0x5
	global_load_b32 v17, v[17:18], off offset:16
	global_load_u8 v18, v[19:20], off
	global_load_u8 v28, v[19:20], off offset:2
	global_load_u8 v29, v[19:20], off offset:4
	;; [unrolled: 1-line block ×3, first 2 shown]
	global_load_b32 v15, v[15:16], off offset:80
	global_load_b32 v13, v[13:14], off offset:108
	v_cmp_le_u32_e32 vcc_lo, s9, v8
	s_wait_alu 0xfffe
	s_or_b32 s2, vcc_lo, s2
	s_wait_loadcnt 0xa
	v_lshrrev_b16 v14, 8, v24
	v_ashrrev_i32_e32 v16, 24, v24
	v_bfe_i32 v20, v24, 16, 8
	v_bfe_i32 v24, v24, 0, 8
	s_wait_loadcnt 0x9
	v_bfe_i32 v30, v25, 0, 8
	s_wait_loadcnt 0x8
	v_lshlrev_b32_e32 v36, 16, v26
	v_lshlrev_b32_e32 v38, 8, v26
	;; [unrolled: 1-line block ×3, first 2 shown]
	s_wait_loadcnt 0x6
	v_and_b32_e32 v45, 3, v17
	s_wait_loadcnt 0x5
	v_and_b32_e32 v49, 15, v18
	v_lshrrev_b32_e32 v18, 4, v18
	v_bfe_u32 v50, v17, 2, 2
	s_wait_loadcnt 0x4
	v_and_b32_e32 v54, 15, v28
	v_lshrrev_b32_e32 v28, 4, v28
	v_bfe_i32 v32, v25, 8, 8
	v_mul_lo_u32 v18, 0x1010101, v18
	v_lshlrev_b32_e32 v33, 8, v25
	v_bfe_i32 v34, v25, 16, 8
	v_ashrrev_i32_e32 v25, 24, v25
	v_bfe_i32 v44, v27, 16, 8
	v_bfe_u32 v46, v17, 8, 2
	v_bfe_i32 v14, v14, 0, 8
	v_bfe_u32 v51, v17, 10, 2
	v_bfe_u32 v52, v17, 18, 2
	;; [unrolled: 1-line block ×3, first 2 shown]
	v_perm_b32 v36, v38, v36, 0xc0c0703
	v_bfe_u32 v38, v17, 22, 2
	v_mul_i32_i24_e32 v45, v24, v45
	v_mul_i32_i24_e32 v50, v30, v50
	s_wait_loadcnt 0x3
	v_and_b32_e32 v58, 15, v29
	v_lshrrev_b32_e32 v29, 4, v29
	v_mul_lo_u32 v28, 0x1010101, v28
	v_bfe_i32 v35, v26, 0, 8
	v_bfe_i32 v37, v26, 8, 8
	;; [unrolled: 1-line block ×3, first 2 shown]
	v_ashrrev_i32_e32 v26, 24, v26
	v_bfe_u32 v48, v17, 24, 2
	v_bfe_u32 v57, v17, 28, 2
	v_mul_i32_i24_e32 v34, v34, v52
	v_mul_i32_i24_e32 v52, v25, v53
	;; [unrolled: 1-line block ×3, first 2 shown]
	v_mad_i32_i24 v44, v14, v46, v45
	v_mad_i32_i24 v32, v32, v51, v50
	v_lshrrev_b32_e32 v45, 24, v18
	v_lshrrev_b16 v46, 8, v18
	v_bfe_u32 v47, v17, 16, 2
	s_wait_loadcnt 0x2
	v_and_b32_e32 v61, 15, v19
	v_lshrrev_b32_e32 v19, 4, v19
	v_mul_lo_u32 v29, 0x1010101, v29
	v_perm_b32 v31, v33, v31, 0xc0c0703
	v_bfe_u32 v33, v17, 4, 2
	v_bfe_u32 v55, v17, 12, 2
	v_mul_i32_i24_e32 v48, v16, v48
	v_mul_i32_i24_e32 v53, v26, v57
	v_bfe_i32 v50, v18, 16, 8
	v_bfe_i32 v18, v18, 0, 8
	;; [unrolled: 1-line block ×3, first 2 shown]
	v_add3_u32 v32, v32, v34, v52
	v_bfe_i32 v34, v46, 0, 8
	v_mul_i32_i24_e32 v16, v45, v16
	v_bfe_u32 v56, v17, 20, 2
	v_mul_i32_i24_e32 v47, v20, v47
	v_mul_lo_u32 v19, 0x1010101, v19
	v_bfe_i32 v40, v27, 0, 8
	v_lshlrev_b32_e32 v41, 16, v27
	v_bfe_i32 v42, v27, 8, 8
	v_lshlrev_b32_e32 v43, 8, v27
	v_ashrrev_i32_e32 v27, 24, v27
	v_bfe_u32 v59, v17, 6, 2
	v_bfe_u32 v60, v17, 14, 2
	v_lshrrev_b32_e32 v17, 30, v17
	v_mul_i32_i24_e32 v37, v37, v55
	v_mad_i32_i24 v33, v35, v33, v53
	v_lshrrev_b32_e32 v53, 24, v28
	v_perm_b32 v28, v28, v28, 0xc0c0201
	v_bfe_i32 v55, v29, 0, 8
	v_mul_i32_i24_e32 v18, v18, v24
	v_mul_i32_i24_e32 v20, v50, v20
	;; [unrolled: 1-line block ×3, first 2 shown]
	v_mad_i32_i24 v14, v34, v14, v16
	v_mul_i32_i24_e32 v39, v39, v56
	v_add3_u32 v44, v44, v47, v48
	v_mul_i32_i24_e32 v17, v27, v17
	v_lshrrev_b32_e32 v56, 24, v29
	v_perm_b32 v29, v29, v29, 0xc0c0201
	v_bfe_i32 v57, v19, 0, 8
	v_mul_i32_i24_e32 v30, v35, v55
	v_dot4_i32_iu8 v24, v31, v28, v24 neg_lo:[1,1,0]
	v_add3_u32 v14, v18, v20, v14
	v_add3_u32 v33, v33, v37, v39
	v_mul_lo_u32 v37, v49, v44
	v_perm_b32 v41, v43, v41, 0xc0c0703
	v_mad_i32_i24 v17, v40, v59, v17
	v_lshrrev_b32_e32 v59, 24, v19
	v_perm_b32 v19, v19, v19, 0xc0c0201
	v_mul_i32_i24_e32 v35, v40, v57
	v_dot4_i32_iu8 v28, v36, v29, v30 neg_lo:[1,1,0]
	v_mad_i32_i24 v20, v25, v53, v24
	v_cvt_f32_i32_e32 v14, v14
	v_mul_i32_i24_e32 v42, v42, v60
	v_mul_lo_u32 v32, v54, v32
	v_dot4_i32_iu8 v18, v41, v19, v35 neg_lo:[1,1,0]
	v_cvt_f32_i32_e32 v19, v37
	v_mad_i32_i24 v25, v26, v56, v28
	v_cvt_f32_i32_e32 v20, v20
	v_fma_mix_f32 v14, v21, v14, 0 op_sel_hi:[1,0,0]
	v_add3_u32 v17, v17, v42, v38
	v_mul_lo_u32 v16, v58, v33
	v_cvt_f32_i32_e32 v24, v32
	v_mad_i32_i24 v18, v27, v59, v18
	v_fma_mix_f32 v19, v21, v19, 0 op_sel_hi:[1,0,0]
	v_cvt_f32_i32_e32 v21, v25
	v_fma_mix_f32 v14, v22, v20, v14 op_sel_hi:[1,0,0]
	v_mul_lo_u32 v17, v61, v17
	s_wait_loadcnt 0x1
	v_lshrrev_b32_e32 v43, 16, v15
	v_cvt_f32_i32_e32 v16, v16
	v_cvt_f32_i32_e32 v18, v18
	v_fma_mix_f32 v19, v22, v24, v19 op_sel_hi:[1,0,0]
	v_fma_mix_f32 v14, v23, v21, v14 op_sel_hi:[1,0,0]
	v_cvt_f32_f16_e32 v20, v43
	v_cvt_f32_i32_e32 v17, v17
	s_delay_alu instid0(VALU_DEP_4) | instskip(SKIP_2) | instid1(VALU_DEP_2)
	v_fma_mix_f32 v16, v23, v16, v19 op_sel_hi:[1,0,0]
	s_wait_loadcnt 0x0
	v_fma_mix_f32 v14, v13, v18, v14 op_sel_hi:[1,0,0]
	v_fma_mix_f32 v13, v13, v17, v16 op_sel_hi:[1,0,0]
	s_delay_alu instid0(VALU_DEP_2) | instskip(NEXT) | instid1(VALU_DEP_1)
	v_mul_f32_e32 v14, v14, v20
	v_fma_mix_f32 v13, v13, v15, -v14 op_sel_hi:[0,1,0]
	s_delay_alu instid0(VALU_DEP_1)
	v_add_f32_e32 v3, v3, v13
	s_wait_alu 0xfffe
	s_and_not1_b32 exec_lo, exec_lo, s2
	s_cbranch_execnz .LBB63_3
; %bb.4:
	s_or_b32 exec_lo, exec_lo, s2
.LBB63_5:
	s_delay_alu instid0(SALU_CYCLE_1) | instskip(SKIP_1) | instid1(VALU_DEP_1)
	s_or_b32 exec_lo, exec_lo, s8
	v_mbcnt_lo_u32_b32 v2, -1, 0
	v_xor_b32_e32 v4, 16, v2
	v_xor_b32_e32 v5, 8, v2
	s_delay_alu instid0(VALU_DEP_2) | instskip(SKIP_2) | instid1(VALU_DEP_3)
	v_cmp_gt_i32_e32 vcc_lo, 32, v4
	s_wait_alu 0xfffd
	v_cndmask_b32_e32 v4, v2, v4, vcc_lo
	v_cmp_gt_i32_e32 vcc_lo, 32, v5
	s_wait_alu 0xfffd
	v_cndmask_b32_e32 v5, v2, v5, vcc_lo
	s_delay_alu instid0(VALU_DEP_1)
	v_lshlrev_b32_e32 v5, 2, v5
	v_lshlrev_b32_e32 v4, 2, v4
	ds_bpermute_b32 v4, v4, v3
	s_wait_dscnt 0x0
	v_add_f32_e32 v3, v3, v4
	ds_bpermute_b32 v4, v5, v3
	v_xor_b32_e32 v5, 4, v2
	s_delay_alu instid0(VALU_DEP_1) | instskip(SKIP_2) | instid1(VALU_DEP_1)
	v_cmp_gt_i32_e32 vcc_lo, 32, v5
	s_wait_alu 0xfffd
	v_cndmask_b32_e32 v5, v2, v5, vcc_lo
	v_lshlrev_b32_e32 v5, 2, v5
	s_wait_dscnt 0x0
	v_add_f32_e32 v3, v3, v4
	ds_bpermute_b32 v4, v5, v3
	v_xor_b32_e32 v5, 2, v2
	s_delay_alu instid0(VALU_DEP_1) | instskip(SKIP_2) | instid1(VALU_DEP_1)
	v_cmp_gt_i32_e32 vcc_lo, 32, v5
	s_wait_alu 0xfffd
	v_cndmask_b32_e32 v5, v2, v5, vcc_lo
	v_lshlrev_b32_e32 v5, 2, v5
	s_wait_dscnt 0x0
	v_add_f32_e32 v3, v3, v4
	ds_bpermute_b32 v4, v5, v3
	v_xor_b32_e32 v5, 1, v2
	s_delay_alu instid0(VALU_DEP_1) | instskip(SKIP_4) | instid1(VALU_DEP_2)
	v_cmp_gt_i32_e32 vcc_lo, 32, v5
	s_wait_alu 0xfffd
	v_cndmask_b32_e32 v5, v2, v5, vcc_lo
	v_cmp_eq_u32_e32 vcc_lo, 0, v0
	s_wait_dscnt 0x0
	v_dual_add_f32 v2, v3, v4 :: v_dual_lshlrev_b32 v3, 2, v5
	ds_bpermute_b32 v3, v3, v2
	s_and_b32 exec_lo, exec_lo, vcc_lo
	s_cbranch_execz .LBB63_7
; %bb.6:
	v_mad_co_u64_u32 v[0:1], null, s5, ttmp7, v[1:2]
	s_wait_dscnt 0x0
	v_dual_mov_b32 v1, 0 :: v_dual_add_f32 v2, v2, v3
	s_delay_alu instid0(VALU_DEP_1) | instskip(SKIP_1) | instid1(VALU_DEP_1)
	v_lshlrev_b64_e32 v[0:1], 2, v[0:1]
	s_wait_kmcnt 0x0
	v_add_co_u32 v0, vcc_lo, s6, v0
	s_wait_alu 0xfffd
	s_delay_alu instid0(VALU_DEP_2)
	v_add_co_ci_u32_e64 v1, null, s7, v1, vcc_lo
	global_store_b32 v[0:1], v2, off
.LBB63_7:
	s_endpgm
	.section	.rodata,"a",@progbits
	.p2align	6, 0x0
	.amdhsa_kernel _ZL13mul_mat_vec_qIfLi256ELi16E10block_q2_KLi1EXadL_ZL17vec_dot_q2_K_q8_1PKvPK10block_q8_1RKiEEEvS2_S2_PT_iii
		.amdhsa_group_segment_fixed_size 0
		.amdhsa_private_segment_fixed_size 0
		.amdhsa_kernarg_size 296
		.amdhsa_user_sgpr_count 2
		.amdhsa_user_sgpr_dispatch_ptr 0
		.amdhsa_user_sgpr_queue_ptr 0
		.amdhsa_user_sgpr_kernarg_segment_ptr 1
		.amdhsa_user_sgpr_dispatch_id 0
		.amdhsa_user_sgpr_private_segment_size 0
		.amdhsa_wavefront_size32 1
		.amdhsa_uses_dynamic_stack 0
		.amdhsa_enable_private_segment 0
		.amdhsa_system_sgpr_workgroup_id_x 1
		.amdhsa_system_sgpr_workgroup_id_y 1
		.amdhsa_system_sgpr_workgroup_id_z 0
		.amdhsa_system_sgpr_workgroup_info 0
		.amdhsa_system_vgpr_workitem_id 1
		.amdhsa_next_free_vgpr 62
		.amdhsa_next_free_sgpr 11
		.amdhsa_reserve_vcc 1
		.amdhsa_float_round_mode_32 0
		.amdhsa_float_round_mode_16_64 0
		.amdhsa_float_denorm_mode_32 3
		.amdhsa_float_denorm_mode_16_64 3
		.amdhsa_fp16_overflow 0
		.amdhsa_workgroup_processor_mode 1
		.amdhsa_memory_ordered 1
		.amdhsa_forward_progress 1
		.amdhsa_inst_pref_size 14
		.amdhsa_round_robin_scheduling 0
		.amdhsa_exception_fp_ieee_invalid_op 0
		.amdhsa_exception_fp_denorm_src 0
		.amdhsa_exception_fp_ieee_div_zero 0
		.amdhsa_exception_fp_ieee_overflow 0
		.amdhsa_exception_fp_ieee_underflow 0
		.amdhsa_exception_fp_ieee_inexact 0
		.amdhsa_exception_int_div_zero 0
	.end_amdhsa_kernel
	.section	.text._ZL13mul_mat_vec_qIfLi256ELi16E10block_q2_KLi1EXadL_ZL17vec_dot_q2_K_q8_1PKvPK10block_q8_1RKiEEEvS2_S2_PT_iii,"axG",@progbits,_ZL13mul_mat_vec_qIfLi256ELi16E10block_q2_KLi1EXadL_ZL17vec_dot_q2_K_q8_1PKvPK10block_q8_1RKiEEEvS2_S2_PT_iii,comdat
.Lfunc_end63:
	.size	_ZL13mul_mat_vec_qIfLi256ELi16E10block_q2_KLi1EXadL_ZL17vec_dot_q2_K_q8_1PKvPK10block_q8_1RKiEEEvS2_S2_PT_iii, .Lfunc_end63-_ZL13mul_mat_vec_qIfLi256ELi16E10block_q2_KLi1EXadL_ZL17vec_dot_q2_K_q8_1PKvPK10block_q8_1RKiEEEvS2_S2_PT_iii
                                        ; -- End function
	.set _ZL13mul_mat_vec_qIfLi256ELi16E10block_q2_KLi1EXadL_ZL17vec_dot_q2_K_q8_1PKvPK10block_q8_1RKiEEEvS2_S2_PT_iii.num_vgpr, 62
	.set _ZL13mul_mat_vec_qIfLi256ELi16E10block_q2_KLi1EXadL_ZL17vec_dot_q2_K_q8_1PKvPK10block_q8_1RKiEEEvS2_S2_PT_iii.num_agpr, 0
	.set _ZL13mul_mat_vec_qIfLi256ELi16E10block_q2_KLi1EXadL_ZL17vec_dot_q2_K_q8_1PKvPK10block_q8_1RKiEEEvS2_S2_PT_iii.numbered_sgpr, 11
	.set _ZL13mul_mat_vec_qIfLi256ELi16E10block_q2_KLi1EXadL_ZL17vec_dot_q2_K_q8_1PKvPK10block_q8_1RKiEEEvS2_S2_PT_iii.num_named_barrier, 0
	.set _ZL13mul_mat_vec_qIfLi256ELi16E10block_q2_KLi1EXadL_ZL17vec_dot_q2_K_q8_1PKvPK10block_q8_1RKiEEEvS2_S2_PT_iii.private_seg_size, 0
	.set _ZL13mul_mat_vec_qIfLi256ELi16E10block_q2_KLi1EXadL_ZL17vec_dot_q2_K_q8_1PKvPK10block_q8_1RKiEEEvS2_S2_PT_iii.uses_vcc, 1
	.set _ZL13mul_mat_vec_qIfLi256ELi16E10block_q2_KLi1EXadL_ZL17vec_dot_q2_K_q8_1PKvPK10block_q8_1RKiEEEvS2_S2_PT_iii.uses_flat_scratch, 0
	.set _ZL13mul_mat_vec_qIfLi256ELi16E10block_q2_KLi1EXadL_ZL17vec_dot_q2_K_q8_1PKvPK10block_q8_1RKiEEEvS2_S2_PT_iii.has_dyn_sized_stack, 0
	.set _ZL13mul_mat_vec_qIfLi256ELi16E10block_q2_KLi1EXadL_ZL17vec_dot_q2_K_q8_1PKvPK10block_q8_1RKiEEEvS2_S2_PT_iii.has_recursion, 0
	.set _ZL13mul_mat_vec_qIfLi256ELi16E10block_q2_KLi1EXadL_ZL17vec_dot_q2_K_q8_1PKvPK10block_q8_1RKiEEEvS2_S2_PT_iii.has_indirect_call, 0
	.section	.AMDGPU.csdata,"",@progbits
; Kernel info:
; codeLenInByte = 1780
; TotalNumSgprs: 13
; NumVgprs: 62
; ScratchSize: 0
; MemoryBound: 0
; FloatMode: 240
; IeeeMode: 1
; LDSByteSize: 0 bytes/workgroup (compile time only)
; SGPRBlocks: 0
; VGPRBlocks: 7
; NumSGPRsForWavesPerEU: 13
; NumVGPRsForWavesPerEU: 62
; Occupancy: 16
; WaveLimiterHint : 0
; COMPUTE_PGM_RSRC2:SCRATCH_EN: 0
; COMPUTE_PGM_RSRC2:USER_SGPR: 2
; COMPUTE_PGM_RSRC2:TRAP_HANDLER: 0
; COMPUTE_PGM_RSRC2:TGID_X_EN: 1
; COMPUTE_PGM_RSRC2:TGID_Y_EN: 1
; COMPUTE_PGM_RSRC2:TGID_Z_EN: 0
; COMPUTE_PGM_RSRC2:TIDIG_COMP_CNT: 1
	.section	.text._ZL13mul_mat_vec_qIfLi256ELi16E10block_q3_KLi1EXadL_ZL17vec_dot_q3_K_q8_1PKvPK10block_q8_1RKiEEEvS2_S2_PT_iii,"axG",@progbits,_ZL13mul_mat_vec_qIfLi256ELi16E10block_q3_KLi1EXadL_ZL17vec_dot_q3_K_q8_1PKvPK10block_q8_1RKiEEEvS2_S2_PT_iii,comdat
	.globl	_ZL13mul_mat_vec_qIfLi256ELi16E10block_q3_KLi1EXadL_ZL17vec_dot_q3_K_q8_1PKvPK10block_q8_1RKiEEEvS2_S2_PT_iii ; -- Begin function _ZL13mul_mat_vec_qIfLi256ELi16E10block_q3_KLi1EXadL_ZL17vec_dot_q3_K_q8_1PKvPK10block_q8_1RKiEEEvS2_S2_PT_iii
	.p2align	8
	.type	_ZL13mul_mat_vec_qIfLi256ELi16E10block_q3_KLi1EXadL_ZL17vec_dot_q3_K_q8_1PKvPK10block_q8_1RKiEEEvS2_S2_PT_iii,@function
_ZL13mul_mat_vec_qIfLi256ELi16E10block_q3_KLi1EXadL_ZL17vec_dot_q3_K_q8_1PKvPK10block_q8_1RKiEEEvS2_S2_PT_iii: ; @_ZL13mul_mat_vec_qIfLi256ELi16E10block_q3_KLi1EXadL_ZL17vec_dot_q3_K_q8_1PKvPK10block_q8_1RKiEEEvS2_S2_PT_iii
; %bb.0:
	s_clause 0x1
	s_load_u16 s2, s[0:1], 0x36
	s_load_b96 s[4:6], s[0:1], 0x18
	v_bfe_u32 v1, v0, 10, 10
	s_wait_kmcnt 0x0
	s_delay_alu instid0(VALU_DEP_1)
	v_mad_co_u64_u32 v[1:2], null, ttmp9, s2, v[1:2]
	s_cmp_lt_u32 ttmp7, s6
	s_cselect_b32 s2, -1, 0
	v_cmp_gt_u32_e32 vcc_lo, s5, v1
	s_wait_alu 0xfffe
	s_and_b32 s2, s2, vcc_lo
	s_wait_alu 0xfffe
	s_and_saveexec_b32 s3, s2
	s_cbranch_execz .LBB64_7
; %bb.1:
	s_load_b64 s[6:7], s[0:1], 0x10
	s_ashr_i32 s2, s4, 31
	v_bfe_u32 v8, v0, 4, 6
	s_wait_alu 0xfffe
	s_lshr_b32 s2, s2, 24
	v_dual_mov_b32 v3, 0 :: v_dual_and_b32 v0, 0x3ff, v0
	s_wait_alu 0xfffe
	s_add_co_i32 s2, s4, s2
	s_mov_b32 s8, exec_lo
	s_wait_alu 0xfffe
	s_ashr_i32 s9, s2, 8
	s_delay_alu instid0(SALU_CYCLE_1)
	v_cmpx_gt_u32_e64 s9, v8
	s_cbranch_execz .LBB64_5
; %bb.2:
	v_and_b32_e32 v4, 15, v0
	v_lshrrev_b32_e32 v5, 1, v0
	s_load_b128 s[0:3], s[0:1], 0x0
	s_addk_co_i32 s4, 0x1ff
	v_lshlrev_b32_e32 v35, 3, v8
	v_sub_co_u32 v2, vcc_lo, v4, 8
	v_and_b32_e32 v10, 4, v5
	s_wait_alu 0xfffe
	s_ashr_i32 s10, s4, 31
	v_mul_lo_u32 v9, v1, s9
	v_cndmask_b32_e32 v2, v2, v4, vcc_lo
	s_lshr_b32 s10, s10, 23
	s_delay_alu instid0(SALU_CYCLE_1)
	s_add_co_i32 s4, s4, s10
	s_wait_alu 0xfffe
	s_ashr_i32 s4, s4, 9
	v_sub_nc_u32_e32 v3, v4, v2
	v_cmp_lt_u32_e32 vcc_lo, 3, v2
	s_wait_alu 0xfffe
	s_mul_i32 s4, ttmp7, s4
	s_wait_alu 0xfffe
	v_lshl_add_u32 v35, s4, 4, v35
	s_wait_alu 0xfffd
	v_add_co_ci_u32_e64 v20, null, 0, v3, vcc_lo
	v_mov_b32_e32 v3, 0
	v_lshlrev_b32_e32 v11, 2, v4
	s_delay_alu instid0(VALU_DEP_3) | instskip(SKIP_3) | instid1(VALU_DEP_4)
	v_bfe_i32 v6, v20, 0, 8
	v_add_nc_u16 v21, v20, 2
	v_add_nc_u16 v26, v20, 4
	;; [unrolled: 1-line block ×3, first 2 shown]
	v_lshrrev_b16 v4, 7, v6
	s_delay_alu instid0(VALU_DEP_4) | instskip(NEXT) | instid1(VALU_DEP_4)
	v_bfe_i32 v5, v21, 0, 8
	v_bfe_i32 v6, v26, 0, 8
	s_delay_alu instid0(VALU_DEP_4) | instskip(NEXT) | instid1(VALU_DEP_4)
	v_bfe_i32 v27, v28, 0, 8
	v_and_b32_e32 v7, 0xff, v4
	s_delay_alu instid0(VALU_DEP_4) | instskip(NEXT) | instid1(VALU_DEP_2)
	v_lshrrev_b16 v12, 7, v5
	v_lshrrev_b16 v13, 5, v7
	;; [unrolled: 1-line block ×3, first 2 shown]
	s_delay_alu instid0(VALU_DEP_3) | instskip(NEXT) | instid1(VALU_DEP_3)
	v_and_b32_e32 v12, 0xff, v12
	v_add_nc_u16 v13, v20, v13
	s_delay_alu instid0(VALU_DEP_1)
	v_bfe_i32 v15, v13, 0, 8
	v_and_b32_e32 v13, 0xf8, v13
	v_lshlrev_b64_e32 v[4:5], 2, v[2:3]
	v_lshrrev_b16 v2, 7, v6
	s_wait_kmcnt 0x0
	v_mad_co_u64_u32 v[6:7], null, v10, 36, s[2:3]
	v_sub_nc_u16 v13, v20, v13
	s_mov_b32 s2, 0
	v_and_b32_e32 v22, 0xff, v2
	v_add_nc_u16 v2, v20, v14
	v_lshrrev_b16 v14, 5, v12
	v_lshrrev_b16 v12, 6, v12
	s_delay_alu instid0(VALU_DEP_4) | instskip(NEXT) | instid1(VALU_DEP_4)
	v_lshrrev_b16 v24, 5, v22
	v_bfe_i32 v16, v2, 0, 8
	v_and_b32_e32 v2, 0xfc, v2
	s_delay_alu instid0(VALU_DEP_4)
	v_add_nc_u16 v23, v21, v12
	v_add_nc_u16 v14, v21, v14
	v_add_nc_u16 v24, v26, v24
	v_lshrrev_b16 v12, 3, v15
	v_ashrrev_i16 v15, 2, v16
	v_bfe_i32 v19, v23, 0, 8
	v_sub_nc_u16 v16, v20, v2
	v_bfe_i32 v17, v14, 0, 8
	v_and_b32_e32 v14, 0xf8, v14
	v_and_b32_e32 v20, 0xfc, v23
	v_ashrrev_i16 v25, 2, v19
	v_lshrrev_b16 v22, 6, v22
	v_and_b32_e32 v18, 0xff, v12
	v_bfe_i32 v12, v16, 0, 8
	v_lshrrev_b16 v16, 3, v17
	v_bfe_i32 v23, v25, 0, 16
	v_bfe_i32 v25, v24, 0, 8
	v_sub_nc_u16 v17, v21, v14
	v_sub_nc_u16 v21, v21, v20
	v_and_b32_e32 v24, 0xf8, v24
	v_lshlrev_b32_e32 v20, 1, v23
	v_lshrrev_b16 v23, 3, v25
	v_add_nc_u16 v25, v26, v22
	v_lshrrev_b16 v22, 7, v27
	v_sub_nc_u16 v24, v26, v24
	v_bfe_i32 v2, v13, 0, 8
	v_bfe_i32 v15, v15, 0, 16
	v_bfe_i32 v27, v25, 0, 8
	v_and_b32_e32 v29, 0xff, v22
	v_and_b32_e32 v31, 0xfc, v25
	v_lshlrev_b32_e32 v13, 2, v18
	v_and_b32_e32 v18, 0xff, v16
	v_lshrrev_b16 v27, 2, v27
	v_lshrrev_b16 v30, 5, v29
	;; [unrolled: 1-line block ×3, first 2 shown]
	v_sub_nc_u16 v31, v26, v31
	v_bfe_i32 v16, v17, 0, 8
	v_and_b32_e32 v27, 0xff, v27
	v_add_nc_u16 v30, v28, v30
	v_add_nc_u16 v29, v28, v29
	v_bfe_i32 v21, v21, 0, 8
	v_and_b32_e32 v23, 0xff, v23
	v_lshlrev_b32_e32 v26, 1, v27
	v_bfe_i32 v32, v30, 0, 8
	v_and_b32_e32 v30, 0xf8, v30
	v_bfe_i32 v33, v29, 0, 8
	v_and_b32_e32 v29, 0xfc, v29
	v_bfe_i32 v27, v31, 0, 8
	v_lshrrev_b16 v31, 3, v32
	v_sub_nc_u16 v30, v28, v30
	v_lshrrev_b16 v32, 2, v33
	v_sub_nc_u16 v33, v28, v29
	v_bfe_i32 v24, v24, 0, 8
	v_and_b32_e32 v31, 0xff, v31
	v_bfe_i32 v29, v30, 0, 8
	v_and_b32_e32 v34, 0xff, v32
	v_bfe_i32 v30, v33, 0, 8
	v_ashrrev_i32_e32 v14, 31, v2
	v_lshlrev_b32_e32 v15, 1, v15
	v_ashrrev_i32_e32 v17, 31, v12
	v_lshlrev_b32_e32 v18, 2, v18
	v_ashrrev_i32_e32 v19, 31, v16
	v_ashrrev_i32_e32 v22, 31, v21
	v_lshlrev_b32_e32 v23, 2, v23
	v_ashrrev_i32_e32 v25, 31, v24
	;; [unrolled: 3-line block ×3, first 2 shown]
	v_lshlrev_b32_e32 v33, 1, v34
	v_ashrrev_i32_e32 v34, 31, v30
.LBB64_3:                               ; =>This Inner Loop Header: Depth=1
	v_add_nc_u32_e32 v38, v9, v8
	v_mad_co_i64_i32 v[36:37], null, v35, 36, v[6:7]
	v_add_nc_u32_e32 v8, 2, v8
	v_add_nc_u32_e32 v35, 16, v35
	s_delay_alu instid0(VALU_DEP_4) | instskip(NEXT) | instid1(VALU_DEP_4)
	v_mad_co_i64_i32 v[38:39], null, 0x6e, v38, s[0:1]
	v_add_co_u32 v40, vcc_lo, v36, v4
	s_wait_alu 0xfffd
	v_add_co_ci_u32_e64 v41, null, v37, v5, vcc_lo
	s_delay_alu instid0(VALU_DEP_3) | instskip(SKIP_1) | instid1(VALU_DEP_4)
	v_add_co_u32 v42, vcc_lo, v38, v11
	s_wait_alu 0xfffd
	v_add_co_ci_u32_e64 v43, null, 0, v39, vcc_lo
	v_add_co_u32 v44, vcc_lo, v38, v4
	s_wait_alu 0xfffd
	v_add_co_ci_u32_e64 v45, null, v39, v5, vcc_lo
	s_clause 0x3
	global_load_b32 v60, v[40:41], off offset:4
	global_load_b32 v61, v[40:41], off offset:40
	;; [unrolled: 1-line block ×4, first 2 shown]
	v_add_co_u32 v40, vcc_lo, v38, v2
	s_wait_alu 0xfffd
	v_add_co_ci_u32_e64 v41, null, v39, v14, vcc_lo
	v_add_co_u32 v46, vcc_lo, v38, v12
	s_wait_alu 0xfffd
	v_add_co_ci_u32_e64 v47, null, v39, v17, vcc_lo
	;; [unrolled: 3-line block ×8, first 2 shown]
	s_clause 0xa
	global_load_u16 v38, v[38:39], off offset:108
	global_load_b32 v39, v[44:45], off
	global_load_u8 v40, v[40:41], off offset:96
	global_load_u8 v41, v[46:47], off offset:104
	global_load_b32 v42, v[42:43], off offset:32
	global_load_u8 v43, v[48:49], off offset:96
	global_load_u8 v44, v[50:51], off offset:104
	;; [unrolled: 1-line block ×6, first 2 shown]
	s_clause 0x3
	global_load_b32 v49, v[36:37], off
	global_load_b32 v50, v[36:37], off offset:36
	global_load_b32 v51, v[36:37], off offset:72
	;; [unrolled: 1-line block ×3, first 2 shown]
	v_cmp_le_u32_e32 vcc_lo, s9, v8
	s_wait_alu 0xfffe
	s_or_b32 s2, vcc_lo, s2
	s_wait_loadcnt 0x12
	v_lshrrev_b16 v37, 8, v60
	s_wait_loadcnt 0x11
	v_lshlrev_b32_e32 v57, 8, v61
	v_ashrrev_i32_e32 v52, 24, v60
	v_bfe_i32 v53, v60, 16, 8
	v_bfe_i32 v54, v60, 0, 8
	;; [unrolled: 1-line block ×4, first 2 shown]
	s_wait_loadcnt 0x10
	v_lshlrev_b32_e32 v59, 16, v62
	v_lshlrev_b32_e32 v60, 8, v62
	v_perm_b32 v57, v61, v57, 0xc0c0703
	s_wait_loadcnt 0xf
	v_lshlrev_b32_e32 v65, 16, v63
	v_lshlrev_b32_e32 v66, 8, v63
	v_bfe_i32 v37, v37, 0, 8
	v_perm_b32 v59, v60, v59, 0xc0c0703
	v_bfe_i32 v58, v62, 0, 8
	v_ashrrev_i32_e32 v62, 24, v62
	v_perm_b32 v65, v66, v65, 0xc0c0703
	v_bfe_i32 v64, v63, 0, 8
	v_ashrrev_i32_e32 v63, 24, v63
	s_wait_loadcnt 0xd
	v_ashrrev_i32_e32 v39, v10, v39
	s_wait_loadcnt 0xc
	v_bfe_u32 v40, v40, v13, 4
	s_wait_loadcnt 0xb
	v_lshrrev_b32_e32 v41, v15, v41
	s_wait_loadcnt 0xa
	v_lshrrev_b32_e32 v69, 2, v42
	v_lshrrev_b32_e32 v61, 4, v42
	v_not_b32_e32 v39, v39
	s_wait_loadcnt 0x8
	v_lshrrev_b32_e32 v44, v20, v44
	v_lshlrev_b32_e32 v41, 4, v41
	s_wait_loadcnt 0x6
	v_lshrrev_b32_e32 v46, v26, v46
	v_and_b32_e32 v67, 0x3030303, v42
	v_lshlrev_b32_e32 v74, 1, v39
	v_bfe_u32 v68, v42, 24, 2
	v_and_or_b32 v40, v41, 48, v40
	v_lshlrev_b32_e32 v41, 2, v39
	v_bfe_u32 v43, v43, v18, 4
	v_bfe_u32 v45, v45, v23, 4
	s_wait_loadcnt 0x4
	v_lshrrev_b32_e32 v48, v33, v48
	v_lshrrev_b32_e32 v60, 6, v42
	v_and_b32_e32 v41, 0x4040404, v41
	v_lshlrev_b32_e32 v44, 4, v44
	v_and_b32_e32 v71, 0x3030303, v69
	v_lshlrev_b32_e32 v46, 4, v46
	v_bfe_u32 v72, v61, 24, 2
	v_and_b32_e32 v61, 0x3030303, v61
	v_and_b32_e32 v76, 0x4040404, v39
	v_lshrrev_b32_e32 v39, 1, v39
	v_and_b32_e32 v74, 0x4040404, v74
	v_lshrrev_b32_e32 v81, 24, v41
	v_bfe_u32 v47, v47, v31, 4
	v_lshrrev_b16 v66, 8, v67
	v_lshrrev_b32_e32 v70, 16, v67
	v_bfe_u32 v69, v69, 24, 2
	v_lshlrev_b32_e32 v48, 4, v48
	v_and_b32_e32 v60, 0x3030303, v60
	v_and_or_b32 v43, v44, 48, v43
	v_lshrrev_b16 v44, 8, v71
	v_lshrrev_b32_e32 v73, 16, v71
	v_and_or_b32 v45, v46, 48, v45
	v_lshrrev_b32_e32 v46, 16, v61
	v_lshrrev_b16 v75, 8, v61
	v_lshrrev_b32_e32 v78, 24, v76
	v_lshrrev_b32_e32 v79, 16, v76
	v_lshrrev_b16 v80, 8, v76
	v_sub_nc_u16 v61, v61, v76
	v_and_b32_e32 v39, 0x4040404, v39
	v_lshrrev_b16 v76, 8, v41
	v_lshrrev_b32_e32 v82, 16, v41
	v_sub_nc_u16 v41, v67, v41
	v_lshrrev_b16 v67, 8, v74
	v_lshrrev_b32_e32 v83, 16, v74
	v_lshrrev_b32_e32 v84, 24, v74
	v_sub_nc_u16 v68, v68, v81
	v_lshrrev_b32_e32 v42, 30, v42
	v_and_or_b32 v47, v48, 48, v47
	v_lshrrev_b32_e32 v48, 16, v60
	v_lshrrev_b16 v77, 8, v60
	v_sub_nc_u16 v71, v71, v74
	v_sub_nc_u16 v74, v75, v80
	v_sub_nc_u16 v46, v46, v79
	v_sub_nc_u16 v72, v72, v78
	v_lshrrev_b32_e32 v75, 24, v39
	v_lshrrev_b32_e32 v78, 16, v39
	v_lshrrev_b16 v79, 8, v39
	v_sub_nc_u16 v39, v60, v39
	v_sub_nc_u16 v60, v70, v82
	;; [unrolled: 1-line block ×3, first 2 shown]
	v_bfe_i32 v41, v41, 0, 8
	v_sub_nc_u16 v69, v69, v84
	v_sub_nc_u16 v70, v73, v83
	;; [unrolled: 1-line block ×3, first 2 shown]
	v_bfe_i32 v68, v68, 0, 16
	v_bfe_i32 v67, v71, 0, 8
	v_lshlrev_b16 v72, 8, v72
	v_sub_nc_u16 v42, v42, v75
	v_bfe_i32 v66, v66, 0, 16
	v_bfe_i32 v60, v60, 0, 8
	v_mul_i32_i24_e32 v41, v41, v54
	v_lshlrev_b16 v54, 8, v69
	v_and_b32_e32 v69, 0xff, v70
	v_lshlrev_b16 v44, 8, v44
	v_mul_i32_i24_e32 v52, v68, v52
	v_mul_i32_i24_e32 v55, v55, v67
	v_bfe_i32 v67, v72, 8, 8
	v_lshlrev_b16 v42, 8, v42
	v_mul_i32_i24_e32 v53, v60, v53
	v_bfe_i32 v44, v44, 8, 8
	v_or_b32_e32 v54, v69, v54
	v_mad_i32_i24 v37, v66, v37, v52
	v_subrev_nc_u32_e32 v40, 32, v40
	v_bfe_i32 v61, v61, 0, 8
	v_lshlrev_b16 v71, 8, v74
	v_sub_nc_u16 v73, v77, v79
	v_mul_i32_i24_e32 v52, v62, v67
	v_bfe_i32 v42, v42, 8, 8
	v_mad_i32_i24 v44, v56, v44, v55
	v_perm_b32 v54, v54, v70, 0xc0c0500
	v_add3_u32 v37, v41, v53, v37
	v_subrev_nc_u32_e32 v43, 32, v43
	v_sub_nc_u16 v48, v48, v78
	v_bfe_i32 v39, v39, 0, 8
	v_perm_b32 v46, v46, v71, 0xc0c0401
	v_lshlrev_b16 v41, 8, v73
	v_mad_i32_i24 v52, v58, v61, v52
	v_mul_i32_i24_e32 v42, v63, v42
	v_dot4_i32_iu8 v44, v57, v54, v44 neg_lo:[1,1,0]
	v_mul_lo_u32 v37, v40, v37
	v_subrev_nc_u32_e32 v45, 32, v45
	v_perm_b32 v40, v48, v41, 0xc0c0401
	v_dot4_i32_iu8 v41, v59, v46, v52 neg_lo:[1,1,0]
	v_mad_i32_i24 v39, v64, v39, v42
	v_mul_lo_u32 v42, v43, v44
	v_subrev_nc_u32_e32 v43, 32, v47
	v_cvt_f32_i32_e32 v37, v37
	v_mul_lo_u32 v41, v45, v41
	v_dot4_i32_iu8 v39, v65, v40, v39 neg_lo:[1,1,0]
	v_cvt_f32_i32_e32 v40, v42
	s_wait_loadcnt 0x3
	v_fma_mix_f32 v37, v49, v37, 0 op_sel_hi:[1,0,0]
	s_delay_alu instid0(VALU_DEP_3) | instskip(SKIP_2) | instid1(VALU_DEP_3)
	v_mul_lo_u32 v39, v43, v39
	v_cvt_f32_i32_e32 v41, v41
	s_wait_loadcnt 0x2
	v_fma_mix_f32 v37, v50, v40, v37 op_sel_hi:[1,0,0]
	s_delay_alu instid0(VALU_DEP_3) | instskip(SKIP_1) | instid1(VALU_DEP_2)
	v_cvt_f32_i32_e32 v39, v39
	s_wait_loadcnt 0x1
	v_fma_mix_f32 v37, v51, v41, v37 op_sel_hi:[1,0,0]
	s_wait_loadcnt 0x0
	s_delay_alu instid0(VALU_DEP_1) | instskip(NEXT) | instid1(VALU_DEP_1)
	v_fma_mix_f32 v36, v36, v39, v37 op_sel_hi:[1,0,0]
	v_fma_mix_f32 v3, v36, v38, v3 op_sel_hi:[0,1,0]
	s_wait_alu 0xfffe
	s_and_not1_b32 exec_lo, exec_lo, s2
	s_cbranch_execnz .LBB64_3
; %bb.4:
	s_or_b32 exec_lo, exec_lo, s2
.LBB64_5:
	s_delay_alu instid0(SALU_CYCLE_1) | instskip(SKIP_1) | instid1(VALU_DEP_1)
	s_or_b32 exec_lo, exec_lo, s8
	v_mbcnt_lo_u32_b32 v2, -1, 0
	v_xor_b32_e32 v4, 16, v2
	v_xor_b32_e32 v5, 8, v2
	s_delay_alu instid0(VALU_DEP_2) | instskip(SKIP_2) | instid1(VALU_DEP_3)
	v_cmp_gt_i32_e32 vcc_lo, 32, v4
	s_wait_alu 0xfffd
	v_cndmask_b32_e32 v4, v2, v4, vcc_lo
	v_cmp_gt_i32_e32 vcc_lo, 32, v5
	s_wait_alu 0xfffd
	v_cndmask_b32_e32 v5, v2, v5, vcc_lo
	s_delay_alu instid0(VALU_DEP_1)
	v_lshlrev_b32_e32 v5, 2, v5
	v_lshlrev_b32_e32 v4, 2, v4
	ds_bpermute_b32 v4, v4, v3
	s_wait_dscnt 0x0
	v_add_f32_e32 v3, v3, v4
	ds_bpermute_b32 v4, v5, v3
	v_xor_b32_e32 v5, 4, v2
	s_delay_alu instid0(VALU_DEP_1) | instskip(SKIP_2) | instid1(VALU_DEP_1)
	v_cmp_gt_i32_e32 vcc_lo, 32, v5
	s_wait_alu 0xfffd
	v_cndmask_b32_e32 v5, v2, v5, vcc_lo
	v_lshlrev_b32_e32 v5, 2, v5
	s_wait_dscnt 0x0
	v_add_f32_e32 v3, v3, v4
	ds_bpermute_b32 v4, v5, v3
	v_xor_b32_e32 v5, 2, v2
	s_delay_alu instid0(VALU_DEP_1) | instskip(SKIP_2) | instid1(VALU_DEP_1)
	v_cmp_gt_i32_e32 vcc_lo, 32, v5
	s_wait_alu 0xfffd
	v_cndmask_b32_e32 v5, v2, v5, vcc_lo
	v_lshlrev_b32_e32 v5, 2, v5
	s_wait_dscnt 0x0
	v_add_f32_e32 v3, v3, v4
	ds_bpermute_b32 v4, v5, v3
	v_xor_b32_e32 v5, 1, v2
	s_delay_alu instid0(VALU_DEP_1) | instskip(SKIP_4) | instid1(VALU_DEP_2)
	v_cmp_gt_i32_e32 vcc_lo, 32, v5
	s_wait_alu 0xfffd
	v_cndmask_b32_e32 v5, v2, v5, vcc_lo
	v_cmp_eq_u32_e32 vcc_lo, 0, v0
	s_wait_dscnt 0x0
	v_dual_add_f32 v2, v3, v4 :: v_dual_lshlrev_b32 v3, 2, v5
	ds_bpermute_b32 v3, v3, v2
	s_and_b32 exec_lo, exec_lo, vcc_lo
	s_cbranch_execz .LBB64_7
; %bb.6:
	v_mad_co_u64_u32 v[0:1], null, s5, ttmp7, v[1:2]
	s_wait_dscnt 0x0
	v_dual_mov_b32 v1, 0 :: v_dual_add_f32 v2, v2, v3
	s_delay_alu instid0(VALU_DEP_1) | instskip(SKIP_1) | instid1(VALU_DEP_1)
	v_lshlrev_b64_e32 v[0:1], 2, v[0:1]
	s_wait_kmcnt 0x0
	v_add_co_u32 v0, vcc_lo, s6, v0
	s_wait_alu 0xfffd
	s_delay_alu instid0(VALU_DEP_2)
	v_add_co_ci_u32_e64 v1, null, s7, v1, vcc_lo
	global_store_b32 v[0:1], v2, off
.LBB64_7:
	s_endpgm
	.section	.rodata,"a",@progbits
	.p2align	6, 0x0
	.amdhsa_kernel _ZL13mul_mat_vec_qIfLi256ELi16E10block_q3_KLi1EXadL_ZL17vec_dot_q3_K_q8_1PKvPK10block_q8_1RKiEEEvS2_S2_PT_iii
		.amdhsa_group_segment_fixed_size 0
		.amdhsa_private_segment_fixed_size 0
		.amdhsa_kernarg_size 296
		.amdhsa_user_sgpr_count 2
		.amdhsa_user_sgpr_dispatch_ptr 0
		.amdhsa_user_sgpr_queue_ptr 0
		.amdhsa_user_sgpr_kernarg_segment_ptr 1
		.amdhsa_user_sgpr_dispatch_id 0
		.amdhsa_user_sgpr_private_segment_size 0
		.amdhsa_wavefront_size32 1
		.amdhsa_uses_dynamic_stack 0
		.amdhsa_enable_private_segment 0
		.amdhsa_system_sgpr_workgroup_id_x 1
		.amdhsa_system_sgpr_workgroup_id_y 1
		.amdhsa_system_sgpr_workgroup_id_z 0
		.amdhsa_system_sgpr_workgroup_info 0
		.amdhsa_system_vgpr_workitem_id 1
		.amdhsa_next_free_vgpr 85
		.amdhsa_next_free_sgpr 11
		.amdhsa_reserve_vcc 1
		.amdhsa_float_round_mode_32 0
		.amdhsa_float_round_mode_16_64 0
		.amdhsa_float_denorm_mode_32 3
		.amdhsa_float_denorm_mode_16_64 3
		.amdhsa_fp16_overflow 0
		.amdhsa_workgroup_processor_mode 1
		.amdhsa_memory_ordered 1
		.amdhsa_forward_progress 1
		.amdhsa_inst_pref_size 23
		.amdhsa_round_robin_scheduling 0
		.amdhsa_exception_fp_ieee_invalid_op 0
		.amdhsa_exception_fp_denorm_src 0
		.amdhsa_exception_fp_ieee_div_zero 0
		.amdhsa_exception_fp_ieee_overflow 0
		.amdhsa_exception_fp_ieee_underflow 0
		.amdhsa_exception_fp_ieee_inexact 0
		.amdhsa_exception_int_div_zero 0
	.end_amdhsa_kernel
	.section	.text._ZL13mul_mat_vec_qIfLi256ELi16E10block_q3_KLi1EXadL_ZL17vec_dot_q3_K_q8_1PKvPK10block_q8_1RKiEEEvS2_S2_PT_iii,"axG",@progbits,_ZL13mul_mat_vec_qIfLi256ELi16E10block_q3_KLi1EXadL_ZL17vec_dot_q3_K_q8_1PKvPK10block_q8_1RKiEEEvS2_S2_PT_iii,comdat
.Lfunc_end64:
	.size	_ZL13mul_mat_vec_qIfLi256ELi16E10block_q3_KLi1EXadL_ZL17vec_dot_q3_K_q8_1PKvPK10block_q8_1RKiEEEvS2_S2_PT_iii, .Lfunc_end64-_ZL13mul_mat_vec_qIfLi256ELi16E10block_q3_KLi1EXadL_ZL17vec_dot_q3_K_q8_1PKvPK10block_q8_1RKiEEEvS2_S2_PT_iii
                                        ; -- End function
	.set _ZL13mul_mat_vec_qIfLi256ELi16E10block_q3_KLi1EXadL_ZL17vec_dot_q3_K_q8_1PKvPK10block_q8_1RKiEEEvS2_S2_PT_iii.num_vgpr, 85
	.set _ZL13mul_mat_vec_qIfLi256ELi16E10block_q3_KLi1EXadL_ZL17vec_dot_q3_K_q8_1PKvPK10block_q8_1RKiEEEvS2_S2_PT_iii.num_agpr, 0
	.set _ZL13mul_mat_vec_qIfLi256ELi16E10block_q3_KLi1EXadL_ZL17vec_dot_q3_K_q8_1PKvPK10block_q8_1RKiEEEvS2_S2_PT_iii.numbered_sgpr, 11
	.set _ZL13mul_mat_vec_qIfLi256ELi16E10block_q3_KLi1EXadL_ZL17vec_dot_q3_K_q8_1PKvPK10block_q8_1RKiEEEvS2_S2_PT_iii.num_named_barrier, 0
	.set _ZL13mul_mat_vec_qIfLi256ELi16E10block_q3_KLi1EXadL_ZL17vec_dot_q3_K_q8_1PKvPK10block_q8_1RKiEEEvS2_S2_PT_iii.private_seg_size, 0
	.set _ZL13mul_mat_vec_qIfLi256ELi16E10block_q3_KLi1EXadL_ZL17vec_dot_q3_K_q8_1PKvPK10block_q8_1RKiEEEvS2_S2_PT_iii.uses_vcc, 1
	.set _ZL13mul_mat_vec_qIfLi256ELi16E10block_q3_KLi1EXadL_ZL17vec_dot_q3_K_q8_1PKvPK10block_q8_1RKiEEEvS2_S2_PT_iii.uses_flat_scratch, 0
	.set _ZL13mul_mat_vec_qIfLi256ELi16E10block_q3_KLi1EXadL_ZL17vec_dot_q3_K_q8_1PKvPK10block_q8_1RKiEEEvS2_S2_PT_iii.has_dyn_sized_stack, 0
	.set _ZL13mul_mat_vec_qIfLi256ELi16E10block_q3_KLi1EXadL_ZL17vec_dot_q3_K_q8_1PKvPK10block_q8_1RKiEEEvS2_S2_PT_iii.has_recursion, 0
	.set _ZL13mul_mat_vec_qIfLi256ELi16E10block_q3_KLi1EXadL_ZL17vec_dot_q3_K_q8_1PKvPK10block_q8_1RKiEEEvS2_S2_PT_iii.has_indirect_call, 0
	.section	.AMDGPU.csdata,"",@progbits
; Kernel info:
; codeLenInByte = 2876
; TotalNumSgprs: 13
; NumVgprs: 85
; ScratchSize: 0
; MemoryBound: 0
; FloatMode: 240
; IeeeMode: 1
; LDSByteSize: 0 bytes/workgroup (compile time only)
; SGPRBlocks: 0
; VGPRBlocks: 10
; NumSGPRsForWavesPerEU: 13
; NumVGPRsForWavesPerEU: 85
; Occupancy: 16
; WaveLimiterHint : 0
; COMPUTE_PGM_RSRC2:SCRATCH_EN: 0
; COMPUTE_PGM_RSRC2:USER_SGPR: 2
; COMPUTE_PGM_RSRC2:TRAP_HANDLER: 0
; COMPUTE_PGM_RSRC2:TGID_X_EN: 1
; COMPUTE_PGM_RSRC2:TGID_Y_EN: 1
; COMPUTE_PGM_RSRC2:TGID_Z_EN: 0
; COMPUTE_PGM_RSRC2:TIDIG_COMP_CNT: 1
	.section	.text._ZL13mul_mat_vec_qIfLi256ELi32E10block_q4_KLi2EXadL_ZL17vec_dot_q4_K_q8_1PKvPK10block_q8_1RKiEEEvS2_S2_PT_iii,"axG",@progbits,_ZL13mul_mat_vec_qIfLi256ELi32E10block_q4_KLi2EXadL_ZL17vec_dot_q4_K_q8_1PKvPK10block_q8_1RKiEEEvS2_S2_PT_iii,comdat
	.globl	_ZL13mul_mat_vec_qIfLi256ELi32E10block_q4_KLi2EXadL_ZL17vec_dot_q4_K_q8_1PKvPK10block_q8_1RKiEEEvS2_S2_PT_iii ; -- Begin function _ZL13mul_mat_vec_qIfLi256ELi32E10block_q4_KLi2EXadL_ZL17vec_dot_q4_K_q8_1PKvPK10block_q8_1RKiEEEvS2_S2_PT_iii
	.p2align	8
	.type	_ZL13mul_mat_vec_qIfLi256ELi32E10block_q4_KLi2EXadL_ZL17vec_dot_q4_K_q8_1PKvPK10block_q8_1RKiEEEvS2_S2_PT_iii,@function
_ZL13mul_mat_vec_qIfLi256ELi32E10block_q4_KLi2EXadL_ZL17vec_dot_q4_K_q8_1PKvPK10block_q8_1RKiEEEvS2_S2_PT_iii: ; @_ZL13mul_mat_vec_qIfLi256ELi32E10block_q4_KLi2EXadL_ZL17vec_dot_q4_K_q8_1PKvPK10block_q8_1RKiEEEvS2_S2_PT_iii
; %bb.0:
	s_clause 0x1
	s_load_u16 s2, s[0:1], 0x36
	s_load_b96 s[8:10], s[0:1], 0x18
	v_bfe_u32 v1, v0, 10, 10
	s_wait_kmcnt 0x0
	s_delay_alu instid0(VALU_DEP_1)
	v_mad_co_u64_u32 v[1:2], null, ttmp9, s2, v[1:2]
	s_cmp_lt_u32 ttmp7, s10
	s_cselect_b32 s2, -1, 0
	v_cmp_gt_u32_e32 vcc_lo, s9, v1
	s_wait_alu 0xfffe
	s_and_b32 s2, s2, vcc_lo
	s_wait_alu 0xfffe
	s_and_saveexec_b32 s3, s2
	s_cbranch_execz .LBB65_11
; %bb.1:
	s_load_b64 s[2:3], s[0:1], 0x10
	s_ashr_i32 s4, s8, 31
	v_bfe_u32 v8, v0, 4, 6
	s_lshr_b32 s4, s4, 24
	v_dual_mov_b32 v9, 0 :: v_dual_and_b32 v0, 0x3ff, v0
	s_add_co_i32 s4, s8, s4
	s_mov_b32 s10, exec_lo
	s_ashr_i32 s11, s4, 8
	s_delay_alu instid0(SALU_CYCLE_1)
	v_cmpx_gt_u32_e64 s11, v8
	s_cbranch_execz .LBB65_9
; %bb.2:
	s_load_b128 s[4:7], s[0:1], 0x0
	v_dual_mov_b32 v9, 0 :: v_dual_lshlrev_b32 v2, 1, v0
	s_addk_co_i32 s8, 0x1ff
	v_and_b32_e32 v5, 3, v0
	s_wait_alu 0xfffe
	s_ashr_i32 s0, s8, 31
	v_bfe_u32 v4, v2, 3, 2
	s_wait_alu 0xfffe
	s_lshr_b32 s0, s0, 23
	v_and_b32_e32 v2, 30, v2
	s_wait_alu 0xfffe
	s_add_co_i32 s8, s8, s0
	v_lshlrev_b32_e32 v6, 3, v8
	v_lshlrev_b32_e32 v3, 1, v4
	s_wait_alu 0xfffe
	s_ashr_i32 s0, s8, 9
	v_mul_lo_u32 v10, v1, s11
	v_cmp_lt_u32_e32 vcc_lo, 15, v2
	s_wait_alu 0xfffe
	s_mul_i32 s0, ttmp7, s0
	v_lshlrev_b32_e32 v11, 5, v4
	v_lshlrev_b32_e32 v12, 2, v5
	s_wait_alu 0xfffe
	v_lshl_add_u32 v13, s0, 4, v6
	v_lshlrev_b32_e32 v14, 1, v4
	s_wait_kmcnt 0x0
	v_mad_co_u64_u32 v[2:3], null, v3, 36, s[6:7]
	v_lshlrev_b32_e32 v15, 2, v5
	s_mov_b32 s1, 0
	s_branch .LBB65_4
.LBB65_3:                               ;   in Loop: Header=BB65_4 Depth=1
	s_wait_alu 0xfffe
	s_or_b32 exec_lo, exec_lo, s0
	v_mad_co_i64_i32 v[6:7], null, v13, 36, v[2:3]
	s_wait_loadcnt 0x1
	v_and_b32_e32 v25, 0xf0f0f0f, v17
	s_wait_loadcnt 0x0
	v_and_b32_e32 v27, 0xf0f0f0f, v16
	v_lshrrev_b32_e32 v34, 4, v16
	v_bfe_u32 v28, v16, 24, 4
	v_bfe_u32 v36, v17, 4, 4
	v_lshrrev_b16 v25, 8, v25
	v_add_co_u32 v20, s0, v6, v15
	s_wait_alu 0xf1ff
	v_add_co_ci_u32_e64 v21, null, 0, v7, s0
	v_lshrrev_b16 v34, 8, v34
	v_lshrrev_b16 v27, 8, v27
	v_and_b32_e32 v25, 0xffff, v25
	s_clause 0x3
	global_load_b32 v22, v[20:21], off offset:4
	global_load_b32 v23, v[20:21], off offset:20
	;; [unrolled: 1-line block ×4, first 2 shown]
	global_load_b32 v4, v[4:5], off
	s_clause 0x1
	global_load_b32 v5, v[6:7], off
	global_load_b32 v6, v[6:7], off offset:36
	v_bfe_u32 v26, v17, 24, 4
	v_and_b32_e32 v31, 15, v16
	v_bfe_u32 v32, v16, 16, 4
	v_lshrrev_b32_e32 v35, 28, v16
	v_bfe_u32 v38, v16, 4, 4
	v_bfe_u32 v16, v16, 20, 4
	v_and_b32_e32 v34, 15, v34
	v_and_b32_e32 v27, 0xffff, v27
	v_lshrrev_b16 v7, 8, v19
	v_and_b32_e32 v29, 15, v17
	v_bfe_u32 v30, v17, 16, 4
	v_and_b32_e32 v19, 0xff, v19
	v_bfe_u32 v37, v17, 12, 4
	v_and_b32_e32 v34, 0xffff, v34
	v_lshrrev_b16 v21, 8, v18
	v_and_b32_e32 v18, 0xff, v18
	v_bfe_u32 v33, v17, 20, 4
	v_lshrrev_b32_e32 v17, 28, v17
	v_and_b32_e32 v19, 0xffff, v19
	v_and_b32_e32 v7, 0xffff, v7
	;; [unrolled: 1-line block ×4, first 2 shown]
	v_add_nc_u32_e32 v8, 2, v8
	v_add_nc_u32_e32 v13, 16, v13
	s_delay_alu instid0(VALU_DEP_2)
	v_cmp_le_u32_e64 s0, s11, v8
	s_or_b32 s1, s0, s1
	s_wait_loadcnt 0x6
	v_lshrrev_b16 v39, 8, v22
	v_bfe_i32 v43, v22, 0, 8
	s_wait_loadcnt 0x5
	v_lshrrev_b16 v40, 8, v23
	v_ashrrev_i32_e32 v42, 24, v22
	v_bfe_i32 v22, v22, 16, 8
	v_bfe_i32 v39, v39, 0, 8
	v_ashrrev_i32_e32 v44, 24, v23
	s_wait_loadcnt 0x3
	v_bfe_i32 v46, v20, 0, 8
	v_bfe_i32 v47, v20, 8, 8
	;; [unrolled: 1-line block ×3, first 2 shown]
	v_ashrrev_i32_e32 v20, 24, v20
	v_add_nc_u32_e32 v51, v39, v43
	v_lshrrev_b16 v41, 8, v24
	v_bfe_i32 v45, v23, 16, 8
	v_bfe_i32 v23, v23, 0, 8
	;; [unrolled: 1-line block ×3, first 2 shown]
	v_ashrrev_i32_e32 v50, 24, v24
	v_bfe_i32 v24, v24, 16, 8
	v_bfe_i32 v40, v40, 0, 8
	v_mul_i32_i24_e32 v28, v44, v28
	v_mul_i32_i24_e32 v36, v46, v36
	v_add_nc_u32_e32 v46, v46, v20
	v_mul_i32_i24_e32 v25, v39, v25
	v_add3_u32 v39, v51, v22, v42
	v_mul_i32_i24_e32 v31, v23, v31
	v_mul_i32_i24_e32 v32, v45, v32
	v_bfe_i32 v41, v41, 0, 8
	v_mul_i32_i24_e32 v16, v24, v16
	v_mul_i32_i24_e32 v35, v50, v35
	v_mul_i32_i24_e32 v27, v40, v27
	v_mad_i32_i24 v26, v42, v26, v28
	v_add3_u32 v28, v46, v47, v48
	v_add3_u32 v23, v39, v40, v23
	v_mul_i32_i24_e32 v37, v47, v37
	v_mad_i32_i24 v22, v22, v30, v32
	v_mad_i32_i24 v29, v43, v29, v31
	;; [unrolled: 1-line block ×4, first 2 shown]
	v_add3_u32 v25, v25, v27, v26
	v_add3_u32 v26, v28, v41, v49
	;; [unrolled: 1-line block ×3, first 2 shown]
	v_mul_i32_i24_e32 v33, v48, v33
	v_mad_i32_i24 v17, v20, v17, v37
	v_add3_u32 v16, v16, v30, v36
	v_add3_u32 v20, v29, v22, v25
	;; [unrolled: 1-line block ×3, first 2 shown]
	v_mul_lo_u32 v19, v23, v19
	s_delay_alu instid0(VALU_DEP_4) | instskip(NEXT) | instid1(VALU_DEP_4)
	v_add3_u32 v16, v16, v17, v33
	v_mul_lo_u32 v17, v20, v18
	s_delay_alu instid0(VALU_DEP_4) | instskip(NEXT) | instid1(VALU_DEP_3)
	v_mul_lo_u32 v7, v22, v7
	v_mul_lo_u32 v16, v16, v21
	v_cvt_f32_i32_e32 v18, v19
	s_wait_loadcnt 0x2
	v_lshrrev_b32_e32 v19, 16, v4
	v_cvt_f32_i32_e32 v17, v17
	v_cvt_f32_i32_e32 v7, v7
	s_wait_loadcnt 0x1
	v_fma_mix_f32 v18, v5, v18, 0 op_sel_hi:[1,0,0]
	v_cvt_f32_f16_e32 v19, v19
	v_cvt_f32_i32_e32 v16, v16
	v_fma_mix_f32 v5, v5, v17, 0 op_sel_hi:[1,0,0]
	s_wait_loadcnt 0x0
	v_fma_mix_f32 v7, v6, v7, v18 op_sel_hi:[1,0,0]
	s_delay_alu instid0(VALU_DEP_2) | instskip(NEXT) | instid1(VALU_DEP_2)
	v_fma_mix_f32 v5, v6, v16, v5 op_sel_hi:[1,0,0]
	v_mul_f32_e32 v6, v7, v19
	s_delay_alu instid0(VALU_DEP_1) | instskip(NEXT) | instid1(VALU_DEP_1)
	v_fma_mix_f32 v4, v5, v4, -v6 op_sel_hi:[0,1,0]
	v_add_f32_e32 v9, v9, v4
	s_wait_alu 0xfffe
	s_and_not1_b32 exec_lo, exec_lo, s1
	s_cbranch_execz .LBB65_8
.LBB65_4:                               ; =>This Inner Loop Header: Depth=1
	v_add_nc_u32_e32 v4, v10, v8
                                        ; implicit-def: $vgpr18
                                        ; implicit-def: $vgpr19
	s_delay_alu instid0(VALU_DEP_1) | instskip(NEXT) | instid1(VALU_DEP_1)
	v_mad_co_i64_i32 v[4:5], null, 0x90, v4, s[4:5]
	v_add_co_u32 v6, s0, v4, v11
	s_wait_alu 0xf1ff
	s_delay_alu instid0(VALU_DEP_2) | instskip(NEXT) | instid1(VALU_DEP_2)
	v_add_co_ci_u32_e64 v7, null, 0, v5, s0
	v_add_co_u32 v6, s0, v6, v12
	s_wait_alu 0xf1ff
	s_delay_alu instid0(VALU_DEP_2)
	v_add_co_ci_u32_e64 v7, null, 0, v7, s0
	s_clause 0x1
	global_load_b32 v17, v[6:7], off offset:16
	global_load_b32 v16, v[6:7], off offset:32
	v_add_co_u32 v6, s0, v4, v14
	s_wait_alu 0xf1ff
	v_add_co_ci_u32_e64 v7, null, 0, v5, s0
	s_and_saveexec_b32 s0, vcc_lo
	s_wait_alu 0xfffe
	s_xor_b32 s0, exec_lo, s0
	s_cbranch_execz .LBB65_6
; %bb.5:                                ;   in Loop: Header=BB65_4 Depth=1
	s_clause 0x2
	global_load_u16 v18, v[6:7], off
	global_load_u16 v19, v[6:7], off offset:8
	global_load_u16 v6, v[6:7], off offset:4
	s_wait_loadcnt 0x2
	v_lshrrev_b16 v7, 2, v18
	s_wait_loadcnt 0x1
	v_lshrrev_b16 v18, 4, v19
	;; [unrolled: 2-line block ×3, first 2 shown]
	v_and_b32_e32 v19, 0xf0f, v19
	v_and_b32_e32 v7, 0x3030, v7
	;; [unrolled: 1-line block ×3, first 2 shown]
	s_delay_alu instid0(VALU_DEP_4) | instskip(NEXT) | instid1(VALU_DEP_3)
	v_and_b32_e32 v6, 0x3030, v6
	v_or_b32_e32 v18, v7, v19
	s_delay_alu instid0(VALU_DEP_2)
	v_or_b32_e32 v19, v6, v20
                                        ; implicit-def: $vgpr6_vgpr7
.LBB65_6:                               ;   in Loop: Header=BB65_4 Depth=1
	s_wait_alu 0xfffe
	s_and_not1_saveexec_b32 s0, s0
	s_cbranch_execz .LBB65_3
; %bb.7:                                ;   in Loop: Header=BB65_4 Depth=1
	s_clause 0x1
	global_load_u16 v18, v[6:7], off offset:4
	global_load_u16 v6, v[6:7], off offset:8
	s_wait_loadcnt 0x1
	v_and_b32_e32 v18, 0x3f3f, v18
	s_wait_loadcnt 0x0
	v_and_b32_e32 v19, 0x3f3f, v6
	s_branch .LBB65_3
.LBB65_8:
	s_or_b32 exec_lo, exec_lo, s1
.LBB65_9:
	s_delay_alu instid0(SALU_CYCLE_1) | instskip(SKIP_1) | instid1(VALU_DEP_1)
	s_or_b32 exec_lo, exec_lo, s10
	v_mbcnt_lo_u32_b32 v2, -1, 0
	v_xor_b32_e32 v3, 16, v2
	v_xor_b32_e32 v4, 8, v2
	;; [unrolled: 1-line block ×3, first 2 shown]
	s_delay_alu instid0(VALU_DEP_3) | instskip(SKIP_1) | instid1(VALU_DEP_4)
	v_cmp_gt_i32_e32 vcc_lo, 32, v3
	v_cndmask_b32_e32 v3, v2, v3, vcc_lo
	v_cmp_gt_i32_e32 vcc_lo, 32, v4
	s_wait_alu 0xfffd
	v_cndmask_b32_e32 v4, v2, v4, vcc_lo
	v_cmp_gt_i32_e32 vcc_lo, 32, v5
	s_delay_alu instid0(VALU_DEP_2)
	v_lshlrev_b32_e32 v4, 2, v4
	v_lshlrev_b32_e32 v3, 2, v3
	s_wait_alu 0xfffd
	v_cndmask_b32_e32 v5, v2, v5, vcc_lo
	ds_bpermute_b32 v3, v3, v9
	v_lshlrev_b32_e32 v5, 2, v5
	s_wait_dscnt 0x0
	v_add_f32_e32 v3, v9, v3
	ds_bpermute_b32 v4, v4, v3
	s_wait_dscnt 0x0
	v_add_f32_e32 v3, v3, v4
	ds_bpermute_b32 v4, v5, v3
	v_xor_b32_e32 v5, 2, v2
	s_delay_alu instid0(VALU_DEP_1) | instskip(SKIP_2) | instid1(VALU_DEP_1)
	v_cmp_gt_i32_e32 vcc_lo, 32, v5
	s_wait_alu 0xfffd
	v_cndmask_b32_e32 v5, v2, v5, vcc_lo
	v_lshlrev_b32_e32 v5, 2, v5
	s_wait_dscnt 0x0
	v_add_f32_e32 v3, v3, v4
	ds_bpermute_b32 v4, v5, v3
	v_xor_b32_e32 v5, 1, v2
	s_delay_alu instid0(VALU_DEP_1) | instskip(SKIP_4) | instid1(VALU_DEP_2)
	v_cmp_gt_i32_e32 vcc_lo, 32, v5
	s_wait_alu 0xfffd
	v_cndmask_b32_e32 v5, v2, v5, vcc_lo
	v_cmp_eq_u32_e32 vcc_lo, 0, v0
	s_wait_dscnt 0x0
	v_dual_add_f32 v2, v3, v4 :: v_dual_lshlrev_b32 v3, 2, v5
	ds_bpermute_b32 v3, v3, v2
	s_and_b32 exec_lo, exec_lo, vcc_lo
	s_cbranch_execz .LBB65_11
; %bb.10:
	v_mad_co_u64_u32 v[0:1], null, s9, ttmp7, v[1:2]
	s_wait_dscnt 0x0
	v_dual_mov_b32 v1, 0 :: v_dual_add_f32 v2, v2, v3
	s_delay_alu instid0(VALU_DEP_1) | instskip(SKIP_1) | instid1(VALU_DEP_1)
	v_lshlrev_b64_e32 v[0:1], 2, v[0:1]
	s_wait_kmcnt 0x0
	v_add_co_u32 v0, vcc_lo, s2, v0
	s_wait_alu 0xfffd
	s_delay_alu instid0(VALU_DEP_2)
	v_add_co_ci_u32_e64 v1, null, s3, v1, vcc_lo
	global_store_b32 v[0:1], v2, off
.LBB65_11:
	s_endpgm
	.section	.rodata,"a",@progbits
	.p2align	6, 0x0
	.amdhsa_kernel _ZL13mul_mat_vec_qIfLi256ELi32E10block_q4_KLi2EXadL_ZL17vec_dot_q4_K_q8_1PKvPK10block_q8_1RKiEEEvS2_S2_PT_iii
		.amdhsa_group_segment_fixed_size 0
		.amdhsa_private_segment_fixed_size 0
		.amdhsa_kernarg_size 296
		.amdhsa_user_sgpr_count 2
		.amdhsa_user_sgpr_dispatch_ptr 0
		.amdhsa_user_sgpr_queue_ptr 0
		.amdhsa_user_sgpr_kernarg_segment_ptr 1
		.amdhsa_user_sgpr_dispatch_id 0
		.amdhsa_user_sgpr_private_segment_size 0
		.amdhsa_wavefront_size32 1
		.amdhsa_uses_dynamic_stack 0
		.amdhsa_enable_private_segment 0
		.amdhsa_system_sgpr_workgroup_id_x 1
		.amdhsa_system_sgpr_workgroup_id_y 1
		.amdhsa_system_sgpr_workgroup_id_z 0
		.amdhsa_system_sgpr_workgroup_info 0
		.amdhsa_system_vgpr_workitem_id 1
		.amdhsa_next_free_vgpr 52
		.amdhsa_next_free_sgpr 12
		.amdhsa_reserve_vcc 1
		.amdhsa_float_round_mode_32 0
		.amdhsa_float_round_mode_16_64 0
		.amdhsa_float_denorm_mode_32 3
		.amdhsa_float_denorm_mode_16_64 3
		.amdhsa_fp16_overflow 0
		.amdhsa_workgroup_processor_mode 1
		.amdhsa_memory_ordered 1
		.amdhsa_forward_progress 1
		.amdhsa_inst_pref_size 14
		.amdhsa_round_robin_scheduling 0
		.amdhsa_exception_fp_ieee_invalid_op 0
		.amdhsa_exception_fp_denorm_src 0
		.amdhsa_exception_fp_ieee_div_zero 0
		.amdhsa_exception_fp_ieee_overflow 0
		.amdhsa_exception_fp_ieee_underflow 0
		.amdhsa_exception_fp_ieee_inexact 0
		.amdhsa_exception_int_div_zero 0
	.end_amdhsa_kernel
	.section	.text._ZL13mul_mat_vec_qIfLi256ELi32E10block_q4_KLi2EXadL_ZL17vec_dot_q4_K_q8_1PKvPK10block_q8_1RKiEEEvS2_S2_PT_iii,"axG",@progbits,_ZL13mul_mat_vec_qIfLi256ELi32E10block_q4_KLi2EXadL_ZL17vec_dot_q4_K_q8_1PKvPK10block_q8_1RKiEEEvS2_S2_PT_iii,comdat
.Lfunc_end65:
	.size	_ZL13mul_mat_vec_qIfLi256ELi32E10block_q4_KLi2EXadL_ZL17vec_dot_q4_K_q8_1PKvPK10block_q8_1RKiEEEvS2_S2_PT_iii, .Lfunc_end65-_ZL13mul_mat_vec_qIfLi256ELi32E10block_q4_KLi2EXadL_ZL17vec_dot_q4_K_q8_1PKvPK10block_q8_1RKiEEEvS2_S2_PT_iii
                                        ; -- End function
	.set _ZL13mul_mat_vec_qIfLi256ELi32E10block_q4_KLi2EXadL_ZL17vec_dot_q4_K_q8_1PKvPK10block_q8_1RKiEEEvS2_S2_PT_iii.num_vgpr, 52
	.set _ZL13mul_mat_vec_qIfLi256ELi32E10block_q4_KLi2EXadL_ZL17vec_dot_q4_K_q8_1PKvPK10block_q8_1RKiEEEvS2_S2_PT_iii.num_agpr, 0
	.set _ZL13mul_mat_vec_qIfLi256ELi32E10block_q4_KLi2EXadL_ZL17vec_dot_q4_K_q8_1PKvPK10block_q8_1RKiEEEvS2_S2_PT_iii.numbered_sgpr, 12
	.set _ZL13mul_mat_vec_qIfLi256ELi32E10block_q4_KLi2EXadL_ZL17vec_dot_q4_K_q8_1PKvPK10block_q8_1RKiEEEvS2_S2_PT_iii.num_named_barrier, 0
	.set _ZL13mul_mat_vec_qIfLi256ELi32E10block_q4_KLi2EXadL_ZL17vec_dot_q4_K_q8_1PKvPK10block_q8_1RKiEEEvS2_S2_PT_iii.private_seg_size, 0
	.set _ZL13mul_mat_vec_qIfLi256ELi32E10block_q4_KLi2EXadL_ZL17vec_dot_q4_K_q8_1PKvPK10block_q8_1RKiEEEvS2_S2_PT_iii.uses_vcc, 1
	.set _ZL13mul_mat_vec_qIfLi256ELi32E10block_q4_KLi2EXadL_ZL17vec_dot_q4_K_q8_1PKvPK10block_q8_1RKiEEEvS2_S2_PT_iii.uses_flat_scratch, 0
	.set _ZL13mul_mat_vec_qIfLi256ELi32E10block_q4_KLi2EXadL_ZL17vec_dot_q4_K_q8_1PKvPK10block_q8_1RKiEEEvS2_S2_PT_iii.has_dyn_sized_stack, 0
	.set _ZL13mul_mat_vec_qIfLi256ELi32E10block_q4_KLi2EXadL_ZL17vec_dot_q4_K_q8_1PKvPK10block_q8_1RKiEEEvS2_S2_PT_iii.has_recursion, 0
	.set _ZL13mul_mat_vec_qIfLi256ELi32E10block_q4_KLi2EXadL_ZL17vec_dot_q4_K_q8_1PKvPK10block_q8_1RKiEEEvS2_S2_PT_iii.has_indirect_call, 0
	.section	.AMDGPU.csdata,"",@progbits
; Kernel info:
; codeLenInByte = 1748
; TotalNumSgprs: 14
; NumVgprs: 52
; ScratchSize: 0
; MemoryBound: 0
; FloatMode: 240
; IeeeMode: 1
; LDSByteSize: 0 bytes/workgroup (compile time only)
; SGPRBlocks: 0
; VGPRBlocks: 6
; NumSGPRsForWavesPerEU: 14
; NumVGPRsForWavesPerEU: 52
; Occupancy: 16
; WaveLimiterHint : 0
; COMPUTE_PGM_RSRC2:SCRATCH_EN: 0
; COMPUTE_PGM_RSRC2:USER_SGPR: 2
; COMPUTE_PGM_RSRC2:TRAP_HANDLER: 0
; COMPUTE_PGM_RSRC2:TGID_X_EN: 1
; COMPUTE_PGM_RSRC2:TGID_Y_EN: 1
; COMPUTE_PGM_RSRC2:TGID_Z_EN: 0
; COMPUTE_PGM_RSRC2:TIDIG_COMP_CNT: 1
	.section	.text._ZL13mul_mat_vec_qIfLi256ELi32E10block_q5_KLi2EXadL_ZL17vec_dot_q5_K_q8_1PKvPK10block_q8_1RKiEEEvS2_S2_PT_iii,"axG",@progbits,_ZL13mul_mat_vec_qIfLi256ELi32E10block_q5_KLi2EXadL_ZL17vec_dot_q5_K_q8_1PKvPK10block_q8_1RKiEEEvS2_S2_PT_iii,comdat
	.globl	_ZL13mul_mat_vec_qIfLi256ELi32E10block_q5_KLi2EXadL_ZL17vec_dot_q5_K_q8_1PKvPK10block_q8_1RKiEEEvS2_S2_PT_iii ; -- Begin function _ZL13mul_mat_vec_qIfLi256ELi32E10block_q5_KLi2EXadL_ZL17vec_dot_q5_K_q8_1PKvPK10block_q8_1RKiEEEvS2_S2_PT_iii
	.p2align	8
	.type	_ZL13mul_mat_vec_qIfLi256ELi32E10block_q5_KLi2EXadL_ZL17vec_dot_q5_K_q8_1PKvPK10block_q8_1RKiEEEvS2_S2_PT_iii,@function
_ZL13mul_mat_vec_qIfLi256ELi32E10block_q5_KLi2EXadL_ZL17vec_dot_q5_K_q8_1PKvPK10block_q8_1RKiEEEvS2_S2_PT_iii: ; @_ZL13mul_mat_vec_qIfLi256ELi32E10block_q5_KLi2EXadL_ZL17vec_dot_q5_K_q8_1PKvPK10block_q8_1RKiEEEvS2_S2_PT_iii
; %bb.0:
	s_clause 0x1
	s_load_u16 s2, s[0:1], 0x36
	s_load_b96 s[8:10], s[0:1], 0x18
	v_bfe_u32 v1, v0, 10, 10
	s_wait_kmcnt 0x0
	s_delay_alu instid0(VALU_DEP_1)
	v_mad_co_u64_u32 v[1:2], null, ttmp9, s2, v[1:2]
	s_cmp_lt_u32 ttmp7, s10
	s_cselect_b32 s2, -1, 0
	v_cmp_gt_u32_e32 vcc_lo, s9, v1
	s_wait_alu 0xfffe
	s_and_b32 s2, s2, vcc_lo
	s_wait_alu 0xfffe
	s_and_saveexec_b32 s3, s2
	s_cbranch_execz .LBB66_11
; %bb.1:
	s_load_b64 s[2:3], s[0:1], 0x10
	s_ashr_i32 s4, s8, 31
	v_bfe_u32 v8, v0, 4, 6
	s_lshr_b32 s4, s4, 24
	v_dual_mov_b32 v9, 0 :: v_dual_and_b32 v0, 0x3ff, v0
	s_add_co_i32 s4, s8, s4
	s_mov_b32 s10, exec_lo
	s_ashr_i32 s11, s4, 8
	s_delay_alu instid0(SALU_CYCLE_1)
	v_cmpx_gt_u32_e64 s11, v8
	s_cbranch_execz .LBB66_9
; %bb.2:
	s_load_b128 s[4:7], s[0:1], 0x0
	v_dual_mov_b32 v9, 0 :: v_dual_lshlrev_b32 v2, 1, v0
	s_addk_co_i32 s8, 0x1ff
	v_and_b32_e32 v5, 3, v0
	s_wait_alu 0xfffe
	s_ashr_i32 s0, s8, 31
	v_bfe_u32 v4, v2, 3, 2
	s_wait_alu 0xfffe
	s_lshr_b32 s0, s0, 23
	v_and_b32_e32 v2, 30, v2
	s_wait_alu 0xfffe
	s_add_co_i32 s8, s8, s0
	v_lshlrev_b32_e32 v6, 3, v8
	v_lshlrev_b32_e32 v12, 1, v4
	s_wait_alu 0xfffe
	s_ashr_i32 s0, s8, 9
	v_mul_lo_u32 v10, v1, s11
	v_cmp_lt_u32_e32 vcc_lo, 15, v2
	s_wait_alu 0xfffe
	s_mul_i32 s0, ttmp7, s0
	v_lshlrev_b32_e32 v11, 5, v4
	v_lshlrev_b32_e32 v13, 2, v5
	s_wait_alu 0xfffe
	v_lshl_add_u32 v14, s0, 4, v6
	v_lshlrev_b32_e32 v15, 1, v4
	s_wait_kmcnt 0x0
	v_mad_co_u64_u32 v[2:3], null, v12, 36, s[6:7]
	v_lshlrev_b32_e32 v16, 2, v5
	s_mov_b32 s1, 0
	s_branch .LBB66_4
.LBB66_3:                               ;   in Loop: Header=BB66_4 Depth=1
	s_wait_alu 0xfffe
	s_or_b32 exec_lo, exec_lo, s0
	v_mad_co_i64_i32 v[6:7], null, v14, 36, v[2:3]
	s_wait_loadcnt 0x0
	v_ashrrev_i32_e32 v22, v12, v22
	v_ashrrev_i32_e32 v21, v12, v21
	v_and_b32_e32 v29, 0xf0f0f0f, v17
	v_and_b32_e32 v28, 0xf0f0f0f, v18
	v_lshrrev_b32_e32 v18, 4, v18
	v_lshlrev_b32_e32 v31, 4, v22
	v_add_co_u32 v23, s0, v6, v16
	s_wait_alu 0xf1ff
	v_add_co_ci_u32_e64 v24, null, 0, v7, s0
	v_lshrrev_b32_e32 v17, 4, v17
	v_lshlrev_b32_e32 v30, 4, v21
	v_and_or_b32 v29, 0x10101010, v31, v29
	s_clause 0x3
	global_load_b32 v25, v[23:24], off offset:4
	global_load_b32 v26, v[23:24], off offset:20
	;; [unrolled: 1-line block ×4, first 2 shown]
	global_load_b32 v4, v[4:5], off
	s_clause 0x1
	global_load_b32 v5, v[6:7], off
	global_load_b32 v6, v[6:7], off offset:36
	v_and_b32_e32 v18, 0xf0f0f0f, v18
	v_and_b32_e32 v17, 0xf0f0f0f, v17
	v_lshlrev_b32_e32 v21, 3, v21
	v_lshlrev_b32_e32 v22, 3, v22
	v_and_or_b32 v28, 0x10101010, v30, v28
	v_bfe_u32 v32, v29, 16, 5
	v_lshrrev_b32_e32 v30, 24, v29
	v_and_or_b32 v18, 0x10101010, v21, v18
	v_and_or_b32 v17, 0x10101010, v22, v17
	v_lshrrev_b32_e32 v21, 24, v28
	v_lshrrev_b16 v22, 8, v28
	v_lshrrev_b16 v31, 8, v29
	v_and_b32_e32 v33, 31, v28
	v_bfe_u32 v28, v28, 16, 5
	v_and_b32_e32 v29, 31, v29
	v_lshrrev_b16 v35, 8, v18
	v_lshrrev_b32_e32 v36, 24, v17
	v_lshrrev_b16 v37, 8, v17
	v_and_b32_e32 v31, 0xffff, v31
	v_and_b32_e32 v22, 0xffff, v22
	v_lshrrev_b16 v7, 8, v20
	v_and_b32_e32 v20, 0xff, v20
	v_lshrrev_b32_e32 v34, 24, v18
	v_bfe_u32 v38, v17, 16, 5
	v_and_b32_e32 v17, 31, v17
	v_and_b32_e32 v37, 0xffff, v37
	;; [unrolled: 1-line block ×3, first 2 shown]
	v_lshrrev_b16 v24, 8, v19
	v_and_b32_e32 v19, 0xff, v19
	v_and_b32_e32 v20, 0xffff, v20
	v_and_b32_e32 v39, 31, v18
	v_bfe_u32 v18, v18, 16, 5
	v_and_b32_e32 v7, 0xffff, v7
	v_and_b32_e32 v19, 0xffff, v19
	v_add_nc_u32_e32 v8, 2, v8
	v_add_nc_u32_e32 v14, 16, v14
	s_delay_alu instid0(VALU_DEP_2)
	v_cmp_le_u32_e64 s0, s11, v8
	s_or_b32 s1, s0, s1
	s_wait_loadcnt 0x6
	v_lshrrev_b16 v40, 8, v25
	s_wait_loadcnt 0x5
	v_bfe_i32 v44, v26, 16, 8
	s_wait_loadcnt 0x4
	v_lshrrev_b16 v42, 8, v27
	v_bfe_i32 v46, v25, 0, 8
	v_lshrrev_b16 v41, 8, v26
	v_bfe_i32 v40, v40, 0, 8
	v_ashrrev_i32_e32 v43, 24, v26
	v_ashrrev_i32_e32 v45, 24, v25
	v_bfe_i32 v25, v25, 16, 8
	v_bfe_i32 v51, v27, 0, 8
	v_mul_i32_i24_e32 v32, v44, v32
	v_bfe_i32 v42, v42, 0, 8
	v_add_nc_u32_e32 v52, v46, v40
	v_bfe_i32 v26, v26, 0, 8
	s_wait_loadcnt 0x3
	v_ashrrev_i32_e32 v47, 24, v23
	v_ashrrev_i32_e32 v50, 24, v27
	v_bfe_i32 v27, v27, 16, 8
	v_bfe_i32 v41, v41, 0, 8
	v_mul_i32_i24_e32 v30, v43, v30
	v_mad_i32_i24 v28, v25, v28, v32
	v_add_nc_u32_e32 v32, v51, v42
	v_add3_u32 v25, v52, v25, v45
	v_bfe_i32 v48, v23, 16, 8
	v_bfe_i32 v49, v23, 8, 8
	;; [unrolled: 1-line block ×3, first 2 shown]
	v_mul_i32_i24_e32 v29, v26, v29
	v_mul_i32_i24_e32 v36, v47, v36
	;; [unrolled: 1-line block ×4, first 2 shown]
	v_mad_i32_i24 v21, v45, v21, v30
	v_add3_u32 v32, v32, v27, v50
	v_add3_u32 v25, v25, v26, v41
	v_mul_i32_i24_e32 v17, v23, v17
	v_mul_i32_i24_e32 v37, v49, v37
	;; [unrolled: 1-line block ×3, first 2 shown]
	v_mad_i32_i24 v29, v46, v33, v29
	v_mul_i32_i24_e32 v30, v42, v35
	v_mad_i32_i24 v26, v50, v34, v36
	v_add3_u32 v21, v22, v31, v21
	v_add3_u32 v22, v32, v47, v23
	;; [unrolled: 1-line block ×3, first 2 shown]
	v_mad_i32_i24 v18, v27, v18, v38
	v_mad_i32_i24 v17, v51, v39, v17
	v_add3_u32 v25, v30, v37, v26
	v_add3_u32 v21, v29, v28, v21
	;; [unrolled: 1-line block ×3, first 2 shown]
	v_mul_lo_u32 v20, v23, v20
	v_and_b32_e32 v23, 0xffff, v24
	v_add3_u32 v17, v17, v18, v25
	v_mul_lo_u32 v18, v21, v19
	v_mul_lo_u32 v7, v22, v7
	s_delay_alu instid0(VALU_DEP_3)
	v_mul_lo_u32 v17, v17, v23
	v_cvt_f32_i32_e32 v19, v20
	s_wait_loadcnt 0x2
	v_lshrrev_b32_e32 v20, 16, v4
	v_cvt_f32_i32_e32 v18, v18
	v_cvt_f32_i32_e32 v7, v7
	s_wait_loadcnt 0x1
	v_fma_mix_f32 v19, v5, v19, 0 op_sel_hi:[1,0,0]
	v_cvt_f32_f16_e32 v20, v20
	v_cvt_f32_i32_e32 v17, v17
	v_fma_mix_f32 v5, v5, v18, 0 op_sel_hi:[1,0,0]
	s_wait_loadcnt 0x0
	v_fma_mix_f32 v7, v6, v7, v19 op_sel_hi:[1,0,0]
	s_delay_alu instid0(VALU_DEP_2) | instskip(NEXT) | instid1(VALU_DEP_2)
	v_fma_mix_f32 v5, v6, v17, v5 op_sel_hi:[1,0,0]
	v_mul_f32_e32 v6, v7, v20
	s_delay_alu instid0(VALU_DEP_1) | instskip(NEXT) | instid1(VALU_DEP_1)
	v_fma_mix_f32 v4, v5, v4, -v6 op_sel_hi:[0,1,0]
	v_add_f32_e32 v9, v9, v4
	s_wait_alu 0xfffe
	s_and_not1_b32 exec_lo, exec_lo, s1
	s_cbranch_execz .LBB66_8
.LBB66_4:                               ; =>This Inner Loop Header: Depth=1
	v_add_nc_u32_e32 v4, v10, v8
	s_delay_alu instid0(VALU_DEP_1) | instskip(NEXT) | instid1(VALU_DEP_1)
	v_mad_co_i64_i32 v[4:5], null, 0xb0, v4, s[4:5]
	v_add_co_u32 v6, s0, v4, v11
	s_wait_alu 0xf1ff
	s_delay_alu instid0(VALU_DEP_2) | instskip(NEXT) | instid1(VALU_DEP_2)
	v_add_co_ci_u32_e64 v7, null, 0, v5, s0
	v_add_co_u32 v6, s0, v6, v13
	s_wait_alu 0xf1ff
	s_delay_alu instid0(VALU_DEP_2)
	v_add_co_ci_u32_e64 v7, null, 0, v7, s0
	v_add_co_u32 v19, s0, v4, v13
	s_wait_alu 0xf1ff
	v_add_co_ci_u32_e64 v20, null, 0, v5, s0
	s_clause 0x3
	global_load_b32 v18, v[6:7], off offset:48
	global_load_b32 v17, v[6:7], off offset:64
	;; [unrolled: 1-line block ×4, first 2 shown]
	v_add_co_u32 v6, s0, v4, v15
	s_wait_alu 0xf1ff
	v_add_co_ci_u32_e64 v7, null, 0, v5, s0
                                        ; implicit-def: $vgpr19
                                        ; implicit-def: $vgpr20
	s_and_saveexec_b32 s0, vcc_lo
	s_wait_alu 0xfffe
	s_xor_b32 s0, exec_lo, s0
	s_cbranch_execz .LBB66_6
; %bb.5:                                ;   in Loop: Header=BB66_4 Depth=1
	s_clause 0x2
	global_load_u16 v19, v[6:7], off
	global_load_u16 v20, v[6:7], off offset:8
	global_load_u16 v6, v[6:7], off offset:4
	s_wait_loadcnt 0x2
	v_lshrrev_b16 v7, 2, v19
	s_wait_loadcnt 0x1
	v_lshrrev_b16 v19, 4, v20
	;; [unrolled: 2-line block ×3, first 2 shown]
	v_and_b32_e32 v20, 0xf0f, v20
	v_and_b32_e32 v7, 0x3030, v7
	;; [unrolled: 1-line block ×3, first 2 shown]
	s_delay_alu instid0(VALU_DEP_4) | instskip(NEXT) | instid1(VALU_DEP_3)
	v_and_b32_e32 v6, 0x3030, v6
	v_or_b32_e32 v19, v7, v20
	s_delay_alu instid0(VALU_DEP_2)
	v_or_b32_e32 v20, v6, v23
                                        ; implicit-def: $vgpr6_vgpr7
.LBB66_6:                               ;   in Loop: Header=BB66_4 Depth=1
	s_wait_alu 0xfffe
	s_and_not1_saveexec_b32 s0, s0
	s_cbranch_execz .LBB66_3
; %bb.7:                                ;   in Loop: Header=BB66_4 Depth=1
	s_clause 0x1
	global_load_u16 v19, v[6:7], off offset:4
	global_load_u16 v6, v[6:7], off offset:8
	s_wait_loadcnt 0x1
	v_and_b32_e32 v19, 0x3f3f, v19
	s_wait_loadcnt 0x0
	v_and_b32_e32 v20, 0x3f3f, v6
	s_branch .LBB66_3
.LBB66_8:
	s_or_b32 exec_lo, exec_lo, s1
.LBB66_9:
	s_delay_alu instid0(SALU_CYCLE_1) | instskip(SKIP_1) | instid1(VALU_DEP_1)
	s_or_b32 exec_lo, exec_lo, s10
	v_mbcnt_lo_u32_b32 v2, -1, 0
	v_xor_b32_e32 v3, 16, v2
	v_xor_b32_e32 v4, 8, v2
	;; [unrolled: 1-line block ×3, first 2 shown]
	s_delay_alu instid0(VALU_DEP_3) | instskip(SKIP_1) | instid1(VALU_DEP_4)
	v_cmp_gt_i32_e32 vcc_lo, 32, v3
	v_cndmask_b32_e32 v3, v2, v3, vcc_lo
	v_cmp_gt_i32_e32 vcc_lo, 32, v4
	s_wait_alu 0xfffd
	v_cndmask_b32_e32 v4, v2, v4, vcc_lo
	v_cmp_gt_i32_e32 vcc_lo, 32, v5
	s_delay_alu instid0(VALU_DEP_2)
	v_lshlrev_b32_e32 v4, 2, v4
	v_lshlrev_b32_e32 v3, 2, v3
	s_wait_alu 0xfffd
	v_cndmask_b32_e32 v5, v2, v5, vcc_lo
	ds_bpermute_b32 v3, v3, v9
	v_lshlrev_b32_e32 v5, 2, v5
	s_wait_dscnt 0x0
	v_add_f32_e32 v3, v9, v3
	ds_bpermute_b32 v4, v4, v3
	s_wait_dscnt 0x0
	v_add_f32_e32 v3, v3, v4
	ds_bpermute_b32 v4, v5, v3
	v_xor_b32_e32 v5, 2, v2
	s_delay_alu instid0(VALU_DEP_1) | instskip(SKIP_2) | instid1(VALU_DEP_1)
	v_cmp_gt_i32_e32 vcc_lo, 32, v5
	s_wait_alu 0xfffd
	v_cndmask_b32_e32 v5, v2, v5, vcc_lo
	v_lshlrev_b32_e32 v5, 2, v5
	s_wait_dscnt 0x0
	v_add_f32_e32 v3, v3, v4
	ds_bpermute_b32 v4, v5, v3
	v_xor_b32_e32 v5, 1, v2
	s_delay_alu instid0(VALU_DEP_1) | instskip(SKIP_4) | instid1(VALU_DEP_2)
	v_cmp_gt_i32_e32 vcc_lo, 32, v5
	s_wait_alu 0xfffd
	v_cndmask_b32_e32 v5, v2, v5, vcc_lo
	v_cmp_eq_u32_e32 vcc_lo, 0, v0
	s_wait_dscnt 0x0
	v_dual_add_f32 v2, v3, v4 :: v_dual_lshlrev_b32 v3, 2, v5
	ds_bpermute_b32 v3, v3, v2
	s_and_b32 exec_lo, exec_lo, vcc_lo
	s_cbranch_execz .LBB66_11
; %bb.10:
	v_mad_co_u64_u32 v[0:1], null, s9, ttmp7, v[1:2]
	s_wait_dscnt 0x0
	v_dual_mov_b32 v1, 0 :: v_dual_add_f32 v2, v2, v3
	s_delay_alu instid0(VALU_DEP_1) | instskip(SKIP_1) | instid1(VALU_DEP_1)
	v_lshlrev_b64_e32 v[0:1], 2, v[0:1]
	s_wait_kmcnt 0x0
	v_add_co_u32 v0, vcc_lo, s2, v0
	s_wait_alu 0xfffd
	s_delay_alu instid0(VALU_DEP_2)
	v_add_co_ci_u32_e64 v1, null, s3, v1, vcc_lo
	global_store_b32 v[0:1], v2, off
.LBB66_11:
	s_endpgm
	.section	.rodata,"a",@progbits
	.p2align	6, 0x0
	.amdhsa_kernel _ZL13mul_mat_vec_qIfLi256ELi32E10block_q5_KLi2EXadL_ZL17vec_dot_q5_K_q8_1PKvPK10block_q8_1RKiEEEvS2_S2_PT_iii
		.amdhsa_group_segment_fixed_size 0
		.amdhsa_private_segment_fixed_size 0
		.amdhsa_kernarg_size 296
		.amdhsa_user_sgpr_count 2
		.amdhsa_user_sgpr_dispatch_ptr 0
		.amdhsa_user_sgpr_queue_ptr 0
		.amdhsa_user_sgpr_kernarg_segment_ptr 1
		.amdhsa_user_sgpr_dispatch_id 0
		.amdhsa_user_sgpr_private_segment_size 0
		.amdhsa_wavefront_size32 1
		.amdhsa_uses_dynamic_stack 0
		.amdhsa_enable_private_segment 0
		.amdhsa_system_sgpr_workgroup_id_x 1
		.amdhsa_system_sgpr_workgroup_id_y 1
		.amdhsa_system_sgpr_workgroup_id_z 0
		.amdhsa_system_sgpr_workgroup_info 0
		.amdhsa_system_vgpr_workitem_id 1
		.amdhsa_next_free_vgpr 53
		.amdhsa_next_free_sgpr 12
		.amdhsa_reserve_vcc 1
		.amdhsa_float_round_mode_32 0
		.amdhsa_float_round_mode_16_64 0
		.amdhsa_float_denorm_mode_32 3
		.amdhsa_float_denorm_mode_16_64 3
		.amdhsa_fp16_overflow 0
		.amdhsa_workgroup_processor_mode 1
		.amdhsa_memory_ordered 1
		.amdhsa_forward_progress 1
		.amdhsa_inst_pref_size 15
		.amdhsa_round_robin_scheduling 0
		.amdhsa_exception_fp_ieee_invalid_op 0
		.amdhsa_exception_fp_denorm_src 0
		.amdhsa_exception_fp_ieee_div_zero 0
		.amdhsa_exception_fp_ieee_overflow 0
		.amdhsa_exception_fp_ieee_underflow 0
		.amdhsa_exception_fp_ieee_inexact 0
		.amdhsa_exception_int_div_zero 0
	.end_amdhsa_kernel
	.section	.text._ZL13mul_mat_vec_qIfLi256ELi32E10block_q5_KLi2EXadL_ZL17vec_dot_q5_K_q8_1PKvPK10block_q8_1RKiEEEvS2_S2_PT_iii,"axG",@progbits,_ZL13mul_mat_vec_qIfLi256ELi32E10block_q5_KLi2EXadL_ZL17vec_dot_q5_K_q8_1PKvPK10block_q8_1RKiEEEvS2_S2_PT_iii,comdat
.Lfunc_end66:
	.size	_ZL13mul_mat_vec_qIfLi256ELi32E10block_q5_KLi2EXadL_ZL17vec_dot_q5_K_q8_1PKvPK10block_q8_1RKiEEEvS2_S2_PT_iii, .Lfunc_end66-_ZL13mul_mat_vec_qIfLi256ELi32E10block_q5_KLi2EXadL_ZL17vec_dot_q5_K_q8_1PKvPK10block_q8_1RKiEEEvS2_S2_PT_iii
                                        ; -- End function
	.set _ZL13mul_mat_vec_qIfLi256ELi32E10block_q5_KLi2EXadL_ZL17vec_dot_q5_K_q8_1PKvPK10block_q8_1RKiEEEvS2_S2_PT_iii.num_vgpr, 53
	.set _ZL13mul_mat_vec_qIfLi256ELi32E10block_q5_KLi2EXadL_ZL17vec_dot_q5_K_q8_1PKvPK10block_q8_1RKiEEEvS2_S2_PT_iii.num_agpr, 0
	.set _ZL13mul_mat_vec_qIfLi256ELi32E10block_q5_KLi2EXadL_ZL17vec_dot_q5_K_q8_1PKvPK10block_q8_1RKiEEEvS2_S2_PT_iii.numbered_sgpr, 12
	.set _ZL13mul_mat_vec_qIfLi256ELi32E10block_q5_KLi2EXadL_ZL17vec_dot_q5_K_q8_1PKvPK10block_q8_1RKiEEEvS2_S2_PT_iii.num_named_barrier, 0
	.set _ZL13mul_mat_vec_qIfLi256ELi32E10block_q5_KLi2EXadL_ZL17vec_dot_q5_K_q8_1PKvPK10block_q8_1RKiEEEvS2_S2_PT_iii.private_seg_size, 0
	.set _ZL13mul_mat_vec_qIfLi256ELi32E10block_q5_KLi2EXadL_ZL17vec_dot_q5_K_q8_1PKvPK10block_q8_1RKiEEEvS2_S2_PT_iii.uses_vcc, 1
	.set _ZL13mul_mat_vec_qIfLi256ELi32E10block_q5_KLi2EXadL_ZL17vec_dot_q5_K_q8_1PKvPK10block_q8_1RKiEEEvS2_S2_PT_iii.uses_flat_scratch, 0
	.set _ZL13mul_mat_vec_qIfLi256ELi32E10block_q5_KLi2EXadL_ZL17vec_dot_q5_K_q8_1PKvPK10block_q8_1RKiEEEvS2_S2_PT_iii.has_dyn_sized_stack, 0
	.set _ZL13mul_mat_vec_qIfLi256ELi32E10block_q5_KLi2EXadL_ZL17vec_dot_q5_K_q8_1PKvPK10block_q8_1RKiEEEvS2_S2_PT_iii.has_recursion, 0
	.set _ZL13mul_mat_vec_qIfLi256ELi32E10block_q5_KLi2EXadL_ZL17vec_dot_q5_K_q8_1PKvPK10block_q8_1RKiEEEvS2_S2_PT_iii.has_indirect_call, 0
	.section	.AMDGPU.csdata,"",@progbits
; Kernel info:
; codeLenInByte = 1868
; TotalNumSgprs: 14
; NumVgprs: 53
; ScratchSize: 0
; MemoryBound: 0
; FloatMode: 240
; IeeeMode: 1
; LDSByteSize: 0 bytes/workgroup (compile time only)
; SGPRBlocks: 0
; VGPRBlocks: 6
; NumSGPRsForWavesPerEU: 14
; NumVGPRsForWavesPerEU: 53
; Occupancy: 16
; WaveLimiterHint : 0
; COMPUTE_PGM_RSRC2:SCRATCH_EN: 0
; COMPUTE_PGM_RSRC2:USER_SGPR: 2
; COMPUTE_PGM_RSRC2:TRAP_HANDLER: 0
; COMPUTE_PGM_RSRC2:TGID_X_EN: 1
; COMPUTE_PGM_RSRC2:TGID_Y_EN: 1
; COMPUTE_PGM_RSRC2:TGID_Z_EN: 0
; COMPUTE_PGM_RSRC2:TIDIG_COMP_CNT: 1
	.section	.text._ZL13mul_mat_vec_qIfLi256ELi32E10block_q6_KLi1EXadL_ZL17vec_dot_q6_K_q8_1PKvPK10block_q8_1RKiEEEvS2_S2_PT_iii,"axG",@progbits,_ZL13mul_mat_vec_qIfLi256ELi32E10block_q6_KLi1EXadL_ZL17vec_dot_q6_K_q8_1PKvPK10block_q8_1RKiEEEvS2_S2_PT_iii,comdat
	.globl	_ZL13mul_mat_vec_qIfLi256ELi32E10block_q6_KLi1EXadL_ZL17vec_dot_q6_K_q8_1PKvPK10block_q8_1RKiEEEvS2_S2_PT_iii ; -- Begin function _ZL13mul_mat_vec_qIfLi256ELi32E10block_q6_KLi1EXadL_ZL17vec_dot_q6_K_q8_1PKvPK10block_q8_1RKiEEEvS2_S2_PT_iii
	.p2align	8
	.type	_ZL13mul_mat_vec_qIfLi256ELi32E10block_q6_KLi1EXadL_ZL17vec_dot_q6_K_q8_1PKvPK10block_q8_1RKiEEEvS2_S2_PT_iii,@function
_ZL13mul_mat_vec_qIfLi256ELi32E10block_q6_KLi1EXadL_ZL17vec_dot_q6_K_q8_1PKvPK10block_q8_1RKiEEEvS2_S2_PT_iii: ; @_ZL13mul_mat_vec_qIfLi256ELi32E10block_q6_KLi1EXadL_ZL17vec_dot_q6_K_q8_1PKvPK10block_q8_1RKiEEEvS2_S2_PT_iii
; %bb.0:
	s_clause 0x1
	s_load_u16 s2, s[0:1], 0x36
	s_load_b96 s[4:6], s[0:1], 0x18
	v_bfe_u32 v1, v0, 10, 10
	s_wait_kmcnt 0x0
	s_delay_alu instid0(VALU_DEP_1)
	v_mad_co_u64_u32 v[1:2], null, ttmp9, s2, v[1:2]
	s_cmp_lt_u32 ttmp7, s6
	s_cselect_b32 s2, -1, 0
	v_cmp_gt_u32_e32 vcc_lo, s5, v1
	s_wait_alu 0xfffe
	s_and_b32 s2, s2, vcc_lo
	s_wait_alu 0xfffe
	s_and_saveexec_b32 s3, s2
	s_cbranch_execz .LBB67_7
; %bb.1:
	s_load_b64 s[6:7], s[0:1], 0x10
	s_ashr_i32 s2, s4, 31
	v_bfe_u32 v4, v0, 5, 5
	s_wait_alu 0xfffe
	s_lshr_b32 s2, s2, 24
	v_dual_mov_b32 v5, 0 :: v_dual_and_b32 v0, 0x3ff, v0
	s_wait_alu 0xfffe
	s_add_co_i32 s2, s4, s2
	s_mov_b32 s8, exec_lo
	s_wait_alu 0xfffe
	s_ashr_i32 s9, s2, 8
	s_delay_alu instid0(SALU_CYCLE_1)
	v_cmpx_gt_u32_e64 s9, v4
	s_cbranch_execz .LBB67_5
; %bb.2:
	v_dual_mov_b32 v5, 0 :: v_dual_and_b32 v2, 31, v0
	s_load_b128 s[0:3], s[0:1], 0x0
	s_addk_co_i32 s4, 0x1ff
	v_lshlrev_b32_e32 v14, 3, v4
	s_delay_alu instid0(VALU_DEP_2)
	v_add_nc_u32_e32 v3, 0xf0, v2
	v_cmp_gt_u32_e32 vcc_lo, 16, v2
	v_and_b32_e32 v9, 7, v0
	v_lshlrev_b32_e32 v7, 2, v2
	s_wait_alu 0xfffe
	s_ashr_i32 s10, s4, 31
	v_mul_lo_u32 v6, v1, s9
	v_cndmask_b32_e32 v10, v3, v2, vcc_lo
	v_cmp_lt_u32_e32 vcc_lo, 15, v2
	s_lshr_b32 s10, s10, 23
	s_delay_alu instid0(SALU_CYCLE_1) | instskip(NEXT) | instid1(VALU_DEP_2)
	s_add_co_i32 s4, s4, s10
	v_and_b32_e32 v12, 0xf8, v10
	s_wait_alu 0xfffd
	v_cndmask_b32_e64 v3, 0, 4, vcc_lo
	v_cndmask_b32_e64 v11, 0, 8, vcc_lo
	v_bfe_u32 v13, v10, 2, 6
	s_wait_alu 0xfffe
	s_ashr_i32 s4, s4, 9
	v_cmp_ne_u32_e32 vcc_lo, 0, v12
	s_wait_kmcnt 0x0
	v_mad_co_u64_u32 v[2:3], null, v3, 36, s[2:3]
	v_or_b32_e32 v8, v11, v9
	s_wait_alu 0xfffe
	s_mul_i32 s4, ttmp7, s4
	s_wait_alu 0xfffd
	v_cndmask_b32_e64 v12, 0, 1, vcc_lo
	v_lshlrev_b32_e32 v9, 2, v9
	v_cndmask_b32_e64 v10, 0, 2, vcc_lo
	v_lshlrev_b32_e32 v8, 2, v8
	v_add_nc_u32_e32 v11, v13, v11
	v_mad_co_u64_u32 v[2:3], null, v12, 36, v[2:3]
	s_wait_alu 0xfffe
	v_lshl_add_u32 v12, s4, 4, v14
	s_mov_b32 s2, 0
.LBB67_3:                               ; =>This Inner Loop Header: Depth=1
	v_add_nc_u32_e32 v15, v6, v4
	s_delay_alu instid0(VALU_DEP_2) | instskip(SKIP_2) | instid1(VALU_DEP_4)
	v_mad_co_i64_i32 v[13:14], null, v12, 36, v[2:3]
	v_add_nc_u32_e32 v4, 1, v4
	v_add_nc_u32_e32 v12, 8, v12
	v_mad_co_i64_i32 v[15:16], null, 0xd2, v15, s[0:1]
	s_delay_alu instid0(VALU_DEP_4) | instskip(SKIP_2) | instid1(VALU_DEP_3)
	v_add_co_u32 v17, vcc_lo, v13, v9
	s_wait_alu 0xfffd
	v_add_co_ci_u32_e64 v18, null, 0, v14, vcc_lo
	v_add_co_u32 v19, vcc_lo, v15, v7
	s_wait_alu 0xfffd
	s_delay_alu instid0(VALU_DEP_4)
	v_add_co_ci_u32_e64 v20, null, 0, v16, vcc_lo
	v_add_co_u32 v21, vcc_lo, v15, v8
	s_wait_alu 0xfffd
	v_add_co_ci_u32_e64 v22, null, 0, v16, vcc_lo
	global_load_b32 v23, v[17:18], off offset:4
	s_clause 0x1
	global_load_b32 v19, v[19:20], off
	global_load_b32 v20, v[21:22], off offset:128
	global_load_b32 v21, v[17:18], off offset:76
	v_add_co_u32 v17, vcc_lo, v15, v11
	s_wait_alu 0xfffd
	v_add_co_ci_u32_e64 v18, null, 0, v16, vcc_lo
	s_clause 0x1
	global_load_i8 v22, v[17:18], off offset:192
	global_load_i8 v17, v[17:18], off offset:196
	s_clause 0x1
	global_load_b32 v18, v[13:14], off
	global_load_b32 v13, v[13:14], off offset:72
	global_load_u16 v14, v[15:16], off offset:208
	v_cmp_le_u32_e32 vcc_lo, s9, v4
	s_wait_alu 0xfffe
	s_or_b32 s2, vcc_lo, s2
	s_wait_loadcnt 0x8
	v_lshrrev_b16 v15, 8, v23
	s_wait_loadcnt 0x7
	v_and_b32_e32 v28, 0xf0f0f0f, v19
	s_wait_loadcnt 0x6
	v_ashrrev_i32_e32 v20, v10, v20
	v_lshrrev_b32_e32 v19, 4, v19
	v_ashrrev_i32_e32 v16, 24, v23
	v_bfe_i32 v24, v23, 16, 8
	v_bfe_i32 v23, v23, 0, 8
	v_lshlrev_b32_e32 v29, 4, v20
	v_and_b32_e32 v19, 0xf0f0f0f, v19
	s_wait_loadcnt 0x5
	v_bfe_i32 v25, v21, 0, 8
	v_bfe_i32 v15, v15, 0, 8
	;; [unrolled: 1-line block ×3, first 2 shown]
	v_and_or_b32 v28, 0x30303030, v29, v28
	v_and_or_b32 v19, 0x30303030, v20, v19
	v_bfe_i32 v27, v21, 16, 8
	v_ashrrev_i32_e32 v21, 24, v21
	s_delay_alu instid0(VALU_DEP_4) | instskip(NEXT) | instid1(VALU_DEP_4)
	v_lshrrev_b32_e32 v20, 16, v28
	v_lshrrev_b32_e32 v30, 16, v19
	v_and_b32_e32 v31, 0x3f00, v19
	v_lshlrev_b16 v19, 8, v19
	v_lshlrev_b16 v29, 8, v28
	;; [unrolled: 1-line block ×3, first 2 shown]
	v_and_b32_e32 v20, 0x3f00, v20
	v_and_b32_e32 v33, 0x3f00, v30
	v_lshlrev_b16 v30, 8, v30
	v_add_nc_u16 v19, 0xe000, v19
	v_and_b32_e32 v28, 0x3f00, v28
	v_add_nc_u16 v29, 0xe000, v29
	v_add_nc_u16 v20, 0xe000, v20
	v_add_nc_u16 v30, 0xe000, v30
	v_lshrrev_b16 v19, 8, v19
	v_add_nc_u16 v28, 0xe000, v28
	v_ashrrev_i16 v29, 8, v29
	v_add_nc_u16 v32, 0xe000, v32
	v_ashrrev_i16 v20, 8, v20
	v_lshrrev_b16 v30, 8, v30
	v_or_b32_e32 v19, v31, v19
	v_ashrrev_i16 v28, 8, v28
	v_ashrrev_i16 v32, 8, v32
	v_bfe_i32 v29, v29, 0, 16
	v_bfe_i32 v20, v20, 0, 16
	v_or_b32_e32 v30, v33, v30
	v_add_nc_u16 v19, 0xe000, v19
	v_bfe_i32 v28, v28, 0, 16
	v_bfe_i32 v31, v32, 0, 16
	v_mul_i32_i24_e32 v23, v29, v23
	v_mul_i32_i24_e32 v16, v20, v16
	v_add_nc_u16 v20, 0xe000, v30
	v_bfe_i32 v29, v19, 0, 8
	v_mul_i32_i24_e32 v24, v31, v24
	v_bfe_i32 v19, v19, 8, 8
	v_mad_i32_i24 v15, v28, v15, v16
	v_bfe_i32 v16, v20, 0, 8
	v_bfe_i32 v20, v20, 8, 8
	v_mul_i32_i24_e32 v25, v25, v29
	s_delay_alu instid0(VALU_DEP_4) | instskip(NEXT) | instid1(VALU_DEP_4)
	v_add3_u32 v15, v23, v24, v15
	v_mul_i32_i24_e32 v16, v27, v16
	s_delay_alu instid0(VALU_DEP_4) | instskip(NEXT) | instid1(VALU_DEP_4)
	v_mul_i32_i24_e32 v20, v21, v20
	v_mad_i32_i24 v19, v26, v19, v25
	s_wait_loadcnt 0x4
	v_mul_lo_u32 v15, v15, v22
	s_delay_alu instid0(VALU_DEP_2) | instskip(SKIP_1) | instid1(VALU_DEP_1)
	v_add3_u32 v16, v19, v16, v20
	s_wait_loadcnt 0x3
	v_mul_lo_u32 v16, v16, v17
	s_delay_alu instid0(VALU_DEP_3) | instskip(SKIP_1) | instid1(VALU_DEP_1)
	v_cvt_f32_i32_e32 v15, v15
	s_wait_loadcnt 0x2
	v_fma_mix_f32 v15, v18, v15, 0 op_sel_hi:[1,0,0]
	s_delay_alu instid0(VALU_DEP_3) | instskip(SKIP_1) | instid1(VALU_DEP_1)
	v_cvt_f32_i32_e32 v16, v16
	s_wait_loadcnt 0x1
	v_fma_mix_f32 v13, v13, v16, v15 op_sel_hi:[1,0,0]
	s_wait_loadcnt 0x0
	s_delay_alu instid0(VALU_DEP_1)
	v_fma_mix_f32 v5, v13, v14, v5 op_sel_hi:[0,1,0]
	s_wait_alu 0xfffe
	s_and_not1_b32 exec_lo, exec_lo, s2
	s_cbranch_execnz .LBB67_3
; %bb.4:
	s_or_b32 exec_lo, exec_lo, s2
.LBB67_5:
	s_delay_alu instid0(SALU_CYCLE_1) | instskip(SKIP_1) | instid1(VALU_DEP_1)
	s_or_b32 exec_lo, exec_lo, s8
	v_mbcnt_lo_u32_b32 v2, -1, 0
	v_xor_b32_e32 v3, 16, v2
	v_xor_b32_e32 v4, 8, v2
	s_delay_alu instid0(VALU_DEP_2) | instskip(SKIP_2) | instid1(VALU_DEP_3)
	v_cmp_gt_i32_e32 vcc_lo, 32, v3
	s_wait_alu 0xfffd
	v_cndmask_b32_e32 v3, v2, v3, vcc_lo
	v_cmp_gt_i32_e32 vcc_lo, 32, v4
	s_wait_alu 0xfffd
	v_cndmask_b32_e32 v4, v2, v4, vcc_lo
	s_delay_alu instid0(VALU_DEP_1)
	v_lshlrev_b32_e32 v4, 2, v4
	v_lshlrev_b32_e32 v3, 2, v3
	ds_bpermute_b32 v3, v3, v5
	s_wait_dscnt 0x0
	v_add_f32_e32 v3, v5, v3
	v_xor_b32_e32 v5, 4, v2
	ds_bpermute_b32 v4, v4, v3
	v_cmp_gt_i32_e32 vcc_lo, 32, v5
	s_wait_alu 0xfffd
	v_cndmask_b32_e32 v5, v2, v5, vcc_lo
	s_delay_alu instid0(VALU_DEP_1) | instskip(SKIP_4) | instid1(VALU_DEP_1)
	v_lshlrev_b32_e32 v5, 2, v5
	s_wait_dscnt 0x0
	v_add_f32_e32 v3, v3, v4
	ds_bpermute_b32 v4, v5, v3
	v_xor_b32_e32 v5, 2, v2
	v_cmp_gt_i32_e32 vcc_lo, 32, v5
	s_wait_alu 0xfffd
	v_cndmask_b32_e32 v5, v2, v5, vcc_lo
	s_delay_alu instid0(VALU_DEP_1) | instskip(SKIP_4) | instid1(VALU_DEP_1)
	v_lshlrev_b32_e32 v5, 2, v5
	s_wait_dscnt 0x0
	v_add_f32_e32 v3, v3, v4
	ds_bpermute_b32 v4, v5, v3
	v_xor_b32_e32 v5, 1, v2
	v_cmp_gt_i32_e32 vcc_lo, 32, v5
	s_wait_alu 0xfffd
	v_cndmask_b32_e32 v5, v2, v5, vcc_lo
	v_cmp_eq_u32_e32 vcc_lo, 0, v0
	s_wait_dscnt 0x0
	s_delay_alu instid0(VALU_DEP_2)
	v_dual_add_f32 v2, v3, v4 :: v_dual_lshlrev_b32 v3, 2, v5
	ds_bpermute_b32 v3, v3, v2
	s_and_b32 exec_lo, exec_lo, vcc_lo
	s_cbranch_execz .LBB67_7
; %bb.6:
	v_mad_co_u64_u32 v[0:1], null, s5, ttmp7, v[1:2]
	s_wait_dscnt 0x0
	v_dual_mov_b32 v1, 0 :: v_dual_add_f32 v2, v2, v3
	s_delay_alu instid0(VALU_DEP_1) | instskip(SKIP_1) | instid1(VALU_DEP_1)
	v_lshlrev_b64_e32 v[0:1], 2, v[0:1]
	s_wait_kmcnt 0x0
	v_add_co_u32 v0, vcc_lo, s6, v0
	s_wait_alu 0xfffd
	s_delay_alu instid0(VALU_DEP_2)
	v_add_co_ci_u32_e64 v1, null, s7, v1, vcc_lo
	global_store_b32 v[0:1], v2, off
.LBB67_7:
	s_endpgm
	.section	.rodata,"a",@progbits
	.p2align	6, 0x0
	.amdhsa_kernel _ZL13mul_mat_vec_qIfLi256ELi32E10block_q6_KLi1EXadL_ZL17vec_dot_q6_K_q8_1PKvPK10block_q8_1RKiEEEvS2_S2_PT_iii
		.amdhsa_group_segment_fixed_size 0
		.amdhsa_private_segment_fixed_size 0
		.amdhsa_kernarg_size 296
		.amdhsa_user_sgpr_count 2
		.amdhsa_user_sgpr_dispatch_ptr 0
		.amdhsa_user_sgpr_queue_ptr 0
		.amdhsa_user_sgpr_kernarg_segment_ptr 1
		.amdhsa_user_sgpr_dispatch_id 0
		.amdhsa_user_sgpr_private_segment_size 0
		.amdhsa_wavefront_size32 1
		.amdhsa_uses_dynamic_stack 0
		.amdhsa_enable_private_segment 0
		.amdhsa_system_sgpr_workgroup_id_x 1
		.amdhsa_system_sgpr_workgroup_id_y 1
		.amdhsa_system_sgpr_workgroup_id_z 0
		.amdhsa_system_sgpr_workgroup_info 0
		.amdhsa_system_vgpr_workitem_id 1
		.amdhsa_next_free_vgpr 34
		.amdhsa_next_free_sgpr 11
		.amdhsa_reserve_vcc 1
		.amdhsa_float_round_mode_32 0
		.amdhsa_float_round_mode_16_64 0
		.amdhsa_float_denorm_mode_32 3
		.amdhsa_float_denorm_mode_16_64 3
		.amdhsa_fp16_overflow 0
		.amdhsa_workgroup_processor_mode 1
		.amdhsa_memory_ordered 1
		.amdhsa_forward_progress 1
		.amdhsa_inst_pref_size 12
		.amdhsa_round_robin_scheduling 0
		.amdhsa_exception_fp_ieee_invalid_op 0
		.amdhsa_exception_fp_denorm_src 0
		.amdhsa_exception_fp_ieee_div_zero 0
		.amdhsa_exception_fp_ieee_overflow 0
		.amdhsa_exception_fp_ieee_underflow 0
		.amdhsa_exception_fp_ieee_inexact 0
		.amdhsa_exception_int_div_zero 0
	.end_amdhsa_kernel
	.section	.text._ZL13mul_mat_vec_qIfLi256ELi32E10block_q6_KLi1EXadL_ZL17vec_dot_q6_K_q8_1PKvPK10block_q8_1RKiEEEvS2_S2_PT_iii,"axG",@progbits,_ZL13mul_mat_vec_qIfLi256ELi32E10block_q6_KLi1EXadL_ZL17vec_dot_q6_K_q8_1PKvPK10block_q8_1RKiEEEvS2_S2_PT_iii,comdat
.Lfunc_end67:
	.size	_ZL13mul_mat_vec_qIfLi256ELi32E10block_q6_KLi1EXadL_ZL17vec_dot_q6_K_q8_1PKvPK10block_q8_1RKiEEEvS2_S2_PT_iii, .Lfunc_end67-_ZL13mul_mat_vec_qIfLi256ELi32E10block_q6_KLi1EXadL_ZL17vec_dot_q6_K_q8_1PKvPK10block_q8_1RKiEEEvS2_S2_PT_iii
                                        ; -- End function
	.set _ZL13mul_mat_vec_qIfLi256ELi32E10block_q6_KLi1EXadL_ZL17vec_dot_q6_K_q8_1PKvPK10block_q8_1RKiEEEvS2_S2_PT_iii.num_vgpr, 34
	.set _ZL13mul_mat_vec_qIfLi256ELi32E10block_q6_KLi1EXadL_ZL17vec_dot_q6_K_q8_1PKvPK10block_q8_1RKiEEEvS2_S2_PT_iii.num_agpr, 0
	.set _ZL13mul_mat_vec_qIfLi256ELi32E10block_q6_KLi1EXadL_ZL17vec_dot_q6_K_q8_1PKvPK10block_q8_1RKiEEEvS2_S2_PT_iii.numbered_sgpr, 11
	.set _ZL13mul_mat_vec_qIfLi256ELi32E10block_q6_KLi1EXadL_ZL17vec_dot_q6_K_q8_1PKvPK10block_q8_1RKiEEEvS2_S2_PT_iii.num_named_barrier, 0
	.set _ZL13mul_mat_vec_qIfLi256ELi32E10block_q6_KLi1EXadL_ZL17vec_dot_q6_K_q8_1PKvPK10block_q8_1RKiEEEvS2_S2_PT_iii.private_seg_size, 0
	.set _ZL13mul_mat_vec_qIfLi256ELi32E10block_q6_KLi1EXadL_ZL17vec_dot_q6_K_q8_1PKvPK10block_q8_1RKiEEEvS2_S2_PT_iii.uses_vcc, 1
	.set _ZL13mul_mat_vec_qIfLi256ELi32E10block_q6_KLi1EXadL_ZL17vec_dot_q6_K_q8_1PKvPK10block_q8_1RKiEEEvS2_S2_PT_iii.uses_flat_scratch, 0
	.set _ZL13mul_mat_vec_qIfLi256ELi32E10block_q6_KLi1EXadL_ZL17vec_dot_q6_K_q8_1PKvPK10block_q8_1RKiEEEvS2_S2_PT_iii.has_dyn_sized_stack, 0
	.set _ZL13mul_mat_vec_qIfLi256ELi32E10block_q6_KLi1EXadL_ZL17vec_dot_q6_K_q8_1PKvPK10block_q8_1RKiEEEvS2_S2_PT_iii.has_recursion, 0
	.set _ZL13mul_mat_vec_qIfLi256ELi32E10block_q6_KLi1EXadL_ZL17vec_dot_q6_K_q8_1PKvPK10block_q8_1RKiEEEvS2_S2_PT_iii.has_indirect_call, 0
	.section	.AMDGPU.csdata,"",@progbits
; Kernel info:
; codeLenInByte = 1500
; TotalNumSgprs: 13
; NumVgprs: 34
; ScratchSize: 0
; MemoryBound: 0
; FloatMode: 240
; IeeeMode: 1
; LDSByteSize: 0 bytes/workgroup (compile time only)
; SGPRBlocks: 0
; VGPRBlocks: 4
; NumSGPRsForWavesPerEU: 13
; NumVGPRsForWavesPerEU: 34
; Occupancy: 16
; WaveLimiterHint : 0
; COMPUTE_PGM_RSRC2:SCRATCH_EN: 0
; COMPUTE_PGM_RSRC2:USER_SGPR: 2
; COMPUTE_PGM_RSRC2:TRAP_HANDLER: 0
; COMPUTE_PGM_RSRC2:TGID_X_EN: 1
; COMPUTE_PGM_RSRC2:TGID_Y_EN: 1
; COMPUTE_PGM_RSRC2:TGID_Z_EN: 0
; COMPUTE_PGM_RSRC2:TIDIG_COMP_CNT: 1
	.section	.text._ZL13mul_mat_vec_qIfLi256ELi8E13block_iq2_xxsLi1EXadL_ZL20vec_dot_iq2_xxs_q8_1PKvPK10block_q8_1RKiEEEvS2_S2_PT_iii,"axG",@progbits,_ZL13mul_mat_vec_qIfLi256ELi8E13block_iq2_xxsLi1EXadL_ZL20vec_dot_iq2_xxs_q8_1PKvPK10block_q8_1RKiEEEvS2_S2_PT_iii,comdat
	.globl	_ZL13mul_mat_vec_qIfLi256ELi8E13block_iq2_xxsLi1EXadL_ZL20vec_dot_iq2_xxs_q8_1PKvPK10block_q8_1RKiEEEvS2_S2_PT_iii ; -- Begin function _ZL13mul_mat_vec_qIfLi256ELi8E13block_iq2_xxsLi1EXadL_ZL20vec_dot_iq2_xxs_q8_1PKvPK10block_q8_1RKiEEEvS2_S2_PT_iii
	.p2align	8
	.type	_ZL13mul_mat_vec_qIfLi256ELi8E13block_iq2_xxsLi1EXadL_ZL20vec_dot_iq2_xxs_q8_1PKvPK10block_q8_1RKiEEEvS2_S2_PT_iii,@function
_ZL13mul_mat_vec_qIfLi256ELi8E13block_iq2_xxsLi1EXadL_ZL20vec_dot_iq2_xxs_q8_1PKvPK10block_q8_1RKiEEEvS2_S2_PT_iii: ; @_ZL13mul_mat_vec_qIfLi256ELi8E13block_iq2_xxsLi1EXadL_ZL20vec_dot_iq2_xxs_q8_1PKvPK10block_q8_1RKiEEEvS2_S2_PT_iii
; %bb.0:
	s_clause 0x1
	s_load_u16 s2, s[0:1], 0x36
	s_load_b96 s[16:18], s[0:1], 0x18
	v_bfe_u32 v1, v0, 10, 10
	s_wait_kmcnt 0x0
	s_delay_alu instid0(VALU_DEP_1)
	v_mad_co_u64_u32 v[1:2], null, ttmp9, s2, v[1:2]
	s_cmp_lt_u32 ttmp7, s18
	s_cselect_b32 s2, -1, 0
	v_cmp_gt_u32_e32 vcc_lo, s17, v1
	s_wait_alu 0xfffe
	s_and_b32 s2, s2, vcc_lo
	s_wait_alu 0xfffe
	s_and_saveexec_b32 s3, s2
	s_cbranch_execz .LBB68_7
; %bb.1:
	s_load_b64 s[18:19], s[0:1], 0x10
	s_ashr_i32 s2, s16, 31
	v_bfe_u32 v4, v0, 3, 7
	s_wait_alu 0xfffe
	s_lshr_b32 s2, s2, 24
	v_dual_mov_b32 v5, 0 :: v_dual_and_b32 v0, 0x3ff, v0
	s_wait_alu 0xfffe
	s_add_co_i32 s2, s16, s2
	s_mov_b32 s11, exec_lo
	s_wait_alu 0xfffe
	s_ashr_i32 s20, s2, 8
	s_delay_alu instid0(SALU_CYCLE_1)
	v_cmpx_gt_u32_e64 s20, v4
	s_cbranch_execz .LBB68_5
; %bb.2:
	s_load_b128 s[12:15], s[0:1], 0x0
	s_add_co_i32 s0, s16, 0x1ff
	v_dual_mov_b32 v5, 0 :: v_dual_and_b32 v2, 7, v0
	s_wait_alu 0xfffe
	s_ashr_i32 s1, s0, 31
	v_lshlrev_b32_e32 v7, 3, v4
	s_wait_alu 0xfffe
	s_lshr_b32 s1, s1, 23
	v_lshlrev_b32_e32 v8, 2, v2
	s_wait_alu 0xfffe
	s_add_co_i32 s0, s0, s1
	v_mul_lo_u32 v6, v1, s20
	s_wait_alu 0xfffe
	s_ashr_i32 s0, s0, 9
	s_wait_alu 0xfffe
	s_mul_i32 s0, ttmp7, s0
	v_lshlrev_b32_e32 v8, 1, v8
	s_wait_alu 0xfffe
	v_lshl_add_u32 v7, s0, 4, v7
	s_wait_kmcnt 0x0
	v_mad_co_u64_u32 v[2:3], null, v2, 36, s[14:15]
	s_mov_b32 s14, 0
.LBB68_3:                               ; =>This Inner Loop Header: Depth=1
	v_add_nc_u32_e32 v9, v6, v4
	v_mad_co_i64_i32 v[19:20], null, v7, 36, v[2:3]
	s_getpc_b64 s[0:1]
	s_wait_alu 0xfffe
	s_sext_i32_i16 s1, s1
	s_add_co_u32 s0, s0, _ZL11iq2xxs_grid@rel32@lo+12
	s_wait_alu 0xfffe
	s_add_co_ci_u32 s1, s1, _ZL11iq2xxs_grid@rel32@hi+24
	s_getpc_b64 s[2:3]
	s_wait_alu 0xfffe
	s_sext_i32_i16 s3, s3
	s_add_co_u32 s2, s2, _ZL12ksigns_iq2xs@rel32@lo+12
	s_wait_alu 0xfffe
	s_add_co_ci_u32 s3, s3, _ZL12ksigns_iq2xs@rel32@hi+24
	v_mad_co_i64_i32 v[17:18], null, 0x42, v9, s[12:13]
	v_add_nc_u32_e32 v4, 4, v4
	v_add_nc_u32_e32 v7, 32, v7
	s_delay_alu instid0(VALU_DEP_3) | instskip(SKIP_1) | instid1(VALU_DEP_4)
	v_add_co_u32 v9, vcc_lo, v17, v8
	s_wait_alu 0xfffd
	v_add_co_ci_u32_e64 v10, null, 0, v18, vcc_lo
	s_clause 0x1
	global_load_b32 v21, v[9:10], off offset:2
	global_load_b32 v27, v[9:10], off offset:6
	s_clause 0x1
	global_load_b128 v[9:12], v[19:20], off offset:4
	global_load_b128 v[13:16], v[19:20], off offset:20
	global_load_u16 v28, v[17:18], off
	s_wait_loadcnt 0x2
	v_bfe_i32 v39, v10, 0, 8
	v_and_b32_e32 v29, 0x7f, v27
	v_bfe_u32 v30, v27, 7, 7
	v_bfe_u32 v31, v27, 14, 7
	;; [unrolled: 1-line block ×3, first 2 shown]
	v_lshrrev_b32_e32 v27, 28, v27
	s_clause 0x2
	global_load_i8 v33, v29, s[2:3]
	global_load_i8 v34, v30, s[2:3]
	;; [unrolled: 1-line block ×3, first 2 shown]
	v_lshrrev_b32_e32 v22, 13, v21
	v_cvt_f32_ubyte0_e32 v27, v27
	v_and_b32_e32 v17, 0xff, v21
	v_lshrrev_b32_e32 v18, 5, v21
	s_wait_loadcnt 0x3
	v_cvt_f32_f16_e32 v28, v28
	v_dual_add_f32 v27, 0.5, v27 :: v_dual_and_b32 v24, 0x7f8, v22
	v_lshrrev_b32_e32 v21, 21, v21
	v_lshlrev_b32_e32 v17, 3, v17
	v_bfe_i32 v37, v9, 8, 8
	v_bfe_i32 v59, v16, 16, 8
	v_mul_f32_e32 v27, v27, v28
	v_and_b32_e32 v25, 0x7f8, v21
	v_bfe_i32 v38, v9, 16, 8
	v_bfe_i32 v50, v13, 16, 8
	v_bfe_i32 v52, v14, 8, 8
	v_bfe_i32 v55, v15, 8, 8
	v_bfe_i32 v56, v15, 16, 8
	v_bfe_i32 v40, v10, 8, 8
	v_bfe_i32 v47, v12, 16, 8
	v_bfe_i32 v48, v13, 0, 8
	v_bfe_i32 v49, v13, 8, 8
	v_bfe_i32 v51, v14, 0, 8
	v_bfe_i32 v53, v14, 16, 8
	v_bfe_i32 v54, v15, 0, 8
	v_bfe_i32 v57, v16, 0, 8
	v_bfe_i32 v58, v16, 8, 8
	v_bfe_i32 v41, v10, 16, 8
	v_ashrrev_i32_e32 v10, 24, v10
	v_bfe_i32 v42, v11, 0, 8
	v_bfe_i32 v43, v11, 8, 8
	;; [unrolled: 1-line block ×3, first 2 shown]
	v_ashrrev_i32_e32 v11, 24, v11
	v_bfe_i32 v45, v12, 0, 8
	v_bfe_i32 v46, v12, 8, 8
	v_ashrrev_i32_e32 v12, 24, v12
	v_ashrrev_i32_e32 v13, 24, v13
	;; [unrolled: 1-line block ×5, first 2 shown]
	s_wait_loadcnt 0x2
	v_and_b32_e32 v28, 1, v33
	v_and_b32_e32 v23, 0x7f8, v18
	v_and_b32_e32 v61, 4, v33
	global_load_i8 v36, v32, s[2:3]
	s_clause 0x3
	global_load_b64 v[17:18], v17, s[0:1]
	global_load_b64 v[21:22], v23, s[0:1]
	;; [unrolled: 1-line block ×4, first 2 shown]
	global_load_u16 v19, v[19:20], off
	v_bfe_i32 v20, v9, 0, 8
	v_ashrrev_i32_e32 v9, 24, v9
	v_and_b32_e32 v62, 8, v33
	v_cmp_eq_u16_e64 s10, 0, v28
	v_and_b32_e32 v63, 16, v33
	v_and_b32_e32 v64, 32, v33
	s_wait_loadcnt 0x7
	v_and_b32_e32 v65, 1, v34
	v_cmp_eq_u16_e64 s0, 0, v62
	v_cmp_gt_i16_e64 s2, 0, v33
	v_and_b32_e32 v67, 4, v34
	v_cmp_eq_u16_e64 s1, 0, v64
	v_and_b32_e32 v68, 8, v34
	v_and_b32_e32 v93, 16, v34
	v_cmp_gt_i16_e64 s6, 0, v34
	s_delay_alu instid0(VALU_DEP_3)
	v_cmp_eq_u16_e64 s4, 0, v68
	s_wait_loadcnt 0x4
	v_and_b32_e32 v73, 0xff, v18
	v_and_b32_e32 v71, 0xff, v17
	v_bfe_u32 v72, v17, 8, 8
	s_wait_loadcnt 0x1
	v_lshrrev_b32_e32 v88, 24, v26
	v_and_b32_e32 v91, 0xff, v26
	v_bfe_u32 v92, v26, 8, 8
	v_bfe_u32 v26, v26, 16, 8
	v_mul_i32_i24_e32 v39, v73, v39
	v_lshrrev_b32_e32 v69, 24, v17
	v_bfe_u32 v17, v17, 16, 8
	v_lshrrev_b32_e32 v81, 24, v23
	v_and_b32_e32 v83, 0xff, v23
	v_bfe_u32 v84, v23, 8, 8
	v_bfe_u32 v23, v23, 16, 8
	;; [unrolled: 1-line block ×3, first 2 shown]
	v_lshrrev_b32_e32 v87, 24, v25
	v_and_b32_e32 v89, 0xff, v25
	v_bfe_u32 v90, v25, 8, 8
	v_bfe_u32 v25, v25, 16, 8
	v_mul_i32_i24_e32 v20, v71, v20
	v_mul_i32_i24_e32 v37, v72, v37
	;; [unrolled: 1-line block ×3, first 2 shown]
	v_sub_nc_u32_e32 v59, 0, v39
	v_and_b32_e32 v60, 2, v33
	v_bfe_u32 v74, v18, 8, 8
	v_lshrrev_b32_e32 v76, 24, v22
	v_and_b32_e32 v79, 0xff, v22
	v_bfe_u32 v80, v22, 8, 8
	v_bfe_u32 v22, v22, 16, 8
	v_lshrrev_b32_e32 v82, 24, v24
	v_and_b32_e32 v85, 0xff, v24
	v_bfe_u32 v24, v24, 16, 8
	v_mul_i32_i24_e32 v17, v17, v38
	v_mul_i32_i24_e32 v9, v69, v9
	;; [unrolled: 1-line block ×6, first 2 shown]
	v_sub_nc_u32_e32 v55, 0, v20
	v_sub_nc_u32_e32 v56, 0, v37
	v_cmp_eq_u16_e32 vcc_lo, 0, v60
	v_lshrrev_b32_e32 v70, 24, v18
	v_bfe_u32 v18, v18, 16, 8
	v_mul_i32_i24_e32 v40, v74, v40
	v_mul_i32_i24_e32 v22, v22, v47
	;; [unrolled: 1-line block ×9, first 2 shown]
	v_sub_nc_u32_e32 v57, 0, v17
	v_sub_nc_u32_e32 v58, 0, v9
	s_wait_alu 0xf1ff
	v_cndmask_b32_e64 v20, v55, v20, s10
	s_wait_alu 0xfffd
	v_cndmask_b32_e32 v28, v56, v37, vcc_lo
	v_cmp_eq_u16_e32 vcc_lo, 0, v61
	v_and_b32_e32 v66, 2, v34
	v_and_b32_e32 v77, 0xff, v21
	v_bfe_u32 v78, v21, 8, 8
	v_mul_i32_i24_e32 v18, v18, v41
	v_mul_i32_i24_e32 v10, v70, v10
	v_sub_nc_u32_e32 v60, 0, v40
	s_wait_alu 0xfffd
	v_cndmask_b32_e32 v17, v57, v17, vcc_lo
	v_cndmask_b32_e64 v9, v58, v9, s0
	v_add_nc_u32_e32 v20, v28, v20
	v_cmp_eq_u16_e32 vcc_lo, 0, v63
	v_lshrrev_b32_e32 v75, 24, v21
	v_bfe_u32 v21, v21, 16, 8
	v_mul_i32_i24_e32 v42, v77, v42
	v_mul_i32_i24_e32 v43, v78, v43
	v_sub_nc_u32_e32 v62, 0, v18
	v_sub_nc_u32_e32 v64, 0, v10
	s_wait_alu 0xfffd
	v_cndmask_b32_e32 v39, v59, v39, vcc_lo
	v_cndmask_b32_e64 v40, v60, v40, s1
	v_add3_u32 v9, v20, v17, v9
	v_cmp_gt_u32_e64 s0, 64, v29
	v_mul_i32_i24_e32 v21, v21, v44
	v_mul_i32_i24_e32 v11, v75, v11
	;; [unrolled: 1-line block ×3, first 2 shown]
	v_sub_nc_u32_e32 v33, 0, v42
	v_sub_nc_u32_e32 v76, 0, v43
	v_cmp_eq_u16_e64 s3, 0, v66
	s_wait_alu 0xf1ff
	v_cndmask_b32_e64 v17, v62, v18, s0
	v_cndmask_b32_e64 v10, v10, v64, s2
	v_add3_u32 v9, v9, v39, v40
	v_cmp_eq_u16_e64 s0, 0, v65
	v_and_b32_e32 v71, 32, v34
	v_mul_i32_i24_e32 v45, v79, v45
	v_mul_i32_i24_e32 v46, v80, v46
	v_sub_nc_u32_e32 v66, 0, v21
	v_sub_nc_u32_e32 v80, 0, v11
	s_wait_alu 0xf1ff
	v_cndmask_b32_e64 v20, v33, v42, s0
	s_wait_alu 0xfffe
	v_cndmask_b32_e64 v29, v76, v43, s3
	v_add3_u32 v9, v9, v17, v10
	v_cmp_eq_u16_e64 s0, 0, v67
	v_mul_i32_i24_e32 v13, v81, v13
	v_sub_nc_u32_e32 v68, 0, v45
	v_sub_nc_u32_e32 v81, 0, v46
	v_cmp_eq_u16_e64 s5, 0, v71
	s_wait_alu 0xf1ff
	v_cndmask_b32_e64 v17, v66, v21, s0
	v_cndmask_b32_e64 v11, v80, v11, s4
	v_add3_u32 v9, v9, v20, v29
	v_cmp_eq_u16_e64 s1, 0, v93
	v_and_b32_e32 v72, 1, v35
	v_and_b32_e32 v38, 2, v35
	v_mul_i32_i24_e32 v14, v82, v14
	v_sub_nc_u32_e32 v71, 0, v22
	v_sub_nc_u32_e32 v82, 0, v12
	s_wait_alu 0xf1ff
	v_cndmask_b32_e64 v20, v68, v45, s1
	v_cndmask_b32_e64 v21, v81, v46, s5
	v_add3_u32 v9, v9, v17, v11
	v_cmp_gt_u32_e64 s1, 64, v30
	v_and_b32_e32 v69, 4, v35
	v_and_b32_e32 v73, 8, v35
	v_sub_nc_u32_e32 v34, 0, v47
	v_sub_nc_u32_e32 v83, 0, v48
	v_cmp_eq_u16_e64 s7, 0, v38
	s_wait_alu 0xf1ff
	v_cndmask_b32_e64 v17, v71, v22, s1
	v_cndmask_b32_e64 v12, v12, v82, s6
	v_add3_u32 v9, v9, v20, v21
	v_cmp_eq_u16_e64 s1, 0, v72
	v_and_b32_e32 v74, 16, v35
	v_and_b32_e32 v41, 32, v35
	v_sub_nc_u32_e32 v38, 0, v23
	v_sub_nc_u32_e32 v84, 0, v13
	v_cmp_eq_u16_e64 s8, 0, v73
	s_wait_alu 0xf1ff
	v_cndmask_b32_e64 v21, v34, v47, s1
	v_cndmask_b32_e64 v22, v83, v48, s7
	v_add3_u32 v9, v9, v17, v12
	v_cmp_eq_u16_e64 s2, 0, v69
	v_sub_nc_u32_e32 v73, 0, v49
	v_sub_nc_u32_e32 v85, 0, v50
	v_cmp_eq_u16_e64 s9, 0, v41
	v_cndmask_b32_e64 v13, v84, v13, s8
	s_wait_alu 0xf1ff
	v_cndmask_b32_e64 v12, v38, v23, s2
	v_add3_u32 v9, v9, v21, v22
	v_cmp_eq_u16_e64 s2, 0, v74
	v_and_b32_e32 v70, 1, v36
	v_and_b32_e32 v77, 2, v36
	v_sub_nc_u32_e32 v37, 0, v24
	v_sub_nc_u32_e32 v28, 0, v14
	v_cmp_gt_i16_e32 vcc_lo, 0, v35
	s_wait_alu 0xf1ff
	v_cndmask_b32_e64 v21, v73, v49, s2
	v_cndmask_b32_e64 v22, v85, v50, s9
	v_add3_u32 v9, v9, v12, v13
	v_cmp_gt_u32_e64 s2, 64, v31
	v_and_b32_e32 v78, 4, v36
	v_and_b32_e32 v44, 8, v36
	v_mul_i32_i24_e32 v15, v87, v15
	v_sub_nc_u32_e32 v18, 0, v51
	v_sub_nc_u32_e32 v10, 0, v52
	v_cmp_eq_u16_e64 s0, 0, v77
	s_wait_alu 0xf1ff
	v_cndmask_b32_e64 v13, v37, v24, s2
	s_wait_alu 0xfffd
	v_cndmask_b32_e32 v14, v14, v28, vcc_lo
	v_add3_u32 v9, v9, v21, v22
	v_cmp_eq_u16_e64 s2, 0, v70
	v_and_b32_e32 v75, 16, v36
	v_and_b32_e32 v79, 32, v36
	v_sub_nc_u32_e32 v11, 0, v25
	v_sub_nc_u32_e32 v20, 0, v15
	v_cmp_eq_u16_e64 s1, 0, v44
	s_wait_alu 0xf1ff
	v_cndmask_b32_e64 v18, v18, v51, s2
	v_cndmask_b32_e64 v10, v10, v52, s0
	v_add3_u32 v9, v9, v13, v14
	v_cmp_eq_u16_e64 s0, 0, v78
	v_mul_i32_i24_e32 v16, v88, v16
	v_sub_nc_u32_e32 v17, 0, v53
	v_sub_nc_u32_e32 v12, 0, v54
	v_cmp_eq_u16_e32 vcc_lo, 0, v79
	s_wait_alu 0xf1ff
	v_cndmask_b32_e64 v11, v11, v25, s0
	v_cndmask_b32_e64 v14, v20, v15, s1
	v_add3_u32 v9, v9, v18, v10
	v_cmp_eq_u16_e64 s0, 0, v75
	v_sub_nc_u32_e32 v13, 0, v26
	v_sub_nc_u32_e32 v10, 0, v16
	s_wait_alu 0xfffd
	v_cndmask_b32_e32 v12, v12, v54, vcc_lo
	v_add3_u32 v9, v9, v11, v14
	s_wait_alu 0xf1ff
	v_cndmask_b32_e64 v15, v17, v53, s0
	v_cmp_gt_i16_e32 vcc_lo, 0, v36
	v_cmp_gt_u32_e64 s0, 64, v32
	s_wait_loadcnt 0x0
	v_cvt_f32_f16_e32 v19, v19
	v_add3_u32 v9, v9, v15, v12
	s_wait_alu 0xfffd
	v_cndmask_b32_e32 v10, v16, v10, vcc_lo
	s_wait_alu 0xf1ff
	v_cndmask_b32_e64 v11, v13, v26, s0
	v_mul_f32_e32 v12, v27, v19
	v_cmp_le_u32_e32 vcc_lo, s20, v4
	s_delay_alu instid0(VALU_DEP_3) | instskip(NEXT) | instid1(VALU_DEP_3)
	v_add3_u32 v9, v9, v11, v10
	v_mul_f32_e32 v10, 0x3e800000, v12
	s_or_b32 s14, vcc_lo, s14
	s_delay_alu instid0(VALU_DEP_2) | instskip(NEXT) | instid1(VALU_DEP_1)
	v_cvt_f32_i32_e32 v9, v9
	v_fmac_f32_e32 v5, v10, v9
	s_wait_alu 0xfffe
	s_and_not1_b32 exec_lo, exec_lo, s14
	s_cbranch_execnz .LBB68_3
; %bb.4:
	s_or_b32 exec_lo, exec_lo, s14
.LBB68_5:
	s_delay_alu instid0(SALU_CYCLE_1) | instskip(SKIP_1) | instid1(VALU_DEP_1)
	s_or_b32 exec_lo, exec_lo, s11
	v_mbcnt_lo_u32_b32 v2, -1, 0
	v_xor_b32_e32 v3, 16, v2
	v_xor_b32_e32 v4, 8, v2
	s_delay_alu instid0(VALU_DEP_2) | instskip(SKIP_2) | instid1(VALU_DEP_3)
	v_cmp_gt_i32_e32 vcc_lo, 32, v3
	s_wait_alu 0xfffd
	v_cndmask_b32_e32 v3, v2, v3, vcc_lo
	v_cmp_gt_i32_e32 vcc_lo, 32, v4
	s_wait_alu 0xfffd
	v_cndmask_b32_e32 v4, v2, v4, vcc_lo
	s_delay_alu instid0(VALU_DEP_1)
	v_lshlrev_b32_e32 v4, 2, v4
	v_lshlrev_b32_e32 v3, 2, v3
	ds_bpermute_b32 v3, v3, v5
	s_wait_dscnt 0x0
	v_add_f32_e32 v3, v5, v3
	v_xor_b32_e32 v5, 4, v2
	ds_bpermute_b32 v4, v4, v3
	v_cmp_gt_i32_e32 vcc_lo, 32, v5
	s_wait_alu 0xfffd
	v_cndmask_b32_e32 v5, v2, v5, vcc_lo
	s_delay_alu instid0(VALU_DEP_1) | instskip(SKIP_4) | instid1(VALU_DEP_1)
	v_lshlrev_b32_e32 v5, 2, v5
	s_wait_dscnt 0x0
	v_add_f32_e32 v3, v3, v4
	ds_bpermute_b32 v4, v5, v3
	v_xor_b32_e32 v5, 2, v2
	v_cmp_gt_i32_e32 vcc_lo, 32, v5
	s_wait_alu 0xfffd
	v_cndmask_b32_e32 v5, v2, v5, vcc_lo
	s_delay_alu instid0(VALU_DEP_1) | instskip(SKIP_4) | instid1(VALU_DEP_1)
	v_lshlrev_b32_e32 v5, 2, v5
	s_wait_dscnt 0x0
	v_add_f32_e32 v3, v3, v4
	ds_bpermute_b32 v4, v5, v3
	v_xor_b32_e32 v5, 1, v2
	v_cmp_gt_i32_e32 vcc_lo, 32, v5
	s_wait_alu 0xfffd
	v_cndmask_b32_e32 v5, v2, v5, vcc_lo
	v_cmp_eq_u32_e32 vcc_lo, 0, v0
	s_wait_dscnt 0x0
	s_delay_alu instid0(VALU_DEP_2)
	v_dual_add_f32 v2, v3, v4 :: v_dual_lshlrev_b32 v3, 2, v5
	ds_bpermute_b32 v3, v3, v2
	s_and_b32 exec_lo, exec_lo, vcc_lo
	s_cbranch_execz .LBB68_7
; %bb.6:
	v_mad_co_u64_u32 v[0:1], null, s17, ttmp7, v[1:2]
	s_wait_dscnt 0x0
	v_dual_mov_b32 v1, 0 :: v_dual_add_f32 v2, v2, v3
	s_delay_alu instid0(VALU_DEP_1) | instskip(SKIP_1) | instid1(VALU_DEP_1)
	v_lshlrev_b64_e32 v[0:1], 2, v[0:1]
	s_wait_kmcnt 0x0
	v_add_co_u32 v0, vcc_lo, s18, v0
	s_wait_alu 0xfffd
	s_delay_alu instid0(VALU_DEP_2)
	v_add_co_ci_u32_e64 v1, null, s19, v1, vcc_lo
	global_store_b32 v[0:1], v2, off
.LBB68_7:
	s_endpgm
	.section	.rodata,"a",@progbits
	.p2align	6, 0x0
	.amdhsa_kernel _ZL13mul_mat_vec_qIfLi256ELi8E13block_iq2_xxsLi1EXadL_ZL20vec_dot_iq2_xxs_q8_1PKvPK10block_q8_1RKiEEEvS2_S2_PT_iii
		.amdhsa_group_segment_fixed_size 0
		.amdhsa_private_segment_fixed_size 0
		.amdhsa_kernarg_size 296
		.amdhsa_user_sgpr_count 2
		.amdhsa_user_sgpr_dispatch_ptr 0
		.amdhsa_user_sgpr_queue_ptr 0
		.amdhsa_user_sgpr_kernarg_segment_ptr 1
		.amdhsa_user_sgpr_dispatch_id 0
		.amdhsa_user_sgpr_private_segment_size 0
		.amdhsa_wavefront_size32 1
		.amdhsa_uses_dynamic_stack 0
		.amdhsa_enable_private_segment 0
		.amdhsa_system_sgpr_workgroup_id_x 1
		.amdhsa_system_sgpr_workgroup_id_y 1
		.amdhsa_system_sgpr_workgroup_id_z 0
		.amdhsa_system_sgpr_workgroup_info 0
		.amdhsa_system_vgpr_workitem_id 1
		.amdhsa_next_free_vgpr 94
		.amdhsa_next_free_sgpr 21
		.amdhsa_reserve_vcc 1
		.amdhsa_float_round_mode_32 0
		.amdhsa_float_round_mode_16_64 0
		.amdhsa_float_denorm_mode_32 3
		.amdhsa_float_denorm_mode_16_64 3
		.amdhsa_fp16_overflow 0
		.amdhsa_workgroup_processor_mode 1
		.amdhsa_memory_ordered 1
		.amdhsa_forward_progress 1
		.amdhsa_inst_pref_size 20
		.amdhsa_round_robin_scheduling 0
		.amdhsa_exception_fp_ieee_invalid_op 0
		.amdhsa_exception_fp_denorm_src 0
		.amdhsa_exception_fp_ieee_div_zero 0
		.amdhsa_exception_fp_ieee_overflow 0
		.amdhsa_exception_fp_ieee_underflow 0
		.amdhsa_exception_fp_ieee_inexact 0
		.amdhsa_exception_int_div_zero 0
	.end_amdhsa_kernel
	.section	.text._ZL13mul_mat_vec_qIfLi256ELi8E13block_iq2_xxsLi1EXadL_ZL20vec_dot_iq2_xxs_q8_1PKvPK10block_q8_1RKiEEEvS2_S2_PT_iii,"axG",@progbits,_ZL13mul_mat_vec_qIfLi256ELi8E13block_iq2_xxsLi1EXadL_ZL20vec_dot_iq2_xxs_q8_1PKvPK10block_q8_1RKiEEEvS2_S2_PT_iii,comdat
.Lfunc_end68:
	.size	_ZL13mul_mat_vec_qIfLi256ELi8E13block_iq2_xxsLi1EXadL_ZL20vec_dot_iq2_xxs_q8_1PKvPK10block_q8_1RKiEEEvS2_S2_PT_iii, .Lfunc_end68-_ZL13mul_mat_vec_qIfLi256ELi8E13block_iq2_xxsLi1EXadL_ZL20vec_dot_iq2_xxs_q8_1PKvPK10block_q8_1RKiEEEvS2_S2_PT_iii
                                        ; -- End function
	.set _ZL13mul_mat_vec_qIfLi256ELi8E13block_iq2_xxsLi1EXadL_ZL20vec_dot_iq2_xxs_q8_1PKvPK10block_q8_1RKiEEEvS2_S2_PT_iii.num_vgpr, 94
	.set _ZL13mul_mat_vec_qIfLi256ELi8E13block_iq2_xxsLi1EXadL_ZL20vec_dot_iq2_xxs_q8_1PKvPK10block_q8_1RKiEEEvS2_S2_PT_iii.num_agpr, 0
	.set _ZL13mul_mat_vec_qIfLi256ELi8E13block_iq2_xxsLi1EXadL_ZL20vec_dot_iq2_xxs_q8_1PKvPK10block_q8_1RKiEEEvS2_S2_PT_iii.numbered_sgpr, 21
	.set _ZL13mul_mat_vec_qIfLi256ELi8E13block_iq2_xxsLi1EXadL_ZL20vec_dot_iq2_xxs_q8_1PKvPK10block_q8_1RKiEEEvS2_S2_PT_iii.num_named_barrier, 0
	.set _ZL13mul_mat_vec_qIfLi256ELi8E13block_iq2_xxsLi1EXadL_ZL20vec_dot_iq2_xxs_q8_1PKvPK10block_q8_1RKiEEEvS2_S2_PT_iii.private_seg_size, 0
	.set _ZL13mul_mat_vec_qIfLi256ELi8E13block_iq2_xxsLi1EXadL_ZL20vec_dot_iq2_xxs_q8_1PKvPK10block_q8_1RKiEEEvS2_S2_PT_iii.uses_vcc, 1
	.set _ZL13mul_mat_vec_qIfLi256ELi8E13block_iq2_xxsLi1EXadL_ZL20vec_dot_iq2_xxs_q8_1PKvPK10block_q8_1RKiEEEvS2_S2_PT_iii.uses_flat_scratch, 0
	.set _ZL13mul_mat_vec_qIfLi256ELi8E13block_iq2_xxsLi1EXadL_ZL20vec_dot_iq2_xxs_q8_1PKvPK10block_q8_1RKiEEEvS2_S2_PT_iii.has_dyn_sized_stack, 0
	.set _ZL13mul_mat_vec_qIfLi256ELi8E13block_iq2_xxsLi1EXadL_ZL20vec_dot_iq2_xxs_q8_1PKvPK10block_q8_1RKiEEEvS2_S2_PT_iii.has_recursion, 0
	.set _ZL13mul_mat_vec_qIfLi256ELi8E13block_iq2_xxsLi1EXadL_ZL20vec_dot_iq2_xxs_q8_1PKvPK10block_q8_1RKiEEEvS2_S2_PT_iii.has_indirect_call, 0
	.section	.AMDGPU.csdata,"",@progbits
; Kernel info:
; codeLenInByte = 2520
; TotalNumSgprs: 23
; NumVgprs: 94
; ScratchSize: 0
; MemoryBound: 0
; FloatMode: 240
; IeeeMode: 1
; LDSByteSize: 0 bytes/workgroup (compile time only)
; SGPRBlocks: 0
; VGPRBlocks: 11
; NumSGPRsForWavesPerEU: 23
; NumVGPRsForWavesPerEU: 94
; Occupancy: 16
; WaveLimiterHint : 0
; COMPUTE_PGM_RSRC2:SCRATCH_EN: 0
; COMPUTE_PGM_RSRC2:USER_SGPR: 2
; COMPUTE_PGM_RSRC2:TRAP_HANDLER: 0
; COMPUTE_PGM_RSRC2:TGID_X_EN: 1
; COMPUTE_PGM_RSRC2:TGID_Y_EN: 1
; COMPUTE_PGM_RSRC2:TGID_Z_EN: 0
; COMPUTE_PGM_RSRC2:TIDIG_COMP_CNT: 1
	.section	.text._ZL13mul_mat_vec_qIfLi256ELi8E12block_iq2_xsLi1EXadL_ZL19vec_dot_iq2_xs_q8_1PKvPK10block_q8_1RKiEEEvS2_S2_PT_iii,"axG",@progbits,_ZL13mul_mat_vec_qIfLi256ELi8E12block_iq2_xsLi1EXadL_ZL19vec_dot_iq2_xs_q8_1PKvPK10block_q8_1RKiEEEvS2_S2_PT_iii,comdat
	.globl	_ZL13mul_mat_vec_qIfLi256ELi8E12block_iq2_xsLi1EXadL_ZL19vec_dot_iq2_xs_q8_1PKvPK10block_q8_1RKiEEEvS2_S2_PT_iii ; -- Begin function _ZL13mul_mat_vec_qIfLi256ELi8E12block_iq2_xsLi1EXadL_ZL19vec_dot_iq2_xs_q8_1PKvPK10block_q8_1RKiEEEvS2_S2_PT_iii
	.p2align	8
	.type	_ZL13mul_mat_vec_qIfLi256ELi8E12block_iq2_xsLi1EXadL_ZL19vec_dot_iq2_xs_q8_1PKvPK10block_q8_1RKiEEEvS2_S2_PT_iii,@function
_ZL13mul_mat_vec_qIfLi256ELi8E12block_iq2_xsLi1EXadL_ZL19vec_dot_iq2_xs_q8_1PKvPK10block_q8_1RKiEEEvS2_S2_PT_iii: ; @_ZL13mul_mat_vec_qIfLi256ELi8E12block_iq2_xsLi1EXadL_ZL19vec_dot_iq2_xs_q8_1PKvPK10block_q8_1RKiEEEvS2_S2_PT_iii
; %bb.0:
	s_clause 0x1
	s_load_u16 s2, s[0:1], 0x36
	s_load_b96 s[40:42], s[0:1], 0x18
	v_bfe_u32 v1, v0, 10, 10
	s_wait_kmcnt 0x0
	s_delay_alu instid0(VALU_DEP_1)
	v_mad_co_u64_u32 v[1:2], null, ttmp9, s2, v[1:2]
	s_cmp_lt_u32 ttmp7, s42
	s_cselect_b32 s2, -1, 0
	v_cmp_gt_u32_e32 vcc_lo, s41, v1
	s_wait_alu 0xfffe
	s_and_b32 s2, s2, vcc_lo
	s_wait_alu 0xfffe
	s_and_saveexec_b32 s3, s2
	s_cbranch_execz .LBB69_7
; %bb.1:
	s_load_b64 s[30:31], s[0:1], 0x10
	s_ashr_i32 s2, s40, 31
	v_bfe_u32 v6, v0, 3, 7
	s_wait_alu 0xfffe
	s_lshr_b32 s2, s2, 24
	v_dual_mov_b32 v7, 0 :: v_dual_and_b32 v0, 0x3ff, v0
	s_wait_alu 0xfffe
	s_add_co_i32 s2, s40, s2
	s_mov_b32 s33, exec_lo
	s_wait_alu 0xfffe
	s_ashr_i32 s34, s2, 8
	s_delay_alu instid0(SALU_CYCLE_1)
	v_cmpx_gt_u32_e64 s34, v6
	s_cbranch_execz .LBB69_5
; %bb.2:
	s_load_b128 s[36:39], s[0:1], 0x0
	s_add_co_i32 s0, s40, 0x1ff
	v_dual_mov_b32 v7, 0 :: v_dual_and_b32 v8, 7, v0
	s_wait_alu 0xfffe
	s_ashr_i32 s1, s0, 31
	v_lshlrev_b32_e32 v4, 3, v6
	s_wait_alu 0xfffe
	s_lshr_b32 s1, s1, 23
	v_lshlrev_b32_e32 v5, 2, v8
	s_wait_alu 0xfffe
	s_add_co_i32 s0, s0, s1
	v_mul_lo_u32 v9, v1, s34
	s_wait_alu 0xfffe
	s_ashr_i32 s0, s0, 9
	s_mov_b32 s35, 0
	s_wait_alu 0xfffe
	s_mul_i32 s0, ttmp7, s0
	v_lshlrev_b32_e32 v11, 1, v5
	s_wait_alu 0xfffe
	v_lshl_add_u32 v10, s0, 4, v4
	s_wait_kmcnt 0x0
	v_mad_co_u64_u32 v[2:3], null, v8, 36, s[38:39]
.LBB69_3:                               ; =>This Inner Loop Header: Depth=1
	v_add_nc_u32_e32 v4, v9, v6
	s_delay_alu instid0(VALU_DEP_2)
	v_mad_co_i64_i32 v[22:23], null, v10, 36, v[2:3]
	s_getpc_b64 s[0:1]
	s_wait_alu 0xfffe
	s_sext_i32_i16 s1, s1
	s_add_co_u32 s0, s0, _ZL10iq2xs_grid@rel32@lo+12
	s_wait_alu 0xfffe
	s_add_co_ci_u32 s1, s1, _ZL10iq2xs_grid@rel32@hi+24
	s_getpc_b64 s[2:3]
	s_wait_alu 0xfffe
	s_sext_i32_i16 s3, s3
	s_add_co_u32 s2, s2, _ZL12ksigns_iq2xs@rel32@lo+12
	s_wait_alu 0xfffe
	s_add_co_ci_u32 s3, s3, _ZL12ksigns_iq2xs@rel32@hi+24
	v_mad_co_i64_i32 v[20:21], null, 0x4a, v4, s[36:37]
	v_add_nc_u32_e32 v6, 4, v6
	v_add_nc_u32_e32 v10, 32, v10
	s_delay_alu instid0(VALU_DEP_3) | instskip(SKIP_1) | instid1(VALU_DEP_4)
	v_add_co_u32 v4, vcc_lo, v20, v11
	s_wait_alu 0xfffd
	v_add_co_ci_u32_e64 v5, null, 0, v21, vcc_lo
	v_add_co_u32 v24, vcc_lo, v20, v8
	s_wait_alu 0xfffd
	v_add_co_ci_u32_e64 v25, null, 0, v21, vcc_lo
	global_load_b64 v[4:5], v[4:5], off offset:2
	s_clause 0x1
	global_load_b128 v[12:15], v[22:23], off offset:4
	global_load_b128 v[16:19], v[22:23], off offset:20
	s_clause 0x1
	global_load_u8 v30, v[24:25], off offset:66
	global_load_u16 v31, v[20:21], off
	s_wait_loadcnt 0x3
	v_bfe_i32 v36, v12, 8, 8
	v_and_b32_e32 v20, 0x1ff, v4
	v_lshrrev_b32_e32 v24, 13, v4
	v_and_b32_e32 v26, 0x1ff, v5
	v_lshrrev_b32_e32 v28, 13, v5
	v_bfe_u32 v21, v4, 9, 7
	v_lshrrev_b32_e32 v25, 25, v4
	v_bfe_u32 v27, v5, 9, 7
	v_lshrrev_b32_e32 v29, 25, v5
	v_lshlrev_b32_e32 v20, 3, v20
	v_and_b32_e32 v24, 0xff8, v24
	v_lshlrev_b32_e32 v26, 3, v26
	v_and_b32_e32 v28, 0xff8, v28
	s_clause 0x3
	global_load_i8 v32, v21, s[2:3]
	global_load_i8 v33, v25, s[2:3]
	;; [unrolled: 1-line block ×4, first 2 shown]
	s_clause 0x3
	global_load_b64 v[20:21], v20, s[0:1]
	global_load_b64 v[24:25], v24, s[0:1]
	;; [unrolled: 1-line block ×4, first 2 shown]
	global_load_u16 v22, v[22:23], off
	v_bfe_i32 v38, v13, 0, 8
	v_bfe_i32 v39, v13, 8, 8
	s_wait_loadcnt 0xb
	v_bfe_i32 v47, v16, 0, 8
	v_bfe_i32 v48, v16, 8, 8
	s_wait_loadcnt 0xa
	v_lshrrev_b16 v59, 4, v30
	v_bfe_i32 v23, v12, 0, 8
	v_bfe_i32 v37, v12, 16, 8
	v_ashrrev_i32_e32 v12, 24, v12
	v_bfe_i32 v40, v13, 16, 8
	v_ashrrev_i32_e32 v13, 24, v13
	;; [unrolled: 2-line block ×3, first 2 shown]
	v_bfe_i32 v50, v17, 0, 8
	v_bfe_i32 v51, v17, 8, 8
	;; [unrolled: 1-line block ×4, first 2 shown]
	v_cvt_f32_ubyte0_e32 v59, v59
	v_bfe_i32 v41, v14, 0, 8
	v_bfe_i32 v42, v14, 8, 8
	;; [unrolled: 1-line block ×3, first 2 shown]
	v_ashrrev_i32_e32 v14, 24, v14
	v_bfe_i32 v44, v15, 0, 8
	v_bfe_i32 v45, v15, 8, 8
	;; [unrolled: 1-line block ×3, first 2 shown]
	v_ashrrev_i32_e32 v15, 24, v15
	v_bfe_i32 v55, v18, 16, 8
	v_bfe_i32 v52, v17, 16, 8
	v_ashrrev_i32_e32 v17, 24, v17
	v_bfe_i32 v54, v18, 8, 8
	v_bfe_i32 v57, v19, 8, 8
	;; [unrolled: 1-line block ×3, first 2 shown]
	v_lshrrev_b32_e32 v60, 16, v4
	v_cmp_gt_i16_e64 s4, 0, v4
	v_ashrrev_i32_e32 v18, 24, v18
	v_lshrrev_b32_e32 v61, 16, v5
	v_cmp_gt_i16_e64 s19, 0, v5
	v_ashrrev_i32_e32 v19, 24, v19
	v_and_b32_e32 v30, 15, v30
	s_delay_alu instid0(VALU_DEP_4)
	v_cmp_gt_i16_e64 s27, 0, v61
	s_wait_loadcnt 0x5
	v_cmp_gt_i16_e64 s28, 0, v35
	s_wait_loadcnt 0x4
	v_bfe_u32 v72, v20, 8, 8
	v_and_b32_e32 v73, 0xff, v21
	v_bfe_u32 v74, v21, 8, 8
	s_wait_loadcnt 0x2
	v_and_b32_e32 v83, 0xff, v26
	v_bfe_u32 v84, v26, 8, 8
	v_and_b32_e32 v63, 2, v32
	v_and_b32_e32 v64, 4, v32
	;; [unrolled: 1-line block ×4, first 2 shown]
	v_lshrrev_b32_e32 v69, 24, v20
	v_lshrrev_b32_e32 v70, 24, v21
	v_and_b32_e32 v71, 0xff, v20
	v_bfe_u32 v20, v20, 16, 8
	v_bfe_u32 v21, v21, 16, 8
	v_lshrrev_b32_e32 v81, 24, v26
	v_bfe_u32 v26, v26, 16, 8
	v_and_b32_e32 v85, 0xff, v27
	v_bfe_u32 v86, v27, 8, 8
	s_wait_loadcnt 0x1
	v_and_b32_e32 v89, 0xff, v28
	v_and_b32_e32 v91, 0xff, v29
	v_mul_i32_i24_e32 v36, v72, v36
	v_mul_i32_i24_e32 v38, v73, v38
	v_and_b32_e32 v73, 1, v34
	v_mul_i32_i24_e32 v39, v74, v39
	v_and_b32_e32 v74, 2, v34
	v_mul_i32_i24_e32 v47, v83, v47
	v_mul_i32_i24_e32 v48, v84, v48
	v_and_b32_e32 v62, 1, v32
	v_and_b32_e32 v68, 1, v33
	v_lshrrev_b32_e32 v75, 24, v24
	v_lshrrev_b32_e32 v76, 24, v25
	v_and_b32_e32 v77, 0xff, v24
	v_bfe_u32 v78, v24, 8, 8
	v_bfe_u32 v24, v24, 16, 8
	v_and_b32_e32 v79, 0xff, v25
	v_bfe_u32 v80, v25, 8, 8
	v_bfe_u32 v25, v25, 16, 8
	v_lshrrev_b32_e32 v87, 24, v28
	v_bfe_u32 v90, v28, 8, 8
	v_bfe_u32 v28, v28, 16, 8
	v_and_b32_e32 v93, 2, v33
	v_mul_i32_i24_e32 v23, v71, v23
	v_and_b32_e32 v71, 4, v33
	v_and_b32_e32 v72, 8, v33
	v_mul_i32_i24_e32 v20, v20, v37
	v_and_b32_e32 v37, 16, v33
	v_mul_i32_i24_e32 v12, v69, v12
	;; [unrolled: 2-line block ×5, first 2 shown]
	v_mul_i32_i24_e32 v16, v81, v16
	v_mul_i32_i24_e32 v49, v85, v50
	;; [unrolled: 1-line block ×5, first 2 shown]
	v_sub_nc_u32_e32 v56, 0, v36
	v_cmp_eq_u16_e32 vcc_lo, 0, v63
	v_cmp_eq_u16_e64 s0, 0, v64
	v_sub_nc_u32_e32 v63, 0, v38
	v_cmp_eq_u16_e64 s2, 0, v66
	v_sub_nc_u32_e32 v64, 0, v39
	v_cmp_eq_u16_e64 s3, 0, v67
	v_cmp_gt_i16_e64 s12, 0, v33
	v_sub_nc_u32_e32 v33, 0, v47
	v_cmp_eq_u16_e64 s13, 0, v73
	v_sub_nc_u32_e32 v73, 0, v48
	v_cmp_eq_u16_e64 s14, 0, v74
	s_wait_loadcnt 0x0
	v_cvt_f32_f16_e32 v22, v22
	v_and_b32_e32 v65, 8, v32
	v_lshrrev_b32_e32 v82, 24, v27
	v_bfe_u32 v27, v27, 16, 8
	v_lshrrev_b32_e32 v88, 24, v29
	v_bfe_u32 v92, v29, 8, 8
	v_bfe_u32 v29, v29, 16, 8
	v_mul_i32_i24_e32 v41, v77, v41
	v_and_b32_e32 v77, 16, v34
	v_mul_i32_i24_e32 v42, v78, v42
	v_and_b32_e32 v78, 32, v34
	;; [unrolled: 2-line block ×8, first 2 shown]
	v_mul_i32_i24_e32 v28, v28, v55
	v_sub_nc_u32_e32 v55, 0, v23
	v_sub_nc_u32_e32 v4, 0, v13
	v_cmp_gt_i16_e64 s5, 0, v32
	v_sub_nc_u32_e32 v74, 0, v26
	v_cmp_eq_u16_e64 s15, 0, v40
	v_sub_nc_u32_e32 v40, 0, v16
	v_cmp_eq_u16_e64 s16, 0, v70
	v_cmp_eq_u16_e64 s29, 0, v62
	s_wait_alu 0xfffd
	v_cndmask_b32_e32 v35, v56, v36, vcc_lo
	s_wait_alu 0xf1ff
	v_cndmask_b32_e64 v36, v63, v38, s2
	s_wait_alu 0xfffe
	v_cndmask_b32_e64 v38, v64, v39, s3
	v_cndmask_b32_e64 v33, v33, v47, s13
	v_cndmask_b32_e64 v39, v73, v48, s14
	v_mul_i32_i24_e32 v27, v27, v52
	v_mul_i32_i24_e32 v17, v82, v17
	;; [unrolled: 1-line block ×5, first 2 shown]
	v_sub_nc_u32_e32 v57, 0, v20
	v_sub_nc_u32_e32 v58, 0, v12
	v_cmp_eq_u16_e64 s1, 0, v65
	v_sub_nc_u32_e32 v70, 0, v49
	v_cmp_eq_u16_e64 s17, 0, v77
	;; [unrolled: 2-line block ×3, first 2 shown]
	v_cndmask_b32_e64 v23, v55, v23, s29
	v_cndmask_b32_e64 v4, v13, v4, s5
	;; [unrolled: 1-line block ×4, first 2 shown]
	v_add_nc_u32_e32 v26, v39, v33
	v_sub_nc_u32_e32 v78, 0, v27
	v_sub_nc_u32_e32 v5, 0, v17
	v_cmp_gt_i16_e64 s20, 0, v34
	v_cndmask_b32_e64 v20, v57, v20, s0
	s_wait_alu 0xf1ff
	v_cndmask_b32_e64 v12, v58, v12, s1
	v_cndmask_b32_e64 v33, v70, v49, s17
	;; [unrolled: 1-line block ×3, first 2 shown]
	v_add_nc_u32_e32 v23, v35, v23
	v_add3_u32 v13, v26, v13, v16
	v_mul_i32_i24_e32 v18, v87, v18
	v_sub_nc_u32_e32 v65, 0, v21
	v_sub_nc_u32_e32 v34, 0, v51
	v_cmp_eq_u16_e64 s21, 0, v43
	v_sub_nc_u32_e32 v43, 0, v52
	v_cmp_eq_u16_e64 s22, 0, v75
	v_cndmask_b32_e64 v26, v27, v78, s19
	v_cndmask_b32_e64 v5, v17, v5, s20
	v_add3_u32 v12, v23, v20, v12
	v_add3_u32 v13, v13, v33, v39
	v_sub_nc_u32_e32 v32, 0, v41
	v_cmp_eq_u16_e64 s6, 0, v68
	v_sub_nc_u32_e32 v66, 0, v42
	v_cmp_eq_u16_e64 s7, 0, v93
	;; [unrolled: 2-line block ×5, first 2 shown]
	v_cndmask_b32_e64 v21, v21, v65, s4
	s_wait_alu 0xf1ff
	v_cndmask_b32_e64 v20, v34, v51, s21
	v_cndmask_b32_e64 v23, v43, v52, s22
	v_add3_u32 v12, v12, v36, v38
	v_add3_u32 v5, v13, v26, v5
	v_mul_i32_i24_e32 v19, v88, v19
	v_sub_nc_u32_e32 v67, 0, v24
	v_cmp_eq_u16_e64 s8, 0, v71
	v_sub_nc_u32_e32 v80, 0, v53
	v_cmp_eq_u16_e64 s25, 0, v46
	v_sub_nc_u32_e32 v46, 0, v54
	v_cmp_eq_u16_e64 s26, 0, v76
	v_cndmask_b32_e64 v32, v32, v41, s6
	v_cndmask_b32_e64 v16, v66, v42, s7
	;; [unrolled: 1-line block ×5, first 2 shown]
	v_add3_u32 v4, v12, v21, v4
	v_add3_u32 v5, v5, v20, v23
	v_sub_nc_u32_e32 v71, 0, v44
	v_cmp_eq_u16_e64 s10, 0, v37
	v_sub_nc_u32_e32 v37, 0, v45
	v_cmp_eq_u16_e64 s11, 0, v69
	v_sub_nc_u32_e32 v76, 0, v29
	v_sub_nc_u32_e32 v61, 0, v19
	s_wait_alu 0xf1ff
	v_cndmask_b32_e64 v17, v67, v24, s8
	v_cndmask_b32_e64 v20, v80, v53, s25
	;; [unrolled: 1-line block ×3, first 2 shown]
	v_add3_u32 v4, v4, v32, v16
	v_add3_u32 v5, v5, v14, v18
	v_sub_nc_u32_e32 v69, 0, v25
	v_sub_nc_u32_e32 v72, 0, v15
	v_cndmask_b32_e64 v12, v71, v44, s10
	v_cndmask_b32_e64 v14, v37, v45, s11
	;; [unrolled: 1-line block ×4, first 2 shown]
	v_add3_u32 v4, v4, v17, v13
	v_add3_u32 v5, v5, v20, v21
	v_cmp_gt_i16_e32 vcc_lo, 0, v60
	v_cndmask_b32_e64 v15, v15, v72, s12
	s_delay_alu instid0(VALU_DEP_4) | instskip(NEXT) | instid1(VALU_DEP_4)
	v_add3_u32 v4, v4, v12, v14
	v_add3_u32 v5, v5, v16, v18
	s_wait_alu 0xfffd
	v_cndmask_b32_e32 v13, v25, v69, vcc_lo
	v_cvt_f32_f16_e32 v12, v31
	v_cvt_f32_ubyte0_e32 v14, v30
	v_add_f32_e32 v16, 0.5, v59
	v_cvt_f32_i32_e32 v5, v5
	v_add3_u32 v4, v4, v13, v15
	v_mul_f32_e32 v12, v12, v22
	v_add_f32_e32 v13, 0.5, v14
	v_cmp_le_u32_e32 vcc_lo, s34, v6
	v_mul_f32_e32 v5, v16, v5
	v_cvt_f32_i32_e32 v4, v4
	v_mul_f32_e32 v12, 0x3e800000, v12
	s_or_b32 s35, vcc_lo, s35
	s_delay_alu instid0(VALU_DEP_2) | instskip(NEXT) | instid1(VALU_DEP_1)
	v_fmac_f32_e32 v5, v13, v4
	v_fmac_f32_e32 v7, v12, v5
	s_wait_alu 0xfffe
	s_and_not1_b32 exec_lo, exec_lo, s35
	s_cbranch_execnz .LBB69_3
; %bb.4:
	s_or_b32 exec_lo, exec_lo, s35
.LBB69_5:
	s_delay_alu instid0(SALU_CYCLE_1) | instskip(SKIP_1) | instid1(VALU_DEP_1)
	s_or_b32 exec_lo, exec_lo, s33
	v_mbcnt_lo_u32_b32 v2, -1, 0
	v_xor_b32_e32 v3, 16, v2
	v_xor_b32_e32 v4, 8, v2
	v_xor_b32_e32 v5, 4, v2
	s_delay_alu instid0(VALU_DEP_3)
	v_cmp_gt_i32_e32 vcc_lo, 32, v3
	s_wait_alu 0xfffd
	v_cndmask_b32_e32 v3, v2, v3, vcc_lo
	v_cmp_gt_i32_e32 vcc_lo, 32, v4
	s_wait_alu 0xfffd
	v_cndmask_b32_e32 v4, v2, v4, vcc_lo
	v_cmp_gt_i32_e32 vcc_lo, 32, v5
	s_delay_alu instid0(VALU_DEP_2)
	v_lshlrev_b32_e32 v4, 2, v4
	v_lshlrev_b32_e32 v3, 2, v3
	s_wait_alu 0xfffd
	v_cndmask_b32_e32 v5, v2, v5, vcc_lo
	ds_bpermute_b32 v3, v3, v7
	v_lshlrev_b32_e32 v5, 2, v5
	s_wait_dscnt 0x0
	v_add_f32_e32 v3, v7, v3
	ds_bpermute_b32 v4, v4, v3
	s_wait_dscnt 0x0
	v_add_f32_e32 v3, v3, v4
	ds_bpermute_b32 v4, v5, v3
	v_xor_b32_e32 v5, 2, v2
	s_delay_alu instid0(VALU_DEP_1) | instskip(SKIP_2) | instid1(VALU_DEP_1)
	v_cmp_gt_i32_e32 vcc_lo, 32, v5
	s_wait_alu 0xfffd
	v_cndmask_b32_e32 v5, v2, v5, vcc_lo
	v_lshlrev_b32_e32 v5, 2, v5
	s_wait_dscnt 0x0
	v_add_f32_e32 v3, v3, v4
	ds_bpermute_b32 v4, v5, v3
	v_xor_b32_e32 v5, 1, v2
	s_delay_alu instid0(VALU_DEP_1) | instskip(SKIP_4) | instid1(VALU_DEP_2)
	v_cmp_gt_i32_e32 vcc_lo, 32, v5
	s_wait_alu 0xfffd
	v_cndmask_b32_e32 v5, v2, v5, vcc_lo
	v_cmp_eq_u32_e32 vcc_lo, 0, v0
	s_wait_dscnt 0x0
	v_dual_add_f32 v2, v3, v4 :: v_dual_lshlrev_b32 v3, 2, v5
	ds_bpermute_b32 v3, v3, v2
	s_and_b32 exec_lo, exec_lo, vcc_lo
	s_cbranch_execz .LBB69_7
; %bb.6:
	v_mad_co_u64_u32 v[0:1], null, s41, ttmp7, v[1:2]
	s_wait_dscnt 0x0
	v_dual_mov_b32 v1, 0 :: v_dual_add_f32 v2, v2, v3
	s_delay_alu instid0(VALU_DEP_1) | instskip(SKIP_1) | instid1(VALU_DEP_1)
	v_lshlrev_b64_e32 v[0:1], 2, v[0:1]
	s_wait_kmcnt 0x0
	v_add_co_u32 v0, vcc_lo, s30, v0
	s_wait_alu 0xfffd
	s_delay_alu instid0(VALU_DEP_2)
	v_add_co_ci_u32_e64 v1, null, s31, v1, vcc_lo
	global_store_b32 v[0:1], v2, off
.LBB69_7:
	s_endpgm
	.section	.rodata,"a",@progbits
	.p2align	6, 0x0
	.amdhsa_kernel _ZL13mul_mat_vec_qIfLi256ELi8E12block_iq2_xsLi1EXadL_ZL19vec_dot_iq2_xs_q8_1PKvPK10block_q8_1RKiEEEvS2_S2_PT_iii
		.amdhsa_group_segment_fixed_size 0
		.amdhsa_private_segment_fixed_size 0
		.amdhsa_kernarg_size 296
		.amdhsa_user_sgpr_count 2
		.amdhsa_user_sgpr_dispatch_ptr 0
		.amdhsa_user_sgpr_queue_ptr 0
		.amdhsa_user_sgpr_kernarg_segment_ptr 1
		.amdhsa_user_sgpr_dispatch_id 0
		.amdhsa_user_sgpr_private_segment_size 0
		.amdhsa_wavefront_size32 1
		.amdhsa_uses_dynamic_stack 0
		.amdhsa_enable_private_segment 0
		.amdhsa_system_sgpr_workgroup_id_x 1
		.amdhsa_system_sgpr_workgroup_id_y 1
		.amdhsa_system_sgpr_workgroup_id_z 0
		.amdhsa_system_sgpr_workgroup_info 0
		.amdhsa_system_vgpr_workitem_id 1
		.amdhsa_next_free_vgpr 94
		.amdhsa_next_free_sgpr 43
		.amdhsa_reserve_vcc 1
		.amdhsa_float_round_mode_32 0
		.amdhsa_float_round_mode_16_64 0
		.amdhsa_float_denorm_mode_32 3
		.amdhsa_float_denorm_mode_16_64 3
		.amdhsa_fp16_overflow 0
		.amdhsa_workgroup_processor_mode 1
		.amdhsa_memory_ordered 1
		.amdhsa_forward_progress 1
		.amdhsa_inst_pref_size 20
		.amdhsa_round_robin_scheduling 0
		.amdhsa_exception_fp_ieee_invalid_op 0
		.amdhsa_exception_fp_denorm_src 0
		.amdhsa_exception_fp_ieee_div_zero 0
		.amdhsa_exception_fp_ieee_overflow 0
		.amdhsa_exception_fp_ieee_underflow 0
		.amdhsa_exception_fp_ieee_inexact 0
		.amdhsa_exception_int_div_zero 0
	.end_amdhsa_kernel
	.section	.text._ZL13mul_mat_vec_qIfLi256ELi8E12block_iq2_xsLi1EXadL_ZL19vec_dot_iq2_xs_q8_1PKvPK10block_q8_1RKiEEEvS2_S2_PT_iii,"axG",@progbits,_ZL13mul_mat_vec_qIfLi256ELi8E12block_iq2_xsLi1EXadL_ZL19vec_dot_iq2_xs_q8_1PKvPK10block_q8_1RKiEEEvS2_S2_PT_iii,comdat
.Lfunc_end69:
	.size	_ZL13mul_mat_vec_qIfLi256ELi8E12block_iq2_xsLi1EXadL_ZL19vec_dot_iq2_xs_q8_1PKvPK10block_q8_1RKiEEEvS2_S2_PT_iii, .Lfunc_end69-_ZL13mul_mat_vec_qIfLi256ELi8E12block_iq2_xsLi1EXadL_ZL19vec_dot_iq2_xs_q8_1PKvPK10block_q8_1RKiEEEvS2_S2_PT_iii
                                        ; -- End function
	.set _ZL13mul_mat_vec_qIfLi256ELi8E12block_iq2_xsLi1EXadL_ZL19vec_dot_iq2_xs_q8_1PKvPK10block_q8_1RKiEEEvS2_S2_PT_iii.num_vgpr, 94
	.set _ZL13mul_mat_vec_qIfLi256ELi8E12block_iq2_xsLi1EXadL_ZL19vec_dot_iq2_xs_q8_1PKvPK10block_q8_1RKiEEEvS2_S2_PT_iii.num_agpr, 0
	.set _ZL13mul_mat_vec_qIfLi256ELi8E12block_iq2_xsLi1EXadL_ZL19vec_dot_iq2_xs_q8_1PKvPK10block_q8_1RKiEEEvS2_S2_PT_iii.numbered_sgpr, 43
	.set _ZL13mul_mat_vec_qIfLi256ELi8E12block_iq2_xsLi1EXadL_ZL19vec_dot_iq2_xs_q8_1PKvPK10block_q8_1RKiEEEvS2_S2_PT_iii.num_named_barrier, 0
	.set _ZL13mul_mat_vec_qIfLi256ELi8E12block_iq2_xsLi1EXadL_ZL19vec_dot_iq2_xs_q8_1PKvPK10block_q8_1RKiEEEvS2_S2_PT_iii.private_seg_size, 0
	.set _ZL13mul_mat_vec_qIfLi256ELi8E12block_iq2_xsLi1EXadL_ZL19vec_dot_iq2_xs_q8_1PKvPK10block_q8_1RKiEEEvS2_S2_PT_iii.uses_vcc, 1
	.set _ZL13mul_mat_vec_qIfLi256ELi8E12block_iq2_xsLi1EXadL_ZL19vec_dot_iq2_xs_q8_1PKvPK10block_q8_1RKiEEEvS2_S2_PT_iii.uses_flat_scratch, 0
	.set _ZL13mul_mat_vec_qIfLi256ELi8E12block_iq2_xsLi1EXadL_ZL19vec_dot_iq2_xs_q8_1PKvPK10block_q8_1RKiEEEvS2_S2_PT_iii.has_dyn_sized_stack, 0
	.set _ZL13mul_mat_vec_qIfLi256ELi8E12block_iq2_xsLi1EXadL_ZL19vec_dot_iq2_xs_q8_1PKvPK10block_q8_1RKiEEEvS2_S2_PT_iii.has_recursion, 0
	.set _ZL13mul_mat_vec_qIfLi256ELi8E12block_iq2_xsLi1EXadL_ZL19vec_dot_iq2_xs_q8_1PKvPK10block_q8_1RKiEEEvS2_S2_PT_iii.has_indirect_call, 0
	.section	.AMDGPU.csdata,"",@progbits
; Kernel info:
; codeLenInByte = 2540
; TotalNumSgprs: 45
; NumVgprs: 94
; ScratchSize: 0
; MemoryBound: 0
; FloatMode: 240
; IeeeMode: 1
; LDSByteSize: 0 bytes/workgroup (compile time only)
; SGPRBlocks: 0
; VGPRBlocks: 11
; NumSGPRsForWavesPerEU: 45
; NumVGPRsForWavesPerEU: 94
; Occupancy: 16
; WaveLimiterHint : 0
; COMPUTE_PGM_RSRC2:SCRATCH_EN: 0
; COMPUTE_PGM_RSRC2:USER_SGPR: 2
; COMPUTE_PGM_RSRC2:TRAP_HANDLER: 0
; COMPUTE_PGM_RSRC2:TGID_X_EN: 1
; COMPUTE_PGM_RSRC2:TGID_Y_EN: 1
; COMPUTE_PGM_RSRC2:TGID_Z_EN: 0
; COMPUTE_PGM_RSRC2:TIDIG_COMP_CNT: 1
	.section	.text._ZL13mul_mat_vec_qIfLi256ELi8E13block_iq3_xxsLi1EXadL_ZL20vec_dot_iq3_xxs_q8_1PKvPK10block_q8_1RKiEEEvS2_S2_PT_iii,"axG",@progbits,_ZL13mul_mat_vec_qIfLi256ELi8E13block_iq3_xxsLi1EXadL_ZL20vec_dot_iq3_xxs_q8_1PKvPK10block_q8_1RKiEEEvS2_S2_PT_iii,comdat
	.globl	_ZL13mul_mat_vec_qIfLi256ELi8E13block_iq3_xxsLi1EXadL_ZL20vec_dot_iq3_xxs_q8_1PKvPK10block_q8_1RKiEEEvS2_S2_PT_iii ; -- Begin function _ZL13mul_mat_vec_qIfLi256ELi8E13block_iq3_xxsLi1EXadL_ZL20vec_dot_iq3_xxs_q8_1PKvPK10block_q8_1RKiEEEvS2_S2_PT_iii
	.p2align	8
	.type	_ZL13mul_mat_vec_qIfLi256ELi8E13block_iq3_xxsLi1EXadL_ZL20vec_dot_iq3_xxs_q8_1PKvPK10block_q8_1RKiEEEvS2_S2_PT_iii,@function
_ZL13mul_mat_vec_qIfLi256ELi8E13block_iq3_xxsLi1EXadL_ZL20vec_dot_iq3_xxs_q8_1PKvPK10block_q8_1RKiEEEvS2_S2_PT_iii: ; @_ZL13mul_mat_vec_qIfLi256ELi8E13block_iq3_xxsLi1EXadL_ZL20vec_dot_iq3_xxs_q8_1PKvPK10block_q8_1RKiEEEvS2_S2_PT_iii
; %bb.0:
	s_clause 0x1
	s_load_u16 s2, s[0:1], 0x36
	s_load_b96 s[4:6], s[0:1], 0x18
	v_bfe_u32 v1, v0, 10, 10
	s_wait_kmcnt 0x0
	s_delay_alu instid0(VALU_DEP_1)
	v_mad_co_u64_u32 v[1:2], null, ttmp9, s2, v[1:2]
	s_cmp_lt_u32 ttmp7, s6
	s_cselect_b32 s2, -1, 0
	v_cmp_gt_u32_e32 vcc_lo, s5, v1
	s_wait_alu 0xfffe
	s_and_b32 s2, s2, vcc_lo
	s_wait_alu 0xfffe
	s_and_saveexec_b32 s3, s2
	s_cbranch_execz .LBB70_9
; %bb.1:
	s_load_b64 s[6:7], s[0:1], 0x10
	s_ashr_i32 s2, s4, 31
	v_bfe_u32 v14, v0, 3, 7
	s_wait_alu 0xfffe
	s_lshr_b32 s2, s2, 24
	v_dual_mov_b32 v15, 0 :: v_dual_and_b32 v0, 0x3ff, v0
	s_wait_alu 0xfffe
	s_add_co_i32 s2, s4, s2
	s_mov_b32 s8, exec_lo
	s_wait_alu 0xfffe
	s_ashr_i32 s9, s2, 8
	s_delay_alu instid0(SALU_CYCLE_1)
	v_cmpx_gt_u32_e64 s9, v14
	s_cbranch_execz .LBB70_7
; %bb.2:
	s_load_b128 s[0:3], s[0:1], 0x0
	v_dual_mov_b32 v15, 0 :: v_dual_and_b32 v2, 7, v0
	s_addk_co_i32 s4, 0x1ff
	v_mul_lo_u32 v16, v1, s9
	s_wait_alu 0xfffe
	s_ashr_i32 s10, s4, 31
	v_lshlrev_b32_e32 v4, 3, v2
	s_lshr_b32 s10, s10, 23
	v_lshlrev_b32_e32 v8, 1, v2
	s_add_co_i32 s4, s4, s10
	s_mov_b32 s10, 0
	s_wait_alu 0xfffe
	s_ashr_i32 s4, s4, 9
	v_add_nc_u32_e32 v17, v14, v16
	s_wait_alu 0xfffe
	s_mul_i32 s4, ttmp7, s4
	v_lshlrev_b32_e32 v19, 1, v8
	s_wait_alu 0xfffe
	s_lshl_b32 s4, s4, 4
	s_getpc_b64 s[12:13]
	s_sext_i32_i16 s13, s13
	s_add_co_u32 s12, s12, _ZL11iq3xxs_grid@rel32@lo+8
	s_add_co_ci_u32 s13, s13, _ZL11iq3xxs_grid@rel32@hi+16
	s_wait_alu 0xfffe
	v_lshl_add_u32 v18, v14, 3, s4
	s_wait_kmcnt 0x0
	v_mad_co_u64_u32 v[2:3], null, v2, 36, s[2:3]
	v_add_co_u32 v4, s2, s0, v4
	s_wait_alu 0xf1ff
	v_add_co_ci_u32_e64 v5, null, s1, 0, s2
	s_delay_alu instid0(VALU_DEP_2) | instskip(NEXT) | instid1(VALU_DEP_1)
	v_add_co_u32 v4, vcc_lo, v4, 2
	v_add_co_ci_u32_e64 v5, null, 0, v5, vcc_lo
	v_add_co_u32 v6, vcc_lo, v2, 4
	s_wait_alu 0xfffd
	v_add_co_ci_u32_e64 v7, null, 0, v3, vcc_lo
.LBB70_3:                               ; =>This Loop Header: Depth=1
                                        ;     Child Loop BB70_4 Depth 2
	v_add_nc_u32_e32 v8, v14, v16
	v_mad_co_i64_i32 v[12:13], null, 0x62, v17, v[4:5]
	v_mov_b32_e32 v20, 0
	s_mov_b64 s[2:3], 0
	s_delay_alu instid0(VALU_DEP_3) | instskip(NEXT) | instid1(VALU_DEP_1)
	v_mad_co_i64_i32 v[8:9], null, 0x62, v8, s[0:1]
	v_add_co_u32 v10, vcc_lo, v8, v19
	s_wait_alu 0xfffd
	s_delay_alu instid0(VALU_DEP_2)
	v_add_co_ci_u32_e64 v11, null, 0, v9, vcc_lo
	global_load_b32 v21, v[10:11], off offset:66
	v_mad_co_i64_i32 v[10:11], null, v18, 36, v[6:7]
.LBB70_4:                               ;   Parent Loop BB70_3 Depth=1
                                        ; =>  This Inner Loop Header: Depth=2
	global_load_u16 v26, v[12:13], off
	s_wait_loadcnt 0x1
	v_and_b32_e32 v24, 0x7f, v21
	s_wait_alu 0xfffe
	v_add_co_u32 v22, vcc_lo, v10, s2
	s_getpc_b64 s[14:15]
	s_sext_i32_i16 s15, s15
	s_add_co_u32 s14, s14, _ZL8ksigns64@rel32@lo+8
	s_add_co_ci_u32 s15, s15, _ZL8ksigns64@rel32@hi+16
	s_wait_alu 0xfffd
	v_add_co_ci_u32_e64 v23, null, s3, v11, vcc_lo
	v_lshlrev_b32_e32 v24, 3, v24
	v_add_co_u32 v12, vcc_lo, v12, 2
	v_lshrrev_b32_e32 v21, 7, v21
	s_wait_alu 0xfffd
	v_add_co_ci_u32_e64 v13, null, 0, v13, vcc_lo
	global_load_b64 v[24:25], v24, s[14:15]
	s_add_nc_u64 s[2:3], s[2:3], 8
	s_wait_alu 0xfffe
	s_cmp_lg_u32 s2, 32
	s_wait_loadcnt 0x1
	v_lshrrev_b16 v27, 8, v26
	v_and_b32_e32 v26, 0xff, v26
	s_delay_alu instid0(VALU_DEP_2) | instskip(NEXT) | instid1(VALU_DEP_2)
	v_and_b32_e32 v27, 0xffff, v27
	v_lshlrev_b32_e32 v26, 2, v26
	s_delay_alu instid0(VALU_DEP_2)
	v_lshlrev_b32_e32 v27, 2, v27
	s_clause 0x1
	global_load_b32 v26, v26, s[12:13]
	global_load_b32 v27, v27, s[12:13]
	global_load_b64 v[22:23], v[22:23], off
	s_wait_loadcnt 0x3
	v_and_b32_e32 v35, 0xff0000, v24
	v_and_b32_e32 v34, 0xff000000, v24
	;; [unrolled: 1-line block ×6, first 2 shown]
	s_wait_loadcnt 0x2
	v_xor_b32_e32 v26, v24, v26
	s_wait_loadcnt 0x1
	v_xor_b32_e32 v27, v25, v27
	s_wait_loadcnt 0x0
	v_lshrrev_b16 v28, 8, v22
	v_lshrrev_b16 v29, 8, v23
	v_ashrrev_i32_e32 v32, 24, v23
	v_sub_nc_u32_e32 v35, v26, v35
	v_sub_nc_u32_e32 v24, v26, v24
	;; [unrolled: 1-line block ×6, first 2 shown]
	v_perm_b32 v24, v35, v24, 0xc060c00
	v_sub_nc_u32_e32 v35, v27, v38
	v_sub_nc_u32_e32 v27, v27, v37
	v_bfe_i32 v33, v23, 16, 8
	v_lshrrev_b16 v26, 8, v26
	v_ashrrev_i32_e32 v30, 24, v22
	v_perm_b32 v25, v35, v25, 0xc060c00
	v_lshrrev_b16 v35, 8, v36
	v_ashrrev_i32_e32 v27, 24, v27
	v_bfe_i32 v31, v22, 16, 8
	v_bfe_i32 v22, v22, 0, 8
	v_bfe_i32 v37, v25, 16, 8
	v_bfe_i32 v23, v23, 0, 8
	v_bfe_i32 v28, v28, 0, 8
	v_bfe_i32 v29, v29, 0, 8
	v_ashrrev_i32_e32 v34, 24, v34
	v_bfe_i32 v36, v24, 0, 8
	v_bfe_i32 v24, v24, 16, 8
	v_bfe_i32 v26, v26, 0, 8
	v_bfe_i32 v25, v25, 0, 8
	v_bfe_i32 v35, v35, 0, 8
	v_mul_i32_i24_e32 v27, v27, v32
	v_mul_i32_i24_e32 v32, v37, v33
	;; [unrolled: 1-line block ×6, first 2 shown]
	v_mad_i32_i24 v27, v34, v30, v27
	v_mad_i32_i24 v24, v24, v31, v32
	s_delay_alu instid0(VALU_DEP_2) | instskip(NEXT) | instid1(VALU_DEP_2)
	v_add3_u32 v25, v26, v25, v27
	v_add3_u32 v22, v22, v23, v24
	s_delay_alu instid0(VALU_DEP_1)
	v_add3_u32 v20, v22, v25, v20
	s_cbranch_scc1 .LBB70_4
; %bb.5:                                ;   in Loop: Header=BB70_3 Depth=1
	v_lshl_add_u32 v10, v14, 3, s4
	v_add_nc_u32_e32 v14, 4, v14
	v_add_nc_u32_e32 v18, 32, v18
	;; [unrolled: 1-line block ×3, first 2 shown]
	s_delay_alu instid0(VALU_DEP_4) | instskip(SKIP_4) | instid1(VALU_DEP_2)
	v_mad_co_i64_i32 v[10:11], null, v10, 36, v[2:3]
	global_load_u16 v8, v[8:9], off
	global_load_b32 v9, v[10:11], off
	v_cvt_f32_u32_e32 v10, v21
	v_cmp_le_u32_e32 vcc_lo, s9, v14
	v_add_f32_e32 v10, 0.5, v10
	s_or_b32 s10, vcc_lo, s10
	s_wait_loadcnt 0x1
	v_cvt_f32_f16_e32 v8, v8
	s_wait_loadcnt 0x0
	v_cvt_f32_f16_e32 v9, v9
	s_delay_alu instid0(VALU_DEP_2) | instskip(NEXT) | instid1(VALU_DEP_1)
	v_mul_f32_e32 v8, v10, v8
	v_mul_f32_e32 v8, v8, v9
	v_cvt_f32_i32_e32 v9, v20
	s_delay_alu instid0(VALU_DEP_2) | instskip(NEXT) | instid1(VALU_DEP_1)
	v_mul_f32_e32 v8, 0.5, v8
	v_fmac_f32_e32 v15, v8, v9
	s_and_not1_b32 exec_lo, exec_lo, s10
	s_cbranch_execnz .LBB70_3
; %bb.6:
	s_or_b32 exec_lo, exec_lo, s10
.LBB70_7:
	s_delay_alu instid0(SALU_CYCLE_1) | instskip(SKIP_1) | instid1(VALU_DEP_1)
	s_or_b32 exec_lo, exec_lo, s8
	v_mbcnt_lo_u32_b32 v2, -1, 0
	v_xor_b32_e32 v3, 16, v2
	v_xor_b32_e32 v4, 8, v2
	;; [unrolled: 1-line block ×3, first 2 shown]
	s_delay_alu instid0(VALU_DEP_3)
	v_cmp_gt_i32_e32 vcc_lo, 32, v3
	s_wait_alu 0xfffd
	v_cndmask_b32_e32 v3, v2, v3, vcc_lo
	v_cmp_gt_i32_e32 vcc_lo, 32, v4
	s_wait_alu 0xfffd
	v_cndmask_b32_e32 v4, v2, v4, vcc_lo
	v_cmp_gt_i32_e32 vcc_lo, 32, v5
	s_delay_alu instid0(VALU_DEP_2)
	v_lshlrev_b32_e32 v4, 2, v4
	v_lshlrev_b32_e32 v3, 2, v3
	s_wait_alu 0xfffd
	v_cndmask_b32_e32 v5, v2, v5, vcc_lo
	ds_bpermute_b32 v3, v3, v15
	v_lshlrev_b32_e32 v5, 2, v5
	s_wait_dscnt 0x0
	v_add_f32_e32 v3, v15, v3
	ds_bpermute_b32 v4, v4, v3
	s_wait_dscnt 0x0
	v_add_f32_e32 v3, v3, v4
	ds_bpermute_b32 v4, v5, v3
	v_xor_b32_e32 v5, 2, v2
	s_delay_alu instid0(VALU_DEP_1) | instskip(SKIP_2) | instid1(VALU_DEP_1)
	v_cmp_gt_i32_e32 vcc_lo, 32, v5
	s_wait_alu 0xfffd
	v_cndmask_b32_e32 v5, v2, v5, vcc_lo
	v_lshlrev_b32_e32 v5, 2, v5
	s_wait_dscnt 0x0
	v_add_f32_e32 v3, v3, v4
	ds_bpermute_b32 v4, v5, v3
	v_xor_b32_e32 v5, 1, v2
	s_delay_alu instid0(VALU_DEP_1) | instskip(SKIP_4) | instid1(VALU_DEP_2)
	v_cmp_gt_i32_e32 vcc_lo, 32, v5
	s_wait_alu 0xfffd
	v_cndmask_b32_e32 v5, v2, v5, vcc_lo
	v_cmp_eq_u32_e32 vcc_lo, 0, v0
	s_wait_dscnt 0x0
	v_dual_add_f32 v2, v3, v4 :: v_dual_lshlrev_b32 v3, 2, v5
	ds_bpermute_b32 v3, v3, v2
	s_and_b32 exec_lo, exec_lo, vcc_lo
	s_cbranch_execz .LBB70_9
; %bb.8:
	v_mad_co_u64_u32 v[0:1], null, s5, ttmp7, v[1:2]
	s_wait_dscnt 0x0
	v_dual_mov_b32 v1, 0 :: v_dual_add_f32 v2, v2, v3
	s_delay_alu instid0(VALU_DEP_1) | instskip(SKIP_1) | instid1(VALU_DEP_1)
	v_lshlrev_b64_e32 v[0:1], 2, v[0:1]
	s_wait_kmcnt 0x0
	v_add_co_u32 v0, vcc_lo, s6, v0
	s_wait_alu 0xfffd
	s_delay_alu instid0(VALU_DEP_2)
	v_add_co_ci_u32_e64 v1, null, s7, v1, vcc_lo
	global_store_b32 v[0:1], v2, off
.LBB70_9:
	s_endpgm
	.section	.rodata,"a",@progbits
	.p2align	6, 0x0
	.amdhsa_kernel _ZL13mul_mat_vec_qIfLi256ELi8E13block_iq3_xxsLi1EXadL_ZL20vec_dot_iq3_xxs_q8_1PKvPK10block_q8_1RKiEEEvS2_S2_PT_iii
		.amdhsa_group_segment_fixed_size 0
		.amdhsa_private_segment_fixed_size 0
		.amdhsa_kernarg_size 296
		.amdhsa_user_sgpr_count 2
		.amdhsa_user_sgpr_dispatch_ptr 0
		.amdhsa_user_sgpr_queue_ptr 0
		.amdhsa_user_sgpr_kernarg_segment_ptr 1
		.amdhsa_user_sgpr_dispatch_id 0
		.amdhsa_user_sgpr_private_segment_size 0
		.amdhsa_wavefront_size32 1
		.amdhsa_uses_dynamic_stack 0
		.amdhsa_enable_private_segment 0
		.amdhsa_system_sgpr_workgroup_id_x 1
		.amdhsa_system_sgpr_workgroup_id_y 1
		.amdhsa_system_sgpr_workgroup_id_z 0
		.amdhsa_system_sgpr_workgroup_info 0
		.amdhsa_system_vgpr_workitem_id 1
		.amdhsa_next_free_vgpr 40
		.amdhsa_next_free_sgpr 16
		.amdhsa_reserve_vcc 1
		.amdhsa_float_round_mode_32 0
		.amdhsa_float_round_mode_16_64 0
		.amdhsa_float_denorm_mode_32 3
		.amdhsa_float_denorm_mode_16_64 3
		.amdhsa_fp16_overflow 0
		.amdhsa_workgroup_processor_mode 1
		.amdhsa_memory_ordered 1
		.amdhsa_forward_progress 1
		.amdhsa_inst_pref_size 11
		.amdhsa_round_robin_scheduling 0
		.amdhsa_exception_fp_ieee_invalid_op 0
		.amdhsa_exception_fp_denorm_src 0
		.amdhsa_exception_fp_ieee_div_zero 0
		.amdhsa_exception_fp_ieee_overflow 0
		.amdhsa_exception_fp_ieee_underflow 0
		.amdhsa_exception_fp_ieee_inexact 0
		.amdhsa_exception_int_div_zero 0
	.end_amdhsa_kernel
	.section	.text._ZL13mul_mat_vec_qIfLi256ELi8E13block_iq3_xxsLi1EXadL_ZL20vec_dot_iq3_xxs_q8_1PKvPK10block_q8_1RKiEEEvS2_S2_PT_iii,"axG",@progbits,_ZL13mul_mat_vec_qIfLi256ELi8E13block_iq3_xxsLi1EXadL_ZL20vec_dot_iq3_xxs_q8_1PKvPK10block_q8_1RKiEEEvS2_S2_PT_iii,comdat
.Lfunc_end70:
	.size	_ZL13mul_mat_vec_qIfLi256ELi8E13block_iq3_xxsLi1EXadL_ZL20vec_dot_iq3_xxs_q8_1PKvPK10block_q8_1RKiEEEvS2_S2_PT_iii, .Lfunc_end70-_ZL13mul_mat_vec_qIfLi256ELi8E13block_iq3_xxsLi1EXadL_ZL20vec_dot_iq3_xxs_q8_1PKvPK10block_q8_1RKiEEEvS2_S2_PT_iii
                                        ; -- End function
	.set _ZL13mul_mat_vec_qIfLi256ELi8E13block_iq3_xxsLi1EXadL_ZL20vec_dot_iq3_xxs_q8_1PKvPK10block_q8_1RKiEEEvS2_S2_PT_iii.num_vgpr, 40
	.set _ZL13mul_mat_vec_qIfLi256ELi8E13block_iq3_xxsLi1EXadL_ZL20vec_dot_iq3_xxs_q8_1PKvPK10block_q8_1RKiEEEvS2_S2_PT_iii.num_agpr, 0
	.set _ZL13mul_mat_vec_qIfLi256ELi8E13block_iq3_xxsLi1EXadL_ZL20vec_dot_iq3_xxs_q8_1PKvPK10block_q8_1RKiEEEvS2_S2_PT_iii.numbered_sgpr, 16
	.set _ZL13mul_mat_vec_qIfLi256ELi8E13block_iq3_xxsLi1EXadL_ZL20vec_dot_iq3_xxs_q8_1PKvPK10block_q8_1RKiEEEvS2_S2_PT_iii.num_named_barrier, 0
	.set _ZL13mul_mat_vec_qIfLi256ELi8E13block_iq3_xxsLi1EXadL_ZL20vec_dot_iq3_xxs_q8_1PKvPK10block_q8_1RKiEEEvS2_S2_PT_iii.private_seg_size, 0
	.set _ZL13mul_mat_vec_qIfLi256ELi8E13block_iq3_xxsLi1EXadL_ZL20vec_dot_iq3_xxs_q8_1PKvPK10block_q8_1RKiEEEvS2_S2_PT_iii.uses_vcc, 1
	.set _ZL13mul_mat_vec_qIfLi256ELi8E13block_iq3_xxsLi1EXadL_ZL20vec_dot_iq3_xxs_q8_1PKvPK10block_q8_1RKiEEEvS2_S2_PT_iii.uses_flat_scratch, 0
	.set _ZL13mul_mat_vec_qIfLi256ELi8E13block_iq3_xxsLi1EXadL_ZL20vec_dot_iq3_xxs_q8_1PKvPK10block_q8_1RKiEEEvS2_S2_PT_iii.has_dyn_sized_stack, 0
	.set _ZL13mul_mat_vec_qIfLi256ELi8E13block_iq3_xxsLi1EXadL_ZL20vec_dot_iq3_xxs_q8_1PKvPK10block_q8_1RKiEEEvS2_S2_PT_iii.has_recursion, 0
	.set _ZL13mul_mat_vec_qIfLi256ELi8E13block_iq3_xxsLi1EXadL_ZL20vec_dot_iq3_xxs_q8_1PKvPK10block_q8_1RKiEEEvS2_S2_PT_iii.has_indirect_call, 0
	.section	.AMDGPU.csdata,"",@progbits
; Kernel info:
; codeLenInByte = 1404
; TotalNumSgprs: 18
; NumVgprs: 40
; ScratchSize: 0
; MemoryBound: 0
; FloatMode: 240
; IeeeMode: 1
; LDSByteSize: 0 bytes/workgroup (compile time only)
; SGPRBlocks: 0
; VGPRBlocks: 4
; NumSGPRsForWavesPerEU: 18
; NumVGPRsForWavesPerEU: 40
; Occupancy: 16
; WaveLimiterHint : 0
; COMPUTE_PGM_RSRC2:SCRATCH_EN: 0
; COMPUTE_PGM_RSRC2:USER_SGPR: 2
; COMPUTE_PGM_RSRC2:TRAP_HANDLER: 0
; COMPUTE_PGM_RSRC2:TGID_X_EN: 1
; COMPUTE_PGM_RSRC2:TGID_Y_EN: 1
; COMPUTE_PGM_RSRC2:TGID_Z_EN: 0
; COMPUTE_PGM_RSRC2:TIDIG_COMP_CNT: 1
	.section	.text._ZL13mul_mat_vec_qIfLi256ELi8E11block_iq1_sLi1EXadL_ZL18vec_dot_iq1_s_q8_1PKvPK10block_q8_1RKiEEEvS2_S2_PT_iii,"axG",@progbits,_ZL13mul_mat_vec_qIfLi256ELi8E11block_iq1_sLi1EXadL_ZL18vec_dot_iq1_s_q8_1PKvPK10block_q8_1RKiEEEvS2_S2_PT_iii,comdat
	.globl	_ZL13mul_mat_vec_qIfLi256ELi8E11block_iq1_sLi1EXadL_ZL18vec_dot_iq1_s_q8_1PKvPK10block_q8_1RKiEEEvS2_S2_PT_iii ; -- Begin function _ZL13mul_mat_vec_qIfLi256ELi8E11block_iq1_sLi1EXadL_ZL18vec_dot_iq1_s_q8_1PKvPK10block_q8_1RKiEEEvS2_S2_PT_iii
	.p2align	8
	.type	_ZL13mul_mat_vec_qIfLi256ELi8E11block_iq1_sLi1EXadL_ZL18vec_dot_iq1_s_q8_1PKvPK10block_q8_1RKiEEEvS2_S2_PT_iii,@function
_ZL13mul_mat_vec_qIfLi256ELi8E11block_iq1_sLi1EXadL_ZL18vec_dot_iq1_s_q8_1PKvPK10block_q8_1RKiEEEvS2_S2_PT_iii: ; @_ZL13mul_mat_vec_qIfLi256ELi8E11block_iq1_sLi1EXadL_ZL18vec_dot_iq1_s_q8_1PKvPK10block_q8_1RKiEEEvS2_S2_PT_iii
; %bb.0:
	s_clause 0x1
	s_load_u16 s2, s[0:1], 0x36
	s_load_b96 s[4:6], s[0:1], 0x18
	v_bfe_u32 v1, v0, 10, 10
	s_wait_kmcnt 0x0
	s_delay_alu instid0(VALU_DEP_1)
	v_mad_co_u64_u32 v[1:2], null, ttmp9, s2, v[1:2]
	s_cmp_lt_u32 ttmp7, s6
	s_cselect_b32 s2, -1, 0
	v_cmp_gt_u32_e32 vcc_lo, s5, v1
	s_wait_alu 0xfffe
	s_and_b32 s2, s2, vcc_lo
	s_wait_alu 0xfffe
	s_and_saveexec_b32 s3, s2
	s_cbranch_execz .LBB71_7
; %bb.1:
	s_load_b64 s[6:7], s[0:1], 0x10
	s_ashr_i32 s2, s4, 31
	v_bfe_u32 v4, v0, 3, 7
	s_wait_alu 0xfffe
	s_lshr_b32 s2, s2, 24
	v_dual_mov_b32 v5, 0 :: v_dual_and_b32 v0, 0x3ff, v0
	s_wait_alu 0xfffe
	s_add_co_i32 s2, s4, s2
	s_mov_b32 s8, exec_lo
	s_wait_alu 0xfffe
	s_ashr_i32 s9, s2, 8
	s_delay_alu instid0(SALU_CYCLE_1)
	v_cmpx_gt_u32_e64 s9, v4
	s_cbranch_execz .LBB71_5
; %bb.2:
	s_load_b128 s[0:3], s[0:1], 0x0
	s_addk_co_i32 s4, 0x1ff
	v_and_b32_e32 v9, 7, v0
	s_wait_alu 0xfffe
	s_ashr_i32 s10, s4, 31
	v_lshlrev_b32_e32 v7, 3, v4
	s_lshr_b32 s10, s10, 23
	v_mul_lo_u32 v6, v1, s9
	s_add_co_i32 s4, s4, s10
	v_dual_mov_b32 v5, 0 :: v_dual_lshlrev_b32 v8, 1, v9
	s_wait_alu 0xfffe
	s_ashr_i32 s4, s4, 9
	s_mov_b32 s10, 0xb7000000
	s_wait_alu 0xfffe
	s_mul_i32 s4, ttmp7, s4
	v_lshlrev_b32_e32 v8, 1, v8
	s_wait_alu 0xfffe
	v_lshl_add_u32 v7, s4, 4, v7
	s_mov_b32 s4, 0
	s_wait_kmcnt 0x0
	v_mad_co_u64_u32 v[2:3], null, v9, 36, s[2:3]
	v_lshlrev_b32_e32 v9, 1, v9
.LBB71_3:                               ; =>This Inner Loop Header: Depth=1
	v_add_nc_u32_e32 v10, v6, v4
	s_delay_alu instid0(VALU_DEP_3)
	v_mad_co_i64_i32 v[20:21], null, v7, 36, v[2:3]
	s_getpc_b64 s[2:3]
	s_wait_alu 0xfffe
	s_sext_i32_i16 s3, s3
	s_add_co_u32 s2, s2, _ZL13iq1s_grid_gpu@rel32@lo+12
	s_wait_alu 0xfffe
	s_add_co_ci_u32 s3, s3, _ZL13iq1s_grid_gpu@rel32@hi+24
	v_add_nc_u32_e32 v4, 4, v4
	v_mad_co_i64_i32 v[18:19], null, v10, 50, s[0:1]
	v_add_nc_u32_e32 v7, 32, v7
	s_delay_alu instid0(VALU_DEP_2) | instskip(SKIP_1) | instid1(VALU_DEP_3)
	v_add_co_u32 v10, vcc_lo, v18, v8
	s_wait_alu 0xfffd
	v_add_co_ci_u32_e64 v11, null, 0, v19, vcc_lo
	v_add_co_u32 v12, vcc_lo, v18, v9
	s_wait_alu 0xfffd
	v_add_co_ci_u32_e64 v13, null, 0, v19, vcc_lo
	s_clause 0x1
	global_load_b32 v22, v[10:11], off offset:2
	global_load_u16 v23, v[12:13], off offset:34
	s_clause 0x1
	global_load_b128 v[10:13], v[20:21], off offset:4
	global_load_b128 v[14:17], v[20:21], off offset:20
	global_load_u16 v18, v[18:19], off
	v_cmp_le_u32_e32 vcc_lo, s9, v4
	s_or_b32 s4, vcc_lo, s4
	s_wait_loadcnt 0x2
	v_ashrrev_i32_e32 v31, 24, v11
	v_and_b32_e32 v24, 0xff, v22
	v_lshlrev_b32_e32 v25, 8, v23
	v_bfe_u32 v26, v22, 8, 8
	v_lshlrev_b32_e32 v27, 5, v23
	v_lshrrev_b32_e32 v19, 24, v22
	v_bfe_u32 v22, v22, 16, 8
	v_lshlrev_b32_e32 v28, 2, v23
	v_lshrrev_b32_e32 v29, 1, v23
	v_and_or_b32 v24, 0x700, v25, v24
	v_and_or_b32 v25, 0x700, v27, v26
	v_lshrrev_b16 v26, 8, v11
	v_and_or_b32 v22, 0x700, v28, v22
	v_and_or_b32 v19, 0x700, v29, v19
	v_lshlrev_b32_e32 v24, 3, v24
	v_lshlrev_b32_e32 v25, 3, v25
	v_bfe_i32 v32, v11, 16, 8
	v_lshlrev_b32_e32 v22, 3, v22
	v_lshlrev_b32_e32 v19, 3, v19
	s_clause 0x3
	global_load_b32 v24, v24, s[2:3]
	global_load_b32 v25, v25, s[2:3]
	;; [unrolled: 1-line block ×4, first 2 shown]
	global_load_b32 v20, v[20:21], off
	v_bfe_i32 v11, v11, 0, 8
	s_wait_loadcnt 0x6
	v_lshrrev_b16 v40, 8, v17
	v_ashrrev_i32_e32 v47, 24, v17
	v_bfe_i32 v48, v17, 16, 8
	v_bfe_i32 v17, v17, 0, 8
	v_lshrrev_b16 v21, 8, v10
	v_lshrrev_b16 v27, 8, v12
	;; [unrolled: 1-line block ×3, first 2 shown]
	v_bfe_i32 v29, v10, 16, 8
	v_ashrrev_i32_e32 v35, 24, v13
	v_bfe_i32 v36, v13, 16, 8
	v_bfe_i32 v13, v13, 0, 8
	;; [unrolled: 1-line block ×3, first 2 shown]
	v_ashrrev_i32_e32 v10, 24, v10
	v_ashrrev_i32_e32 v33, 24, v12
	v_lshrrev_b16 v37, 8, v14
	v_lshrrev_b16 v38, 8, v15
	v_ashrrev_i32_e32 v43, 24, v15
	v_bfe_i32 v44, v15, 16, 8
	v_bfe_i32 v15, v15, 0, 8
	;; [unrolled: 1-line block ×7, first 2 shown]
	v_lshrrev_b16 v39, 8, v16
	v_ashrrev_i32_e32 v41, 24, v14
	v_bfe_i32 v28, v28, 0, 8
	v_bfe_i32 v37, v37, 0, 8
	;; [unrolled: 1-line block ×4, first 2 shown]
	v_ashrrev_i32_e32 v45, 24, v16
	v_bfe_i32 v38, v38, 0, 8
	v_bfe_i32 v39, v39, 0, 8
	;; [unrolled: 1-line block ×5, first 2 shown]
	s_wait_loadcnt 0x4
	v_lshrrev_b32_e32 v51, 4, v24
	v_bfe_u32 v49, v24, 24, 4
	v_and_b32_e32 v50, 0xf0f0f0f, v24
	v_lshrrev_b32_e32 v52, 28, v24
	v_bfe_u32 v53, v24, 16, 4
	v_and_b32_e32 v54, 15, v24
	v_bfe_u32 v55, v24, 20, 4
	v_bfe_u32 v24, v24, 4, 4
	s_wait_loadcnt 0x3
	v_and_b32_e32 v57, 0xf0f0f0f, v25
	v_lshrrev_b32_e32 v58, 4, v25
	s_wait_loadcnt 0x1
	v_bfe_u32 v70, v19, 24, 4
	v_and_b32_e32 v71, 0xf0f0f0f, v19
	v_lshrrev_b32_e32 v72, 4, v19
	v_lshrrev_b32_e32 v73, 28, v19
	v_bfe_u32 v74, v19, 16, 4
	v_and_b32_e32 v75, 15, v19
	v_bfe_u32 v76, v19, 20, 4
	v_bfe_u32 v19, v19, 4, 4
	v_lshrrev_b16 v51, 8, v51
	v_bfe_u32 v56, v25, 24, 4
	v_lshrrev_b32_e32 v59, 28, v25
	v_bfe_u32 v60, v25, 16, 4
	v_and_b32_e32 v61, 15, v25
	v_bfe_u32 v62, v25, 20, 4
	v_bfe_u32 v25, v25, 4, 4
	v_and_b32_e32 v64, 0xf0f0f0f, v22
	v_lshrrev_b32_e32 v65, 4, v22
	v_lshrrev_b16 v50, 8, v50
	v_mul_i32_i24_e32 v11, v24, v11
	v_mul_i32_i24_e32 v24, v55, v32
	;; [unrolled: 1-line block ×3, first 2 shown]
	v_lshrrev_b16 v32, 8, v57
	v_lshrrev_b16 v52, 8, v58
	v_mul_i32_i24_e32 v17, v19, v17
	v_mul_i32_i24_e32 v19, v76, v48
	v_and_b32_e32 v48, 15, v51
	v_bfe_u32 v63, v22, 24, 4
	v_lshrrev_b32_e32 v66, 28, v22
	v_bfe_u32 v67, v22, 16, 4
	v_and_b32_e32 v68, 15, v22
	v_bfe_u32 v69, v22, 20, 4
	v_bfe_u32 v22, v22, 4, 4
	v_mul_i32_i24_e32 v13, v25, v13
	v_mul_i32_i24_e32 v25, v62, v36
	v_lshrrev_b16 v36, 8, v64
	v_lshrrev_b16 v55, 8, v65
	v_and_b32_e32 v50, 0xffff, v50
	v_and_b32_e32 v51, 15, v52
	;; [unrolled: 1-line block ×3, first 2 shown]
	v_mad_i32_i24 v24, v53, v29, v24
	v_and_b32_e32 v29, 0xffff, v48
	v_mul_i32_i24_e32 v33, v33, v56
	v_mul_i32_i24_e32 v35, v59, v35
	;; [unrolled: 1-line block ×4, first 2 shown]
	v_lshrrev_b16 v44, 8, v71
	v_lshrrev_b16 v56, 8, v72
	v_and_b32_e32 v52, 15, v55
	v_and_b32_e32 v36, 0xffff, v36
	v_mad_i32_i24 v10, v49, v10, v31
	v_mad_i32_i24 v11, v54, v30, v11
	v_mul_i32_i24_e32 v21, v50, v21
	v_mul_i32_i24_e32 v27, v27, v32
	v_and_b32_e32 v30, 0xffff, v51
	v_mul_i32_i24_e32 v26, v29, v26
	v_mul_i32_i24_e32 v12, v12, v61
	;; [unrolled: 1-line block ×5, first 2 shown]
	v_and_b32_e32 v55, 15, v56
	v_and_b32_e32 v44, 0xffff, v44
	v_mul_i32_i24_e32 v31, v37, v36
	v_and_b32_e32 v32, 0xffff, v52
	v_add3_u32 v10, v10, v33, v35
	v_mul_i32_i24_e32 v28, v30, v28
	v_add3_u32 v21, v21, v26, v27
	v_mul_i32_i24_e32 v14, v14, v68
	v_mul_i32_i24_e32 v42, v42, v67
	;; [unrolled: 1-line block ×5, first 2 shown]
	v_and_b32_e32 v36, 0xffff, v55
	v_add3_u32 v24, v24, v34, v25
	v_add3_u32 v11, v11, v12, v13
	v_mul_i32_i24_e32 v12, v32, v38
	v_add3_u32 v10, v10, v41, v43
	v_add3_u32 v13, v21, v28, v31
	v_mul_i32_i24_e32 v16, v16, v75
	v_mul_i32_i24_e32 v46, v46, v74
	;; [unrolled: 1-line block ×3, first 2 shown]
	v_add3_u32 v11, v11, v14, v15
	v_add3_u32 v14, v24, v42, v22
	;; [unrolled: 1-line block ×4, first 2 shown]
	s_delay_alu instid0(VALU_DEP_4) | instskip(NEXT) | instid1(VALU_DEP_4)
	v_add3_u32 v11, v11, v16, v17
	v_add3_u32 v13, v14, v46, v19
	v_and_b32_e32 v14, 0x8000, v23
	s_delay_alu instid0(VALU_DEP_4) | instskip(SKIP_1) | instid1(VALU_DEP_2)
	v_add3_u32 v10, v12, v21, v10
	v_lshrrev_b32_e32 v12, 11, v23
	v_add3_u32 v10, v11, v13, v10
	s_wait_loadcnt 0x0
	v_cvt_f32_f16_e32 v11, v20
	s_delay_alu instid0(VALU_DEP_3) | instskip(SKIP_3) | instid1(VALU_DEP_4)
	v_and_or_b32 v12, v12, 14, 1
	v_cvt_f32_u32_e32 v13, v14
	v_cvt_f32_f16_e32 v14, v18
	v_cvt_f32_i32_e32 v10, v10
	v_cvt_f32_ubyte0_e32 v12, v12
	s_delay_alu instid0(VALU_DEP_2) | instskip(NEXT) | instid1(VALU_DEP_2)
	v_dual_fmaak_f32 v13, s10, v13, 0xbf600000 :: v_dual_mul_f32 v10, v11, v10
	v_mul_f32_e32 v11, v12, v14
	s_delay_alu instid0(VALU_DEP_2) | instskip(NEXT) | instid1(VALU_DEP_1)
	v_fma_mix_f32 v10, v13, v20, v10 op_sel:[0,1,0] op_sel_hi:[0,1,0]
	v_fmac_f32_e32 v5, v11, v10
	s_wait_alu 0xfffe
	s_and_not1_b32 exec_lo, exec_lo, s4
	s_cbranch_execnz .LBB71_3
; %bb.4:
	s_or_b32 exec_lo, exec_lo, s4
.LBB71_5:
	s_delay_alu instid0(SALU_CYCLE_1) | instskip(SKIP_1) | instid1(VALU_DEP_1)
	s_or_b32 exec_lo, exec_lo, s8
	v_mbcnt_lo_u32_b32 v2, -1, 0
	v_xor_b32_e32 v3, 16, v2
	v_xor_b32_e32 v4, 8, v2
	s_delay_alu instid0(VALU_DEP_2) | instskip(SKIP_2) | instid1(VALU_DEP_3)
	v_cmp_gt_i32_e32 vcc_lo, 32, v3
	s_wait_alu 0xfffd
	v_cndmask_b32_e32 v3, v2, v3, vcc_lo
	v_cmp_gt_i32_e32 vcc_lo, 32, v4
	s_wait_alu 0xfffd
	v_cndmask_b32_e32 v4, v2, v4, vcc_lo
	s_delay_alu instid0(VALU_DEP_1)
	v_lshlrev_b32_e32 v4, 2, v4
	v_lshlrev_b32_e32 v3, 2, v3
	ds_bpermute_b32 v3, v3, v5
	s_wait_dscnt 0x0
	v_add_f32_e32 v3, v5, v3
	v_xor_b32_e32 v5, 4, v2
	ds_bpermute_b32 v4, v4, v3
	v_cmp_gt_i32_e32 vcc_lo, 32, v5
	s_wait_alu 0xfffd
	v_cndmask_b32_e32 v5, v2, v5, vcc_lo
	s_delay_alu instid0(VALU_DEP_1) | instskip(SKIP_4) | instid1(VALU_DEP_1)
	v_lshlrev_b32_e32 v5, 2, v5
	s_wait_dscnt 0x0
	v_add_f32_e32 v3, v3, v4
	ds_bpermute_b32 v4, v5, v3
	v_xor_b32_e32 v5, 2, v2
	v_cmp_gt_i32_e32 vcc_lo, 32, v5
	s_wait_alu 0xfffd
	v_cndmask_b32_e32 v5, v2, v5, vcc_lo
	s_delay_alu instid0(VALU_DEP_1) | instskip(SKIP_4) | instid1(VALU_DEP_1)
	v_lshlrev_b32_e32 v5, 2, v5
	s_wait_dscnt 0x0
	v_add_f32_e32 v3, v3, v4
	ds_bpermute_b32 v4, v5, v3
	v_xor_b32_e32 v5, 1, v2
	v_cmp_gt_i32_e32 vcc_lo, 32, v5
	s_wait_alu 0xfffd
	v_cndmask_b32_e32 v5, v2, v5, vcc_lo
	v_cmp_eq_u32_e32 vcc_lo, 0, v0
	s_wait_dscnt 0x0
	s_delay_alu instid0(VALU_DEP_2)
	v_dual_add_f32 v2, v3, v4 :: v_dual_lshlrev_b32 v3, 2, v5
	ds_bpermute_b32 v3, v3, v2
	s_and_b32 exec_lo, exec_lo, vcc_lo
	s_cbranch_execz .LBB71_7
; %bb.6:
	v_mad_co_u64_u32 v[0:1], null, s5, ttmp7, v[1:2]
	s_wait_dscnt 0x0
	v_dual_mov_b32 v1, 0 :: v_dual_add_f32 v2, v2, v3
	s_delay_alu instid0(VALU_DEP_1) | instskip(SKIP_1) | instid1(VALU_DEP_1)
	v_lshlrev_b64_e32 v[0:1], 2, v[0:1]
	s_wait_kmcnt 0x0
	v_add_co_u32 v0, vcc_lo, s6, v0
	s_wait_alu 0xfffd
	s_delay_alu instid0(VALU_DEP_2)
	v_add_co_ci_u32_e64 v1, null, s7, v1, vcc_lo
	global_store_b32 v[0:1], v2, off
.LBB71_7:
	s_endpgm
	.section	.rodata,"a",@progbits
	.p2align	6, 0x0
	.amdhsa_kernel _ZL13mul_mat_vec_qIfLi256ELi8E11block_iq1_sLi1EXadL_ZL18vec_dot_iq1_s_q8_1PKvPK10block_q8_1RKiEEEvS2_S2_PT_iii
		.amdhsa_group_segment_fixed_size 0
		.amdhsa_private_segment_fixed_size 0
		.amdhsa_kernarg_size 296
		.amdhsa_user_sgpr_count 2
		.amdhsa_user_sgpr_dispatch_ptr 0
		.amdhsa_user_sgpr_queue_ptr 0
		.amdhsa_user_sgpr_kernarg_segment_ptr 1
		.amdhsa_user_sgpr_dispatch_id 0
		.amdhsa_user_sgpr_private_segment_size 0
		.amdhsa_wavefront_size32 1
		.amdhsa_uses_dynamic_stack 0
		.amdhsa_enable_private_segment 0
		.amdhsa_system_sgpr_workgroup_id_x 1
		.amdhsa_system_sgpr_workgroup_id_y 1
		.amdhsa_system_sgpr_workgroup_id_z 0
		.amdhsa_system_sgpr_workgroup_info 0
		.amdhsa_system_vgpr_workitem_id 1
		.amdhsa_next_free_vgpr 77
		.amdhsa_next_free_sgpr 11
		.amdhsa_reserve_vcc 1
		.amdhsa_float_round_mode_32 0
		.amdhsa_float_round_mode_16_64 0
		.amdhsa_float_denorm_mode_32 3
		.amdhsa_float_denorm_mode_16_64 3
		.amdhsa_fp16_overflow 0
		.amdhsa_workgroup_processor_mode 1
		.amdhsa_memory_ordered 1
		.amdhsa_forward_progress 1
		.amdhsa_inst_pref_size 16
		.amdhsa_round_robin_scheduling 0
		.amdhsa_exception_fp_ieee_invalid_op 0
		.amdhsa_exception_fp_denorm_src 0
		.amdhsa_exception_fp_ieee_div_zero 0
		.amdhsa_exception_fp_ieee_overflow 0
		.amdhsa_exception_fp_ieee_underflow 0
		.amdhsa_exception_fp_ieee_inexact 0
		.amdhsa_exception_int_div_zero 0
	.end_amdhsa_kernel
	.section	.text._ZL13mul_mat_vec_qIfLi256ELi8E11block_iq1_sLi1EXadL_ZL18vec_dot_iq1_s_q8_1PKvPK10block_q8_1RKiEEEvS2_S2_PT_iii,"axG",@progbits,_ZL13mul_mat_vec_qIfLi256ELi8E11block_iq1_sLi1EXadL_ZL18vec_dot_iq1_s_q8_1PKvPK10block_q8_1RKiEEEvS2_S2_PT_iii,comdat
.Lfunc_end71:
	.size	_ZL13mul_mat_vec_qIfLi256ELi8E11block_iq1_sLi1EXadL_ZL18vec_dot_iq1_s_q8_1PKvPK10block_q8_1RKiEEEvS2_S2_PT_iii, .Lfunc_end71-_ZL13mul_mat_vec_qIfLi256ELi8E11block_iq1_sLi1EXadL_ZL18vec_dot_iq1_s_q8_1PKvPK10block_q8_1RKiEEEvS2_S2_PT_iii
                                        ; -- End function
	.set _ZL13mul_mat_vec_qIfLi256ELi8E11block_iq1_sLi1EXadL_ZL18vec_dot_iq1_s_q8_1PKvPK10block_q8_1RKiEEEvS2_S2_PT_iii.num_vgpr, 77
	.set _ZL13mul_mat_vec_qIfLi256ELi8E11block_iq1_sLi1EXadL_ZL18vec_dot_iq1_s_q8_1PKvPK10block_q8_1RKiEEEvS2_S2_PT_iii.num_agpr, 0
	.set _ZL13mul_mat_vec_qIfLi256ELi8E11block_iq1_sLi1EXadL_ZL18vec_dot_iq1_s_q8_1PKvPK10block_q8_1RKiEEEvS2_S2_PT_iii.numbered_sgpr, 11
	.set _ZL13mul_mat_vec_qIfLi256ELi8E11block_iq1_sLi1EXadL_ZL18vec_dot_iq1_s_q8_1PKvPK10block_q8_1RKiEEEvS2_S2_PT_iii.num_named_barrier, 0
	.set _ZL13mul_mat_vec_qIfLi256ELi8E11block_iq1_sLi1EXadL_ZL18vec_dot_iq1_s_q8_1PKvPK10block_q8_1RKiEEEvS2_S2_PT_iii.private_seg_size, 0
	.set _ZL13mul_mat_vec_qIfLi256ELi8E11block_iq1_sLi1EXadL_ZL18vec_dot_iq1_s_q8_1PKvPK10block_q8_1RKiEEEvS2_S2_PT_iii.uses_vcc, 1
	.set _ZL13mul_mat_vec_qIfLi256ELi8E11block_iq1_sLi1EXadL_ZL18vec_dot_iq1_s_q8_1PKvPK10block_q8_1RKiEEEvS2_S2_PT_iii.uses_flat_scratch, 0
	.set _ZL13mul_mat_vec_qIfLi256ELi8E11block_iq1_sLi1EXadL_ZL18vec_dot_iq1_s_q8_1PKvPK10block_q8_1RKiEEEvS2_S2_PT_iii.has_dyn_sized_stack, 0
	.set _ZL13mul_mat_vec_qIfLi256ELi8E11block_iq1_sLi1EXadL_ZL18vec_dot_iq1_s_q8_1PKvPK10block_q8_1RKiEEEvS2_S2_PT_iii.has_recursion, 0
	.set _ZL13mul_mat_vec_qIfLi256ELi8E11block_iq1_sLi1EXadL_ZL18vec_dot_iq1_s_q8_1PKvPK10block_q8_1RKiEEEvS2_S2_PT_iii.has_indirect_call, 0
	.section	.AMDGPU.csdata,"",@progbits
; Kernel info:
; codeLenInByte = 1932
; TotalNumSgprs: 13
; NumVgprs: 77
; ScratchSize: 0
; MemoryBound: 0
; FloatMode: 240
; IeeeMode: 1
; LDSByteSize: 0 bytes/workgroup (compile time only)
; SGPRBlocks: 0
; VGPRBlocks: 9
; NumSGPRsForWavesPerEU: 13
; NumVGPRsForWavesPerEU: 77
; Occupancy: 16
; WaveLimiterHint : 0
; COMPUTE_PGM_RSRC2:SCRATCH_EN: 0
; COMPUTE_PGM_RSRC2:USER_SGPR: 2
; COMPUTE_PGM_RSRC2:TRAP_HANDLER: 0
; COMPUTE_PGM_RSRC2:TGID_X_EN: 1
; COMPUTE_PGM_RSRC2:TGID_Y_EN: 1
; COMPUTE_PGM_RSRC2:TGID_Z_EN: 0
; COMPUTE_PGM_RSRC2:TIDIG_COMP_CNT: 1
	.section	.text._ZL13mul_mat_vec_qIfLi32ELi4E12block_iq4_nlLi2EXadL_ZL19vec_dot_iq4_nl_q8_1PKvPK10block_q8_1RKiEEEvS2_S2_PT_iii,"axG",@progbits,_ZL13mul_mat_vec_qIfLi32ELi4E12block_iq4_nlLi2EXadL_ZL19vec_dot_iq4_nl_q8_1PKvPK10block_q8_1RKiEEEvS2_S2_PT_iii,comdat
	.globl	_ZL13mul_mat_vec_qIfLi32ELi4E12block_iq4_nlLi2EXadL_ZL19vec_dot_iq4_nl_q8_1PKvPK10block_q8_1RKiEEEvS2_S2_PT_iii ; -- Begin function _ZL13mul_mat_vec_qIfLi32ELi4E12block_iq4_nlLi2EXadL_ZL19vec_dot_iq4_nl_q8_1PKvPK10block_q8_1RKiEEEvS2_S2_PT_iii
	.p2align	8
	.type	_ZL13mul_mat_vec_qIfLi32ELi4E12block_iq4_nlLi2EXadL_ZL19vec_dot_iq4_nl_q8_1PKvPK10block_q8_1RKiEEEvS2_S2_PT_iii,@function
_ZL13mul_mat_vec_qIfLi32ELi4E12block_iq4_nlLi2EXadL_ZL19vec_dot_iq4_nl_q8_1PKvPK10block_q8_1RKiEEEvS2_S2_PT_iii: ; @_ZL13mul_mat_vec_qIfLi32ELi4E12block_iq4_nlLi2EXadL_ZL19vec_dot_iq4_nl_q8_1PKvPK10block_q8_1RKiEEEvS2_S2_PT_iii
; %bb.0:
	s_clause 0x1
	s_load_u16 s2, s[0:1], 0x36
	s_load_b96 s[4:6], s[0:1], 0x18
	v_bfe_u32 v1, v0, 10, 10
	s_wait_kmcnt 0x0
	s_delay_alu instid0(VALU_DEP_1)
	v_mad_co_u64_u32 v[1:2], null, ttmp9, s2, v[1:2]
	s_cmp_lt_u32 ttmp7, s6
	s_cselect_b32 s2, -1, 0
	v_cmp_gt_u32_e32 vcc_lo, s5, v1
	s_wait_alu 0xfffe
	s_and_b32 s2, s2, vcc_lo
	s_wait_alu 0xfffe
	s_and_saveexec_b32 s3, s2
	s_cbranch_execz .LBB72_7
; %bb.1:
	s_load_b64 s[6:7], s[0:1], 0x10
	s_ashr_i32 s2, s4, 31
	v_bfe_u32 v2, v0, 1, 9
	s_wait_alu 0xfffe
	s_lshr_b32 s2, s2, 27
	v_dual_mov_b32 v3, 0 :: v_dual_and_b32 v0, 0x3ff, v0
	s_wait_alu 0xfffe
	s_add_co_i32 s2, s4, s2
	s_mov_b32 s8, exec_lo
	s_wait_alu 0xfffe
	s_ashr_i32 s9, s2, 5
	s_delay_alu instid0(SALU_CYCLE_1)
	v_cmpx_gt_u32_e64 s9, v2
	s_cbranch_execz .LBB72_5
; %bb.2:
	v_lshlrev_b32_e32 v3, 1, v0
	s_load_b128 s[0:3], s[0:1], 0x0
	s_addk_co_i32 s4, 0x1ff
	v_mul_lo_u32 v4, v1, s9
	s_wait_alu 0xfffe
	s_ashr_i32 s10, s4, 31
	v_dual_mov_b32 v3, 0 :: v_dual_and_b32 v6, 2, v3
	s_lshr_b32 s10, s10, 23
	s_delay_alu instid0(SALU_CYCLE_1) | instskip(NEXT) | instid1(VALU_DEP_1)
	s_add_co_i32 s4, s4, s10
	v_lshlrev_b32_e32 v5, 1, v6
	s_wait_alu 0xfffe
	s_ashr_i32 s4, s4, 9
	v_lshlrev_b32_e32 v6, 2, v6
	s_wait_alu 0xfffe
	s_mul_i32 s4, ttmp7, s4
	s_wait_alu 0xfffe
	s_lshl_b32 s10, s4, 4
	v_lshlrev_b32_e32 v5, 1, v5
	s_mov_b32 s4, 0
	s_getpc_b64 s[12:13]
	s_sext_i32_i16 s13, s13
	s_add_co_u32 s12, s12, _ZL13kvalues_iq4nl@rel32@lo+8
	s_add_co_ci_u32 s13, s13, _ZL13kvalues_iq4nl@rel32@hi+16
.LBB72_3:                               ; =>This Inner Loop Header: Depth=1
	v_add_nc_u32_e32 v7, v4, v2
	v_add_nc_u32_e32 v11, s10, v2
	s_wait_kmcnt 0x0
	s_delay_alu instid0(VALU_DEP_2) | instskip(NEXT) | instid1(VALU_DEP_2)
	v_mad_co_i64_i32 v[7:8], null, v7, 18, s[0:1]
	v_mad_co_i64_i32 v[11:12], null, v11, 36, s[2:3]
	s_delay_alu instid0(VALU_DEP_2) | instskip(SKIP_1) | instid1(VALU_DEP_3)
	v_add_co_u32 v9, vcc_lo, v7, v5
	s_wait_alu 0xfffd
	v_add_co_ci_u32_e64 v10, null, 0, v8, vcc_lo
	s_delay_alu instid0(VALU_DEP_3) | instskip(SKIP_1) | instid1(VALU_DEP_4)
	v_add_co_u32 v13, vcc_lo, v11, v6
	s_wait_alu 0xfffd
	v_add_co_ci_u32_e64 v14, null, 0, v12, vcc_lo
	global_load_b64 v[9:10], v[9:10], off offset:2
	global_load_b64 v[15:16], v[13:14], off offset:4
	s_wait_loadcnt 0x1
	v_and_b32_e32 v18, 15, v9
	v_bfe_u32 v19, v9, 8, 4
	v_bfe_u32 v20, v9, 16, 4
	;; [unrolled: 1-line block ×5, first 2 shown]
	v_lshrrev_b32_e32 v23, 28, v9
	v_bfe_u32 v9, v9, 4, 4
	s_clause 0x7
	global_load_i8 v18, v18, s[12:13]
	global_load_i8 v19, v19, s[12:13]
	;; [unrolled: 1-line block ×8, first 2 shown]
	v_and_b32_e32 v25, 15, v10
	v_bfe_u32 v26, v10, 8, 4
	v_bfe_u32 v27, v10, 16, 4
	;; [unrolled: 1-line block ×5, first 2 shown]
	v_lshrrev_b32_e32 v30, 28, v10
	v_bfe_u32 v9, v10, 4, 4
	s_clause 0x7
	global_load_i8 v25, v25, s[12:13]
	global_load_i8 v26, v26, s[12:13]
	;; [unrolled: 1-line block ×8, first 2 shown]
	global_load_b64 v[9:10], v[13:14], off offset:20
	global_load_u16 v7, v[7:8], off
	global_load_b32 v8, v[11:12], off
	s_wait_loadcnt 0x11
	v_perm_b32 v11, v19, v18, 0xc0c0400
	s_wait_loadcnt 0xe
	v_perm_b32 v13, v21, v31, 0xc0c0400
	;; [unrolled: 2-line block ×4, first 2 shown]
	s_delay_alu instid0(VALU_DEP_2) | instskip(NEXT) | instid1(VALU_DEP_2)
	v_or_b32_e32 v13, v14, v13
	v_or_b32_e32 v11, v12, v11
	s_wait_loadcnt 0x9
	v_perm_b32 v12, v26, v25, 0xc0c0400
	s_wait_loadcnt 0x4
	v_perm_b32 v17, v24, v27, 0x4000c0c
	;; [unrolled: 2-line block ×3, first 2 shown]
	s_wait_loadcnt 0x1
	v_cvt_f32_f16_e32 v7, v7
	v_dot4_i32_iu8 v11, v15, v11, 0 neg_lo:[1,1,0]
	v_perm_b32 v15, v30, v29, 0x4000c0c
	v_or_b32_e32 v12, v17, v12
	s_wait_loadcnt 0x0
	v_cvt_f32_f16_e32 v8, v8
	v_dot4_i32_iu8 v9, v9, v13, v11 neg_lo:[1,1,0]
	v_or_b32_e32 v11, v15, v14
	s_delay_alu instid0(VALU_DEP_3) | instskip(NEXT) | instid1(VALU_DEP_3)
	v_mul_f32_e32 v7, v7, v8
	v_dot4_i32_iu8 v9, v16, v12, v9 neg_lo:[1,1,0]
	s_delay_alu instid0(VALU_DEP_1) | instskip(NEXT) | instid1(VALU_DEP_1)
	v_dot4_i32_iu8 v9, v10, v11, v9 neg_lo:[1,1,0]
	v_cvt_f32_i32_e32 v8, v9
	s_delay_alu instid0(VALU_DEP_1) | instskip(NEXT) | instid1(VALU_DEP_1)
	v_dual_fmac_f32 v3, v7, v8 :: v_dual_add_nc_u32 v2, 16, v2
	v_cmp_le_u32_e32 vcc_lo, s9, v2
	s_wait_alu 0xfffe
	s_or_b32 s4, vcc_lo, s4
	s_wait_alu 0xfffe
	s_and_not1_b32 exec_lo, exec_lo, s4
	s_cbranch_execnz .LBB72_3
; %bb.4:
	s_or_b32 exec_lo, exec_lo, s4
.LBB72_5:
	s_delay_alu instid0(SALU_CYCLE_1) | instskip(SKIP_1) | instid1(VALU_DEP_1)
	s_or_b32 exec_lo, exec_lo, s8
	v_mbcnt_lo_u32_b32 v2, -1, 0
	v_xor_b32_e32 v4, 16, v2
	v_xor_b32_e32 v5, 8, v2
	s_delay_alu instid0(VALU_DEP_2) | instskip(SKIP_2) | instid1(VALU_DEP_3)
	v_cmp_gt_i32_e32 vcc_lo, 32, v4
	s_wait_alu 0xfffd
	v_cndmask_b32_e32 v4, v2, v4, vcc_lo
	v_cmp_gt_i32_e32 vcc_lo, 32, v5
	s_wait_alu 0xfffd
	v_cndmask_b32_e32 v5, v2, v5, vcc_lo
	s_delay_alu instid0(VALU_DEP_1)
	v_lshlrev_b32_e32 v5, 2, v5
	v_lshlrev_b32_e32 v4, 2, v4
	ds_bpermute_b32 v4, v4, v3
	s_wait_dscnt 0x0
	v_add_f32_e32 v3, v3, v4
	ds_bpermute_b32 v4, v5, v3
	v_xor_b32_e32 v5, 4, v2
	s_delay_alu instid0(VALU_DEP_1) | instskip(SKIP_2) | instid1(VALU_DEP_1)
	v_cmp_gt_i32_e32 vcc_lo, 32, v5
	s_wait_alu 0xfffd
	v_cndmask_b32_e32 v5, v2, v5, vcc_lo
	v_lshlrev_b32_e32 v5, 2, v5
	s_wait_dscnt 0x0
	v_add_f32_e32 v3, v3, v4
	ds_bpermute_b32 v4, v5, v3
	v_xor_b32_e32 v5, 2, v2
	s_delay_alu instid0(VALU_DEP_1) | instskip(SKIP_2) | instid1(VALU_DEP_1)
	v_cmp_gt_i32_e32 vcc_lo, 32, v5
	s_wait_alu 0xfffd
	v_cndmask_b32_e32 v5, v2, v5, vcc_lo
	v_lshlrev_b32_e32 v5, 2, v5
	s_wait_dscnt 0x0
	v_add_f32_e32 v3, v3, v4
	ds_bpermute_b32 v4, v5, v3
	v_xor_b32_e32 v5, 1, v2
	s_delay_alu instid0(VALU_DEP_1) | instskip(SKIP_4) | instid1(VALU_DEP_2)
	v_cmp_gt_i32_e32 vcc_lo, 32, v5
	s_wait_alu 0xfffd
	v_cndmask_b32_e32 v5, v2, v5, vcc_lo
	v_cmp_eq_u32_e32 vcc_lo, 0, v0
	s_wait_dscnt 0x0
	v_dual_add_f32 v2, v3, v4 :: v_dual_lshlrev_b32 v3, 2, v5
	ds_bpermute_b32 v3, v3, v2
	s_and_b32 exec_lo, exec_lo, vcc_lo
	s_cbranch_execz .LBB72_7
; %bb.6:
	v_mad_co_u64_u32 v[0:1], null, s5, ttmp7, v[1:2]
	s_wait_dscnt 0x0
	v_dual_mov_b32 v1, 0 :: v_dual_add_f32 v2, v2, v3
	s_delay_alu instid0(VALU_DEP_1) | instskip(SKIP_1) | instid1(VALU_DEP_1)
	v_lshlrev_b64_e32 v[0:1], 2, v[0:1]
	s_wait_kmcnt 0x0
	v_add_co_u32 v0, vcc_lo, s6, v0
	s_wait_alu 0xfffd
	s_delay_alu instid0(VALU_DEP_2)
	v_add_co_ci_u32_e64 v1, null, s7, v1, vcc_lo
	global_store_b32 v[0:1], v2, off
.LBB72_7:
	s_endpgm
	.section	.rodata,"a",@progbits
	.p2align	6, 0x0
	.amdhsa_kernel _ZL13mul_mat_vec_qIfLi32ELi4E12block_iq4_nlLi2EXadL_ZL19vec_dot_iq4_nl_q8_1PKvPK10block_q8_1RKiEEEvS2_S2_PT_iii
		.amdhsa_group_segment_fixed_size 0
		.amdhsa_private_segment_fixed_size 0
		.amdhsa_kernarg_size 296
		.amdhsa_user_sgpr_count 2
		.amdhsa_user_sgpr_dispatch_ptr 0
		.amdhsa_user_sgpr_queue_ptr 0
		.amdhsa_user_sgpr_kernarg_segment_ptr 1
		.amdhsa_user_sgpr_dispatch_id 0
		.amdhsa_user_sgpr_private_segment_size 0
		.amdhsa_wavefront_size32 1
		.amdhsa_uses_dynamic_stack 0
		.amdhsa_enable_private_segment 0
		.amdhsa_system_sgpr_workgroup_id_x 1
		.amdhsa_system_sgpr_workgroup_id_y 1
		.amdhsa_system_sgpr_workgroup_id_z 0
		.amdhsa_system_sgpr_workgroup_info 0
		.amdhsa_system_vgpr_workitem_id 1
		.amdhsa_next_free_vgpr 33
		.amdhsa_next_free_sgpr 14
		.amdhsa_reserve_vcc 1
		.amdhsa_float_round_mode_32 0
		.amdhsa_float_round_mode_16_64 0
		.amdhsa_float_denorm_mode_32 3
		.amdhsa_float_denorm_mode_16_64 3
		.amdhsa_fp16_overflow 0
		.amdhsa_workgroup_processor_mode 1
		.amdhsa_memory_ordered 1
		.amdhsa_forward_progress 1
		.amdhsa_inst_pref_size 10
		.amdhsa_round_robin_scheduling 0
		.amdhsa_exception_fp_ieee_invalid_op 0
		.amdhsa_exception_fp_denorm_src 0
		.amdhsa_exception_fp_ieee_div_zero 0
		.amdhsa_exception_fp_ieee_overflow 0
		.amdhsa_exception_fp_ieee_underflow 0
		.amdhsa_exception_fp_ieee_inexact 0
		.amdhsa_exception_int_div_zero 0
	.end_amdhsa_kernel
	.section	.text._ZL13mul_mat_vec_qIfLi32ELi4E12block_iq4_nlLi2EXadL_ZL19vec_dot_iq4_nl_q8_1PKvPK10block_q8_1RKiEEEvS2_S2_PT_iii,"axG",@progbits,_ZL13mul_mat_vec_qIfLi32ELi4E12block_iq4_nlLi2EXadL_ZL19vec_dot_iq4_nl_q8_1PKvPK10block_q8_1RKiEEEvS2_S2_PT_iii,comdat
.Lfunc_end72:
	.size	_ZL13mul_mat_vec_qIfLi32ELi4E12block_iq4_nlLi2EXadL_ZL19vec_dot_iq4_nl_q8_1PKvPK10block_q8_1RKiEEEvS2_S2_PT_iii, .Lfunc_end72-_ZL13mul_mat_vec_qIfLi32ELi4E12block_iq4_nlLi2EXadL_ZL19vec_dot_iq4_nl_q8_1PKvPK10block_q8_1RKiEEEvS2_S2_PT_iii
                                        ; -- End function
	.set _ZL13mul_mat_vec_qIfLi32ELi4E12block_iq4_nlLi2EXadL_ZL19vec_dot_iq4_nl_q8_1PKvPK10block_q8_1RKiEEEvS2_S2_PT_iii.num_vgpr, 33
	.set _ZL13mul_mat_vec_qIfLi32ELi4E12block_iq4_nlLi2EXadL_ZL19vec_dot_iq4_nl_q8_1PKvPK10block_q8_1RKiEEEvS2_S2_PT_iii.num_agpr, 0
	.set _ZL13mul_mat_vec_qIfLi32ELi4E12block_iq4_nlLi2EXadL_ZL19vec_dot_iq4_nl_q8_1PKvPK10block_q8_1RKiEEEvS2_S2_PT_iii.numbered_sgpr, 14
	.set _ZL13mul_mat_vec_qIfLi32ELi4E12block_iq4_nlLi2EXadL_ZL19vec_dot_iq4_nl_q8_1PKvPK10block_q8_1RKiEEEvS2_S2_PT_iii.num_named_barrier, 0
	.set _ZL13mul_mat_vec_qIfLi32ELi4E12block_iq4_nlLi2EXadL_ZL19vec_dot_iq4_nl_q8_1PKvPK10block_q8_1RKiEEEvS2_S2_PT_iii.private_seg_size, 0
	.set _ZL13mul_mat_vec_qIfLi32ELi4E12block_iq4_nlLi2EXadL_ZL19vec_dot_iq4_nl_q8_1PKvPK10block_q8_1RKiEEEvS2_S2_PT_iii.uses_vcc, 1
	.set _ZL13mul_mat_vec_qIfLi32ELi4E12block_iq4_nlLi2EXadL_ZL19vec_dot_iq4_nl_q8_1PKvPK10block_q8_1RKiEEEvS2_S2_PT_iii.uses_flat_scratch, 0
	.set _ZL13mul_mat_vec_qIfLi32ELi4E12block_iq4_nlLi2EXadL_ZL19vec_dot_iq4_nl_q8_1PKvPK10block_q8_1RKiEEEvS2_S2_PT_iii.has_dyn_sized_stack, 0
	.set _ZL13mul_mat_vec_qIfLi32ELi4E12block_iq4_nlLi2EXadL_ZL19vec_dot_iq4_nl_q8_1PKvPK10block_q8_1RKiEEEvS2_S2_PT_iii.has_recursion, 0
	.set _ZL13mul_mat_vec_qIfLi32ELi4E12block_iq4_nlLi2EXadL_ZL19vec_dot_iq4_nl_q8_1PKvPK10block_q8_1RKiEEEvS2_S2_PT_iii.has_indirect_call, 0
	.section	.AMDGPU.csdata,"",@progbits
; Kernel info:
; codeLenInByte = 1264
; TotalNumSgprs: 16
; NumVgprs: 33
; ScratchSize: 0
; MemoryBound: 0
; FloatMode: 240
; IeeeMode: 1
; LDSByteSize: 0 bytes/workgroup (compile time only)
; SGPRBlocks: 0
; VGPRBlocks: 4
; NumSGPRsForWavesPerEU: 16
; NumVGPRsForWavesPerEU: 33
; Occupancy: 16
; WaveLimiterHint : 0
; COMPUTE_PGM_RSRC2:SCRATCH_EN: 0
; COMPUTE_PGM_RSRC2:USER_SGPR: 2
; COMPUTE_PGM_RSRC2:TRAP_HANDLER: 0
; COMPUTE_PGM_RSRC2:TGID_X_EN: 1
; COMPUTE_PGM_RSRC2:TGID_Y_EN: 1
; COMPUTE_PGM_RSRC2:TGID_Z_EN: 0
; COMPUTE_PGM_RSRC2:TIDIG_COMP_CNT: 1
	.section	.text._ZL13mul_mat_vec_qIfLi256ELi8E11block_iq3_sLi1EXadL_ZL18vec_dot_iq3_s_q8_1PKvPK10block_q8_1RKiEEEvS2_S2_PT_iii,"axG",@progbits,_ZL13mul_mat_vec_qIfLi256ELi8E11block_iq3_sLi1EXadL_ZL18vec_dot_iq3_s_q8_1PKvPK10block_q8_1RKiEEEvS2_S2_PT_iii,comdat
	.globl	_ZL13mul_mat_vec_qIfLi256ELi8E11block_iq3_sLi1EXadL_ZL18vec_dot_iq3_s_q8_1PKvPK10block_q8_1RKiEEEvS2_S2_PT_iii ; -- Begin function _ZL13mul_mat_vec_qIfLi256ELi8E11block_iq3_sLi1EXadL_ZL18vec_dot_iq3_s_q8_1PKvPK10block_q8_1RKiEEEvS2_S2_PT_iii
	.p2align	8
	.type	_ZL13mul_mat_vec_qIfLi256ELi8E11block_iq3_sLi1EXadL_ZL18vec_dot_iq3_s_q8_1PKvPK10block_q8_1RKiEEEvS2_S2_PT_iii,@function
_ZL13mul_mat_vec_qIfLi256ELi8E11block_iq3_sLi1EXadL_ZL18vec_dot_iq3_s_q8_1PKvPK10block_q8_1RKiEEEvS2_S2_PT_iii: ; @_ZL13mul_mat_vec_qIfLi256ELi8E11block_iq3_sLi1EXadL_ZL18vec_dot_iq3_s_q8_1PKvPK10block_q8_1RKiEEEvS2_S2_PT_iii
; %bb.0:
	s_clause 0x1
	s_load_u16 s2, s[0:1], 0x36
	s_load_b96 s[4:6], s[0:1], 0x18
	v_bfe_u32 v1, v0, 10, 10
	s_wait_kmcnt 0x0
	s_delay_alu instid0(VALU_DEP_1)
	v_mad_co_u64_u32 v[1:2], null, ttmp9, s2, v[1:2]
	s_cmp_lt_u32 ttmp7, s6
	s_cselect_b32 s2, -1, 0
	v_cmp_gt_u32_e32 vcc_lo, s5, v1
	s_wait_alu 0xfffe
	s_and_b32 s2, s2, vcc_lo
	s_wait_alu 0xfffe
	s_and_saveexec_b32 s3, s2
	s_cbranch_execz .LBB73_9
; %bb.1:
	s_load_b64 s[6:7], s[0:1], 0x10
	s_ashr_i32 s2, s4, 31
	v_bfe_u32 v19, v0, 3, 7
	s_wait_alu 0xfffe
	s_lshr_b32 s2, s2, 24
	v_and_b32_e32 v0, 0x3ff, v0
	v_mov_b32_e32 v18, 0
	s_wait_alu 0xfffe
	s_add_co_i32 s2, s4, s2
	s_mov_b32 s8, exec_lo
	s_wait_alu 0xfffe
	s_ashr_i32 s9, s2, 8
	s_delay_alu instid0(SALU_CYCLE_1)
	v_cmpx_gt_u32_e64 s9, v19
	s_cbranch_execz .LBB73_7
; %bb.2:
	s_load_b128 s[0:3], s[0:1], 0x0
	v_dual_mov_b32 v18, 0 :: v_dual_and_b32 v21, 7, v0
	s_addk_co_i32 s4, 0x1ff
	v_lshlrev_b32_e32 v2, 2, v0
	s_wait_alu 0xfffe
	s_ashr_i32 s10, s4, 31
	v_lshlrev_b32_e32 v3, 2, v21
	v_lshlrev_b32_e32 v6, 3, v21
	s_lshr_b32 s10, s10, 23
	v_mul_lo_u32 v20, v1, s9
	s_add_co_i32 s4, s4, s10
	v_and_b32_e32 v23, 4, v2
	s_wait_alu 0xfffe
	s_ashr_i32 s4, s4, 9
	v_bfe_u32 v22, v0, 1, 2
	s_wait_alu 0xfffe
	s_mul_i32 s4, ttmp7, s4
	v_add_nc_u32_e32 v24, v19, v20
	s_wait_kmcnt 0x0
	v_add_co_u32 v4, s10, s0, v3
	s_delay_alu instid0(VALU_DEP_1)
	v_add_co_ci_u32_e64 v5, null, s1, 0, s10
	v_mad_co_u64_u32 v[2:3], null, v21, 36, s[2:3]
	v_add_co_u32 v6, s2, s0, v6
	s_wait_alu 0xf1ff
	v_add_co_ci_u32_e64 v7, null, s1, 0, s2
	v_add_co_u32 v4, vcc_lo, 0x4a, v4
	s_delay_alu instid0(VALU_DEP_1)
	v_add_co_ci_u32_e64 v5, null, 0, v5, vcc_lo
	v_add_co_u32 v6, vcc_lo, v6, 2
	s_wait_alu 0xfffd
	v_add_co_ci_u32_e64 v7, null, 0, v7, vcc_lo
	s_wait_alu 0xfffe
	s_lshl_b32 s2, s4, 4
	s_mov_b32 s3, 0
.LBB73_3:                               ; =>This Loop Header: Depth=1
                                        ;     Child Loop BB73_4 Depth 2
	v_dual_mov_b32 v25, 0 :: v_dual_add_nc_u32 v8, v19, v20
	v_mad_co_i64_i32 v[12:13], null, 0x6e, v24, v[4:5]
	v_mad_co_i64_i32 v[14:15], null, 0x6e, v24, v[6:7]
	s_delay_alu instid0(VALU_DEP_3)
	v_mad_co_i64_i32 v[8:9], null, 0x6e, v8, s[0:1]
	s_mov_b32 s4, 7
	v_add_co_u32 v10, vcc_lo, v8, v21
	s_wait_alu 0xfffd
	v_add_co_ci_u32_e64 v11, null, 0, v9, vcc_lo
	global_load_u8 v26, v[10:11], off offset:66
	s_wait_alu 0xfffe
	v_lshl_add_u32 v10, v19, 3, s2
	s_delay_alu instid0(VALU_DEP_1) | instskip(NEXT) | instid1(VALU_DEP_1)
	v_mad_co_i64_i32 v[10:11], null, v10, 36, v[2:3]
	v_add_co_u32 v16, vcc_lo, v10, 4
	s_wait_alu 0xfffd
	s_delay_alu instid0(VALU_DEP_2)
	v_add_co_ci_u32_e64 v17, null, 0, v11, vcc_lo
.LBB73_4:                               ;   Parent Loop BB73_3 Depth=1
                                        ; =>  This Inner Loop Header: Depth=2
	global_load_u16 v27, v[14:15], off
	global_load_u8 v29, v[12:13], off
	s_add_co_i32 s12, s4, 1
	s_wait_loadcnt 0x2
	v_lshlrev_b32_e32 v28, s4, v26
	s_wait_alu 0xfffe
	v_lshlrev_b32_e32 v30, s12, v26
	s_getpc_b64 s[10:11]
	s_wait_alu 0xfffe
	s_sext_i32_i16 s11, s11
	s_add_co_u32 s10, s10, _ZL10iq3xs_grid@rel32@lo+12
	s_wait_alu 0xfffe
	s_add_co_ci_u32 s11, s11, _ZL10iq3xs_grid@rel32@hi+24
	s_add_co_i32 s4, s4, -2
	s_wait_alu 0xfffe
	s_cmp_lg_u32 s4, -1
	s_wait_loadcnt 0x1
	v_lshrrev_b16 v31, 8, v27
	v_and_b32_e32 v27, 0xff, v27
	s_wait_loadcnt 0x0
	v_and_b32_e32 v32, 15, v29
	v_lshrrev_b16 v29, 4, v29
	v_and_b32_e32 v31, 0xffff, v31
	v_and_or_b32 v27, 0x100, v30, v27
	s_delay_alu instid0(VALU_DEP_4) | instskip(NEXT) | instid1(VALU_DEP_4)
	v_and_b32_e32 v32, 0xffff, v32
	v_and_b32_e32 v29, 0xffff, v29
	s_delay_alu instid0(VALU_DEP_4) | instskip(NEXT) | instid1(VALU_DEP_4)
	v_and_or_b32 v28, 0x100, v28, v31
	v_lshlrev_b32_e32 v27, 2, v27
	s_delay_alu instid0(VALU_DEP_4) | instskip(NEXT) | instid1(VALU_DEP_4)
	v_mul_lo_u32 v32, 0x1010101, v32
	v_mul_lo_u32 v29, 0x1010101, v29
	s_delay_alu instid0(VALU_DEP_4)
	v_lshlrev_b32_e32 v28, 2, v28
	s_clause 0x1
	global_load_b32 v30, v27, s[10:11]
	global_load_b32 v31, v28, s[10:11]
	global_load_b64 v[27:28], v[16:17], off
	v_not_b32_e32 v32, v32
	v_add_co_u32 v16, vcc_lo, v16, 8
	s_wait_alu 0xfffd
	v_add_co_ci_u32_e64 v17, null, 0, v17, vcc_lo
	s_delay_alu instid0(VALU_DEP_3)
	v_and_b32_e32 v39, 0x8040201, v32
	v_and_b32_e32 v40, 0x40000, v32
	;; [unrolled: 1-line block ×3, first 2 shown]
	v_not_b32_e32 v29, v29
	v_and_b32_e32 v32, 1, v32
	v_cmp_gt_u32_e32 vcc_lo, 0x1000000, v39
	s_delay_alu instid0(VALU_DEP_3)
	v_and_b32_e32 v42, 0x8040201, v29
	v_and_b32_e32 v43, 0x40000, v29
	s_wait_alu 0xfffd
	v_cndmask_b32_e64 v39, 0, -1, vcc_lo
	v_cmp_eq_u32_e32 vcc_lo, 0, v40
	v_and_b32_e32 v44, 0x200, v29
	v_and_b32_e32 v29, 1, v29
	s_delay_alu instid0(VALU_DEP_4)
	v_lshlrev_b32_e32 v39, 24, v39
	s_wait_alu 0xfffd
	v_cndmask_b32_e64 v40, 0, 0xff0000, vcc_lo
	v_cmp_eq_u32_e32 vcc_lo, 0, v41
	s_wait_alu 0xfffd
	v_cndmask_b32_e64 v41, 0, 0xff00, vcc_lo
	v_cmp_eq_u32_e32 vcc_lo, 0, v32
	s_wait_alu 0xfffd
	v_cndmask_b32_e64 v32, 0, 0xff, vcc_lo
	v_cmp_gt_u32_e32 vcc_lo, 0x1000000, v42
	s_delay_alu instid0(VALU_DEP_2) | instskip(SKIP_3) | instid1(VALU_DEP_3)
	v_or_b32_e32 v45, v41, v32
	s_wait_alu 0xfffd
	v_cndmask_b32_e64 v42, 0, -1, vcc_lo
	v_cmp_eq_u32_e32 vcc_lo, 0, v43
	v_or3_b32 v45, v45, v40, v39
	s_delay_alu instid0(VALU_DEP_3)
	v_lshlrev_b32_e32 v42, 24, v42
	s_wait_alu 0xfffd
	v_cndmask_b32_e64 v43, 0, 0xff0000, vcc_lo
	v_cmp_eq_u32_e32 vcc_lo, 0, v44
	s_wait_alu 0xfffd
	v_cndmask_b32_e64 v44, 0, 0xff00, vcc_lo
	v_cmp_eq_u32_e32 vcc_lo, 0, v29
	s_wait_alu 0xfffd
	v_cndmask_b32_e64 v29, 0, 0xff, vcc_lo
	v_add_co_u32 v12, vcc_lo, v12, 1
	s_wait_alu 0xfffd
	v_add_co_ci_u32_e64 v13, null, 0, v13, vcc_lo
	s_delay_alu instid0(VALU_DEP_3) | instskip(SKIP_3) | instid1(VALU_DEP_3)
	v_or_b32_e32 v46, v44, v29
	v_add_co_u32 v14, vcc_lo, v14, 2
	s_wait_alu 0xfffd
	v_add_co_ci_u32_e64 v15, null, 0, v15, vcc_lo
	v_or3_b32 v46, v46, v43, v42
	s_wait_loadcnt 0x2
	v_xor_b32_e32 v30, v45, v30
	s_wait_loadcnt 0x1
	s_delay_alu instid0(VALU_DEP_2)
	v_xor_b32_e32 v31, v46, v31
	s_wait_loadcnt 0x0
	v_lshrrev_b16 v33, 8, v27
	v_ashrrev_i32_e32 v35, 24, v27
	v_bfe_i32 v36, v27, 16, 8
	v_sub_nc_u32_e32 v40, v30, v40
	v_sub_nc_u32_e32 v32, v30, v32
	;; [unrolled: 1-line block ×6, first 2 shown]
	v_perm_b32 v32, v40, v32, 0xc060c00
	v_bfe_i32 v27, v27, 0, 8
	v_lshrrev_b16 v40, 8, v41
	v_sub_nc_u32_e32 v41, v31, v44
	v_sub_nc_u32_e32 v31, v31, v42
	v_perm_b32 v29, v39, v29, 0xc060c00
	v_bfe_i32 v39, v32, 0, 8
	v_lshrrev_b16 v34, 8, v28
	v_ashrrev_i32_e32 v37, 24, v28
	v_bfe_i32 v38, v28, 16, 8
	v_bfe_i32 v33, v33, 0, 8
	v_lshrrev_b16 v41, 8, v41
	v_bfe_i32 v40, v40, 0, 8
	v_ashrrev_i32_e32 v31, 24, v31
	v_mul_i32_i24_e32 v27, v39, v27
	v_bfe_i32 v39, v29, 16, 8
	v_bfe_i32 v28, v28, 0, 8
	;; [unrolled: 1-line block ×3, first 2 shown]
	v_ashrrev_i32_e32 v30, 24, v30
	v_bfe_i32 v32, v32, 16, 8
	v_mul_i32_i24_e32 v33, v40, v33
	v_bfe_i32 v29, v29, 0, 8
	v_bfe_i32 v40, v41, 0, 8
	v_mul_i32_i24_e32 v31, v31, v37
	v_mul_i32_i24_e32 v37, v39, v38
	s_delay_alu instid0(VALU_DEP_4) | instskip(NEXT) | instid1(VALU_DEP_4)
	v_mul_i32_i24_e32 v28, v29, v28
	v_mul_i32_i24_e32 v29, v40, v34
	s_delay_alu instid0(VALU_DEP_4) | instskip(NEXT) | instid1(VALU_DEP_4)
	v_mad_i32_i24 v30, v30, v35, v31
	v_mad_i32_i24 v31, v32, v36, v37
	s_delay_alu instid0(VALU_DEP_2) | instskip(NEXT) | instid1(VALU_DEP_2)
	v_add3_u32 v29, v33, v29, v30
	v_add3_u32 v27, v27, v28, v31
	s_delay_alu instid0(VALU_DEP_1)
	v_add3_u32 v25, v27, v29, v25
	s_cbranch_scc1 .LBB73_4
; %bb.5:                                ;   in Loop: Header=BB73_3 Depth=1
	v_add_co_u32 v12, vcc_lo, v8, v22
	s_wait_alu 0xfffd
	v_add_co_ci_u32_e64 v13, null, 0, v9, vcc_lo
	v_add_nc_u32_e32 v24, 4, v24
	s_clause 0x1
	global_load_u8 v12, v[12:13], off offset:106
	global_load_u16 v8, v[8:9], off
	global_load_b32 v9, v[10:11], off
	v_add_nc_u32_e32 v19, 4, v19
	s_delay_alu instid0(VALU_DEP_1)
	v_cmp_le_u32_e32 vcc_lo, s9, v19
	s_or_b32 s3, vcc_lo, s3
	s_wait_loadcnt 0x2
	v_bfe_u32 v10, v12, v23, 4
	s_wait_loadcnt 0x1
	v_cvt_f32_f16_e32 v8, v8
	s_wait_loadcnt 0x0
	v_cvt_f32_f16_e32 v9, v9
	v_cvt_f32_ubyte0_e32 v10, v10
	s_delay_alu instid0(VALU_DEP_1) | instskip(NEXT) | instid1(VALU_DEP_1)
	v_add_f32_e32 v10, 0.5, v10
	v_mul_f32_e32 v8, v10, v8
	s_delay_alu instid0(VALU_DEP_1) | instskip(SKIP_1) | instid1(VALU_DEP_2)
	v_mul_f32_e32 v8, v8, v9
	v_cvt_f32_i32_e32 v9, v25
	v_mul_f32_e32 v8, 0.5, v8
	s_delay_alu instid0(VALU_DEP_1)
	v_fmac_f32_e32 v18, v8, v9
	s_wait_alu 0xfffe
	s_and_not1_b32 exec_lo, exec_lo, s3
	s_cbranch_execnz .LBB73_3
; %bb.6:
	s_or_b32 exec_lo, exec_lo, s3
.LBB73_7:
	s_delay_alu instid0(SALU_CYCLE_1) | instskip(SKIP_1) | instid1(VALU_DEP_1)
	s_or_b32 exec_lo, exec_lo, s8
	v_mbcnt_lo_u32_b32 v2, -1, 0
	v_xor_b32_e32 v3, 16, v2
	v_xor_b32_e32 v4, 8, v2
	;; [unrolled: 1-line block ×3, first 2 shown]
	s_delay_alu instid0(VALU_DEP_3)
	v_cmp_gt_i32_e32 vcc_lo, 32, v3
	s_wait_alu 0xfffd
	v_cndmask_b32_e32 v3, v2, v3, vcc_lo
	v_cmp_gt_i32_e32 vcc_lo, 32, v4
	s_wait_alu 0xfffd
	v_cndmask_b32_e32 v4, v2, v4, vcc_lo
	;; [unrolled: 3-line block ×3, first 2 shown]
	s_delay_alu instid0(VALU_DEP_1)
	v_lshlrev_b32_e32 v5, 2, v5
	v_lshlrev_b32_e32 v4, 2, v4
	v_lshlrev_b32_e32 v3, 2, v3
	ds_bpermute_b32 v3, v3, v18
	s_wait_dscnt 0x0
	v_add_f32_e32 v3, v18, v3
	ds_bpermute_b32 v4, v4, v3
	s_wait_dscnt 0x0
	v_add_f32_e32 v3, v3, v4
	ds_bpermute_b32 v4, v5, v3
	v_xor_b32_e32 v5, 2, v2
	s_delay_alu instid0(VALU_DEP_1) | instskip(SKIP_2) | instid1(VALU_DEP_1)
	v_cmp_gt_i32_e32 vcc_lo, 32, v5
	s_wait_alu 0xfffd
	v_cndmask_b32_e32 v5, v2, v5, vcc_lo
	v_lshlrev_b32_e32 v5, 2, v5
	s_wait_dscnt 0x0
	v_add_f32_e32 v3, v3, v4
	ds_bpermute_b32 v4, v5, v3
	v_xor_b32_e32 v5, 1, v2
	s_delay_alu instid0(VALU_DEP_1) | instskip(SKIP_4) | instid1(VALU_DEP_2)
	v_cmp_gt_i32_e32 vcc_lo, 32, v5
	s_wait_alu 0xfffd
	v_cndmask_b32_e32 v5, v2, v5, vcc_lo
	v_cmp_eq_u32_e32 vcc_lo, 0, v0
	s_wait_dscnt 0x0
	v_dual_add_f32 v2, v3, v4 :: v_dual_lshlrev_b32 v3, 2, v5
	ds_bpermute_b32 v3, v3, v2
	s_and_b32 exec_lo, exec_lo, vcc_lo
	s_cbranch_execz .LBB73_9
; %bb.8:
	v_mad_co_u64_u32 v[0:1], null, s5, ttmp7, v[1:2]
	s_wait_dscnt 0x0
	v_dual_mov_b32 v1, 0 :: v_dual_add_f32 v2, v2, v3
	s_delay_alu instid0(VALU_DEP_1) | instskip(SKIP_1) | instid1(VALU_DEP_1)
	v_lshlrev_b64_e32 v[0:1], 2, v[0:1]
	s_wait_kmcnt 0x0
	v_add_co_u32 v0, vcc_lo, s6, v0
	s_wait_alu 0xfffd
	s_delay_alu instid0(VALU_DEP_2)
	v_add_co_ci_u32_e64 v1, null, s7, v1, vcc_lo
	global_store_b32 v[0:1], v2, off
.LBB73_9:
	s_endpgm
	.section	.rodata,"a",@progbits
	.p2align	6, 0x0
	.amdhsa_kernel _ZL13mul_mat_vec_qIfLi256ELi8E11block_iq3_sLi1EXadL_ZL18vec_dot_iq3_s_q8_1PKvPK10block_q8_1RKiEEEvS2_S2_PT_iii
		.amdhsa_group_segment_fixed_size 0
		.amdhsa_private_segment_fixed_size 0
		.amdhsa_kernarg_size 296
		.amdhsa_user_sgpr_count 2
		.amdhsa_user_sgpr_dispatch_ptr 0
		.amdhsa_user_sgpr_queue_ptr 0
		.amdhsa_user_sgpr_kernarg_segment_ptr 1
		.amdhsa_user_sgpr_dispatch_id 0
		.amdhsa_user_sgpr_private_segment_size 0
		.amdhsa_wavefront_size32 1
		.amdhsa_uses_dynamic_stack 0
		.amdhsa_enable_private_segment 0
		.amdhsa_system_sgpr_workgroup_id_x 1
		.amdhsa_system_sgpr_workgroup_id_y 1
		.amdhsa_system_sgpr_workgroup_id_z 0
		.amdhsa_system_sgpr_workgroup_info 0
		.amdhsa_system_vgpr_workitem_id 1
		.amdhsa_next_free_vgpr 47
		.amdhsa_next_free_sgpr 13
		.amdhsa_reserve_vcc 1
		.amdhsa_float_round_mode_32 0
		.amdhsa_float_round_mode_16_64 0
		.amdhsa_float_denorm_mode_32 3
		.amdhsa_float_denorm_mode_16_64 3
		.amdhsa_fp16_overflow 0
		.amdhsa_workgroup_processor_mode 1
		.amdhsa_memory_ordered 1
		.amdhsa_forward_progress 1
		.amdhsa_inst_pref_size 15
		.amdhsa_round_robin_scheduling 0
		.amdhsa_exception_fp_ieee_invalid_op 0
		.amdhsa_exception_fp_denorm_src 0
		.amdhsa_exception_fp_ieee_div_zero 0
		.amdhsa_exception_fp_ieee_overflow 0
		.amdhsa_exception_fp_ieee_underflow 0
		.amdhsa_exception_fp_ieee_inexact 0
		.amdhsa_exception_int_div_zero 0
	.end_amdhsa_kernel
	.section	.text._ZL13mul_mat_vec_qIfLi256ELi8E11block_iq3_sLi1EXadL_ZL18vec_dot_iq3_s_q8_1PKvPK10block_q8_1RKiEEEvS2_S2_PT_iii,"axG",@progbits,_ZL13mul_mat_vec_qIfLi256ELi8E11block_iq3_sLi1EXadL_ZL18vec_dot_iq3_s_q8_1PKvPK10block_q8_1RKiEEEvS2_S2_PT_iii,comdat
.Lfunc_end73:
	.size	_ZL13mul_mat_vec_qIfLi256ELi8E11block_iq3_sLi1EXadL_ZL18vec_dot_iq3_s_q8_1PKvPK10block_q8_1RKiEEEvS2_S2_PT_iii, .Lfunc_end73-_ZL13mul_mat_vec_qIfLi256ELi8E11block_iq3_sLi1EXadL_ZL18vec_dot_iq3_s_q8_1PKvPK10block_q8_1RKiEEEvS2_S2_PT_iii
                                        ; -- End function
	.set _ZL13mul_mat_vec_qIfLi256ELi8E11block_iq3_sLi1EXadL_ZL18vec_dot_iq3_s_q8_1PKvPK10block_q8_1RKiEEEvS2_S2_PT_iii.num_vgpr, 47
	.set _ZL13mul_mat_vec_qIfLi256ELi8E11block_iq3_sLi1EXadL_ZL18vec_dot_iq3_s_q8_1PKvPK10block_q8_1RKiEEEvS2_S2_PT_iii.num_agpr, 0
	.set _ZL13mul_mat_vec_qIfLi256ELi8E11block_iq3_sLi1EXadL_ZL18vec_dot_iq3_s_q8_1PKvPK10block_q8_1RKiEEEvS2_S2_PT_iii.numbered_sgpr, 13
	.set _ZL13mul_mat_vec_qIfLi256ELi8E11block_iq3_sLi1EXadL_ZL18vec_dot_iq3_s_q8_1PKvPK10block_q8_1RKiEEEvS2_S2_PT_iii.num_named_barrier, 0
	.set _ZL13mul_mat_vec_qIfLi256ELi8E11block_iq3_sLi1EXadL_ZL18vec_dot_iq3_s_q8_1PKvPK10block_q8_1RKiEEEvS2_S2_PT_iii.private_seg_size, 0
	.set _ZL13mul_mat_vec_qIfLi256ELi8E11block_iq3_sLi1EXadL_ZL18vec_dot_iq3_s_q8_1PKvPK10block_q8_1RKiEEEvS2_S2_PT_iii.uses_vcc, 1
	.set _ZL13mul_mat_vec_qIfLi256ELi8E11block_iq3_sLi1EXadL_ZL18vec_dot_iq3_s_q8_1PKvPK10block_q8_1RKiEEEvS2_S2_PT_iii.uses_flat_scratch, 0
	.set _ZL13mul_mat_vec_qIfLi256ELi8E11block_iq3_sLi1EXadL_ZL18vec_dot_iq3_s_q8_1PKvPK10block_q8_1RKiEEEvS2_S2_PT_iii.has_dyn_sized_stack, 0
	.set _ZL13mul_mat_vec_qIfLi256ELi8E11block_iq3_sLi1EXadL_ZL18vec_dot_iq3_s_q8_1PKvPK10block_q8_1RKiEEEvS2_S2_PT_iii.has_recursion, 0
	.set _ZL13mul_mat_vec_qIfLi256ELi8E11block_iq3_sLi1EXadL_ZL18vec_dot_iq3_s_q8_1PKvPK10block_q8_1RKiEEEvS2_S2_PT_iii.has_indirect_call, 0
	.section	.AMDGPU.csdata,"",@progbits
; Kernel info:
; codeLenInByte = 1840
; TotalNumSgprs: 15
; NumVgprs: 47
; ScratchSize: 0
; MemoryBound: 0
; FloatMode: 240
; IeeeMode: 1
; LDSByteSize: 0 bytes/workgroup (compile time only)
; SGPRBlocks: 0
; VGPRBlocks: 5
; NumSGPRsForWavesPerEU: 15
; NumVGPRsForWavesPerEU: 47
; Occupancy: 16
; WaveLimiterHint : 0
; COMPUTE_PGM_RSRC2:SCRATCH_EN: 0
; COMPUTE_PGM_RSRC2:USER_SGPR: 2
; COMPUTE_PGM_RSRC2:TRAP_HANDLER: 0
; COMPUTE_PGM_RSRC2:TGID_X_EN: 1
; COMPUTE_PGM_RSRC2:TGID_Y_EN: 1
; COMPUTE_PGM_RSRC2:TGID_Z_EN: 0
; COMPUTE_PGM_RSRC2:TIDIG_COMP_CNT: 1
	.section	.text._ZL13mul_mat_vec_qIfLi256ELi8E11block_iq2_sLi1EXadL_ZL18vec_dot_iq2_s_q8_1PKvPK10block_q8_1RKiEEEvS2_S2_PT_iii,"axG",@progbits,_ZL13mul_mat_vec_qIfLi256ELi8E11block_iq2_sLi1EXadL_ZL18vec_dot_iq2_s_q8_1PKvPK10block_q8_1RKiEEEvS2_S2_PT_iii,comdat
	.globl	_ZL13mul_mat_vec_qIfLi256ELi8E11block_iq2_sLi1EXadL_ZL18vec_dot_iq2_s_q8_1PKvPK10block_q8_1RKiEEEvS2_S2_PT_iii ; -- Begin function _ZL13mul_mat_vec_qIfLi256ELi8E11block_iq2_sLi1EXadL_ZL18vec_dot_iq2_s_q8_1PKvPK10block_q8_1RKiEEEvS2_S2_PT_iii
	.p2align	8
	.type	_ZL13mul_mat_vec_qIfLi256ELi8E11block_iq2_sLi1EXadL_ZL18vec_dot_iq2_s_q8_1PKvPK10block_q8_1RKiEEEvS2_S2_PT_iii,@function
_ZL13mul_mat_vec_qIfLi256ELi8E11block_iq2_sLi1EXadL_ZL18vec_dot_iq2_s_q8_1PKvPK10block_q8_1RKiEEEvS2_S2_PT_iii: ; @_ZL13mul_mat_vec_qIfLi256ELi8E11block_iq2_sLi1EXadL_ZL18vec_dot_iq2_s_q8_1PKvPK10block_q8_1RKiEEEvS2_S2_PT_iii
; %bb.0:
	s_clause 0x1
	s_load_u16 s2, s[0:1], 0x36
	s_load_b96 s[4:6], s[0:1], 0x18
	v_bfe_u32 v1, v0, 10, 10
	s_wait_kmcnt 0x0
	s_delay_alu instid0(VALU_DEP_1)
	v_mad_co_u64_u32 v[1:2], null, ttmp9, s2, v[1:2]
	s_cmp_lt_u32 ttmp7, s6
	s_cselect_b32 s2, -1, 0
	v_cmp_gt_u32_e32 vcc_lo, s5, v1
	s_wait_alu 0xfffe
	s_and_b32 s2, s2, vcc_lo
	s_wait_alu 0xfffe
	s_and_saveexec_b32 s3, s2
	s_cbranch_execz .LBB74_7
; %bb.1:
	s_load_b64 s[6:7], s[0:1], 0x10
	s_ashr_i32 s2, s4, 31
	v_bfe_u32 v4, v0, 3, 7
	s_wait_alu 0xfffe
	s_lshr_b32 s2, s2, 24
	v_dual_mov_b32 v5, 0 :: v_dual_and_b32 v0, 0x3ff, v0
	s_wait_alu 0xfffe
	s_add_co_i32 s2, s4, s2
	s_mov_b32 s8, exec_lo
	s_wait_alu 0xfffe
	s_ashr_i32 s9, s2, 8
	s_delay_alu instid0(SALU_CYCLE_1)
	v_cmpx_gt_u32_e64 s9, v4
	s_cbranch_execz .LBB74_5
; %bb.2:
	s_load_b128 s[0:3], s[0:1], 0x0
	s_addk_co_i32 s4, 0x1ff
	v_dual_mov_b32 v5, 0 :: v_dual_and_b32 v6, 7, v0
	s_wait_alu 0xfffe
	s_ashr_i32 s10, s4, 31
	v_lshlrev_b32_e32 v9, 3, v4
	s_lshr_b32 s10, s10, 23
	v_mul_lo_u32 v7, v1, s9
	s_add_co_i32 s4, s4, s10
	v_lshlrev_b32_e32 v8, 2, v6
	s_wait_alu 0xfffe
	s_ashr_i32 s4, s4, 9
	s_wait_alu 0xfffe
	s_mul_i32 s4, ttmp7, s4
	s_wait_alu 0xfffe
	v_lshl_add_u32 v9, s4, 4, v9
	s_mov_b32 s4, 0
	s_wait_kmcnt 0x0
	v_mad_co_u64_u32 v[2:3], null, v6, 36, s[2:3]
.LBB74_3:                               ; =>This Inner Loop Header: Depth=1
	v_add_nc_u32_e32 v10, v7, v4
	s_delay_alu instid0(VALU_DEP_2)
	v_mad_co_i64_i32 v[22:23], null, v9, 36, v[2:3]
	s_getpc_b64 s[2:3]
	s_wait_alu 0xfffe
	s_sext_i32_i16 s3, s3
	s_add_co_u32 s2, s2, _ZL9iq2s_grid@rel32@lo+12
	s_wait_alu 0xfffe
	s_add_co_ci_u32 s3, s3, _ZL9iq2s_grid@rel32@hi+24
	v_add_nc_u32_e32 v4, 4, v4
	v_mad_co_i64_i32 v[18:19], null, 0x52, v10, s[0:1]
	v_add_nc_u32_e32 v9, 32, v9
	s_delay_alu instid0(VALU_DEP_2) | instskip(SKIP_1) | instid1(VALU_DEP_3)
	v_add_co_u32 v20, vcc_lo, v18, v8
	s_wait_alu 0xfffd
	v_add_co_ci_u32_e64 v21, null, 0, v19, vcc_lo
	v_add_co_u32 v10, vcc_lo, v18, v6
	s_wait_alu 0xfffd
	v_add_co_ci_u32_e64 v11, null, 0, v19, vcc_lo
	s_clause 0x2
	global_load_b32 v24, v[20:21], off offset:2
	global_load_u8 v25, v[10:11], off offset:66
	global_load_u8 v30, v[10:11], off offset:74
	s_clause 0x1
	global_load_b128 v[10:13], v[22:23], off offset:4
	global_load_b128 v[14:17], v[22:23], off offset:20
	global_load_b32 v31, v[20:21], off offset:34
	s_wait_loadcnt 0x5
	v_and_b32_e32 v21, 0xff, v24
	s_wait_loadcnt 0x4
	v_lshlrev_b32_e32 v26, 8, v25
	v_bfe_u32 v27, v24, 8, 8
	v_lshlrev_b32_e32 v28, 6, v25
	v_lshrrev_b32_e32 v20, 24, v24
	v_bfe_u32 v24, v24, 16, 8
	v_lshlrev_b32_e32 v29, 4, v25
	v_lshlrev_b32_e32 v25, 2, v25
	v_and_or_b32 v21, 0x300, v26, v21
	v_and_or_b32 v26, 0x300, v28, v27
	s_wait_loadcnt 0x1
	v_perm_b32 v32, v14, v15, 0xc0c0400
	v_and_or_b32 v24, 0x300, v29, v24
	v_and_or_b32 v20, 0x300, v25, v20
	v_lshlrev_b32_e32 v21, 3, v21
	v_lshlrev_b32_e32 v25, 3, v26
	v_perm_b32 v33, v17, v16, 0x4000c0c
	v_lshlrev_b32_e32 v26, 3, v24
	v_lshlrev_b32_e32 v28, 3, v20
	s_clause 0x3
	global_load_b64 v[20:21], v21, s[2:3]
	global_load_b64 v[24:25], v25, s[2:3]
	;; [unrolled: 1-line block ×4, first 2 shown]
	global_load_b32 v22, v[22:23], off
	global_load_u16 v18, v[18:19], off
	v_perm_b32 v19, v14, v15, 0xc0c0602
	v_perm_b32 v23, v17, v16, 0x6020c0c
	;; [unrolled: 1-line block ×14, first 2 shown]
	v_or_b32_e32 v13, v23, v19
	v_or_b32_e32 v19, v33, v32
	s_wait_loadcnt 0x6
	v_and_b32_e32 v32, 15, v31
	v_or_b32_e32 v14, v15, v14
	v_or_b32_e32 v15, v17, v16
	;; [unrolled: 1-line block ×4, first 2 shown]
	v_mul_lo_u32 v32, 0x1010101, v32
	v_bfe_u32 v36, v31, 20, 4
	v_or_b32_e32 v10, v11, v10
	v_lshrrev_b32_e32 v11, 8, v31
	v_lshrrev_b32_e32 v23, 24, v31
	v_lshrrev_b16 v33, 4, v31
	v_mul_lo_u32 v36, 0x1010101, v36
	v_lshrrev_b16 v37, 4, v30
	v_not_b32_e32 v32, v32
	v_lshrrev_b16 v23, 4, v23
	v_and_b32_e32 v33, 15, v33
	v_lshrrev_b16 v11, 4, v11
	v_and_b32_e32 v30, 15, v30
	v_and_b32_e32 v38, 0x8040201, v32
	;; [unrolled: 1-line block ×5, first 2 shown]
	v_not_b32_e32 v36, v36
	v_cmp_gt_u32_e32 vcc_lo, 0x1000000, v38
	v_and_b32_e32 v33, 0xffff, v33
	v_and_b32_e32 v23, 0xffff, v23
	;; [unrolled: 1-line block ×4, first 2 shown]
	s_wait_alu 0xfffd
	v_cndmask_b32_e64 v38, 0, -1, vcc_lo
	v_cmp_eq_u32_e32 vcc_lo, 0, v39
	v_and_b32_e32 v48, 0x40000, v36
	v_and_b32_e32 v49, 0x200, v36
	;; [unrolled: 1-line block ×3, first 2 shown]
	v_mul_lo_u32 v33, 0x1010101, v33
	s_wait_alu 0xfffd
	v_cndmask_b32_e64 v39, 0, 0xff0000, vcc_lo
	v_cmp_eq_u32_e32 vcc_lo, 0, v40
	v_mul_lo_u32 v23, 0x1010101, v23
	v_and_b32_e32 v11, 0xffff, v11
	v_lshlrev_b32_e32 v38, 24, v38
	s_wait_alu 0xfffd
	v_cndmask_b32_e64 v40, 0, 0xff00, vcc_lo
	v_cmp_eq_u32_e32 vcc_lo, 0, v32
	v_not_b32_e32 v33, v33
	v_mul_lo_u32 v11, 0x1010101, v11
	v_not_b32_e32 v23, v23
	s_wait_alu 0xfffd
	v_cndmask_b32_e64 v32, 0, 0xff, vcc_lo
	v_and_b32_e32 v54, 0x8040201, v33
	v_and_b32_e32 v55, 0x40000, v33
	;; [unrolled: 1-line block ×7, first 2 shown]
	v_not_b32_e32 v11, v11
	v_and_b32_e32 v23, 1, v23
	v_or_b32_e32 v53, v40, v32
	s_delay_alu instid0(VALU_DEP_3)
	v_and_b32_e32 v64, 0x8040201, v11
	v_and_b32_e32 v66, 0x200, v11
	;; [unrolled: 1-line block ×4, first 2 shown]
	v_or3_b32 v53, v53, v39, v38
	s_wait_loadcnt 0x5
	s_delay_alu instid0(VALU_DEP_1)
	v_xor_b32_e32 v20, v53, v20
	s_wait_loadcnt 0x1
	v_cvt_f32_f16_e32 v12, v22
	v_or_b32_e32 v22, v35, v34
	v_bfe_u32 v34, v31, 8, 4
	v_bfe_u32 v35, v31, 16, 4
	;; [unrolled: 1-line block ×3, first 2 shown]
	v_sub_nc_u32_e32 v38, v20, v38
	v_sub_nc_u32_e32 v39, v20, v39
	v_mul_lo_u32 v34, 0x1010101, v34
	v_mul_lo_u32 v35, 0x1010101, v35
	;; [unrolled: 1-line block ×3, first 2 shown]
	v_sub_nc_u32_e32 v40, v20, v40
	v_sub_nc_u32_e32 v20, v20, v32
	v_not_b32_e32 v34, v34
	v_not_b32_e32 v35, v35
	;; [unrolled: 1-line block ×3, first 2 shown]
	s_delay_alu instid0(VALU_DEP_3)
	v_and_b32_e32 v41, 0x8040201, v34
	v_and_b32_e32 v42, 0x40000, v34
	;; [unrolled: 1-line block ×5, first 2 shown]
	v_cmp_gt_u32_e32 vcc_lo, 0x1000000, v41
	v_and_b32_e32 v45, 0x40000, v35
	v_and_b32_e32 v46, 0x200, v35
	;; [unrolled: 1-line block ×4, first 2 shown]
	s_wait_alu 0xfffd
	v_cndmask_b32_e64 v41, 0, -1, vcc_lo
	v_cmp_eq_u32_e32 vcc_lo, 0, v42
	v_and_b32_e32 v51, 0x40000, v31
	v_and_b32_e32 v52, 0x200, v31
	v_and_b32_e32 v31, 1, v31
	v_lshlrev_b32_e32 v41, 24, v41
	s_wait_alu 0xfffd
	v_cndmask_b32_e64 v42, 0, 0xff0000, vcc_lo
	v_cmp_eq_u32_e32 vcc_lo, 0, v43
	s_wait_alu 0xfffd
	v_cndmask_b32_e64 v43, 0, 0xff00, vcc_lo
	v_cmp_eq_u32_e32 vcc_lo, 0, v34
	s_wait_alu 0xfffd
	v_cndmask_b32_e64 v34, 0, 0xff, vcc_lo
	v_cmp_gt_u32_e32 vcc_lo, 0x1000000, v44
	s_delay_alu instid0(VALU_DEP_2) | instskip(SKIP_3) | instid1(VALU_DEP_3)
	v_or_b32_e32 v57, v43, v34
	s_wait_alu 0xfffd
	v_cndmask_b32_e64 v44, 0, -1, vcc_lo
	v_cmp_eq_u32_e32 vcc_lo, 0, v45
	v_or3_b32 v57, v57, v42, v41
	s_delay_alu instid0(VALU_DEP_3)
	v_lshlrev_b32_e32 v44, 24, v44
	s_wait_alu 0xfffd
	v_cndmask_b32_e64 v45, 0, 0xff0000, vcc_lo
	v_cmp_eq_u32_e32 vcc_lo, 0, v46
	v_xor_b32_e32 v24, v57, v24
	s_wait_alu 0xfffd
	v_cndmask_b32_e64 v46, 0, 0xff00, vcc_lo
	v_cmp_eq_u32_e32 vcc_lo, 0, v35
	s_wait_alu 0xfffd
	v_cndmask_b32_e64 v35, 0, 0xff, vcc_lo
	v_cmp_gt_u32_e32 vcc_lo, 0x1000000, v47
	s_delay_alu instid0(VALU_DEP_2) | instskip(SKIP_3) | instid1(VALU_DEP_3)
	v_or_b32_e32 v58, v46, v35
	s_wait_alu 0xfffd
	v_cndmask_b32_e64 v47, 0, -1, vcc_lo
	v_cmp_eq_u32_e32 vcc_lo, 0, v48
	v_or3_b32 v58, v58, v45, v44
	s_delay_alu instid0(VALU_DEP_3)
	v_lshlrev_b32_e32 v47, 24, v47
	s_wait_alu 0xfffd
	v_cndmask_b32_e64 v48, 0, 0xff0000, vcc_lo
	v_cmp_eq_u32_e32 vcc_lo, 0, v49
	v_xor_b32_e32 v26, v58, v26
	;; [unrolled: 18-line block ×5, first 2 shown]
	s_wait_alu 0xfffd
	v_cndmask_b32_e64 v63, 0, 0xff00, vcc_lo
	v_cmp_eq_u32_e32 vcc_lo, 0, v23
	s_delay_alu instid0(VALU_DEP_3)
	v_sub_nc_u32_e32 v32, v21, v54
	v_sub_nc_u32_e32 v53, v21, v55
	;; [unrolled: 1-line block ×4, first 2 shown]
	s_wait_alu 0xfffd
	v_cndmask_b32_e64 v23, 0, 0xff, vcc_lo
	v_cmp_gt_u32_e32 vcc_lo, 0x1000000, v64
	v_sub_nc_u32_e32 v33, v24, v41
	v_sub_nc_u32_e32 v41, v24, v42
	;; [unrolled: 1-line block ×3, first 2 shown]
	v_or_b32_e32 v68, v63, v23
	s_wait_alu 0xfffd
	v_cndmask_b32_e64 v64, 0, -1, vcc_lo
	v_cmp_eq_u32_e32 vcc_lo, 0, v66
	v_sub_nc_u32_e32 v24, v24, v34
	v_or3_b32 v68, v68, v62, v61
	s_delay_alu instid0(VALU_DEP_4)
	v_lshlrev_b32_e32 v64, 24, v64
	s_wait_alu 0xfffd
	v_cndmask_b32_e64 v66, 0, 0xff00, vcc_lo
	v_cmp_eq_u32_e32 vcc_lo, 0, v11
	v_perm_b32 v41, v41, v24, 0xc060c00
	v_xor_b32_e32 v29, v68, v29
	s_wait_alu 0xfffd
	v_cndmask_b32_e64 v11, 0, 0xff, vcc_lo
	v_cmp_eq_u32_e32 vcc_lo, 0, v65
	s_delay_alu instid0(VALU_DEP_3) | instskip(NEXT) | instid1(VALU_DEP_3)
	v_sub_nc_u32_e32 v23, v29, v23
	v_or_b32_e32 v69, v66, v11
	s_wait_alu 0xfffd
	v_cndmask_b32_e64 v65, 0, 0xff0000, vcc_lo
	v_cmp_le_u32_e32 vcc_lo, s9, v4
	s_delay_alu instid0(VALU_DEP_2) | instskip(SKIP_1) | instid1(VALU_DEP_1)
	v_or3_b32 v69, v69, v65, v64
	s_or_b32 s4, vcc_lo, s4
	v_xor_b32_e32 v25, v69, v25
	s_delay_alu instid0(VALU_DEP_1)
	v_sub_nc_u32_e32 v34, v25, v64
	v_sub_nc_u32_e32 v43, v25, v65
	;; [unrolled: 1-line block ×19, first 2 shown]
	v_perm_b32 v44, v44, v26, 0xc060c00
	v_perm_b32 v46, v46, v27, 0xc060c00
	;; [unrolled: 1-line block ×21, first 2 shown]
	v_or_b32_e32 v23, v23, v26
	v_or_b32_e32 v25, v27, v25
	;; [unrolled: 1-line block ×3, first 2 shown]
	v_perm_b32 v27, v29, v39, 0xc0c0602
	v_perm_b32 v28, v43, v41, 0x6020c0c
	v_or_b32_e32 v11, v11, v20
	v_or_b32_e32 v20, v24, v21
	;; [unrolled: 1-line block ×4, first 2 shown]
	v_dot4_i32_iu8 v22, v25, v22, 0 neg_lo:[1,1,0]
	v_dot4_i32_iu8 v14, v26, v14, 0 neg_lo:[1,1,0]
	;; [unrolled: 1-line block ×3, first 2 shown]
	v_or_b32_e32 v23, v28, v27
	v_dot4_i32_iu8 v17, v20, v17, 0 neg_lo:[1,1,0]
	v_dot4_i32_iu8 v10, v21, v10, 0 neg_lo:[1,1,0]
	v_dot4_i32_iu8 v13, v24, v13, 0 neg_lo:[1,1,0]
	v_add_nc_u32_e32 v14, v14, v22
	v_cvt_f32_ubyte0_e32 v20, v37
	v_dot4_i32_iu8 v11, v11, v16, 0 neg_lo:[1,1,0]
	v_dot4_i32_iu8 v15, v23, v15, 0 neg_lo:[1,1,0]
	v_add_nc_u32_e32 v10, v10, v17
	v_add3_u32 v13, v19, v13, v14
	s_wait_loadcnt 0x0
	v_cvt_f32_f16_e32 v14, v18
	v_cvt_f32_ubyte0_e32 v16, v30
	v_add_f32_e32 v17, 0.5, v20
	v_add3_u32 v10, v11, v15, v10
	v_cvt_f32_i32_e32 v11, v13
	v_mul_f32_e32 v12, v14, v12
	v_add_f32_e32 v13, 0.5, v16
	s_delay_alu instid0(VALU_DEP_4) | instskip(NEXT) | instid1(VALU_DEP_3)
	v_cvt_f32_i32_e32 v10, v10
	v_dual_mul_f32 v11, v17, v11 :: v_dual_mul_f32 v12, 0x3e800000, v12
	s_delay_alu instid0(VALU_DEP_1) | instskip(NEXT) | instid1(VALU_DEP_1)
	v_fmac_f32_e32 v11, v13, v10
	v_fmac_f32_e32 v5, v12, v11
	s_wait_alu 0xfffe
	s_and_not1_b32 exec_lo, exec_lo, s4
	s_cbranch_execnz .LBB74_3
; %bb.4:
	s_or_b32 exec_lo, exec_lo, s4
.LBB74_5:
	s_delay_alu instid0(SALU_CYCLE_1) | instskip(SKIP_1) | instid1(VALU_DEP_1)
	s_or_b32 exec_lo, exec_lo, s8
	v_mbcnt_lo_u32_b32 v2, -1, 0
	v_xor_b32_e32 v3, 16, v2
	v_xor_b32_e32 v4, 8, v2
	s_delay_alu instid0(VALU_DEP_2) | instskip(SKIP_2) | instid1(VALU_DEP_3)
	v_cmp_gt_i32_e32 vcc_lo, 32, v3
	s_wait_alu 0xfffd
	v_cndmask_b32_e32 v3, v2, v3, vcc_lo
	v_cmp_gt_i32_e32 vcc_lo, 32, v4
	s_wait_alu 0xfffd
	v_cndmask_b32_e32 v4, v2, v4, vcc_lo
	s_delay_alu instid0(VALU_DEP_1)
	v_lshlrev_b32_e32 v4, 2, v4
	v_lshlrev_b32_e32 v3, 2, v3
	ds_bpermute_b32 v3, v3, v5
	s_wait_dscnt 0x0
	v_add_f32_e32 v3, v5, v3
	v_xor_b32_e32 v5, 4, v2
	ds_bpermute_b32 v4, v4, v3
	v_cmp_gt_i32_e32 vcc_lo, 32, v5
	s_wait_alu 0xfffd
	v_cndmask_b32_e32 v5, v2, v5, vcc_lo
	s_delay_alu instid0(VALU_DEP_1) | instskip(SKIP_4) | instid1(VALU_DEP_1)
	v_lshlrev_b32_e32 v5, 2, v5
	s_wait_dscnt 0x0
	v_add_f32_e32 v3, v3, v4
	ds_bpermute_b32 v4, v5, v3
	v_xor_b32_e32 v5, 2, v2
	v_cmp_gt_i32_e32 vcc_lo, 32, v5
	s_wait_alu 0xfffd
	v_cndmask_b32_e32 v5, v2, v5, vcc_lo
	s_delay_alu instid0(VALU_DEP_1) | instskip(SKIP_4) | instid1(VALU_DEP_1)
	v_lshlrev_b32_e32 v5, 2, v5
	s_wait_dscnt 0x0
	v_add_f32_e32 v3, v3, v4
	ds_bpermute_b32 v4, v5, v3
	v_xor_b32_e32 v5, 1, v2
	v_cmp_gt_i32_e32 vcc_lo, 32, v5
	s_wait_alu 0xfffd
	v_cndmask_b32_e32 v5, v2, v5, vcc_lo
	v_cmp_eq_u32_e32 vcc_lo, 0, v0
	s_wait_dscnt 0x0
	s_delay_alu instid0(VALU_DEP_2)
	v_dual_add_f32 v2, v3, v4 :: v_dual_lshlrev_b32 v3, 2, v5
	ds_bpermute_b32 v3, v3, v2
	s_and_b32 exec_lo, exec_lo, vcc_lo
	s_cbranch_execz .LBB74_7
; %bb.6:
	v_mad_co_u64_u32 v[0:1], null, s5, ttmp7, v[1:2]
	s_wait_dscnt 0x0
	v_dual_mov_b32 v1, 0 :: v_dual_add_f32 v2, v2, v3
	s_delay_alu instid0(VALU_DEP_1) | instskip(SKIP_1) | instid1(VALU_DEP_1)
	v_lshlrev_b64_e32 v[0:1], 2, v[0:1]
	s_wait_kmcnt 0x0
	v_add_co_u32 v0, vcc_lo, s6, v0
	s_wait_alu 0xfffd
	s_delay_alu instid0(VALU_DEP_2)
	v_add_co_ci_u32_e64 v1, null, s7, v1, vcc_lo
	global_store_b32 v[0:1], v2, off
.LBB74_7:
	s_endpgm
	.section	.rodata,"a",@progbits
	.p2align	6, 0x0
	.amdhsa_kernel _ZL13mul_mat_vec_qIfLi256ELi8E11block_iq2_sLi1EXadL_ZL18vec_dot_iq2_s_q8_1PKvPK10block_q8_1RKiEEEvS2_S2_PT_iii
		.amdhsa_group_segment_fixed_size 0
		.amdhsa_private_segment_fixed_size 0
		.amdhsa_kernarg_size 296
		.amdhsa_user_sgpr_count 2
		.amdhsa_user_sgpr_dispatch_ptr 0
		.amdhsa_user_sgpr_queue_ptr 0
		.amdhsa_user_sgpr_kernarg_segment_ptr 1
		.amdhsa_user_sgpr_dispatch_id 0
		.amdhsa_user_sgpr_private_segment_size 0
		.amdhsa_wavefront_size32 1
		.amdhsa_uses_dynamic_stack 0
		.amdhsa_enable_private_segment 0
		.amdhsa_system_sgpr_workgroup_id_x 1
		.amdhsa_system_sgpr_workgroup_id_y 1
		.amdhsa_system_sgpr_workgroup_id_z 0
		.amdhsa_system_sgpr_workgroup_info 0
		.amdhsa_system_vgpr_workitem_id 1
		.amdhsa_next_free_vgpr 70
		.amdhsa_next_free_sgpr 11
		.amdhsa_reserve_vcc 1
		.amdhsa_float_round_mode_32 0
		.amdhsa_float_round_mode_16_64 0
		.amdhsa_float_denorm_mode_32 3
		.amdhsa_float_denorm_mode_16_64 3
		.amdhsa_fp16_overflow 0
		.amdhsa_workgroup_processor_mode 1
		.amdhsa_memory_ordered 1
		.amdhsa_forward_progress 1
		.amdhsa_inst_pref_size 25
		.amdhsa_round_robin_scheduling 0
		.amdhsa_exception_fp_ieee_invalid_op 0
		.amdhsa_exception_fp_denorm_src 0
		.amdhsa_exception_fp_ieee_div_zero 0
		.amdhsa_exception_fp_ieee_overflow 0
		.amdhsa_exception_fp_ieee_underflow 0
		.amdhsa_exception_fp_ieee_inexact 0
		.amdhsa_exception_int_div_zero 0
	.end_amdhsa_kernel
	.section	.text._ZL13mul_mat_vec_qIfLi256ELi8E11block_iq2_sLi1EXadL_ZL18vec_dot_iq2_s_q8_1PKvPK10block_q8_1RKiEEEvS2_S2_PT_iii,"axG",@progbits,_ZL13mul_mat_vec_qIfLi256ELi8E11block_iq2_sLi1EXadL_ZL18vec_dot_iq2_s_q8_1PKvPK10block_q8_1RKiEEEvS2_S2_PT_iii,comdat
.Lfunc_end74:
	.size	_ZL13mul_mat_vec_qIfLi256ELi8E11block_iq2_sLi1EXadL_ZL18vec_dot_iq2_s_q8_1PKvPK10block_q8_1RKiEEEvS2_S2_PT_iii, .Lfunc_end74-_ZL13mul_mat_vec_qIfLi256ELi8E11block_iq2_sLi1EXadL_ZL18vec_dot_iq2_s_q8_1PKvPK10block_q8_1RKiEEEvS2_S2_PT_iii
                                        ; -- End function
	.set _ZL13mul_mat_vec_qIfLi256ELi8E11block_iq2_sLi1EXadL_ZL18vec_dot_iq2_s_q8_1PKvPK10block_q8_1RKiEEEvS2_S2_PT_iii.num_vgpr, 70
	.set _ZL13mul_mat_vec_qIfLi256ELi8E11block_iq2_sLi1EXadL_ZL18vec_dot_iq2_s_q8_1PKvPK10block_q8_1RKiEEEvS2_S2_PT_iii.num_agpr, 0
	.set _ZL13mul_mat_vec_qIfLi256ELi8E11block_iq2_sLi1EXadL_ZL18vec_dot_iq2_s_q8_1PKvPK10block_q8_1RKiEEEvS2_S2_PT_iii.numbered_sgpr, 11
	.set _ZL13mul_mat_vec_qIfLi256ELi8E11block_iq2_sLi1EXadL_ZL18vec_dot_iq2_s_q8_1PKvPK10block_q8_1RKiEEEvS2_S2_PT_iii.num_named_barrier, 0
	.set _ZL13mul_mat_vec_qIfLi256ELi8E11block_iq2_sLi1EXadL_ZL18vec_dot_iq2_s_q8_1PKvPK10block_q8_1RKiEEEvS2_S2_PT_iii.private_seg_size, 0
	.set _ZL13mul_mat_vec_qIfLi256ELi8E11block_iq2_sLi1EXadL_ZL18vec_dot_iq2_s_q8_1PKvPK10block_q8_1RKiEEEvS2_S2_PT_iii.uses_vcc, 1
	.set _ZL13mul_mat_vec_qIfLi256ELi8E11block_iq2_sLi1EXadL_ZL18vec_dot_iq2_s_q8_1PKvPK10block_q8_1RKiEEEvS2_S2_PT_iii.uses_flat_scratch, 0
	.set _ZL13mul_mat_vec_qIfLi256ELi8E11block_iq2_sLi1EXadL_ZL18vec_dot_iq2_s_q8_1PKvPK10block_q8_1RKiEEEvS2_S2_PT_iii.has_dyn_sized_stack, 0
	.set _ZL13mul_mat_vec_qIfLi256ELi8E11block_iq2_sLi1EXadL_ZL18vec_dot_iq2_s_q8_1PKvPK10block_q8_1RKiEEEvS2_S2_PT_iii.has_recursion, 0
	.set _ZL13mul_mat_vec_qIfLi256ELi8E11block_iq2_sLi1EXadL_ZL18vec_dot_iq2_s_q8_1PKvPK10block_q8_1RKiEEEvS2_S2_PT_iii.has_indirect_call, 0
	.section	.AMDGPU.csdata,"",@progbits
; Kernel info:
; codeLenInByte = 3128
; TotalNumSgprs: 13
; NumVgprs: 70
; ScratchSize: 0
; MemoryBound: 0
; FloatMode: 240
; IeeeMode: 1
; LDSByteSize: 0 bytes/workgroup (compile time only)
; SGPRBlocks: 0
; VGPRBlocks: 8
; NumSGPRsForWavesPerEU: 13
; NumVGPRsForWavesPerEU: 70
; Occupancy: 16
; WaveLimiterHint : 0
; COMPUTE_PGM_RSRC2:SCRATCH_EN: 0
; COMPUTE_PGM_RSRC2:USER_SGPR: 2
; COMPUTE_PGM_RSRC2:TRAP_HANDLER: 0
; COMPUTE_PGM_RSRC2:TGID_X_EN: 1
; COMPUTE_PGM_RSRC2:TGID_Y_EN: 1
; COMPUTE_PGM_RSRC2:TGID_Z_EN: 0
; COMPUTE_PGM_RSRC2:TIDIG_COMP_CNT: 1
	.section	.text._ZL13mul_mat_vec_qIfLi256ELi8E12block_iq4_xsLi1EXadL_ZL19vec_dot_iq4_xs_q8_1PKvPK10block_q8_1RKiEEEvS2_S2_PT_iii,"axG",@progbits,_ZL13mul_mat_vec_qIfLi256ELi8E12block_iq4_xsLi1EXadL_ZL19vec_dot_iq4_xs_q8_1PKvPK10block_q8_1RKiEEEvS2_S2_PT_iii,comdat
	.globl	_ZL13mul_mat_vec_qIfLi256ELi8E12block_iq4_xsLi1EXadL_ZL19vec_dot_iq4_xs_q8_1PKvPK10block_q8_1RKiEEEvS2_S2_PT_iii ; -- Begin function _ZL13mul_mat_vec_qIfLi256ELi8E12block_iq4_xsLi1EXadL_ZL19vec_dot_iq4_xs_q8_1PKvPK10block_q8_1RKiEEEvS2_S2_PT_iii
	.p2align	8
	.type	_ZL13mul_mat_vec_qIfLi256ELi8E12block_iq4_xsLi1EXadL_ZL19vec_dot_iq4_xs_q8_1PKvPK10block_q8_1RKiEEEvS2_S2_PT_iii,@function
_ZL13mul_mat_vec_qIfLi256ELi8E12block_iq4_xsLi1EXadL_ZL19vec_dot_iq4_xs_q8_1PKvPK10block_q8_1RKiEEEvS2_S2_PT_iii: ; @_ZL13mul_mat_vec_qIfLi256ELi8E12block_iq4_xsLi1EXadL_ZL19vec_dot_iq4_xs_q8_1PKvPK10block_q8_1RKiEEEvS2_S2_PT_iii
; %bb.0:
	s_clause 0x1
	s_load_u16 s2, s[0:1], 0x36
	s_load_b96 s[4:6], s[0:1], 0x18
	v_bfe_u32 v1, v0, 10, 10
	s_wait_kmcnt 0x0
	s_delay_alu instid0(VALU_DEP_1)
	v_mad_co_u64_u32 v[1:2], null, ttmp9, s2, v[1:2]
	s_cmp_lt_u32 ttmp7, s6
	s_cselect_b32 s2, -1, 0
	v_cmp_gt_u32_e32 vcc_lo, s5, v1
	s_wait_alu 0xfffe
	s_and_b32 s2, s2, vcc_lo
	s_wait_alu 0xfffe
	s_and_saveexec_b32 s3, s2
	s_cbranch_execz .LBB75_7
; %bb.1:
	s_load_b64 s[6:7], s[0:1], 0x10
	s_ashr_i32 s2, s4, 31
	v_bfe_u32 v5, v0, 3, 7
	s_wait_alu 0xfffe
	s_lshr_b32 s2, s2, 24
	v_and_b32_e32 v0, 0x3ff, v0
	v_mov_b32_e32 v4, 0
	s_wait_alu 0xfffe
	s_add_co_i32 s2, s4, s2
	s_mov_b32 s8, exec_lo
	s_wait_alu 0xfffe
	s_ashr_i32 s9, s2, 8
	s_delay_alu instid0(SALU_CYCLE_1)
	v_cmpx_gt_u32_e64 s9, v5
	s_cbranch_execz .LBB75_5
; %bb.2:
	s_load_b128 s[0:3], s[0:1], 0x0
	s_addk_co_i32 s4, 0x1ff
	v_dual_mov_b32 v4, 0 :: v_dual_and_b32 v9, 7, v0
	s_wait_alu 0xfffe
	s_ashr_i32 s10, s4, 31
	v_lshlrev_b32_e32 v8, 2, v0
	s_lshr_b32 s10, s10, 23
	v_lshlrev_b32_e32 v10, 3, v5
	s_add_co_i32 s4, s4, s10
	v_lshlrev_b32_e32 v11, 2, v9
	s_wait_alu 0xfffe
	s_ashr_i32 s4, s4, 9
	v_mul_lo_u32 v6, v1, s9
	s_wait_alu 0xfffe
	s_mul_i32 s4, ttmp7, s4
	v_bfe_u32 v7, v0, 1, 2
	v_and_b32_e32 v8, 4, v8
	s_wait_alu 0xfffe
	v_lshl_add_u32 v10, s4, 4, v10
	v_lshlrev_b32_e32 v11, 2, v11
	s_mov_b32 s4, 0
	s_wait_kmcnt 0x0
	v_mad_co_u64_u32 v[2:3], null, v9, 36, s[2:3]
	v_lshlrev_b32_e32 v9, 1, v9
.LBB75_3:                               ; =>This Inner Loop Header: Depth=1
	v_add_nc_u32_e32 v12, v6, v5
	s_delay_alu instid0(VALU_DEP_3)
	v_mad_co_i64_i32 v[20:21], null, v10, 36, v[2:3]
	s_getpc_b64 s[2:3]
	s_wait_alu 0xfffe
	s_sext_i32_i16 s3, s3
	s_add_co_u32 s2, s2, _ZL13kvalues_iq4nl@rel32@lo+12
	s_wait_alu 0xfffe
	s_add_co_ci_u32 s3, s3, _ZL13kvalues_iq4nl@rel32@hi+24
	v_add_nc_u32_e32 v5, 4, v5
	v_mad_co_i64_i32 v[24:25], null, 0x88, v12, s[0:1]
	v_add_nc_u32_e32 v10, 32, v10
	s_delay_alu instid0(VALU_DEP_2) | instskip(SKIP_1) | instid1(VALU_DEP_3)
	v_add_co_u32 v12, vcc_lo, v24, v11
	s_wait_alu 0xfffd
	v_add_co_ci_u32_e64 v13, null, 0, v25, vcc_lo
	v_add_co_u32 v16, vcc_lo, v24, v7
	s_wait_alu 0xfffd
	v_add_co_ci_u32_e64 v17, null, 0, v25, vcc_lo
	s_clause 0x1
	global_load_b128 v[12:15], v[12:13], off offset:8
	global_load_u8 v26, v[16:17], off offset:4
	s_clause 0x2
	global_load_b32 v27, v[20:21], off
	global_load_b128 v[16:19], v[20:21], off offset:4
	global_load_b128 v[20:23], v[20:21], off offset:20
	global_load_b32 v24, v[24:25], off
	v_cmp_le_u32_e32 vcc_lo, s9, v5
	s_or_b32 s4, vcc_lo, s4
	s_wait_loadcnt 0x2
	v_perm_b32 v16, v16, v16, 0x3020001
	v_and_b32_e32 v28, 15, v12
	v_bfe_u32 v29, v12, 8, 4
	v_bfe_u32 v30, v12, 16, 4
	;; [unrolled: 1-line block ×5, first 2 shown]
	v_lshrrev_b32_e32 v32, 28, v12
	v_bfe_u32 v12, v12, 12, 4
	v_bfe_u32 v34, v13, 24, 4
	v_and_b32_e32 v35, 15, v13
	v_bfe_u32 v36, v13, 8, 4
	v_bfe_u32 v37, v13, 16, 4
	v_bfe_u32 v38, v13, 20, 4
	v_lshrrev_b32_e32 v39, 28, v13
	v_bfe_u32 v40, v13, 4, 4
	v_bfe_u32 v13, v13, 12, 4
	v_bfe_u32 v41, v14, 24, 4
	v_and_b32_e32 v42, 15, v14
	v_bfe_u32 v43, v14, 8, 4
	v_bfe_u32 v44, v14, 16, 4
	v_bfe_u32 v45, v14, 20, 4
	v_lshrrev_b32_e32 v46, 28, v14
	v_bfe_u32 v47, v14, 4, 4
	;; [unrolled: 8-line block ×3, first 2 shown]
	v_bfe_u32 v15, v15, 12, 4
	s_clause 0x1f
	global_load_i8 v28, v28, s[2:3]
	global_load_i8 v29, v29, s[2:3]
	;; [unrolled: 1-line block ×32, first 2 shown]
	s_wait_loadcnt 0x20
	v_lshrrev_b32_e32 v55, 16, v24
	v_perm_b32 v20, v20, v20, 0x3020001
	v_bfe_u32 v26, v26, v8, 4
	s_delay_alu instid0(VALU_DEP_3) | instskip(NEXT) | instid1(VALU_DEP_1)
	v_lshrrev_b32_e32 v55, v9, v55
	v_lshlrev_b32_e32 v55, 4, v55
	s_delay_alu instid0(VALU_DEP_1)
	v_and_or_b32 v26, v55, 48, v26
	s_wait_loadcnt 0x1e
	v_perm_b32 v28, v28, v29, 0xc0c0400
	s_wait_loadcnt 0x1b
	v_perm_b32 v12, v33, v12, 0xc0c0400
	;; [unrolled: 2-line block ×5, first 2 shown]
	v_or_b32_e32 v12, v29, v12
	s_wait_loadcnt 0x13
	v_perm_b32 v13, v13, v40, 0xc0c0400
	v_or_b32_e32 v25, v25, v28
	s_wait_loadcnt 0x11
	v_perm_b32 v32, v39, v38, 0x4000c0c
	s_wait_loadcnt 0x10
	v_perm_b32 v31, v34, v37, 0x4000c0c
	v_dot4_i32_iu8 v12, v20, v12, 0 neg_lo:[1,1,0]
	s_wait_loadcnt 0xe
	v_perm_b32 v33, v43, v42, 0xc0c0400
	v_dot4_i32_iu8 v16, v16, v25, 0 neg_lo:[1,1,0]
	v_or_b32_e32 v13, v32, v13
	s_wait_loadcnt 0xb
	v_perm_b32 v14, v14, v47, 0xc0c0400
	v_or_b32_e32 v28, v31, v30
	s_wait_loadcnt 0x9
	v_perm_b32 v35, v46, v45, 0x4000c0c
	s_wait_loadcnt 0x8
	v_perm_b32 v34, v41, v44, 0x4000c0c
	v_dot4_i32_iu8 v12, v21, v13, v12 neg_lo:[1,1,0]
	s_wait_loadcnt 0x6
	v_perm_b32 v36, v50, v49, 0xc0c0400
	v_dot4_i32_iu8 v16, v17, v28, v16 neg_lo:[1,1,0]
	v_or_b32_e32 v14, v35, v14
	v_or_b32_e32 v25, v34, v33
	s_wait_loadcnt 0x2
	v_perm_b32 v20, v53, v52, 0x4000c0c
	s_wait_loadcnt 0x1
	v_perm_b32 v37, v48, v51, 0x4000c0c
	;; [unrolled: 2-line block ×3, first 2 shown]
	v_subrev_nc_u32_e32 v13, 32, v26
	v_dot4_i32_iu8 v16, v18, v25, v16 neg_lo:[1,1,0]
	v_dot4_i32_iu8 v12, v22, v14, v12 neg_lo:[1,1,0]
	v_or_b32_e32 v17, v37, v36
	v_or_b32_e32 v15, v20, v15
	v_cvt_f32_f16_e32 v14, v24
	v_cvt_f32_i32_e32 v13, v13
	s_delay_alu instid0(VALU_DEP_4) | instskip(NEXT) | instid1(VALU_DEP_4)
	v_dot4_i32_iu8 v16, v19, v17, v16 neg_lo:[1,1,0]
	v_dot4_i32_iu8 v12, v23, v15, v12 neg_lo:[1,1,0]
	v_cvt_f32_f16_e32 v15, v27
	s_delay_alu instid0(VALU_DEP_2) | instskip(NEXT) | instid1(VALU_DEP_1)
	v_dual_mul_f32 v13, v14, v13 :: v_dual_add_nc_u32 v12, v12, v16
	v_mul_f32_e32 v13, v13, v15
	s_delay_alu instid0(VALU_DEP_2) | instskip(NEXT) | instid1(VALU_DEP_1)
	v_cvt_f32_i32_e32 v12, v12
	v_fmac_f32_e32 v4, v13, v12
	s_wait_alu 0xfffe
	s_and_not1_b32 exec_lo, exec_lo, s4
	s_cbranch_execnz .LBB75_3
; %bb.4:
	s_or_b32 exec_lo, exec_lo, s4
.LBB75_5:
	s_delay_alu instid0(SALU_CYCLE_1) | instskip(SKIP_1) | instid1(VALU_DEP_1)
	s_or_b32 exec_lo, exec_lo, s8
	v_mbcnt_lo_u32_b32 v2, -1, 0
	v_xor_b32_e32 v3, 16, v2
	v_xor_b32_e32 v5, 8, v2
	s_delay_alu instid0(VALU_DEP_2) | instskip(SKIP_2) | instid1(VALU_DEP_3)
	v_cmp_gt_i32_e32 vcc_lo, 32, v3
	s_wait_alu 0xfffd
	v_cndmask_b32_e32 v3, v2, v3, vcc_lo
	v_cmp_gt_i32_e32 vcc_lo, 32, v5
	s_delay_alu instid0(VALU_DEP_2)
	v_lshlrev_b32_e32 v3, 2, v3
	s_wait_alu 0xfffd
	v_cndmask_b32_e32 v5, v2, v5, vcc_lo
	ds_bpermute_b32 v3, v3, v4
	v_lshlrev_b32_e32 v5, 2, v5
	s_wait_dscnt 0x0
	v_add_f32_e32 v3, v4, v3
	ds_bpermute_b32 v4, v5, v3
	v_xor_b32_e32 v5, 4, v2
	s_delay_alu instid0(VALU_DEP_1) | instskip(SKIP_2) | instid1(VALU_DEP_1)
	v_cmp_gt_i32_e32 vcc_lo, 32, v5
	s_wait_alu 0xfffd
	v_cndmask_b32_e32 v5, v2, v5, vcc_lo
	v_lshlrev_b32_e32 v5, 2, v5
	s_wait_dscnt 0x0
	v_add_f32_e32 v3, v3, v4
	ds_bpermute_b32 v4, v5, v3
	v_xor_b32_e32 v5, 2, v2
	s_delay_alu instid0(VALU_DEP_1) | instskip(SKIP_2) | instid1(VALU_DEP_1)
	v_cmp_gt_i32_e32 vcc_lo, 32, v5
	s_wait_alu 0xfffd
	v_cndmask_b32_e32 v5, v2, v5, vcc_lo
	v_lshlrev_b32_e32 v5, 2, v5
	s_wait_dscnt 0x0
	v_add_f32_e32 v3, v3, v4
	ds_bpermute_b32 v4, v5, v3
	v_xor_b32_e32 v5, 1, v2
	s_delay_alu instid0(VALU_DEP_1) | instskip(SKIP_4) | instid1(VALU_DEP_2)
	v_cmp_gt_i32_e32 vcc_lo, 32, v5
	s_wait_alu 0xfffd
	v_cndmask_b32_e32 v5, v2, v5, vcc_lo
	v_cmp_eq_u32_e32 vcc_lo, 0, v0
	s_wait_dscnt 0x0
	v_dual_add_f32 v2, v3, v4 :: v_dual_lshlrev_b32 v3, 2, v5
	ds_bpermute_b32 v3, v3, v2
	s_and_b32 exec_lo, exec_lo, vcc_lo
	s_cbranch_execz .LBB75_7
; %bb.6:
	v_mad_co_u64_u32 v[0:1], null, s5, ttmp7, v[1:2]
	s_wait_dscnt 0x0
	v_dual_mov_b32 v1, 0 :: v_dual_add_f32 v2, v2, v3
	s_delay_alu instid0(VALU_DEP_1) | instskip(SKIP_1) | instid1(VALU_DEP_1)
	v_lshlrev_b64_e32 v[0:1], 2, v[0:1]
	s_wait_kmcnt 0x0
	v_add_co_u32 v0, vcc_lo, s6, v0
	s_wait_alu 0xfffd
	s_delay_alu instid0(VALU_DEP_2)
	v_add_co_ci_u32_e64 v1, null, s7, v1, vcc_lo
	global_store_b32 v[0:1], v2, off
.LBB75_7:
	s_endpgm
	.section	.rodata,"a",@progbits
	.p2align	6, 0x0
	.amdhsa_kernel _ZL13mul_mat_vec_qIfLi256ELi8E12block_iq4_xsLi1EXadL_ZL19vec_dot_iq4_xs_q8_1PKvPK10block_q8_1RKiEEEvS2_S2_PT_iii
		.amdhsa_group_segment_fixed_size 0
		.amdhsa_private_segment_fixed_size 0
		.amdhsa_kernarg_size 296
		.amdhsa_user_sgpr_count 2
		.amdhsa_user_sgpr_dispatch_ptr 0
		.amdhsa_user_sgpr_queue_ptr 0
		.amdhsa_user_sgpr_kernarg_segment_ptr 1
		.amdhsa_user_sgpr_dispatch_id 0
		.amdhsa_user_sgpr_private_segment_size 0
		.amdhsa_wavefront_size32 1
		.amdhsa_uses_dynamic_stack 0
		.amdhsa_enable_private_segment 0
		.amdhsa_system_sgpr_workgroup_id_x 1
		.amdhsa_system_sgpr_workgroup_id_y 1
		.amdhsa_system_sgpr_workgroup_id_z 0
		.amdhsa_system_sgpr_workgroup_info 0
		.amdhsa_system_vgpr_workitem_id 1
		.amdhsa_next_free_vgpr 56
		.amdhsa_next_free_sgpr 11
		.amdhsa_reserve_vcc 1
		.amdhsa_float_round_mode_32 0
		.amdhsa_float_round_mode_16_64 0
		.amdhsa_float_denorm_mode_32 3
		.amdhsa_float_denorm_mode_16_64 3
		.amdhsa_fp16_overflow 0
		.amdhsa_workgroup_processor_mode 1
		.amdhsa_memory_ordered 1
		.amdhsa_forward_progress 1
		.amdhsa_inst_pref_size 15
		.amdhsa_round_robin_scheduling 0
		.amdhsa_exception_fp_ieee_invalid_op 0
		.amdhsa_exception_fp_denorm_src 0
		.amdhsa_exception_fp_ieee_div_zero 0
		.amdhsa_exception_fp_ieee_overflow 0
		.amdhsa_exception_fp_ieee_underflow 0
		.amdhsa_exception_fp_ieee_inexact 0
		.amdhsa_exception_int_div_zero 0
	.end_amdhsa_kernel
	.section	.text._ZL13mul_mat_vec_qIfLi256ELi8E12block_iq4_xsLi1EXadL_ZL19vec_dot_iq4_xs_q8_1PKvPK10block_q8_1RKiEEEvS2_S2_PT_iii,"axG",@progbits,_ZL13mul_mat_vec_qIfLi256ELi8E12block_iq4_xsLi1EXadL_ZL19vec_dot_iq4_xs_q8_1PKvPK10block_q8_1RKiEEEvS2_S2_PT_iii,comdat
.Lfunc_end75:
	.size	_ZL13mul_mat_vec_qIfLi256ELi8E12block_iq4_xsLi1EXadL_ZL19vec_dot_iq4_xs_q8_1PKvPK10block_q8_1RKiEEEvS2_S2_PT_iii, .Lfunc_end75-_ZL13mul_mat_vec_qIfLi256ELi8E12block_iq4_xsLi1EXadL_ZL19vec_dot_iq4_xs_q8_1PKvPK10block_q8_1RKiEEEvS2_S2_PT_iii
                                        ; -- End function
	.set _ZL13mul_mat_vec_qIfLi256ELi8E12block_iq4_xsLi1EXadL_ZL19vec_dot_iq4_xs_q8_1PKvPK10block_q8_1RKiEEEvS2_S2_PT_iii.num_vgpr, 56
	.set _ZL13mul_mat_vec_qIfLi256ELi8E12block_iq4_xsLi1EXadL_ZL19vec_dot_iq4_xs_q8_1PKvPK10block_q8_1RKiEEEvS2_S2_PT_iii.num_agpr, 0
	.set _ZL13mul_mat_vec_qIfLi256ELi8E12block_iq4_xsLi1EXadL_ZL19vec_dot_iq4_xs_q8_1PKvPK10block_q8_1RKiEEEvS2_S2_PT_iii.numbered_sgpr, 11
	.set _ZL13mul_mat_vec_qIfLi256ELi8E12block_iq4_xsLi1EXadL_ZL19vec_dot_iq4_xs_q8_1PKvPK10block_q8_1RKiEEEvS2_S2_PT_iii.num_named_barrier, 0
	.set _ZL13mul_mat_vec_qIfLi256ELi8E12block_iq4_xsLi1EXadL_ZL19vec_dot_iq4_xs_q8_1PKvPK10block_q8_1RKiEEEvS2_S2_PT_iii.private_seg_size, 0
	.set _ZL13mul_mat_vec_qIfLi256ELi8E12block_iq4_xsLi1EXadL_ZL19vec_dot_iq4_xs_q8_1PKvPK10block_q8_1RKiEEEvS2_S2_PT_iii.uses_vcc, 1
	.set _ZL13mul_mat_vec_qIfLi256ELi8E12block_iq4_xsLi1EXadL_ZL19vec_dot_iq4_xs_q8_1PKvPK10block_q8_1RKiEEEvS2_S2_PT_iii.uses_flat_scratch, 0
	.set _ZL13mul_mat_vec_qIfLi256ELi8E12block_iq4_xsLi1EXadL_ZL19vec_dot_iq4_xs_q8_1PKvPK10block_q8_1RKiEEEvS2_S2_PT_iii.has_dyn_sized_stack, 0
	.set _ZL13mul_mat_vec_qIfLi256ELi8E12block_iq4_xsLi1EXadL_ZL19vec_dot_iq4_xs_q8_1PKvPK10block_q8_1RKiEEEvS2_S2_PT_iii.has_recursion, 0
	.set _ZL13mul_mat_vec_qIfLi256ELi8E12block_iq4_xsLi1EXadL_ZL19vec_dot_iq4_xs_q8_1PKvPK10block_q8_1RKiEEEvS2_S2_PT_iii.has_indirect_call, 0
	.section	.AMDGPU.csdata,"",@progbits
; Kernel info:
; codeLenInByte = 1860
; TotalNumSgprs: 13
; NumVgprs: 56
; ScratchSize: 0
; MemoryBound: 0
; FloatMode: 240
; IeeeMode: 1
; LDSByteSize: 0 bytes/workgroup (compile time only)
; SGPRBlocks: 0
; VGPRBlocks: 6
; NumSGPRsForWavesPerEU: 13
; NumVGPRsForWavesPerEU: 56
; Occupancy: 16
; WaveLimiterHint : 0
; COMPUTE_PGM_RSRC2:SCRATCH_EN: 0
; COMPUTE_PGM_RSRC2:USER_SGPR: 2
; COMPUTE_PGM_RSRC2:TRAP_HANDLER: 0
; COMPUTE_PGM_RSRC2:TGID_X_EN: 1
; COMPUTE_PGM_RSRC2:TGID_Y_EN: 1
; COMPUTE_PGM_RSRC2:TGID_Z_EN: 0
; COMPUTE_PGM_RSRC2:TIDIG_COMP_CNT: 1
	.section	.text._ZL13mul_mat_vec_qIfLi256ELi8E11block_iq1_mLi1EXadL_ZL18vec_dot_iq1_m_q8_1PKvPK10block_q8_1RKiEEEvS2_S2_PT_iii,"axG",@progbits,_ZL13mul_mat_vec_qIfLi256ELi8E11block_iq1_mLi1EXadL_ZL18vec_dot_iq1_m_q8_1PKvPK10block_q8_1RKiEEEvS2_S2_PT_iii,comdat
	.globl	_ZL13mul_mat_vec_qIfLi256ELi8E11block_iq1_mLi1EXadL_ZL18vec_dot_iq1_m_q8_1PKvPK10block_q8_1RKiEEEvS2_S2_PT_iii ; -- Begin function _ZL13mul_mat_vec_qIfLi256ELi8E11block_iq1_mLi1EXadL_ZL18vec_dot_iq1_m_q8_1PKvPK10block_q8_1RKiEEEvS2_S2_PT_iii
	.p2align	8
	.type	_ZL13mul_mat_vec_qIfLi256ELi8E11block_iq1_mLi1EXadL_ZL18vec_dot_iq1_m_q8_1PKvPK10block_q8_1RKiEEEvS2_S2_PT_iii,@function
_ZL13mul_mat_vec_qIfLi256ELi8E11block_iq1_mLi1EXadL_ZL18vec_dot_iq1_m_q8_1PKvPK10block_q8_1RKiEEEvS2_S2_PT_iii: ; @_ZL13mul_mat_vec_qIfLi256ELi8E11block_iq1_mLi1EXadL_ZL18vec_dot_iq1_m_q8_1PKvPK10block_q8_1RKiEEEvS2_S2_PT_iii
; %bb.0:
	s_clause 0x1
	s_load_u16 s2, s[0:1], 0x36
	s_load_b96 s[4:6], s[0:1], 0x18
	v_bfe_u32 v1, v0, 10, 10
	s_wait_kmcnt 0x0
	s_delay_alu instid0(VALU_DEP_1)
	v_mad_co_u64_u32 v[1:2], null, ttmp9, s2, v[1:2]
	s_cmp_lt_u32 ttmp7, s6
	s_cselect_b32 s2, -1, 0
	v_cmp_gt_u32_e32 vcc_lo, s5, v1
	s_wait_alu 0xfffe
	s_and_b32 s2, s2, vcc_lo
	s_wait_alu 0xfffe
	s_and_saveexec_b32 s3, s2
	s_cbranch_execz .LBB76_7
; %bb.1:
	s_load_b64 s[6:7], s[0:1], 0x10
	s_ashr_i32 s2, s4, 31
	v_bfe_u32 v5, v0, 3, 7
	s_wait_alu 0xfffe
	s_lshr_b32 s2, s2, 24
	v_and_b32_e32 v0, 0x3ff, v0
	v_mov_b32_e32 v4, 0
	s_wait_alu 0xfffe
	s_add_co_i32 s2, s4, s2
	s_mov_b32 s8, exec_lo
	s_wait_alu 0xfffe
	s_ashr_i32 s9, s2, 8
	s_delay_alu instid0(SALU_CYCLE_1)
	v_cmpx_gt_u32_e64 s9, v5
	s_cbranch_execz .LBB76_5
; %bb.2:
	s_load_b128 s[0:3], s[0:1], 0x0
	s_addk_co_i32 s4, 0x1ff
	v_and_b32_e32 v8, 1, v0
	s_wait_alu 0xfffe
	s_ashr_i32 s10, s4, 31
	v_and_b32_e32 v10, 7, v0
	s_lshr_b32 s10, s10, 23
	v_dual_mov_b32 v4, 0 :: v_dual_lshlrev_b32 v9, 3, v5
	s_add_co_i32 s4, s4, s10
	v_bfe_u32 v11, v0, 1, 2
	v_cmp_eq_u32_e32 vcc_lo, 1, v8
	s_wait_alu 0xfffe
	s_ashr_i32 s4, s4, 9
	v_mul_lo_u32 v6, v1, s9
	s_wait_alu 0xfffe
	s_mul_i32 s4, ttmp7, s4
	v_lshlrev_b32_e32 v7, 1, v10
	v_cndmask_b32_e64 v8, 0, 6, vcc_lo
	s_wait_alu 0xfffe
	v_lshl_add_u32 v9, s4, 4, v9
	v_lshlrev_b32_e32 v11, 1, v11
	s_mov_b32 s4, 0
	s_mov_b32 s10, 0xbd000000
	s_wait_kmcnt 0x0
	v_mad_co_u64_u32 v[2:3], null, v10, 36, s[2:3]
	v_lshlrev_b32_e32 v10, 2, v10
.LBB76_3:                               ; =>This Inner Loop Header: Depth=1
	v_add_nc_u32_e32 v12, v6, v5
	s_delay_alu instid0(VALU_DEP_3)
	v_mad_co_i64_i32 v[20:21], null, v9, 36, v[2:3]
	s_getpc_b64 s[2:3]
	s_wait_alu 0xfffe
	s_sext_i32_i16 s3, s3
	s_add_co_u32 s2, s2, _ZL13iq1s_grid_gpu@rel32@lo+12
	s_wait_alu 0xfffe
	s_add_co_ci_u32 s3, s3, _ZL13iq1s_grid_gpu@rel32@hi+24
	v_add_nc_u32_e32 v5, 4, v5
	v_mad_co_i64_i32 v[16:17], null, v12, 56, s[0:1]
	v_add_nc_u32_e32 v9, 32, v9
	s_delay_alu instid0(VALU_DEP_2) | instskip(SKIP_1) | instid1(VALU_DEP_3)
	v_add_co_u32 v12, vcc_lo, v16, v7
	s_wait_alu 0xfffd
	v_add_co_ci_u32_e64 v13, null, 0, v17, vcc_lo
	v_add_co_u32 v14, vcc_lo, v16, v11
	s_wait_alu 0xfffd
	v_add_co_ci_u32_e64 v15, null, 0, v17, vcc_lo
	;; [unrolled: 3-line block ×3, first 2 shown]
	s_clause 0x2
	global_load_u16 v24, v[14:15], off offset:48
	global_load_u16 v25, v[12:13], off offset:32
	global_load_b32 v18, v[18:19], off
	global_load_b128 v[12:15], v[20:21], off offset:20
	global_load_b64 v[22:23], v[16:17], off offset:48
	v_cmp_le_u32_e32 vcc_lo, s9, v5
	s_or_b32 s4, vcc_lo, s4
	s_wait_loadcnt 0x4
	v_lshrrev_b32_e32 v24, v8, v24
	s_wait_loadcnt 0x3
	v_lshrrev_b16 v26, 4, v25
	s_wait_loadcnt 0x1
	v_lshrrev_b16 v45, 8, v13
	v_lshrrev_b16 v47, 8, v15
	;; [unrolled: 1-line block ×3, first 2 shown]
	v_ashrrev_i32_e32 v48, 24, v12
	v_bfe_i32 v49, v12, 16, 8
	v_bfe_i32 v12, v12, 0, 8
	;; [unrolled: 1-line block ×5, first 2 shown]
	v_lshrrev_b16 v46, 8, v14
	v_ashrrev_i32_e32 v50, 24, v13
	v_bfe_i32 v51, v13, 16, 8
	v_bfe_i32 v13, v13, 0, 8
	v_ashrrev_i32_e32 v54, 24, v15
	v_bfe_i32 v55, v15, 16, 8
	v_bfe_i32 v15, v15, 0, 8
	v_add_nc_u32_e32 v57, v45, v12
	s_wait_loadcnt 0x0
	v_pk_lshrrev_b16 v22, 0x8000c, v22
	v_add_nc_u32_e32 v59, v47, v52
	v_bfe_i32 v44, v44, 0, 8
	v_bfe_i32 v46, v46, 0, 8
	v_add3_u32 v57, v57, v13, v51
	v_lshrrev_b32_e32 v60, 16, v22
	v_add3_u32 v59, v59, v15, v55
	v_ashrrev_i32_e32 v53, 24, v14
	v_bfe_i32 v14, v14, 16, 8
	v_pk_lshrrev_b16 v23, 4, v23
	v_and_b32_e32 v60, 0xf0, v60
	v_add3_u32 v57, v57, v50, v44
	v_add3_u32 v59, v59, v54, v46
	v_lshlrev_b32_e32 v27, 8, v25
	v_lshrrev_b16 v28, 8, v25
	v_lshrrev_b16 v29, 12, v25
	v_and_b32_e32 v25, 8, v25
	v_and_b32_e32 v23, 0xf0000f00, v23
	v_or_b32_e32 v22, v60, v22
	v_add3_u32 v57, v57, v49, v48
	v_add3_u32 v59, v59, v14, v53
	v_bfe_u32 v17, v18, 8, 8
	v_bfe_u32 v19, v18, 16, 8
	v_cvt_f32_ubyte0_e32 v25, v25
	v_and_b32_e32 v30, 15, v26
	v_lshrrev_b32_e32 v62, 16, v23
	v_or_b32_e32 v22, v22, v23
	v_cvt_f32_i32_e32 v23, v57
	v_cvt_f32_i32_e32 v57, v59
	v_and_b32_e32 v16, 0xff, v18
	v_alignbit_b32 v18, v29, v18, 24
	v_and_b32_e32 v29, 8, v29
	v_dual_fmaak_f32 v25, s10, v25, 0xbf600000 :: v_dual_and_b32 v26, 8, v26
	s_delay_alu instid0(VALU_DEP_4) | instskip(NEXT) | instid1(VALU_DEP_4)
	v_and_or_b32 v16, 0x700, v27, v16
	v_and_b32_e32 v18, 0x7ff, v18
	s_delay_alu instid0(VALU_DEP_4) | instskip(SKIP_3) | instid1(VALU_DEP_4)
	v_cvt_f32_ubyte0_e32 v29, v29
	v_lshlrev_b32_e32 v30, 8, v30
	v_cvt_f32_ubyte0_e32 v26, v26
	v_lshlrev_b32_e32 v27, 8, v28
	v_dual_fmaak_f32 v29, s10, v29, 0xbf600000 :: v_dual_lshlrev_b32 v16, 3, v16
	s_delay_alu instid0(VALU_DEP_4) | instskip(NEXT) | instid1(VALU_DEP_4)
	v_and_or_b32 v17, 0x700, v30, v17
	v_fmaak_f32 v26, s10, v26, 0xbf600000
	s_delay_alu instid0(VALU_DEP_4)
	v_and_or_b32 v19, 0x700, v27, v19
	global_load_b32 v27, v16, s[2:3]
	v_lshlrev_b32_e32 v18, 3, v18
	v_lshlrev_b32_e32 v17, 3, v17
	;; [unrolled: 1-line block ×4, first 2 shown]
	s_clause 0x2
	global_load_b32 v30, v17, s[2:3]
	global_load_b32 v31, v16, s[2:3]
	;; [unrolled: 1-line block ×3, first 2 shown]
	s_clause 0x1
	global_load_b128 v[16:19], v[20:21], off offset:4
	global_load_b32 v20, v[20:21], off
	v_and_b32_e32 v61, 14, v61
	v_and_b32_e32 v28, 8, v28
	v_lshrrev_b32_e32 v24, 2, v24
	s_delay_alu instid0(VALU_DEP_3) | instskip(NEXT) | instid1(VALU_DEP_3)
	v_or_b32_e32 v60, 1, v61
	v_cvt_f32_ubyte0_e32 v28, v28
	s_delay_alu instid0(VALU_DEP_3) | instskip(NEXT) | instid1(VALU_DEP_2)
	v_and_b32_e32 v24, 14, v24
	v_fmaak_f32 v28, s10, v28, 0xbf600000
	s_delay_alu instid0(VALU_DEP_2)
	v_or_b32_e32 v24, 1, v24
	s_wait_loadcnt 0x5
	v_and_b32_e32 v61, 0xf0f0f0f, v27
	v_bfe_u32 v59, v27, 24, 4
	v_lshrrev_b32_e32 v63, 4, v27
	v_lshrrev_b32_e32 v64, 28, v27
	v_bfe_u32 v65, v27, 16, 4
	v_lshrrev_b16 v61, 8, v61
	v_and_b32_e32 v66, 15, v27
	s_wait_loadcnt 0x1
	v_lshrrev_b16 v21, 8, v16
	v_lshrrev_b16 v35, 8, v19
	v_ashrrev_i32_e32 v36, 24, v16
	v_bfe_i32 v37, v16, 16, 8
	v_bfe_i32 v16, v16, 0, 8
	v_bfe_i32 v40, v18, 0, 8
	v_bfe_i32 v21, v21, 0, 8
	v_bfe_i32 v35, v35, 0, 8
	v_lshrrev_b16 v33, 8, v17
	v_lshrrev_b16 v34, 8, v18
	v_ashrrev_i32_e32 v42, 24, v19
	v_bfe_i32 v43, v19, 16, 8
	v_bfe_i32 v19, v19, 0, 8
	v_add_nc_u32_e32 v56, v21, v16
	v_add_nc_u32_e32 v58, v35, v40
	v_ashrrev_i32_e32 v38, 24, v17
	v_bfe_i32 v39, v17, 16, 8
	v_bfe_i32 v17, v17, 0, 8
	;; [unrolled: 1-line block ×4, first 2 shown]
	v_add3_u32 v56, v56, v37, v36
	v_add3_u32 v58, v58, v19, v43
	v_ashrrev_i32_e32 v41, 24, v18
	v_bfe_i32 v18, v18, 16, 8
	v_bfe_u32 v67, v27, 20, 4
	v_add3_u32 v56, v56, v33, v17
	v_add3_u32 v58, v58, v42, v34
	v_bfe_u32 v27, v27, 4, 4
	v_lshrrev_b16 v63, 8, v63
	v_mul_i32_i24_e32 v36, v59, v36
	v_and_b32_e32 v59, 0xffff, v61
	v_bfe_u32 v61, v30, 24, 4
	v_lshrrev_b32_e32 v71, 4, v31
	v_add3_u32 v56, v56, v39, v38
	v_add3_u32 v58, v58, v18, v41
	v_mul_i32_i24_e32 v37, v65, v37
	v_mul_i32_i24_e32 v17, v27, v17
	;; [unrolled: 1-line block ×3, first 2 shown]
	v_and_b32_e32 v39, 15, v63
	v_and_b32_e32 v63, 0xf0f0f0f, v30
	v_lshrrev_b32_e32 v65, 28, v30
	v_bfe_u32 v76, v32, 24, 4
	v_and_b32_e32 v77, 0xf0f0f0f, v32
	v_lshrrev_b32_e32 v78, 4, v32
	v_lshrrev_b32_e32 v79, 28, v32
	v_and_b32_e32 v80, 15, v32
	v_bfe_u32 v81, v32, 16, 4
	v_bfe_u32 v82, v32, 20, 4
	;; [unrolled: 1-line block ×3, first 2 shown]
	v_mul_i32_i24_e32 v41, v41, v61
	v_lshrrev_b16 v61, 8, v71
	v_mul_i32_i24_e32 v16, v66, v16
	v_mul_i32_i24_e32 v38, v64, v38
	v_lshrrev_b32_e32 v64, 4, v30
	v_and_b32_e32 v66, 15, v30
	v_bfe_u32 v67, v30, 16, 4
	v_bfe_u32 v68, v30, 20, 4
	v_bfe_u32 v30, v30, 4, 4
	v_and_b32_e32 v70, 0xf0f0f0f, v31
	v_lshrrev_b16 v63, 8, v63
	v_mul_i32_i24_e32 v42, v65, v42
	v_lshrrev_b16 v65, 8, v78
	v_mul_i32_i24_e32 v15, v32, v15
	v_mul_i32_i24_e32 v32, v82, v55
	v_and_b32_e32 v55, 15, v61
	v_bfe_u32 v69, v31, 24, 4
	v_lshrrev_b32_e32 v72, 28, v31
	v_and_b32_e32 v39, 0xffff, v39
	v_lshrrev_b16 v64, 8, v64
	v_mul_i32_i24_e32 v19, v30, v19
	v_mul_i32_i24_e32 v30, v68, v43
	v_lshrrev_b16 v43, 8, v70
	v_and_b32_e32 v61, 0xffff, v63
	v_and_b32_e32 v63, 15, v65
	;; [unrolled: 1-line block ×3, first 2 shown]
	v_bfe_u32 v73, v31, 16, 4
	v_and_b32_e32 v74, 15, v31
	v_bfe_u32 v75, v31, 20, 4
	v_bfe_u32 v31, v31, 4, 4
	v_mul_i32_i24_e32 v48, v48, v69
	v_mul_i32_i24_e32 v50, v72, v50
	;; [unrolled: 1-line block ×4, first 2 shown]
	v_and_b32_e32 v39, 15, v64
	v_add3_u32 v27, v37, v27, v30
	v_add3_u32 v30, v36, v38, v42
	v_and_b32_e32 v36, 0xffff, v43
	v_and_b32_e32 v37, 0xffff, v63
	v_mul_i32_i24_e32 v38, v55, v45
	v_mul_i32_i24_e32 v12, v12, v74
	;; [unrolled: 1-line block ×5, first 2 shown]
	v_lshrrev_b16 v51, 8, v77
	v_add3_u32 v43, v48, v50, v54
	v_and_b32_e32 v39, 0xffff, v39
	v_mul_i32_i24_e32 v37, v37, v47
	v_mad_i32_i24 v36, v44, v36, v38
	v_mul_i32_i24_e32 v14, v14, v81
	v_mul_i32_i24_e32 v53, v53, v76
	v_and_b32_e32 v42, 0xffff, v51
	v_add3_u32 v31, v49, v31, v32
	v_add3_u32 v12, v12, v13, v15
	v_mad_i32_i24 v13, v59, v21, v33
	v_mul_i32_i24_e32 v15, v39, v35
	v_add3_u32 v21, v36, v37, v43
	v_mul_i32_i24_e32 v18, v18, v67
	v_add3_u32 v16, v16, v17, v19
	v_mad_i32_i24 v14, v52, v80, v14
	v_mad_i32_i24 v17, v46, v42, v53
	v_add3_u32 v13, v13, v15, v30
	v_add3_u32 v12, v12, v31, v21
	v_cvt_f32_i32_e32 v56, v56
	v_fma_f32 v15, v28, v23, 0
	v_mad_i32_i24 v18, v40, v66, v18
	v_mad_i32_i24 v19, v34, v61, v41
	v_add3_u32 v13, v16, v27, v13
	v_add3_u32 v12, v14, v17, v12
	v_cvt_f32_i32_e32 v14, v58
	v_fma_f32 v16, v25, v56, 0
	v_fmac_f32_e32 v15, v29, v57
	v_add3_u32 v13, v18, v19, v13
	v_cvt_f32_i32_e32 v12, v12
	v_cvt_f32_ubyte0_e32 v17, v24
	v_or_b32_e32 v18, v22, v62
	v_fmac_f32_e32 v16, v26, v14
	v_cvt_f32_i32_e32 v13, v13
	v_add_f32_e32 v12, v15, v12
	s_wait_loadcnt 0x0
	v_cvt_f32_f16_e32 v14, v20
	v_cvt_f32_ubyte0_e32 v15, v60
	v_cvt_f32_f16_e32 v18, v18
	v_add_f32_e32 v13, v16, v13
	v_mul_f32_e32 v12, v12, v17
	s_delay_alu instid0(VALU_DEP_3) | instskip(NEXT) | instid1(VALU_DEP_2)
	v_mul_f32_e32 v14, v14, v18
	v_fmac_f32_e32 v12, v13, v15
	s_delay_alu instid0(VALU_DEP_1)
	v_fmac_f32_e32 v4, v14, v12
	s_wait_alu 0xfffe
	s_and_not1_b32 exec_lo, exec_lo, s4
	s_cbranch_execnz .LBB76_3
; %bb.4:
	s_or_b32 exec_lo, exec_lo, s4
.LBB76_5:
	s_delay_alu instid0(SALU_CYCLE_1) | instskip(SKIP_1) | instid1(VALU_DEP_1)
	s_or_b32 exec_lo, exec_lo, s8
	v_mbcnt_lo_u32_b32 v2, -1, 0
	v_xor_b32_e32 v3, 16, v2
	v_xor_b32_e32 v5, 8, v2
	s_delay_alu instid0(VALU_DEP_2) | instskip(SKIP_2) | instid1(VALU_DEP_3)
	v_cmp_gt_i32_e32 vcc_lo, 32, v3
	s_wait_alu 0xfffd
	v_cndmask_b32_e32 v3, v2, v3, vcc_lo
	v_cmp_gt_i32_e32 vcc_lo, 32, v5
	s_delay_alu instid0(VALU_DEP_2)
	v_lshlrev_b32_e32 v3, 2, v3
	s_wait_alu 0xfffd
	v_cndmask_b32_e32 v5, v2, v5, vcc_lo
	ds_bpermute_b32 v3, v3, v4
	v_lshlrev_b32_e32 v5, 2, v5
	s_wait_dscnt 0x0
	v_add_f32_e32 v3, v4, v3
	ds_bpermute_b32 v4, v5, v3
	v_xor_b32_e32 v5, 4, v2
	s_delay_alu instid0(VALU_DEP_1) | instskip(SKIP_2) | instid1(VALU_DEP_1)
	v_cmp_gt_i32_e32 vcc_lo, 32, v5
	s_wait_alu 0xfffd
	v_cndmask_b32_e32 v5, v2, v5, vcc_lo
	v_lshlrev_b32_e32 v5, 2, v5
	s_wait_dscnt 0x0
	v_add_f32_e32 v3, v3, v4
	ds_bpermute_b32 v4, v5, v3
	v_xor_b32_e32 v5, 2, v2
	s_delay_alu instid0(VALU_DEP_1) | instskip(SKIP_2) | instid1(VALU_DEP_1)
	v_cmp_gt_i32_e32 vcc_lo, 32, v5
	s_wait_alu 0xfffd
	v_cndmask_b32_e32 v5, v2, v5, vcc_lo
	v_lshlrev_b32_e32 v5, 2, v5
	s_wait_dscnt 0x0
	v_add_f32_e32 v3, v3, v4
	ds_bpermute_b32 v4, v5, v3
	v_xor_b32_e32 v5, 1, v2
	s_delay_alu instid0(VALU_DEP_1) | instskip(SKIP_4) | instid1(VALU_DEP_2)
	v_cmp_gt_i32_e32 vcc_lo, 32, v5
	s_wait_alu 0xfffd
	v_cndmask_b32_e32 v5, v2, v5, vcc_lo
	v_cmp_eq_u32_e32 vcc_lo, 0, v0
	s_wait_dscnt 0x0
	v_dual_add_f32 v2, v3, v4 :: v_dual_lshlrev_b32 v3, 2, v5
	ds_bpermute_b32 v3, v3, v2
	s_and_b32 exec_lo, exec_lo, vcc_lo
	s_cbranch_execz .LBB76_7
; %bb.6:
	v_mad_co_u64_u32 v[0:1], null, s5, ttmp7, v[1:2]
	s_wait_dscnt 0x0
	v_dual_mov_b32 v1, 0 :: v_dual_add_f32 v2, v2, v3
	s_delay_alu instid0(VALU_DEP_1) | instskip(SKIP_1) | instid1(VALU_DEP_1)
	v_lshlrev_b64_e32 v[0:1], 2, v[0:1]
	s_wait_kmcnt 0x0
	v_add_co_u32 v0, vcc_lo, s6, v0
	s_wait_alu 0xfffd
	s_delay_alu instid0(VALU_DEP_2)
	v_add_co_ci_u32_e64 v1, null, s7, v1, vcc_lo
	global_store_b32 v[0:1], v2, off
.LBB76_7:
	s_endpgm
	.section	.rodata,"a",@progbits
	.p2align	6, 0x0
	.amdhsa_kernel _ZL13mul_mat_vec_qIfLi256ELi8E11block_iq1_mLi1EXadL_ZL18vec_dot_iq1_m_q8_1PKvPK10block_q8_1RKiEEEvS2_S2_PT_iii
		.amdhsa_group_segment_fixed_size 0
		.amdhsa_private_segment_fixed_size 0
		.amdhsa_kernarg_size 296
		.amdhsa_user_sgpr_count 2
		.amdhsa_user_sgpr_dispatch_ptr 0
		.amdhsa_user_sgpr_queue_ptr 0
		.amdhsa_user_sgpr_kernarg_segment_ptr 1
		.amdhsa_user_sgpr_dispatch_id 0
		.amdhsa_user_sgpr_private_segment_size 0
		.amdhsa_wavefront_size32 1
		.amdhsa_uses_dynamic_stack 0
		.amdhsa_enable_private_segment 0
		.amdhsa_system_sgpr_workgroup_id_x 1
		.amdhsa_system_sgpr_workgroup_id_y 1
		.amdhsa_system_sgpr_workgroup_id_z 0
		.amdhsa_system_sgpr_workgroup_info 0
		.amdhsa_system_vgpr_workitem_id 1
		.amdhsa_next_free_vgpr 83
		.amdhsa_next_free_sgpr 11
		.amdhsa_reserve_vcc 1
		.amdhsa_float_round_mode_32 0
		.amdhsa_float_round_mode_16_64 0
		.amdhsa_float_denorm_mode_32 3
		.amdhsa_float_denorm_mode_16_64 3
		.amdhsa_fp16_overflow 0
		.amdhsa_workgroup_processor_mode 1
		.amdhsa_memory_ordered 1
		.amdhsa_forward_progress 1
		.amdhsa_inst_pref_size 19
		.amdhsa_round_robin_scheduling 0
		.amdhsa_exception_fp_ieee_invalid_op 0
		.amdhsa_exception_fp_denorm_src 0
		.amdhsa_exception_fp_ieee_div_zero 0
		.amdhsa_exception_fp_ieee_overflow 0
		.amdhsa_exception_fp_ieee_underflow 0
		.amdhsa_exception_fp_ieee_inexact 0
		.amdhsa_exception_int_div_zero 0
	.end_amdhsa_kernel
	.section	.text._ZL13mul_mat_vec_qIfLi256ELi8E11block_iq1_mLi1EXadL_ZL18vec_dot_iq1_m_q8_1PKvPK10block_q8_1RKiEEEvS2_S2_PT_iii,"axG",@progbits,_ZL13mul_mat_vec_qIfLi256ELi8E11block_iq1_mLi1EXadL_ZL18vec_dot_iq1_m_q8_1PKvPK10block_q8_1RKiEEEvS2_S2_PT_iii,comdat
.Lfunc_end76:
	.size	_ZL13mul_mat_vec_qIfLi256ELi8E11block_iq1_mLi1EXadL_ZL18vec_dot_iq1_m_q8_1PKvPK10block_q8_1RKiEEEvS2_S2_PT_iii, .Lfunc_end76-_ZL13mul_mat_vec_qIfLi256ELi8E11block_iq1_mLi1EXadL_ZL18vec_dot_iq1_m_q8_1PKvPK10block_q8_1RKiEEEvS2_S2_PT_iii
                                        ; -- End function
	.set _ZL13mul_mat_vec_qIfLi256ELi8E11block_iq1_mLi1EXadL_ZL18vec_dot_iq1_m_q8_1PKvPK10block_q8_1RKiEEEvS2_S2_PT_iii.num_vgpr, 83
	.set _ZL13mul_mat_vec_qIfLi256ELi8E11block_iq1_mLi1EXadL_ZL18vec_dot_iq1_m_q8_1PKvPK10block_q8_1RKiEEEvS2_S2_PT_iii.num_agpr, 0
	.set _ZL13mul_mat_vec_qIfLi256ELi8E11block_iq1_mLi1EXadL_ZL18vec_dot_iq1_m_q8_1PKvPK10block_q8_1RKiEEEvS2_S2_PT_iii.numbered_sgpr, 11
	.set _ZL13mul_mat_vec_qIfLi256ELi8E11block_iq1_mLi1EXadL_ZL18vec_dot_iq1_m_q8_1PKvPK10block_q8_1RKiEEEvS2_S2_PT_iii.num_named_barrier, 0
	.set _ZL13mul_mat_vec_qIfLi256ELi8E11block_iq1_mLi1EXadL_ZL18vec_dot_iq1_m_q8_1PKvPK10block_q8_1RKiEEEvS2_S2_PT_iii.private_seg_size, 0
	.set _ZL13mul_mat_vec_qIfLi256ELi8E11block_iq1_mLi1EXadL_ZL18vec_dot_iq1_m_q8_1PKvPK10block_q8_1RKiEEEvS2_S2_PT_iii.uses_vcc, 1
	.set _ZL13mul_mat_vec_qIfLi256ELi8E11block_iq1_mLi1EXadL_ZL18vec_dot_iq1_m_q8_1PKvPK10block_q8_1RKiEEEvS2_S2_PT_iii.uses_flat_scratch, 0
	.set _ZL13mul_mat_vec_qIfLi256ELi8E11block_iq1_mLi1EXadL_ZL18vec_dot_iq1_m_q8_1PKvPK10block_q8_1RKiEEEvS2_S2_PT_iii.has_dyn_sized_stack, 0
	.set _ZL13mul_mat_vec_qIfLi256ELi8E11block_iq1_mLi1EXadL_ZL18vec_dot_iq1_m_q8_1PKvPK10block_q8_1RKiEEEvS2_S2_PT_iii.has_recursion, 0
	.set _ZL13mul_mat_vec_qIfLi256ELi8E11block_iq1_mLi1EXadL_ZL18vec_dot_iq1_m_q8_1PKvPK10block_q8_1RKiEEEvS2_S2_PT_iii.has_indirect_call, 0
	.section	.AMDGPU.csdata,"",@progbits
; Kernel info:
; codeLenInByte = 2308
; TotalNumSgprs: 13
; NumVgprs: 83
; ScratchSize: 0
; MemoryBound: 0
; FloatMode: 240
; IeeeMode: 1
; LDSByteSize: 0 bytes/workgroup (compile time only)
; SGPRBlocks: 0
; VGPRBlocks: 10
; NumSGPRsForWavesPerEU: 13
; NumVGPRsForWavesPerEU: 83
; Occupancy: 16
; WaveLimiterHint : 0
; COMPUTE_PGM_RSRC2:SCRATCH_EN: 0
; COMPUTE_PGM_RSRC2:USER_SGPR: 2
; COMPUTE_PGM_RSRC2:TRAP_HANDLER: 0
; COMPUTE_PGM_RSRC2:TGID_X_EN: 1
; COMPUTE_PGM_RSRC2:TGID_Y_EN: 1
; COMPUTE_PGM_RSRC2:TGID_Z_EN: 0
; COMPUTE_PGM_RSRC2:TIDIG_COMP_CNT: 1
	.section	.text._ZL13quantize_q8_1IN3c104HalfEEvPKT_Pvii,"axG",@progbits,_ZL13quantize_q8_1IN3c104HalfEEvPKT_Pvii,comdat
	.globl	_ZL13quantize_q8_1IN3c104HalfEEvPKT_Pvii ; -- Begin function _ZL13quantize_q8_1IN3c104HalfEEvPKT_Pvii
	.p2align	8
	.type	_ZL13quantize_q8_1IN3c104HalfEEvPKT_Pvii,@function
_ZL13quantize_q8_1IN3c104HalfEEvPKT_Pvii: ; @_ZL13quantize_q8_1IN3c104HalfEEvPKT_Pvii
; %bb.0:
	s_clause 0x1
	s_load_b32 s4, s[0:1], 0x24
	s_load_b64 s[2:3], s[0:1], 0x10
	v_and_b32_e32 v1, 0x3ff, v0
	s_wait_kmcnt 0x0
	s_and_b32 s4, s4, 0xffff
	s_delay_alu instid0(VALU_DEP_1) | instid1(SALU_CYCLE_1)
	v_mad_co_u64_u32 v[1:2], null, ttmp9, s4, v[1:2]
	s_mov_b32 s4, exec_lo
	v_cmpx_gt_u32_e64 s3, v1
	s_cbranch_execz .LBB77_7
; %bb.1:
	s_add_nc_u64 s[4:5], s[0:1], 24
	v_bfe_u32 v0, v0, 10, 10
	s_load_u16 s4, s[4:5], 0xe
	s_wait_kmcnt 0x0
	s_delay_alu instid0(VALU_DEP_1)
	v_mad_co_u64_u32 v[2:3], null, ttmp7, s4, v[0:1]
	v_dual_mov_b32 v3, 0 :: v_dual_mov_b32 v0, 0
	s_mov_b32 s4, exec_lo
	v_cmpx_gt_u32_e64 s2, v1
	s_cbranch_execz .LBB77_3
; %bb.2:
	s_load_b64 s[6:7], s[0:1], 0x0
	s_delay_alu instid0(VALU_DEP_3) | instskip(SKIP_1) | instid1(VALU_DEP_1)
	v_mad_co_u64_u32 v[4:5], null, v2, s2, v[1:2]
	v_mov_b32_e32 v5, 0
	v_lshlrev_b64_e32 v[4:5], 1, v[4:5]
	s_wait_kmcnt 0x0
	s_delay_alu instid0(VALU_DEP_1) | instskip(NEXT) | instid1(VALU_DEP_1)
	v_add_co_u32 v4, vcc_lo, s6, v4
	v_add_co_ci_u32_e64 v5, null, s7, v5, vcc_lo
	global_load_u16 v0, v[4:5], off
	s_wait_loadcnt 0x0
	v_cvt_f32_f16_e32 v0, v0
.LBB77_3:
	s_wait_alu 0xfffe
	s_or_b32 exec_lo, exec_lo, s4
	v_mbcnt_lo_u32_b32 v4, -1, 0
	s_delay_alu instid0(VALU_DEP_2)
	v_max_num_f32_e64 v8, |v0|, |v0|
	s_load_b64 s[0:1], s[0:1], 0x8
	s_mov_b32 s2, exec_lo
	v_and_b32_e32 v6, 0x7fffffff, v0
	v_xor_b32_e32 v5, 16, v4
	v_xor_b32_e32 v7, 8, v4
	;; [unrolled: 1-line block ×5, first 2 shown]
	v_cmp_gt_i32_e32 vcc_lo, 32, v5
	s_wait_alu 0xfffd
	v_cndmask_b32_e32 v5, v4, v5, vcc_lo
	v_cmp_gt_i32_e32 vcc_lo, 32, v7
	s_delay_alu instid0(VALU_DEP_2)
	v_lshlrev_b32_e32 v5, 2, v5
	ds_bpermute_b32 v6, v5, v6
	s_wait_dscnt 0x0
	v_max_num_f32_e32 v6, v6, v6
	ds_bpermute_b32 v5, v5, v0
	v_max_num_f32_e32 v6, v8, v6
	s_wait_alu 0xfffd
	v_cndmask_b32_e32 v7, v4, v7, vcc_lo
	v_cmp_gt_i32_e32 vcc_lo, 32, v9
	s_delay_alu instid0(VALU_DEP_2)
	v_lshlrev_b32_e32 v7, 2, v7
	s_wait_alu 0xfffd
	v_cndmask_b32_e32 v9, v4, v9, vcc_lo
	v_cmp_gt_i32_e32 vcc_lo, 32, v10
	s_wait_alu 0xfffd
	v_cndmask_b32_e32 v10, v4, v10, vcc_lo
	v_cmp_gt_i32_e32 vcc_lo, 32, v11
	s_wait_dscnt 0x0
	v_add_f32_e32 v5, v0, v5
	s_wait_alu 0xfffd
	v_cndmask_b32_e32 v4, v4, v11, vcc_lo
	s_delay_alu instid0(VALU_DEP_1)
	v_lshlrev_b32_e32 v11, 2, v4
	v_lshlrev_b32_e32 v10, 2, v10
	;; [unrolled: 1-line block ×3, first 2 shown]
	ds_bpermute_b32 v8, v7, v6
	s_wait_dscnt 0x0
	v_max_num_f32_e32 v8, v8, v8
	ds_bpermute_b32 v7, v7, v5
	v_max_num_f32_e32 v6, v6, v8
	ds_bpermute_b32 v8, v9, v6
	s_wait_dscnt 0x1
	v_add_f32_e32 v5, v5, v7
	ds_bpermute_b32 v7, v9, v5
	s_wait_dscnt 0x1
	v_max_num_f32_e32 v8, v8, v8
	s_delay_alu instid0(VALU_DEP_1) | instskip(SKIP_3) | instid1(VALU_DEP_1)
	v_max_num_f32_e32 v6, v6, v8
	ds_bpermute_b32 v8, v10, v6
	s_wait_dscnt 0x0
	v_max_num_f32_e32 v8, v8, v8
	v_max_num_f32_e32 v4, v6, v8
	ds_bpermute_b32 v6, v11, v4
	s_wait_dscnt 0x0
	v_max_num_f32_e32 v6, v6, v6
	s_delay_alu instid0(VALU_DEP_1) | instskip(SKIP_1) | instid1(VALU_DEP_2)
	v_max_num_f32_e32 v8, v4, v6
	v_add_f32_e32 v4, v5, v7
	v_div_scale_f32 v6, null, 0x42fe0000, 0x42fe0000, v8
	ds_bpermute_b32 v5, v10, v4
	v_div_scale_f32 v10, vcc_lo, v8, 0x42fe0000, v8
	v_rcp_f32_e32 v9, v6
	s_delay_alu instid0(TRANS32_DEP_1) | instskip(NEXT) | instid1(VALU_DEP_1)
	v_fma_f32 v7, -v6, v9, 1.0
	v_fmac_f32_e32 v9, v7, v9
	s_wait_dscnt 0x0
	v_add_f32_e32 v4, v4, v5
	s_delay_alu instid0(VALU_DEP_2) | instskip(SKIP_2) | instid1(VALU_DEP_1)
	v_mul_f32_e32 v7, v10, v9
	ds_bpermute_b32 v5, v11, v4
	v_fma_f32 v12, -v6, v7, v10
	v_fmac_f32_e32 v7, v12, v9
	s_delay_alu instid0(VALU_DEP_1) | instskip(SKIP_1) | instid1(VALU_DEP_1)
	v_fma_f32 v6, -v6, v7, v10
	s_wait_alu 0xfffd
	v_div_fmas_f32 v6, v6, v9, v7
	s_delay_alu instid0(VALU_DEP_1)
	v_div_fixup_f32 v6, v6, 0x42fe0000, v8
	v_cmpx_neq_f32_e32 0, v8
	s_cbranch_execz .LBB77_5
; %bb.4:
	s_delay_alu instid0(VALU_DEP_2) | instskip(SKIP_1) | instid1(VALU_DEP_2)
	v_div_scale_f32 v3, null, v6, v6, v0
	v_div_scale_f32 v9, vcc_lo, v0, v6, v0
	v_rcp_f32_e32 v7, v3
	s_delay_alu instid0(TRANS32_DEP_1) | instskip(NEXT) | instid1(VALU_DEP_1)
	v_fma_f32 v8, -v3, v7, 1.0
	v_fmac_f32_e32 v7, v8, v7
	s_delay_alu instid0(VALU_DEP_1) | instskip(NEXT) | instid1(VALU_DEP_1)
	v_mul_f32_e32 v8, v9, v7
	v_fma_f32 v10, -v3, v8, v9
	s_delay_alu instid0(VALU_DEP_1) | instskip(NEXT) | instid1(VALU_DEP_1)
	v_fmac_f32_e32 v8, v10, v7
	v_fma_f32 v3, -v3, v8, v9
	s_wait_alu 0xfffd
	s_delay_alu instid0(VALU_DEP_1) | instskip(NEXT) | instid1(VALU_DEP_1)
	v_div_fmas_f32 v3, v3, v7, v8
	v_div_fixup_f32 v0, v3, v6, v0
	s_delay_alu instid0(VALU_DEP_1) | instskip(NEXT) | instid1(VALU_DEP_1)
	v_trunc_f32_e32 v3, v0
	v_sub_f32_e32 v7, v0, v3
	s_delay_alu instid0(VALU_DEP_1) | instskip(SKIP_1) | instid1(VALU_DEP_1)
	v_cmp_ge_f32_e64 s4, |v7|, 0.5
	s_wait_alu 0xf1ff
	v_cndmask_b32_e64 v7, 0, 1.0, s4
	s_delay_alu instid0(VALU_DEP_1) | instskip(NEXT) | instid1(VALU_DEP_1)
	v_bfi_b32 v0, 0x7fffffff, v7, v0
	v_add_f32_e32 v0, v3, v0
	s_delay_alu instid0(VALU_DEP_1)
	v_cvt_i32_f32_e32 v3, v0
.LBB77_5:
	s_wait_alu 0xfffe
	s_or_b32 exec_lo, exec_lo, s2
	v_mad_co_u64_u32 v[0:1], null, v2, s3, v[1:2]
	s_delay_alu instid0(VALU_DEP_1) | instskip(NEXT) | instid1(VALU_DEP_1)
	v_ashrrev_i32_e32 v1, 31, v0
	v_lshrrev_b32_e32 v1, 27, v1
	s_delay_alu instid0(VALU_DEP_1) | instskip(NEXT) | instid1(VALU_DEP_1)
	v_add_nc_u32_e32 v1, v0, v1
	v_and_b32_e32 v2, 0xffffffe0, v1
	v_ashrrev_i32_e32 v1, 5, v1
	s_delay_alu instid0(VALU_DEP_2) | instskip(SKIP_1) | instid1(VALU_DEP_2)
	v_sub_nc_u32_e32 v2, v0, v2
	s_wait_kmcnt 0x0
	v_mad_co_i64_i32 v[0:1], null, v1, 36, s[0:1]
	s_delay_alu instid0(VALU_DEP_2) | instskip(NEXT) | instid1(VALU_DEP_2)
	v_ashrrev_i32_e32 v8, 31, v2
	v_add_co_u32 v7, vcc_lo, v0, v2
	s_wait_alu 0xfffd
	s_delay_alu instid0(VALU_DEP_2)
	v_add_co_ci_u32_e64 v8, null, v1, v8, vcc_lo
	v_cmp_gt_i32_e32 vcc_lo, 1, v2
	global_store_b8 v[7:8], v3, off offset:4
	s_and_b32 exec_lo, exec_lo, vcc_lo
	s_cbranch_execz .LBB77_7
; %bb.6:
	s_wait_dscnt 0x0
	v_add_f32_e32 v2, v4, v5
	v_cvt_f16_f32_e32 v3, v6
	s_delay_alu instid0(VALU_DEP_2) | instskip(NEXT) | instid1(VALU_DEP_1)
	v_cvt_f16_f32_e32 v2, v2
	v_pack_b32_f16 v2, v3, v2
	global_store_b32 v[0:1], v2, off
.LBB77_7:
	s_endpgm
	.section	.rodata,"a",@progbits
	.p2align	6, 0x0
	.amdhsa_kernel _ZL13quantize_q8_1IN3c104HalfEEvPKT_Pvii
		.amdhsa_group_segment_fixed_size 0
		.amdhsa_private_segment_fixed_size 0
		.amdhsa_kernarg_size 280
		.amdhsa_user_sgpr_count 2
		.amdhsa_user_sgpr_dispatch_ptr 0
		.amdhsa_user_sgpr_queue_ptr 0
		.amdhsa_user_sgpr_kernarg_segment_ptr 1
		.amdhsa_user_sgpr_dispatch_id 0
		.amdhsa_user_sgpr_private_segment_size 0
		.amdhsa_wavefront_size32 1
		.amdhsa_uses_dynamic_stack 0
		.amdhsa_enable_private_segment 0
		.amdhsa_system_sgpr_workgroup_id_x 1
		.amdhsa_system_sgpr_workgroup_id_y 1
		.amdhsa_system_sgpr_workgroup_id_z 0
		.amdhsa_system_sgpr_workgroup_info 0
		.amdhsa_system_vgpr_workitem_id 1
		.amdhsa_next_free_vgpr 13
		.amdhsa_next_free_sgpr 8
		.amdhsa_reserve_vcc 1
		.amdhsa_float_round_mode_32 0
		.amdhsa_float_round_mode_16_64 0
		.amdhsa_float_denorm_mode_32 3
		.amdhsa_float_denorm_mode_16_64 3
		.amdhsa_fp16_overflow 0
		.amdhsa_workgroup_processor_mode 1
		.amdhsa_memory_ordered 1
		.amdhsa_forward_progress 1
		.amdhsa_inst_pref_size 8
		.amdhsa_round_robin_scheduling 0
		.amdhsa_exception_fp_ieee_invalid_op 0
		.amdhsa_exception_fp_denorm_src 0
		.amdhsa_exception_fp_ieee_div_zero 0
		.amdhsa_exception_fp_ieee_overflow 0
		.amdhsa_exception_fp_ieee_underflow 0
		.amdhsa_exception_fp_ieee_inexact 0
		.amdhsa_exception_int_div_zero 0
	.end_amdhsa_kernel
	.section	.text._ZL13quantize_q8_1IN3c104HalfEEvPKT_Pvii,"axG",@progbits,_ZL13quantize_q8_1IN3c104HalfEEvPKT_Pvii,comdat
.Lfunc_end77:
	.size	_ZL13quantize_q8_1IN3c104HalfEEvPKT_Pvii, .Lfunc_end77-_ZL13quantize_q8_1IN3c104HalfEEvPKT_Pvii
                                        ; -- End function
	.set _ZL13quantize_q8_1IN3c104HalfEEvPKT_Pvii.num_vgpr, 13
	.set _ZL13quantize_q8_1IN3c104HalfEEvPKT_Pvii.num_agpr, 0
	.set _ZL13quantize_q8_1IN3c104HalfEEvPKT_Pvii.numbered_sgpr, 8
	.set _ZL13quantize_q8_1IN3c104HalfEEvPKT_Pvii.num_named_barrier, 0
	.set _ZL13quantize_q8_1IN3c104HalfEEvPKT_Pvii.private_seg_size, 0
	.set _ZL13quantize_q8_1IN3c104HalfEEvPKT_Pvii.uses_vcc, 1
	.set _ZL13quantize_q8_1IN3c104HalfEEvPKT_Pvii.uses_flat_scratch, 0
	.set _ZL13quantize_q8_1IN3c104HalfEEvPKT_Pvii.has_dyn_sized_stack, 0
	.set _ZL13quantize_q8_1IN3c104HalfEEvPKT_Pvii.has_recursion, 0
	.set _ZL13quantize_q8_1IN3c104HalfEEvPKT_Pvii.has_indirect_call, 0
	.section	.AMDGPU.csdata,"",@progbits
; Kernel info:
; codeLenInByte = 976
; TotalNumSgprs: 10
; NumVgprs: 13
; ScratchSize: 0
; MemoryBound: 0
; FloatMode: 240
; IeeeMode: 1
; LDSByteSize: 0 bytes/workgroup (compile time only)
; SGPRBlocks: 0
; VGPRBlocks: 1
; NumSGPRsForWavesPerEU: 10
; NumVGPRsForWavesPerEU: 13
; Occupancy: 16
; WaveLimiterHint : 0
; COMPUTE_PGM_RSRC2:SCRATCH_EN: 0
; COMPUTE_PGM_RSRC2:USER_SGPR: 2
; COMPUTE_PGM_RSRC2:TRAP_HANDLER: 0
; COMPUTE_PGM_RSRC2:TGID_X_EN: 1
; COMPUTE_PGM_RSRC2:TGID_Y_EN: 1
; COMPUTE_PGM_RSRC2:TGID_Z_EN: 0
; COMPUTE_PGM_RSRC2:TIDIG_COMP_CNT: 1
	.section	.text._ZL13mul_mat_vec_qIN3c104HalfELi32ELi4E10block_q4_0Li2EXadL_ZL17vec_dot_q4_0_q8_1PKvPK10block_q8_1RKiEEEvS4_S4_PT_iii,"axG",@progbits,_ZL13mul_mat_vec_qIN3c104HalfELi32ELi4E10block_q4_0Li2EXadL_ZL17vec_dot_q4_0_q8_1PKvPK10block_q8_1RKiEEEvS4_S4_PT_iii,comdat
	.globl	_ZL13mul_mat_vec_qIN3c104HalfELi32ELi4E10block_q4_0Li2EXadL_ZL17vec_dot_q4_0_q8_1PKvPK10block_q8_1RKiEEEvS4_S4_PT_iii ; -- Begin function _ZL13mul_mat_vec_qIN3c104HalfELi32ELi4E10block_q4_0Li2EXadL_ZL17vec_dot_q4_0_q8_1PKvPK10block_q8_1RKiEEEvS4_S4_PT_iii
	.p2align	8
	.type	_ZL13mul_mat_vec_qIN3c104HalfELi32ELi4E10block_q4_0Li2EXadL_ZL17vec_dot_q4_0_q8_1PKvPK10block_q8_1RKiEEEvS4_S4_PT_iii,@function
_ZL13mul_mat_vec_qIN3c104HalfELi32ELi4E10block_q4_0Li2EXadL_ZL17vec_dot_q4_0_q8_1PKvPK10block_q8_1RKiEEEvS4_S4_PT_iii: ; @_ZL13mul_mat_vec_qIN3c104HalfELi32ELi4E10block_q4_0Li2EXadL_ZL17vec_dot_q4_0_q8_1PKvPK10block_q8_1RKiEEEvS4_S4_PT_iii
; %bb.0:
	s_clause 0x1
	s_load_u16 s2, s[0:1], 0x36
	s_load_b96 s[4:6], s[0:1], 0x18
	v_bfe_u32 v1, v0, 10, 10
	s_wait_kmcnt 0x0
	s_delay_alu instid0(VALU_DEP_1)
	v_mad_co_u64_u32 v[1:2], null, ttmp9, s2, v[1:2]
	s_cmp_lt_u32 ttmp7, s6
	s_cselect_b32 s2, -1, 0
	v_cmp_gt_u32_e32 vcc_lo, s5, v1
	s_wait_alu 0xfffe
	s_and_b32 s2, s2, vcc_lo
	s_wait_alu 0xfffe
	s_and_saveexec_b32 s3, s2
	s_cbranch_execz .LBB78_7
; %bb.1:
	s_load_b64 s[6:7], s[0:1], 0x10
	s_ashr_i32 s2, s4, 31
	v_bfe_u32 v3, v0, 1, 9
	s_wait_alu 0xfffe
	s_lshr_b32 s2, s2, 27
	v_and_b32_e32 v0, 0x3ff, v0
	v_mov_b32_e32 v2, 0
	s_wait_alu 0xfffe
	s_add_co_i32 s2, s4, s2
	s_mov_b32 s8, exec_lo
	s_wait_alu 0xfffe
	s_ashr_i32 s9, s2, 5
	s_delay_alu instid0(SALU_CYCLE_1)
	v_cmpx_gt_u32_e64 s9, v3
	s_cbranch_execz .LBB78_5
; %bb.2:
	s_load_b128 s[0:3], s[0:1], 0x0
	s_addk_co_i32 s4, 0x1ff
	v_lshlrev_b32_e32 v2, 3, v0
	s_wait_alu 0xfffe
	s_ashr_i32 s10, s4, 31
	v_mul_lo_u32 v4, v1, s9
	s_lshr_b32 s10, s10, 23
	s_delay_alu instid0(SALU_CYCLE_1)
	s_add_co_i32 s4, s4, s10
	v_dual_mov_b32 v2, 0 :: v_dual_and_b32 v5, 8, v2
	s_wait_alu 0xfffe
	s_ashr_i32 s4, s4, 9
	s_mov_b32 s10, 0
	s_wait_alu 0xfffe
	s_mul_i32 s4, ttmp7, s4
	s_wait_alu 0xfffe
	s_lshl_b32 s4, s4, 4
.LBB78_3:                               ; =>This Inner Loop Header: Depth=1
	v_add_nc_u32_e32 v6, v4, v3
	s_wait_alu 0xfffe
	v_add_nc_u32_e32 v8, s4, v3
	v_add_nc_u32_e32 v3, 16, v3
	s_wait_kmcnt 0x0
	v_mad_co_i64_i32 v[6:7], null, v6, 18, s[0:1]
	s_delay_alu instid0(VALU_DEP_3) | instskip(NEXT) | instid1(VALU_DEP_2)
	v_mad_co_i64_i32 v[8:9], null, v8, 36, s[2:3]
	v_add_co_u32 v10, vcc_lo, v6, v5
	s_wait_alu 0xfffd
	s_delay_alu instid0(VALU_DEP_3) | instskip(NEXT) | instid1(VALU_DEP_3)
	v_add_co_ci_u32_e64 v11, null, 0, v7, vcc_lo
	v_add_co_u32 v12, vcc_lo, v8, v5
	s_wait_alu 0xfffd
	s_delay_alu instid0(VALU_DEP_4)
	v_add_co_ci_u32_e64 v13, null, 0, v9, vcc_lo
	global_load_b64 v[10:11], v[10:11], off offset:2
	s_clause 0x2
	global_load_b64 v[14:15], v[12:13], off offset:4
	global_load_b64 v[12:13], v[12:13], off offset:20
	global_load_b32 v8, v[8:9], off
	global_load_u16 v6, v[6:7], off
	v_cmp_le_u32_e32 vcc_lo, s9, v3
	s_or_b32 s10, vcc_lo, s10
	s_wait_loadcnt 0x4
	v_lshrrev_b32_e32 v18, 4, v10
	v_bfe_u32 v16, v10, 24, 4
	s_wait_loadcnt 0x2
	v_lshrrev_b16 v9, 8, v12
	v_and_b32_e32 v17, 0xf0f0f0f, v10
	v_lshrrev_b32_e32 v19, 28, v10
	v_bfe_u32 v20, v10, 16, 4
	v_and_b32_e32 v21, 15, v10
	v_bfe_u32 v24, v10, 20, 4
	v_bfe_u32 v10, v10, 4, 4
	v_ashrrev_i32_e32 v25, 24, v12
	v_bfe_i32 v26, v12, 16, 8
	v_bfe_i32 v12, v12, 0, 8
	v_and_b32_e32 v28, 0xf0f0f0f, v11
	v_lshrrev_b32_e32 v29, 4, v11
	v_lshrrev_b16 v18, 8, v18
	v_lshrrev_b16 v7, 8, v14
	;; [unrolled: 1-line block ×3, first 2 shown]
	v_mul_i32_i24_e32 v10, v10, v12
	v_mul_i32_i24_e32 v12, v24, v26
	;; [unrolled: 1-line block ×3, first 2 shown]
	v_lshrrev_b16 v24, 8, v28
	v_lshrrev_b16 v25, 8, v29
	v_and_b32_e32 v18, 15, v18
	v_bfe_i32 v22, v14, 16, 8
	v_bfe_i32 v23, v14, 0, 8
	v_ashrrev_i32_e32 v14, 24, v14
	v_bfe_u32 v27, v11, 24, 4
	v_lshrrev_b32_e32 v30, 28, v11
	v_ashrrev_i32_e32 v33, 24, v15
	v_bfe_i32 v35, v15, 8, 8
	v_ashrrev_i32_e32 v37, 24, v13
	v_bfe_i32 v7, v7, 0, 8
	v_bfe_i32 v9, v9, 0, 8
	v_and_b32_e32 v17, 0xffff, v17
	v_and_b32_e32 v24, 0xffff, v24
	;; [unrolled: 1-line block ×4, first 2 shown]
	v_bfe_u32 v31, v11, 16, 4
	v_and_b32_e32 v32, 15, v11
	v_bfe_i32 v34, v15, 16, 8
	v_bfe_i32 v15, v15, 0, 8
	v_bfe_u32 v36, v11, 20, 4
	v_bfe_u32 v11, v11, 4, 4
	v_bfe_i32 v38, v13, 16, 8
	v_bfe_i32 v39, v13, 8, 8
	;; [unrolled: 1-line block ×3, first 2 shown]
	v_mul_i32_i24_e32 v27, v33, v27
	v_mul_i32_i24_e32 v28, v37, v30
	v_mad_i32_i24 v14, v16, v14, v19
	v_mul_i32_i24_e32 v7, v17, v7
	v_mul_i32_i24_e32 v16, v35, v24
	v_and_b32_e32 v17, 0xffff, v25
	v_mul_i32_i24_e32 v9, v18, v9
	v_mul_i32_i24_e32 v15, v15, v32
	;; [unrolled: 1-line block ×5, first 2 shown]
	v_mad_i32_i24 v10, v21, v23, v10
	v_mad_i32_i24 v12, v20, v22, v12
	v_add3_u32 v14, v14, v27, v28
	v_mul_i32_i24_e32 v17, v39, v17
	v_add3_u32 v7, v7, v9, v16
	s_wait_loadcnt 0x1
	v_lshrrev_b32_e32 v9, 16, v8
	v_add3_u32 v12, v12, v26, v13
	v_add3_u32 v10, v10, v15, v11
	;; [unrolled: 1-line block ×3, first 2 shown]
	s_delay_alu instid0(VALU_DEP_4) | instskip(NEXT) | instid1(VALU_DEP_2)
	v_cvt_f32_f16_e32 v9, v9
	v_add3_u32 v7, v10, v12, v7
	s_delay_alu instid0(VALU_DEP_2) | instskip(NEXT) | instid1(VALU_DEP_2)
	v_mul_f32_e32 v9, -4.0, v9
	v_cvt_f32_i32_e32 v7, v7
	s_delay_alu instid0(VALU_DEP_1) | instskip(SKIP_1) | instid1(VALU_DEP_1)
	v_fma_mix_f32 v7, v8, v7, v9 op_sel_hi:[1,0,0]
	s_wait_loadcnt 0x0
	v_fma_mix_f32 v2, v7, v6, v2 op_sel_hi:[0,1,0]
	s_and_not1_b32 exec_lo, exec_lo, s10
	s_cbranch_execnz .LBB78_3
; %bb.4:
	s_or_b32 exec_lo, exec_lo, s10
.LBB78_5:
	s_delay_alu instid0(SALU_CYCLE_1) | instskip(SKIP_1) | instid1(VALU_DEP_1)
	s_or_b32 exec_lo, exec_lo, s8
	v_mbcnt_lo_u32_b32 v3, -1, 0
	v_xor_b32_e32 v4, 16, v3
	v_xor_b32_e32 v5, 8, v3
	s_delay_alu instid0(VALU_DEP_2) | instskip(SKIP_2) | instid1(VALU_DEP_3)
	v_cmp_gt_i32_e32 vcc_lo, 32, v4
	s_wait_alu 0xfffd
	v_cndmask_b32_e32 v4, v3, v4, vcc_lo
	v_cmp_gt_i32_e32 vcc_lo, 32, v5
	s_wait_alu 0xfffd
	v_cndmask_b32_e32 v5, v3, v5, vcc_lo
	s_delay_alu instid0(VALU_DEP_1)
	v_lshlrev_b32_e32 v5, 2, v5
	v_lshlrev_b32_e32 v4, 2, v4
	ds_bpermute_b32 v4, v4, v2
	s_wait_dscnt 0x0
	v_add_f32_e32 v2, v2, v4
	ds_bpermute_b32 v4, v5, v2
	v_xor_b32_e32 v5, 4, v3
	s_delay_alu instid0(VALU_DEP_1) | instskip(SKIP_3) | instid1(VALU_DEP_1)
	v_cmp_gt_i32_e32 vcc_lo, 32, v5
	s_wait_alu 0xfffd
	v_cndmask_b32_e32 v5, v3, v5, vcc_lo
	s_wait_dscnt 0x0
	v_dual_add_f32 v2, v2, v4 :: v_dual_lshlrev_b32 v5, 2, v5
	ds_bpermute_b32 v4, v5, v2
	v_xor_b32_e32 v5, 2, v3
	s_delay_alu instid0(VALU_DEP_1) | instskip(SKIP_3) | instid1(VALU_DEP_1)
	v_cmp_gt_i32_e32 vcc_lo, 32, v5
	s_wait_dscnt 0x0
	s_wait_alu 0xfffd
	v_dual_cndmask_b32 v5, v3, v5 :: v_dual_add_f32 v2, v2, v4
	v_lshlrev_b32_e32 v5, 2, v5
	ds_bpermute_b32 v4, v5, v2
	v_xor_b32_e32 v5, 1, v3
	s_delay_alu instid0(VALU_DEP_1) | instskip(SKIP_4) | instid1(VALU_DEP_2)
	v_cmp_gt_i32_e32 vcc_lo, 32, v5
	s_wait_alu 0xfffd
	v_cndmask_b32_e32 v3, v3, v5, vcc_lo
	v_cmp_eq_u32_e32 vcc_lo, 0, v0
	s_wait_dscnt 0x0
	v_dual_add_f32 v2, v2, v4 :: v_dual_lshlrev_b32 v3, 2, v3
	ds_bpermute_b32 v3, v3, v2
	s_and_b32 exec_lo, exec_lo, vcc_lo
	s_cbranch_execz .LBB78_7
; %bb.6:
	v_mad_co_u64_u32 v[0:1], null, s5, ttmp7, v[1:2]
	s_wait_dscnt 0x0
	v_dual_mov_b32 v1, 0 :: v_dual_add_f32 v2, v2, v3
	s_delay_alu instid0(VALU_DEP_1) | instskip(NEXT) | instid1(VALU_DEP_2)
	v_cvt_f16_f32_e32 v2, v2
	v_lshlrev_b64_e32 v[0:1], 1, v[0:1]
	s_wait_kmcnt 0x0
	s_delay_alu instid0(VALU_DEP_1) | instskip(SKIP_1) | instid1(VALU_DEP_2)
	v_add_co_u32 v0, vcc_lo, s6, v0
	s_wait_alu 0xfffd
	v_add_co_ci_u32_e64 v1, null, s7, v1, vcc_lo
	global_store_b16 v[0:1], v2, off
.LBB78_7:
	s_endpgm
	.section	.rodata,"a",@progbits
	.p2align	6, 0x0
	.amdhsa_kernel _ZL13mul_mat_vec_qIN3c104HalfELi32ELi4E10block_q4_0Li2EXadL_ZL17vec_dot_q4_0_q8_1PKvPK10block_q8_1RKiEEEvS4_S4_PT_iii
		.amdhsa_group_segment_fixed_size 0
		.amdhsa_private_segment_fixed_size 0
		.amdhsa_kernarg_size 296
		.amdhsa_user_sgpr_count 2
		.amdhsa_user_sgpr_dispatch_ptr 0
		.amdhsa_user_sgpr_queue_ptr 0
		.amdhsa_user_sgpr_kernarg_segment_ptr 1
		.amdhsa_user_sgpr_dispatch_id 0
		.amdhsa_user_sgpr_private_segment_size 0
		.amdhsa_wavefront_size32 1
		.amdhsa_uses_dynamic_stack 0
		.amdhsa_enable_private_segment 0
		.amdhsa_system_sgpr_workgroup_id_x 1
		.amdhsa_system_sgpr_workgroup_id_y 1
		.amdhsa_system_sgpr_workgroup_id_z 0
		.amdhsa_system_sgpr_workgroup_info 0
		.amdhsa_system_vgpr_workitem_id 1
		.amdhsa_next_free_vgpr 40
		.amdhsa_next_free_sgpr 11
		.amdhsa_reserve_vcc 1
		.amdhsa_float_round_mode_32 0
		.amdhsa_float_round_mode_16_64 0
		.amdhsa_float_denorm_mode_32 3
		.amdhsa_float_denorm_mode_16_64 3
		.amdhsa_fp16_overflow 0
		.amdhsa_workgroup_processor_mode 1
		.amdhsa_memory_ordered 1
		.amdhsa_forward_progress 1
		.amdhsa_inst_pref_size 10
		.amdhsa_round_robin_scheduling 0
		.amdhsa_exception_fp_ieee_invalid_op 0
		.amdhsa_exception_fp_denorm_src 0
		.amdhsa_exception_fp_ieee_div_zero 0
		.amdhsa_exception_fp_ieee_overflow 0
		.amdhsa_exception_fp_ieee_underflow 0
		.amdhsa_exception_fp_ieee_inexact 0
		.amdhsa_exception_int_div_zero 0
	.end_amdhsa_kernel
	.section	.text._ZL13mul_mat_vec_qIN3c104HalfELi32ELi4E10block_q4_0Li2EXadL_ZL17vec_dot_q4_0_q8_1PKvPK10block_q8_1RKiEEEvS4_S4_PT_iii,"axG",@progbits,_ZL13mul_mat_vec_qIN3c104HalfELi32ELi4E10block_q4_0Li2EXadL_ZL17vec_dot_q4_0_q8_1PKvPK10block_q8_1RKiEEEvS4_S4_PT_iii,comdat
.Lfunc_end78:
	.size	_ZL13mul_mat_vec_qIN3c104HalfELi32ELi4E10block_q4_0Li2EXadL_ZL17vec_dot_q4_0_q8_1PKvPK10block_q8_1RKiEEEvS4_S4_PT_iii, .Lfunc_end78-_ZL13mul_mat_vec_qIN3c104HalfELi32ELi4E10block_q4_0Li2EXadL_ZL17vec_dot_q4_0_q8_1PKvPK10block_q8_1RKiEEEvS4_S4_PT_iii
                                        ; -- End function
	.set _ZL13mul_mat_vec_qIN3c104HalfELi32ELi4E10block_q4_0Li2EXadL_ZL17vec_dot_q4_0_q8_1PKvPK10block_q8_1RKiEEEvS4_S4_PT_iii.num_vgpr, 40
	.set _ZL13mul_mat_vec_qIN3c104HalfELi32ELi4E10block_q4_0Li2EXadL_ZL17vec_dot_q4_0_q8_1PKvPK10block_q8_1RKiEEEvS4_S4_PT_iii.num_agpr, 0
	.set _ZL13mul_mat_vec_qIN3c104HalfELi32ELi4E10block_q4_0Li2EXadL_ZL17vec_dot_q4_0_q8_1PKvPK10block_q8_1RKiEEEvS4_S4_PT_iii.numbered_sgpr, 11
	.set _ZL13mul_mat_vec_qIN3c104HalfELi32ELi4E10block_q4_0Li2EXadL_ZL17vec_dot_q4_0_q8_1PKvPK10block_q8_1RKiEEEvS4_S4_PT_iii.num_named_barrier, 0
	.set _ZL13mul_mat_vec_qIN3c104HalfELi32ELi4E10block_q4_0Li2EXadL_ZL17vec_dot_q4_0_q8_1PKvPK10block_q8_1RKiEEEvS4_S4_PT_iii.private_seg_size, 0
	.set _ZL13mul_mat_vec_qIN3c104HalfELi32ELi4E10block_q4_0Li2EXadL_ZL17vec_dot_q4_0_q8_1PKvPK10block_q8_1RKiEEEvS4_S4_PT_iii.uses_vcc, 1
	.set _ZL13mul_mat_vec_qIN3c104HalfELi32ELi4E10block_q4_0Li2EXadL_ZL17vec_dot_q4_0_q8_1PKvPK10block_q8_1RKiEEEvS4_S4_PT_iii.uses_flat_scratch, 0
	.set _ZL13mul_mat_vec_qIN3c104HalfELi32ELi4E10block_q4_0Li2EXadL_ZL17vec_dot_q4_0_q8_1PKvPK10block_q8_1RKiEEEvS4_S4_PT_iii.has_dyn_sized_stack, 0
	.set _ZL13mul_mat_vec_qIN3c104HalfELi32ELi4E10block_q4_0Li2EXadL_ZL17vec_dot_q4_0_q8_1PKvPK10block_q8_1RKiEEEvS4_S4_PT_iii.has_recursion, 0
	.set _ZL13mul_mat_vec_qIN3c104HalfELi32ELi4E10block_q4_0Li2EXadL_ZL17vec_dot_q4_0_q8_1PKvPK10block_q8_1RKiEEEvS4_S4_PT_iii.has_indirect_call, 0
	.section	.AMDGPU.csdata,"",@progbits
; Kernel info:
; codeLenInByte = 1188
; TotalNumSgprs: 13
; NumVgprs: 40
; ScratchSize: 0
; MemoryBound: 0
; FloatMode: 240
; IeeeMode: 1
; LDSByteSize: 0 bytes/workgroup (compile time only)
; SGPRBlocks: 0
; VGPRBlocks: 4
; NumSGPRsForWavesPerEU: 13
; NumVGPRsForWavesPerEU: 40
; Occupancy: 16
; WaveLimiterHint : 0
; COMPUTE_PGM_RSRC2:SCRATCH_EN: 0
; COMPUTE_PGM_RSRC2:USER_SGPR: 2
; COMPUTE_PGM_RSRC2:TRAP_HANDLER: 0
; COMPUTE_PGM_RSRC2:TGID_X_EN: 1
; COMPUTE_PGM_RSRC2:TGID_Y_EN: 1
; COMPUTE_PGM_RSRC2:TGID_Z_EN: 0
; COMPUTE_PGM_RSRC2:TIDIG_COMP_CNT: 1
	.section	.text._ZL13mul_mat_vec_qIN3c104HalfELi32ELi4E10block_q4_1Li2EXadL_ZL17vec_dot_q4_1_q8_1PKvPK10block_q8_1RKiEEEvS4_S4_PT_iii,"axG",@progbits,_ZL13mul_mat_vec_qIN3c104HalfELi32ELi4E10block_q4_1Li2EXadL_ZL17vec_dot_q4_1_q8_1PKvPK10block_q8_1RKiEEEvS4_S4_PT_iii,comdat
	.globl	_ZL13mul_mat_vec_qIN3c104HalfELi32ELi4E10block_q4_1Li2EXadL_ZL17vec_dot_q4_1_q8_1PKvPK10block_q8_1RKiEEEvS4_S4_PT_iii ; -- Begin function _ZL13mul_mat_vec_qIN3c104HalfELi32ELi4E10block_q4_1Li2EXadL_ZL17vec_dot_q4_1_q8_1PKvPK10block_q8_1RKiEEEvS4_S4_PT_iii
	.p2align	8
	.type	_ZL13mul_mat_vec_qIN3c104HalfELi32ELi4E10block_q4_1Li2EXadL_ZL17vec_dot_q4_1_q8_1PKvPK10block_q8_1RKiEEEvS4_S4_PT_iii,@function
_ZL13mul_mat_vec_qIN3c104HalfELi32ELi4E10block_q4_1Li2EXadL_ZL17vec_dot_q4_1_q8_1PKvPK10block_q8_1RKiEEEvS4_S4_PT_iii: ; @_ZL13mul_mat_vec_qIN3c104HalfELi32ELi4E10block_q4_1Li2EXadL_ZL17vec_dot_q4_1_q8_1PKvPK10block_q8_1RKiEEEvS4_S4_PT_iii
; %bb.0:
	s_clause 0x1
	s_load_u16 s2, s[0:1], 0x36
	s_load_b96 s[4:6], s[0:1], 0x18
	v_bfe_u32 v1, v0, 10, 10
	s_wait_kmcnt 0x0
	s_delay_alu instid0(VALU_DEP_1)
	v_mad_co_u64_u32 v[1:2], null, ttmp9, s2, v[1:2]
	s_cmp_lt_u32 ttmp7, s6
	s_cselect_b32 s2, -1, 0
	v_cmp_gt_u32_e32 vcc_lo, s5, v1
	s_wait_alu 0xfffe
	s_and_b32 s2, s2, vcc_lo
	s_wait_alu 0xfffe
	s_and_saveexec_b32 s3, s2
	s_cbranch_execz .LBB79_7
; %bb.1:
	s_load_b64 s[6:7], s[0:1], 0x10
	s_ashr_i32 s2, s4, 31
	v_bfe_u32 v3, v0, 1, 9
	s_wait_alu 0xfffe
	s_lshr_b32 s2, s2, 27
	v_and_b32_e32 v0, 0x3ff, v0
	v_mov_b32_e32 v2, 0
	s_wait_alu 0xfffe
	s_add_co_i32 s2, s4, s2
	s_mov_b32 s8, exec_lo
	s_wait_alu 0xfffe
	s_ashr_i32 s9, s2, 5
	s_delay_alu instid0(SALU_CYCLE_1)
	v_cmpx_gt_u32_e64 s9, v3
	s_cbranch_execz .LBB79_5
; %bb.2:
	s_load_b128 s[0:3], s[0:1], 0x0
	s_addk_co_i32 s4, 0x1ff
	v_lshlrev_b32_e32 v2, 3, v0
	s_wait_alu 0xfffe
	s_ashr_i32 s10, s4, 31
	v_mul_lo_u32 v4, v1, s9
	s_lshr_b32 s10, s10, 23
	s_delay_alu instid0(SALU_CYCLE_1)
	s_add_co_i32 s4, s4, s10
	v_dual_mov_b32 v2, 0 :: v_dual_and_b32 v5, 8, v2
	s_wait_alu 0xfffe
	s_ashr_i32 s4, s4, 9
	s_mov_b32 s10, 0
	s_wait_alu 0xfffe
	s_mul_i32 s4, ttmp7, s4
	s_wait_alu 0xfffe
	s_lshl_b32 s4, s4, 4
.LBB79_3:                               ; =>This Inner Loop Header: Depth=1
	v_add_nc_u32_e32 v6, v4, v3
	s_wait_alu 0xfffe
	v_add_nc_u32_e32 v8, s4, v3
	v_add_nc_u32_e32 v3, 16, v3
	s_wait_kmcnt 0x0
	v_mad_co_i64_i32 v[6:7], null, v6, 20, s[0:1]
	s_delay_alu instid0(VALU_DEP_3) | instskip(NEXT) | instid1(VALU_DEP_2)
	v_mad_co_i64_i32 v[8:9], null, v8, 36, s[2:3]
	v_add_co_u32 v10, vcc_lo, v6, v5
	s_wait_alu 0xfffd
	s_delay_alu instid0(VALU_DEP_3) | instskip(NEXT) | instid1(VALU_DEP_3)
	v_add_co_ci_u32_e64 v11, null, 0, v7, vcc_lo
	v_add_co_u32 v12, vcc_lo, v8, v5
	s_wait_alu 0xfffd
	s_delay_alu instid0(VALU_DEP_4)
	v_add_co_ci_u32_e64 v13, null, 0, v9, vcc_lo
	s_clause 0x1
	global_load_b32 v14, v[6:7], off
	global_load_b64 v[6:7], v[10:11], off offset:4
	s_clause 0x2
	global_load_b64 v[10:11], v[12:13], off offset:4
	global_load_b64 v[12:13], v[12:13], off offset:20
	global_load_b32 v8, v[8:9], off
	v_cmp_le_u32_e32 vcc_lo, s9, v3
	s_or_b32 s10, vcc_lo, s10
	s_wait_loadcnt 0x3
	v_lshrrev_b32_e32 v17, 4, v6
	v_bfe_u32 v15, v6, 24, 4
	v_and_b32_e32 v16, 0xf0f0f0f, v6
	s_wait_loadcnt 0x0
	v_pk_mul_f16 v8, v14, v8
	v_lshrrev_b16 v14, 8, v12
	v_lshrrev_b32_e32 v18, 28, v6
	v_bfe_u32 v19, v6, 16, 4
	v_and_b32_e32 v20, 15, v6
	v_bfe_u32 v23, v6, 20, 4
	v_bfe_u32 v6, v6, 4, 4
	v_ashrrev_i32_e32 v24, 24, v12
	v_bfe_i32 v25, v12, 16, 8
	v_bfe_i32 v12, v12, 0, 8
	v_and_b32_e32 v27, 0xf0f0f0f, v7
	v_lshrrev_b32_e32 v28, 4, v7
	v_lshrrev_b16 v17, 8, v17
	v_lshrrev_b16 v9, 8, v10
	v_lshrrev_b16 v16, 8, v16
	v_mul_i32_i24_e32 v6, v6, v12
	v_mul_i32_i24_e32 v12, v23, v25
	;; [unrolled: 1-line block ×3, first 2 shown]
	v_lshrrev_b16 v23, 8, v27
	v_lshrrev_b16 v24, 8, v28
	v_and_b32_e32 v17, 15, v17
	v_bfe_i32 v21, v10, 16, 8
	v_bfe_i32 v22, v10, 0, 8
	v_ashrrev_i32_e32 v10, 24, v10
	v_bfe_u32 v26, v7, 24, 4
	v_lshrrev_b32_e32 v29, 28, v7
	v_ashrrev_i32_e32 v32, 24, v11
	v_bfe_i32 v34, v11, 8, 8
	v_ashrrev_i32_e32 v36, 24, v13
	v_bfe_i32 v9, v9, 0, 8
	v_bfe_i32 v14, v14, 0, 8
	v_and_b32_e32 v16, 0xffff, v16
	v_and_b32_e32 v23, 0xffff, v23
	;; [unrolled: 1-line block ×4, first 2 shown]
	v_bfe_u32 v30, v7, 16, 4
	v_and_b32_e32 v31, 15, v7
	v_bfe_i32 v33, v11, 16, 8
	v_bfe_i32 v11, v11, 0, 8
	v_bfe_u32 v35, v7, 20, 4
	v_bfe_u32 v7, v7, 4, 4
	v_bfe_i32 v37, v13, 16, 8
	v_bfe_i32 v38, v13, 8, 8
	;; [unrolled: 1-line block ×3, first 2 shown]
	v_mul_i32_i24_e32 v26, v32, v26
	v_mul_i32_i24_e32 v27, v36, v29
	v_mad_i32_i24 v10, v15, v10, v18
	v_mul_i32_i24_e32 v9, v16, v9
	v_mul_i32_i24_e32 v15, v34, v23
	v_and_b32_e32 v16, 0xffff, v24
	v_mul_i32_i24_e32 v14, v17, v14
	v_mul_i32_i24_e32 v11, v11, v31
	;; [unrolled: 1-line block ×5, first 2 shown]
	v_mad_i32_i24 v6, v20, v22, v6
	v_mad_i32_i24 v12, v19, v21, v12
	v_add3_u32 v10, v10, v26, v27
	v_mul_i32_i24_e32 v16, v38, v16
	v_add3_u32 v9, v9, v14, v15
	v_lshrrev_b32_e32 v14, 16, v8
	v_add3_u32 v12, v12, v25, v13
	v_add3_u32 v6, v6, v11, v7
	s_delay_alu instid0(VALU_DEP_4) | instskip(NEXT) | instid1(VALU_DEP_4)
	v_add3_u32 v7, v9, v16, v10
	v_cvt_f32_f16_e32 v9, v14
	s_delay_alu instid0(VALU_DEP_2) | instskip(NEXT) | instid1(VALU_DEP_2)
	v_add3_u32 v6, v6, v12, v7
	v_mul_f32_e32 v7, 0.5, v9
	s_delay_alu instid0(VALU_DEP_2) | instskip(NEXT) | instid1(VALU_DEP_1)
	v_cvt_f32_i32_e32 v6, v6
	v_fma_mix_f32 v6, v6, v8, v7 op_sel_hi:[0,1,0]
	s_delay_alu instid0(VALU_DEP_1)
	v_add_f32_e32 v2, v2, v6
	s_and_not1_b32 exec_lo, exec_lo, s10
	s_cbranch_execnz .LBB79_3
; %bb.4:
	s_or_b32 exec_lo, exec_lo, s10
.LBB79_5:
	s_delay_alu instid0(SALU_CYCLE_1) | instskip(SKIP_1) | instid1(VALU_DEP_1)
	s_or_b32 exec_lo, exec_lo, s8
	v_mbcnt_lo_u32_b32 v3, -1, 0
	v_xor_b32_e32 v4, 16, v3
	v_xor_b32_e32 v5, 8, v3
	s_delay_alu instid0(VALU_DEP_2) | instskip(SKIP_2) | instid1(VALU_DEP_3)
	v_cmp_gt_i32_e32 vcc_lo, 32, v4
	s_wait_alu 0xfffd
	v_cndmask_b32_e32 v4, v3, v4, vcc_lo
	v_cmp_gt_i32_e32 vcc_lo, 32, v5
	s_wait_alu 0xfffd
	v_cndmask_b32_e32 v5, v3, v5, vcc_lo
	s_delay_alu instid0(VALU_DEP_1)
	v_lshlrev_b32_e32 v5, 2, v5
	v_lshlrev_b32_e32 v4, 2, v4
	ds_bpermute_b32 v4, v4, v2
	s_wait_dscnt 0x0
	v_add_f32_e32 v2, v2, v4
	ds_bpermute_b32 v4, v5, v2
	v_xor_b32_e32 v5, 4, v3
	s_delay_alu instid0(VALU_DEP_1) | instskip(SKIP_3) | instid1(VALU_DEP_1)
	v_cmp_gt_i32_e32 vcc_lo, 32, v5
	s_wait_alu 0xfffd
	v_cndmask_b32_e32 v5, v3, v5, vcc_lo
	s_wait_dscnt 0x0
	v_dual_add_f32 v2, v2, v4 :: v_dual_lshlrev_b32 v5, 2, v5
	ds_bpermute_b32 v4, v5, v2
	v_xor_b32_e32 v5, 2, v3
	s_delay_alu instid0(VALU_DEP_1) | instskip(SKIP_3) | instid1(VALU_DEP_1)
	v_cmp_gt_i32_e32 vcc_lo, 32, v5
	s_wait_dscnt 0x0
	s_wait_alu 0xfffd
	v_dual_cndmask_b32 v5, v3, v5 :: v_dual_add_f32 v2, v2, v4
	v_lshlrev_b32_e32 v5, 2, v5
	ds_bpermute_b32 v4, v5, v2
	v_xor_b32_e32 v5, 1, v3
	s_delay_alu instid0(VALU_DEP_1) | instskip(SKIP_4) | instid1(VALU_DEP_2)
	v_cmp_gt_i32_e32 vcc_lo, 32, v5
	s_wait_alu 0xfffd
	v_cndmask_b32_e32 v3, v3, v5, vcc_lo
	v_cmp_eq_u32_e32 vcc_lo, 0, v0
	s_wait_dscnt 0x0
	v_dual_add_f32 v2, v2, v4 :: v_dual_lshlrev_b32 v3, 2, v3
	ds_bpermute_b32 v3, v3, v2
	s_and_b32 exec_lo, exec_lo, vcc_lo
	s_cbranch_execz .LBB79_7
; %bb.6:
	v_mad_co_u64_u32 v[0:1], null, s5, ttmp7, v[1:2]
	s_wait_dscnt 0x0
	v_dual_mov_b32 v1, 0 :: v_dual_add_f32 v2, v2, v3
	s_delay_alu instid0(VALU_DEP_1) | instskip(NEXT) | instid1(VALU_DEP_2)
	v_cvt_f16_f32_e32 v2, v2
	v_lshlrev_b64_e32 v[0:1], 1, v[0:1]
	s_wait_kmcnt 0x0
	s_delay_alu instid0(VALU_DEP_1) | instskip(SKIP_1) | instid1(VALU_DEP_2)
	v_add_co_u32 v0, vcc_lo, s6, v0
	s_wait_alu 0xfffd
	v_add_co_ci_u32_e64 v1, null, s7, v1, vcc_lo
	global_store_b16 v[0:1], v2, off
.LBB79_7:
	s_endpgm
	.section	.rodata,"a",@progbits
	.p2align	6, 0x0
	.amdhsa_kernel _ZL13mul_mat_vec_qIN3c104HalfELi32ELi4E10block_q4_1Li2EXadL_ZL17vec_dot_q4_1_q8_1PKvPK10block_q8_1RKiEEEvS4_S4_PT_iii
		.amdhsa_group_segment_fixed_size 0
		.amdhsa_private_segment_fixed_size 0
		.amdhsa_kernarg_size 296
		.amdhsa_user_sgpr_count 2
		.amdhsa_user_sgpr_dispatch_ptr 0
		.amdhsa_user_sgpr_queue_ptr 0
		.amdhsa_user_sgpr_kernarg_segment_ptr 1
		.amdhsa_user_sgpr_dispatch_id 0
		.amdhsa_user_sgpr_private_segment_size 0
		.amdhsa_wavefront_size32 1
		.amdhsa_uses_dynamic_stack 0
		.amdhsa_enable_private_segment 0
		.amdhsa_system_sgpr_workgroup_id_x 1
		.amdhsa_system_sgpr_workgroup_id_y 1
		.amdhsa_system_sgpr_workgroup_id_z 0
		.amdhsa_system_sgpr_workgroup_info 0
		.amdhsa_system_vgpr_workitem_id 1
		.amdhsa_next_free_vgpr 39
		.amdhsa_next_free_sgpr 11
		.amdhsa_reserve_vcc 1
		.amdhsa_float_round_mode_32 0
		.amdhsa_float_round_mode_16_64 0
		.amdhsa_float_denorm_mode_32 3
		.amdhsa_float_denorm_mode_16_64 3
		.amdhsa_fp16_overflow 0
		.amdhsa_workgroup_processor_mode 1
		.amdhsa_memory_ordered 1
		.amdhsa_forward_progress 1
		.amdhsa_inst_pref_size 10
		.amdhsa_round_robin_scheduling 0
		.amdhsa_exception_fp_ieee_invalid_op 0
		.amdhsa_exception_fp_denorm_src 0
		.amdhsa_exception_fp_ieee_div_zero 0
		.amdhsa_exception_fp_ieee_overflow 0
		.amdhsa_exception_fp_ieee_underflow 0
		.amdhsa_exception_fp_ieee_inexact 0
		.amdhsa_exception_int_div_zero 0
	.end_amdhsa_kernel
	.section	.text._ZL13mul_mat_vec_qIN3c104HalfELi32ELi4E10block_q4_1Li2EXadL_ZL17vec_dot_q4_1_q8_1PKvPK10block_q8_1RKiEEEvS4_S4_PT_iii,"axG",@progbits,_ZL13mul_mat_vec_qIN3c104HalfELi32ELi4E10block_q4_1Li2EXadL_ZL17vec_dot_q4_1_q8_1PKvPK10block_q8_1RKiEEEvS4_S4_PT_iii,comdat
.Lfunc_end79:
	.size	_ZL13mul_mat_vec_qIN3c104HalfELi32ELi4E10block_q4_1Li2EXadL_ZL17vec_dot_q4_1_q8_1PKvPK10block_q8_1RKiEEEvS4_S4_PT_iii, .Lfunc_end79-_ZL13mul_mat_vec_qIN3c104HalfELi32ELi4E10block_q4_1Li2EXadL_ZL17vec_dot_q4_1_q8_1PKvPK10block_q8_1RKiEEEvS4_S4_PT_iii
                                        ; -- End function
	.set _ZL13mul_mat_vec_qIN3c104HalfELi32ELi4E10block_q4_1Li2EXadL_ZL17vec_dot_q4_1_q8_1PKvPK10block_q8_1RKiEEEvS4_S4_PT_iii.num_vgpr, 39
	.set _ZL13mul_mat_vec_qIN3c104HalfELi32ELi4E10block_q4_1Li2EXadL_ZL17vec_dot_q4_1_q8_1PKvPK10block_q8_1RKiEEEvS4_S4_PT_iii.num_agpr, 0
	.set _ZL13mul_mat_vec_qIN3c104HalfELi32ELi4E10block_q4_1Li2EXadL_ZL17vec_dot_q4_1_q8_1PKvPK10block_q8_1RKiEEEvS4_S4_PT_iii.numbered_sgpr, 11
	.set _ZL13mul_mat_vec_qIN3c104HalfELi32ELi4E10block_q4_1Li2EXadL_ZL17vec_dot_q4_1_q8_1PKvPK10block_q8_1RKiEEEvS4_S4_PT_iii.num_named_barrier, 0
	.set _ZL13mul_mat_vec_qIN3c104HalfELi32ELi4E10block_q4_1Li2EXadL_ZL17vec_dot_q4_1_q8_1PKvPK10block_q8_1RKiEEEvS4_S4_PT_iii.private_seg_size, 0
	.set _ZL13mul_mat_vec_qIN3c104HalfELi32ELi4E10block_q4_1Li2EXadL_ZL17vec_dot_q4_1_q8_1PKvPK10block_q8_1RKiEEEvS4_S4_PT_iii.uses_vcc, 1
	.set _ZL13mul_mat_vec_qIN3c104HalfELi32ELi4E10block_q4_1Li2EXadL_ZL17vec_dot_q4_1_q8_1PKvPK10block_q8_1RKiEEEvS4_S4_PT_iii.uses_flat_scratch, 0
	.set _ZL13mul_mat_vec_qIN3c104HalfELi32ELi4E10block_q4_1Li2EXadL_ZL17vec_dot_q4_1_q8_1PKvPK10block_q8_1RKiEEEvS4_S4_PT_iii.has_dyn_sized_stack, 0
	.set _ZL13mul_mat_vec_qIN3c104HalfELi32ELi4E10block_q4_1Li2EXadL_ZL17vec_dot_q4_1_q8_1PKvPK10block_q8_1RKiEEEvS4_S4_PT_iii.has_recursion, 0
	.set _ZL13mul_mat_vec_qIN3c104HalfELi32ELi4E10block_q4_1Li2EXadL_ZL17vec_dot_q4_1_q8_1PKvPK10block_q8_1RKiEEEvS4_S4_PT_iii.has_indirect_call, 0
	.section	.AMDGPU.csdata,"",@progbits
; Kernel info:
; codeLenInByte = 1192
; TotalNumSgprs: 13
; NumVgprs: 39
; ScratchSize: 0
; MemoryBound: 0
; FloatMode: 240
; IeeeMode: 1
; LDSByteSize: 0 bytes/workgroup (compile time only)
; SGPRBlocks: 0
; VGPRBlocks: 4
; NumSGPRsForWavesPerEU: 13
; NumVGPRsForWavesPerEU: 39
; Occupancy: 16
; WaveLimiterHint : 0
; COMPUTE_PGM_RSRC2:SCRATCH_EN: 0
; COMPUTE_PGM_RSRC2:USER_SGPR: 2
; COMPUTE_PGM_RSRC2:TRAP_HANDLER: 0
; COMPUTE_PGM_RSRC2:TGID_X_EN: 1
; COMPUTE_PGM_RSRC2:TGID_Y_EN: 1
; COMPUTE_PGM_RSRC2:TGID_Z_EN: 0
; COMPUTE_PGM_RSRC2:TIDIG_COMP_CNT: 1
	.section	.text._ZL13mul_mat_vec_qIN3c104HalfELi32ELi4E10block_q5_0Li2EXadL_ZL17vec_dot_q5_0_q8_1PKvPK10block_q8_1RKiEEEvS4_S4_PT_iii,"axG",@progbits,_ZL13mul_mat_vec_qIN3c104HalfELi32ELi4E10block_q5_0Li2EXadL_ZL17vec_dot_q5_0_q8_1PKvPK10block_q8_1RKiEEEvS4_S4_PT_iii,comdat
	.globl	_ZL13mul_mat_vec_qIN3c104HalfELi32ELi4E10block_q5_0Li2EXadL_ZL17vec_dot_q5_0_q8_1PKvPK10block_q8_1RKiEEEvS4_S4_PT_iii ; -- Begin function _ZL13mul_mat_vec_qIN3c104HalfELi32ELi4E10block_q5_0Li2EXadL_ZL17vec_dot_q5_0_q8_1PKvPK10block_q8_1RKiEEEvS4_S4_PT_iii
	.p2align	8
	.type	_ZL13mul_mat_vec_qIN3c104HalfELi32ELi4E10block_q5_0Li2EXadL_ZL17vec_dot_q5_0_q8_1PKvPK10block_q8_1RKiEEEvS4_S4_PT_iii,@function
_ZL13mul_mat_vec_qIN3c104HalfELi32ELi4E10block_q5_0Li2EXadL_ZL17vec_dot_q5_0_q8_1PKvPK10block_q8_1RKiEEEvS4_S4_PT_iii: ; @_ZL13mul_mat_vec_qIN3c104HalfELi32ELi4E10block_q5_0Li2EXadL_ZL17vec_dot_q5_0_q8_1PKvPK10block_q8_1RKiEEEvS4_S4_PT_iii
; %bb.0:
	s_clause 0x1
	s_load_u16 s2, s[0:1], 0x36
	s_load_b96 s[4:6], s[0:1], 0x18
	v_bfe_u32 v1, v0, 10, 10
	s_wait_kmcnt 0x0
	s_delay_alu instid0(VALU_DEP_1)
	v_mad_co_u64_u32 v[1:2], null, ttmp9, s2, v[1:2]
	s_cmp_lt_u32 ttmp7, s6
	s_cselect_b32 s2, -1, 0
	v_cmp_gt_u32_e32 vcc_lo, s5, v1
	s_wait_alu 0xfffe
	s_and_b32 s2, s2, vcc_lo
	s_wait_alu 0xfffe
	s_and_saveexec_b32 s3, s2
	s_cbranch_execz .LBB80_7
; %bb.1:
	s_load_b64 s[6:7], s[0:1], 0x10
	s_ashr_i32 s2, s4, 31
	v_bfe_u32 v2, v0, 1, 9
	s_wait_alu 0xfffe
	s_lshr_b32 s2, s2, 27
	v_dual_mov_b32 v3, 0 :: v_dual_and_b32 v0, 0x3ff, v0
	s_wait_alu 0xfffe
	s_add_co_i32 s2, s4, s2
	s_mov_b32 s8, exec_lo
	s_wait_alu 0xfffe
	s_ashr_i32 s9, s2, 5
	s_delay_alu instid0(SALU_CYCLE_1)
	v_cmpx_gt_u32_e64 s9, v2
	s_cbranch_execz .LBB80_5
; %bb.2:
	s_load_b128 s[0:3], s[0:1], 0x0
	v_lshlrev_b32_e32 v3, 3, v0
	s_addk_co_i32 s4, 0x1ff
	v_mul_lo_u32 v5, v1, s9
	s_wait_alu 0xfffe
	s_ashr_i32 s10, s4, 31
	s_delay_alu instid0(SALU_CYCLE_1) | instskip(SKIP_4) | instid1(VALU_DEP_1)
	s_lshr_b32 s10, s10, 23
	v_dual_mov_b32 v3, 0 :: v_dual_and_b32 v4, 8, v3
	s_add_co_i32 s4, s4, s10
	s_wait_alu 0xfffe
	s_ashr_i32 s4, s4, 9
	v_or_b32_e32 v6, 4, v4
	s_wait_alu 0xfffe
	s_mul_i32 s4, ttmp7, s4
	s_wait_alu 0xfffe
	s_lshl_b32 s10, s4, 4
	s_mov_b32 s4, 0
.LBB80_3:                               ; =>This Inner Loop Header: Depth=1
	v_add_nc_u32_e32 v7, v5, v2
	v_add_nc_u32_e32 v9, s10, v2
	;; [unrolled: 1-line block ×3, first 2 shown]
	s_wait_kmcnt 0x0
	s_delay_alu instid0(VALU_DEP_3) | instskip(NEXT) | instid1(VALU_DEP_3)
	v_mad_co_i64_i32 v[7:8], null, v7, 22, s[0:1]
	v_mad_co_i64_i32 v[9:10], null, v9, 36, s[2:3]
	s_delay_alu instid0(VALU_DEP_2) | instskip(SKIP_1) | instid1(VALU_DEP_3)
	v_add_co_u32 v11, vcc_lo, v7, v4
	s_wait_alu 0xfffd
	v_add_co_ci_u32_e64 v12, null, 0, v8, vcc_lo
	s_delay_alu instid0(VALU_DEP_3) | instskip(SKIP_1) | instid1(VALU_DEP_4)
	v_add_co_u32 v13, vcc_lo, v9, v4
	s_wait_alu 0xfffd
	v_add_co_ci_u32_e64 v14, null, 0, v10, vcc_lo
	s_clause 0x1
	global_load_b32 v17, v[7:8], off offset:2
	global_load_b64 v[11:12], v[11:12], off offset:6
	s_clause 0x2
	global_load_b64 v[15:16], v[13:14], off offset:4
	global_load_b64 v[13:14], v[13:14], off offset:20
	global_load_b32 v9, v[9:10], off
	global_load_u16 v7, v[7:8], off
	v_cmp_le_u32_e32 vcc_lo, s9, v2
	s_wait_alu 0xfffe
	s_or_b32 s4, vcc_lo, s4
	s_wait_loadcnt 0x5
	v_ashrrev_i32_e32 v8, v4, v17
	v_ashrrev_i32_e32 v10, v6, v17
	s_wait_loadcnt 0x4
	v_and_b32_e32 v19, 0xf0f0f0f, v11
	v_lshrrev_b32_e32 v11, 4, v11
	v_and_b32_e32 v31, 0xf0f0f0f, v12
	v_lshlrev_b32_e32 v20, 4, v8
	v_lshlrev_b32_e32 v21, 11, v8
	;; [unrolled: 1-line block ×3, first 2 shown]
	v_lshrrev_b32_e32 v26, 12, v8
	v_lshrrev_b32_e32 v27, 5, v8
	v_lshlrev_b32_e32 v28, 2, v8
	v_lshlrev_b32_e32 v32, 4, v10
	;; [unrolled: 1-line block ×4, first 2 shown]
	v_lshrrev_b32_e32 v39, 12, v10
	v_lshrrev_b32_e32 v40, 5, v10
	v_lshlrev_b32_e32 v41, 2, v10
	v_lshlrev_b32_e32 v22, 18, v8
	;; [unrolled: 1-line block ×4, first 2 shown]
	v_lshrrev_b32_e32 v12, 4, v12
	v_lshlrev_b32_e32 v10, 9, v10
	v_and_b32_e32 v20, 16, v20
	v_and_b32_e32 v21, 0x1000, v21
	v_and_or_b32 v23, 0x10000000, v23, v19
	v_and_b32_e32 v26, 16, v26
	v_and_b32_e32 v27, 0x1000, v27
	;; [unrolled: 1-line block ×14, first 2 shown]
	v_or3_b32 v19, v20, v19, v21
	v_lshrrev_b32_e32 v20, 24, v23
	v_or3_b32 v21, v27, v26, v28
	v_or3_b32 v23, v33, v32, v34
	;; [unrolled: 1-line block ×3, first 2 shown]
	s_wait_loadcnt 0x3
	v_lshrrev_b16 v17, 8, v15
	v_and_or_b32 v22, 0x100000, v22, v19
	v_lshrrev_b16 v19, 8, v19
	v_or3_b32 v8, v21, v8, v11
	v_or3_b32 v11, v23, v35, v31
	;; [unrolled: 1-line block ×3, first 2 shown]
	s_wait_loadcnt 0x2
	v_lshrrev_b16 v18, 8, v13
	v_ashrrev_i32_e32 v29, 24, v13
	v_bfe_i32 v30, v13, 16, 8
	v_bfe_i32 v13, v13, 0, 8
	v_ashrrev_i32_e32 v36, 24, v16
	v_bfe_i32 v17, v17, 0, 8
	v_bfe_u32 v12, v22, 16, 5
	v_and_b32_e32 v21, 31, v22
	v_and_b32_e32 v19, 0xffff, v19
	v_lshrrev_b32_e32 v22, 24, v8
	v_lshrrev_b16 v23, 8, v8
	v_bfe_u32 v26, v8, 16, 5
	v_and_b32_e32 v8, 31, v8
	v_lshrrev_b32_e32 v27, 24, v11
	v_lshrrev_b16 v33, 8, v10
	v_ashrrev_i32_e32 v24, 24, v15
	v_ashrrev_i32_e32 v42, 24, v14
	v_bfe_i32 v44, v14, 8, 8
	v_bfe_i32 v18, v18, 0, 8
	v_lshrrev_b16 v28, 8, v11
	v_lshrrev_b32_e32 v32, 24, v10
	v_mul_i32_i24_e32 v17, v19, v17
	v_and_b32_e32 v19, 0xffff, v23
	v_mul_i32_i24_e32 v8, v8, v13
	v_mul_i32_i24_e32 v13, v26, v30
	;; [unrolled: 1-line block ×4, first 2 shown]
	v_and_b32_e32 v27, 0xffff, v33
	v_bfe_i32 v25, v15, 16, 8
	v_bfe_i32 v15, v15, 0, 8
	;; [unrolled: 1-line block ×7, first 2 shown]
	v_bfe_u32 v31, v11, 16, 5
	v_and_b32_e32 v11, 31, v11
	v_bfe_u32 v34, v10, 16, 5
	v_and_b32_e32 v10, 31, v10
	v_and_b32_e32 v23, 0xffff, v28
	v_mul_i32_i24_e32 v28, v42, v32
	v_mul_i32_i24_e32 v18, v19, v18
	;; [unrolled: 1-line block ×3, first 2 shown]
	v_mad_i32_i24 v20, v20, v24, v22
	v_mul_i32_i24_e32 v11, v16, v11
	v_mul_i32_i24_e32 v16, v37, v31
	;; [unrolled: 1-line block ×5, first 2 shown]
	v_mad_i32_i24 v8, v21, v15, v8
	v_mad_i32_i24 v12, v12, v25, v13
	v_add3_u32 v13, v17, v18, v19
	v_add3_u32 v15, v20, v28, v26
	s_wait_loadcnt 0x1
	v_lshrrev_b32_e32 v17, 16, v9
	v_add3_u32 v8, v8, v10, v11
	v_add3_u32 v12, v12, v14, v16
	;; [unrolled: 1-line block ×3, first 2 shown]
	s_delay_alu instid0(VALU_DEP_4) | instskip(NEXT) | instid1(VALU_DEP_2)
	v_cvt_f32_f16_e32 v11, v17
	v_add3_u32 v8, v8, v12, v10
	s_delay_alu instid0(VALU_DEP_2) | instskip(NEXT) | instid1(VALU_DEP_2)
	v_mul_f32_e32 v10, 0xc1000000, v11
	v_cvt_f32_i32_e32 v8, v8
	s_delay_alu instid0(VALU_DEP_1) | instskip(SKIP_1) | instid1(VALU_DEP_1)
	v_fma_mix_f32 v8, v9, v8, v10 op_sel_hi:[1,0,0]
	s_wait_loadcnt 0x0
	v_fma_mix_f32 v3, v8, v7, v3 op_sel_hi:[0,1,0]
	s_wait_alu 0xfffe
	s_and_not1_b32 exec_lo, exec_lo, s4
	s_cbranch_execnz .LBB80_3
; %bb.4:
	s_or_b32 exec_lo, exec_lo, s4
.LBB80_5:
	s_delay_alu instid0(SALU_CYCLE_1) | instskip(SKIP_1) | instid1(VALU_DEP_1)
	s_or_b32 exec_lo, exec_lo, s8
	v_mbcnt_lo_u32_b32 v2, -1, 0
	v_xor_b32_e32 v4, 16, v2
	v_xor_b32_e32 v5, 8, v2
	s_delay_alu instid0(VALU_DEP_2) | instskip(SKIP_2) | instid1(VALU_DEP_3)
	v_cmp_gt_i32_e32 vcc_lo, 32, v4
	s_wait_alu 0xfffd
	v_cndmask_b32_e32 v4, v2, v4, vcc_lo
	v_cmp_gt_i32_e32 vcc_lo, 32, v5
	s_wait_alu 0xfffd
	v_cndmask_b32_e32 v5, v2, v5, vcc_lo
	s_delay_alu instid0(VALU_DEP_1)
	v_lshlrev_b32_e32 v5, 2, v5
	v_lshlrev_b32_e32 v4, 2, v4
	ds_bpermute_b32 v4, v4, v3
	s_wait_dscnt 0x0
	v_add_f32_e32 v3, v3, v4
	ds_bpermute_b32 v4, v5, v3
	v_xor_b32_e32 v5, 4, v2
	s_delay_alu instid0(VALU_DEP_1) | instskip(SKIP_2) | instid1(VALU_DEP_1)
	v_cmp_gt_i32_e32 vcc_lo, 32, v5
	s_wait_alu 0xfffd
	v_cndmask_b32_e32 v5, v2, v5, vcc_lo
	v_lshlrev_b32_e32 v5, 2, v5
	s_wait_dscnt 0x0
	v_add_f32_e32 v3, v3, v4
	ds_bpermute_b32 v4, v5, v3
	v_xor_b32_e32 v5, 2, v2
	s_delay_alu instid0(VALU_DEP_1) | instskip(SKIP_2) | instid1(VALU_DEP_1)
	v_cmp_gt_i32_e32 vcc_lo, 32, v5
	s_wait_alu 0xfffd
	v_cndmask_b32_e32 v5, v2, v5, vcc_lo
	v_lshlrev_b32_e32 v5, 2, v5
	s_wait_dscnt 0x0
	v_add_f32_e32 v3, v3, v4
	ds_bpermute_b32 v4, v5, v3
	v_xor_b32_e32 v5, 1, v2
	s_delay_alu instid0(VALU_DEP_1) | instskip(SKIP_4) | instid1(VALU_DEP_2)
	v_cmp_gt_i32_e32 vcc_lo, 32, v5
	s_wait_alu 0xfffd
	v_cndmask_b32_e32 v5, v2, v5, vcc_lo
	v_cmp_eq_u32_e32 vcc_lo, 0, v0
	s_wait_dscnt 0x0
	v_dual_add_f32 v2, v3, v4 :: v_dual_lshlrev_b32 v3, 2, v5
	ds_bpermute_b32 v3, v3, v2
	s_and_b32 exec_lo, exec_lo, vcc_lo
	s_cbranch_execz .LBB80_7
; %bb.6:
	v_mad_co_u64_u32 v[0:1], null, s5, ttmp7, v[1:2]
	s_wait_dscnt 0x0
	v_dual_mov_b32 v1, 0 :: v_dual_add_f32 v2, v2, v3
	s_delay_alu instid0(VALU_DEP_1) | instskip(NEXT) | instid1(VALU_DEP_2)
	v_cvt_f16_f32_e32 v2, v2
	v_lshlrev_b64_e32 v[0:1], 1, v[0:1]
	s_wait_kmcnt 0x0
	s_delay_alu instid0(VALU_DEP_1) | instskip(SKIP_1) | instid1(VALU_DEP_2)
	v_add_co_u32 v0, vcc_lo, s6, v0
	s_wait_alu 0xfffd
	v_add_co_ci_u32_e64 v1, null, s7, v1, vcc_lo
	global_store_b16 v[0:1], v2, off
.LBB80_7:
	s_endpgm
	.section	.rodata,"a",@progbits
	.p2align	6, 0x0
	.amdhsa_kernel _ZL13mul_mat_vec_qIN3c104HalfELi32ELi4E10block_q5_0Li2EXadL_ZL17vec_dot_q5_0_q8_1PKvPK10block_q8_1RKiEEEvS4_S4_PT_iii
		.amdhsa_group_segment_fixed_size 0
		.amdhsa_private_segment_fixed_size 0
		.amdhsa_kernarg_size 296
		.amdhsa_user_sgpr_count 2
		.amdhsa_user_sgpr_dispatch_ptr 0
		.amdhsa_user_sgpr_queue_ptr 0
		.amdhsa_user_sgpr_kernarg_segment_ptr 1
		.amdhsa_user_sgpr_dispatch_id 0
		.amdhsa_user_sgpr_private_segment_size 0
		.amdhsa_wavefront_size32 1
		.amdhsa_uses_dynamic_stack 0
		.amdhsa_enable_private_segment 0
		.amdhsa_system_sgpr_workgroup_id_x 1
		.amdhsa_system_sgpr_workgroup_id_y 1
		.amdhsa_system_sgpr_workgroup_id_z 0
		.amdhsa_system_sgpr_workgroup_info 0
		.amdhsa_system_vgpr_workitem_id 1
		.amdhsa_next_free_vgpr 45
		.amdhsa_next_free_sgpr 11
		.amdhsa_reserve_vcc 1
		.amdhsa_float_round_mode_32 0
		.amdhsa_float_round_mode_16_64 0
		.amdhsa_float_denorm_mode_32 3
		.amdhsa_float_denorm_mode_16_64 3
		.amdhsa_fp16_overflow 0
		.amdhsa_workgroup_processor_mode 1
		.amdhsa_memory_ordered 1
		.amdhsa_forward_progress 1
		.amdhsa_inst_pref_size 12
		.amdhsa_round_robin_scheduling 0
		.amdhsa_exception_fp_ieee_invalid_op 0
		.amdhsa_exception_fp_denorm_src 0
		.amdhsa_exception_fp_ieee_div_zero 0
		.amdhsa_exception_fp_ieee_overflow 0
		.amdhsa_exception_fp_ieee_underflow 0
		.amdhsa_exception_fp_ieee_inexact 0
		.amdhsa_exception_int_div_zero 0
	.end_amdhsa_kernel
	.section	.text._ZL13mul_mat_vec_qIN3c104HalfELi32ELi4E10block_q5_0Li2EXadL_ZL17vec_dot_q5_0_q8_1PKvPK10block_q8_1RKiEEEvS4_S4_PT_iii,"axG",@progbits,_ZL13mul_mat_vec_qIN3c104HalfELi32ELi4E10block_q5_0Li2EXadL_ZL17vec_dot_q5_0_q8_1PKvPK10block_q8_1RKiEEEvS4_S4_PT_iii,comdat
.Lfunc_end80:
	.size	_ZL13mul_mat_vec_qIN3c104HalfELi32ELi4E10block_q5_0Li2EXadL_ZL17vec_dot_q5_0_q8_1PKvPK10block_q8_1RKiEEEvS4_S4_PT_iii, .Lfunc_end80-_ZL13mul_mat_vec_qIN3c104HalfELi32ELi4E10block_q5_0Li2EXadL_ZL17vec_dot_q5_0_q8_1PKvPK10block_q8_1RKiEEEvS4_S4_PT_iii
                                        ; -- End function
	.set _ZL13mul_mat_vec_qIN3c104HalfELi32ELi4E10block_q5_0Li2EXadL_ZL17vec_dot_q5_0_q8_1PKvPK10block_q8_1RKiEEEvS4_S4_PT_iii.num_vgpr, 45
	.set _ZL13mul_mat_vec_qIN3c104HalfELi32ELi4E10block_q5_0Li2EXadL_ZL17vec_dot_q5_0_q8_1PKvPK10block_q8_1RKiEEEvS4_S4_PT_iii.num_agpr, 0
	.set _ZL13mul_mat_vec_qIN3c104HalfELi32ELi4E10block_q5_0Li2EXadL_ZL17vec_dot_q5_0_q8_1PKvPK10block_q8_1RKiEEEvS4_S4_PT_iii.numbered_sgpr, 11
	.set _ZL13mul_mat_vec_qIN3c104HalfELi32ELi4E10block_q5_0Li2EXadL_ZL17vec_dot_q5_0_q8_1PKvPK10block_q8_1RKiEEEvS4_S4_PT_iii.num_named_barrier, 0
	.set _ZL13mul_mat_vec_qIN3c104HalfELi32ELi4E10block_q5_0Li2EXadL_ZL17vec_dot_q5_0_q8_1PKvPK10block_q8_1RKiEEEvS4_S4_PT_iii.private_seg_size, 0
	.set _ZL13mul_mat_vec_qIN3c104HalfELi32ELi4E10block_q5_0Li2EXadL_ZL17vec_dot_q5_0_q8_1PKvPK10block_q8_1RKiEEEvS4_S4_PT_iii.uses_vcc, 1
	.set _ZL13mul_mat_vec_qIN3c104HalfELi32ELi4E10block_q5_0Li2EXadL_ZL17vec_dot_q5_0_q8_1PKvPK10block_q8_1RKiEEEvS4_S4_PT_iii.uses_flat_scratch, 0
	.set _ZL13mul_mat_vec_qIN3c104HalfELi32ELi4E10block_q5_0Li2EXadL_ZL17vec_dot_q5_0_q8_1PKvPK10block_q8_1RKiEEEvS4_S4_PT_iii.has_dyn_sized_stack, 0
	.set _ZL13mul_mat_vec_qIN3c104HalfELi32ELi4E10block_q5_0Li2EXadL_ZL17vec_dot_q5_0_q8_1PKvPK10block_q8_1RKiEEEvS4_S4_PT_iii.has_recursion, 0
	.set _ZL13mul_mat_vec_qIN3c104HalfELi32ELi4E10block_q5_0Li2EXadL_ZL17vec_dot_q5_0_q8_1PKvPK10block_q8_1RKiEEEvS4_S4_PT_iii.has_indirect_call, 0
	.section	.AMDGPU.csdata,"",@progbits
; Kernel info:
; codeLenInByte = 1464
; TotalNumSgprs: 13
; NumVgprs: 45
; ScratchSize: 0
; MemoryBound: 0
; FloatMode: 240
; IeeeMode: 1
; LDSByteSize: 0 bytes/workgroup (compile time only)
; SGPRBlocks: 0
; VGPRBlocks: 5
; NumSGPRsForWavesPerEU: 13
; NumVGPRsForWavesPerEU: 45
; Occupancy: 16
; WaveLimiterHint : 0
; COMPUTE_PGM_RSRC2:SCRATCH_EN: 0
; COMPUTE_PGM_RSRC2:USER_SGPR: 2
; COMPUTE_PGM_RSRC2:TRAP_HANDLER: 0
; COMPUTE_PGM_RSRC2:TGID_X_EN: 1
; COMPUTE_PGM_RSRC2:TGID_Y_EN: 1
; COMPUTE_PGM_RSRC2:TGID_Z_EN: 0
; COMPUTE_PGM_RSRC2:TIDIG_COMP_CNT: 1
	.section	.text._ZL13mul_mat_vec_qIN3c104HalfELi32ELi4E10block_q5_1Li2EXadL_ZL17vec_dot_q5_1_q8_1PKvPK10block_q8_1RKiEEEvS4_S4_PT_iii,"axG",@progbits,_ZL13mul_mat_vec_qIN3c104HalfELi32ELi4E10block_q5_1Li2EXadL_ZL17vec_dot_q5_1_q8_1PKvPK10block_q8_1RKiEEEvS4_S4_PT_iii,comdat
	.globl	_ZL13mul_mat_vec_qIN3c104HalfELi32ELi4E10block_q5_1Li2EXadL_ZL17vec_dot_q5_1_q8_1PKvPK10block_q8_1RKiEEEvS4_S4_PT_iii ; -- Begin function _ZL13mul_mat_vec_qIN3c104HalfELi32ELi4E10block_q5_1Li2EXadL_ZL17vec_dot_q5_1_q8_1PKvPK10block_q8_1RKiEEEvS4_S4_PT_iii
	.p2align	8
	.type	_ZL13mul_mat_vec_qIN3c104HalfELi32ELi4E10block_q5_1Li2EXadL_ZL17vec_dot_q5_1_q8_1PKvPK10block_q8_1RKiEEEvS4_S4_PT_iii,@function
_ZL13mul_mat_vec_qIN3c104HalfELi32ELi4E10block_q5_1Li2EXadL_ZL17vec_dot_q5_1_q8_1PKvPK10block_q8_1RKiEEEvS4_S4_PT_iii: ; @_ZL13mul_mat_vec_qIN3c104HalfELi32ELi4E10block_q5_1Li2EXadL_ZL17vec_dot_q5_1_q8_1PKvPK10block_q8_1RKiEEEvS4_S4_PT_iii
; %bb.0:
	s_clause 0x1
	s_load_u16 s2, s[0:1], 0x36
	s_load_b96 s[4:6], s[0:1], 0x18
	v_bfe_u32 v1, v0, 10, 10
	s_wait_kmcnt 0x0
	s_delay_alu instid0(VALU_DEP_1)
	v_mad_co_u64_u32 v[1:2], null, ttmp9, s2, v[1:2]
	s_cmp_lt_u32 ttmp7, s6
	s_cselect_b32 s2, -1, 0
	v_cmp_gt_u32_e32 vcc_lo, s5, v1
	s_wait_alu 0xfffe
	s_and_b32 s2, s2, vcc_lo
	s_wait_alu 0xfffe
	s_and_saveexec_b32 s3, s2
	s_cbranch_execz .LBB81_7
; %bb.1:
	s_load_b64 s[6:7], s[0:1], 0x10
	s_ashr_i32 s2, s4, 31
	v_bfe_u32 v2, v0, 1, 9
	s_wait_alu 0xfffe
	s_lshr_b32 s2, s2, 27
	v_dual_mov_b32 v3, 0 :: v_dual_and_b32 v0, 0x3ff, v0
	s_wait_alu 0xfffe
	s_add_co_i32 s2, s4, s2
	s_mov_b32 s8, exec_lo
	s_wait_alu 0xfffe
	s_ashr_i32 s9, s2, 5
	s_delay_alu instid0(SALU_CYCLE_1)
	v_cmpx_gt_u32_e64 s9, v2
	s_cbranch_execz .LBB81_5
; %bb.2:
	s_load_b128 s[0:3], s[0:1], 0x0
	v_lshlrev_b32_e32 v3, 3, v0
	s_addk_co_i32 s4, 0x1ff
	v_mul_lo_u32 v5, v1, s9
	s_wait_alu 0xfffe
	s_ashr_i32 s10, s4, 31
	s_delay_alu instid0(SALU_CYCLE_1) | instskip(SKIP_4) | instid1(VALU_DEP_1)
	s_lshr_b32 s10, s10, 23
	v_dual_mov_b32 v3, 0 :: v_dual_and_b32 v4, 8, v3
	s_add_co_i32 s4, s4, s10
	s_wait_alu 0xfffe
	s_ashr_i32 s4, s4, 9
	v_or_b32_e32 v6, 4, v4
	s_wait_alu 0xfffe
	s_mul_i32 s4, ttmp7, s4
	s_wait_alu 0xfffe
	s_lshl_b32 s10, s4, 4
	s_mov_b32 s4, 0
.LBB81_3:                               ; =>This Inner Loop Header: Depth=1
	v_add_nc_u32_e32 v7, v5, v2
	v_add_nc_u32_e32 v9, s10, v2
	;; [unrolled: 1-line block ×3, first 2 shown]
	s_wait_kmcnt 0x0
	s_delay_alu instid0(VALU_DEP_3) | instskip(NEXT) | instid1(VALU_DEP_3)
	v_mad_co_i64_i32 v[7:8], null, v7, 24, s[0:1]
	v_mad_co_i64_i32 v[9:10], null, v9, 36, s[2:3]
	s_delay_alu instid0(VALU_DEP_2) | instskip(SKIP_1) | instid1(VALU_DEP_3)
	v_add_co_u32 v11, vcc_lo, v7, v4
	s_wait_alu 0xfffd
	v_add_co_ci_u32_e64 v12, null, 0, v8, vcc_lo
	s_delay_alu instid0(VALU_DEP_3) | instskip(SKIP_1) | instid1(VALU_DEP_4)
	v_add_co_u32 v13, vcc_lo, v9, v4
	s_wait_alu 0xfffd
	v_add_co_ci_u32_e64 v14, null, 0, v10, vcc_lo
	s_clause 0x1
	global_load_b64 v[7:8], v[7:8], off
	global_load_b64 v[11:12], v[11:12], off offset:8
	s_clause 0x2
	global_load_b64 v[15:16], v[13:14], off offset:4
	global_load_b64 v[13:14], v[13:14], off offset:20
	global_load_b32 v9, v[9:10], off
	v_cmp_le_u32_e32 vcc_lo, s9, v2
	s_wait_alu 0xfffe
	s_or_b32 s4, vcc_lo, s4
	s_wait_loadcnt 0x4
	v_ashrrev_i32_e32 v10, v4, v8
	v_ashrrev_i32_e32 v8, v6, v8
	s_wait_loadcnt 0x3
	v_and_b32_e32 v18, 0xf0f0f0f, v11
	v_lshrrev_b32_e32 v11, 4, v11
	v_and_b32_e32 v30, 0xf0f0f0f, v12
	v_lshlrev_b32_e32 v19, 4, v10
	v_lshlrev_b32_e32 v20, 11, v10
	v_lshlrev_b32_e32 v22, 25, v10
	v_lshrrev_b32_e32 v25, 12, v10
	v_lshrrev_b32_e32 v26, 5, v10
	v_lshlrev_b32_e32 v27, 2, v10
	v_lshlrev_b32_e32 v31, 4, v8
	;; [unrolled: 1-line block ×4, first 2 shown]
	v_lshrrev_b32_e32 v38, 12, v8
	v_lshrrev_b32_e32 v39, 5, v8
	v_lshlrev_b32_e32 v40, 2, v8
	v_lshlrev_b32_e32 v21, 18, v10
	;; [unrolled: 1-line block ×4, first 2 shown]
	v_lshrrev_b32_e32 v12, 4, v12
	v_lshlrev_b32_e32 v8, 9, v8
	v_and_b32_e32 v19, 16, v19
	v_and_b32_e32 v20, 0x1000, v20
	v_and_or_b32 v22, 0x10000000, v22, v18
	v_and_b32_e32 v25, 16, v25
	v_and_b32_e32 v26, 0x1000, v26
	;; [unrolled: 1-line block ×14, first 2 shown]
	v_or3_b32 v18, v19, v18, v20
	v_lshrrev_b32_e32 v19, 24, v22
	v_or3_b32 v20, v26, v25, v27
	v_or3_b32 v22, v32, v31, v33
	;; [unrolled: 1-line block ×3, first 2 shown]
	s_wait_loadcnt 0x0
	v_pk_mul_f16 v7, v7, v9
	v_lshrrev_b16 v9, 8, v15
	v_and_or_b32 v21, 0x100000, v21, v18
	v_lshrrev_b16 v18, 8, v18
	v_or3_b32 v10, v20, v10, v11
	v_or3_b32 v11, v22, v34, v30
	;; [unrolled: 1-line block ×3, first 2 shown]
	v_lshrrev_b16 v17, 8, v13
	v_ashrrev_i32_e32 v28, 24, v13
	v_bfe_i32 v29, v13, 16, 8
	v_bfe_i32 v13, v13, 0, 8
	v_ashrrev_i32_e32 v35, 24, v16
	v_bfe_i32 v9, v9, 0, 8
	v_bfe_u32 v12, v21, 16, 5
	v_and_b32_e32 v20, 31, v21
	v_and_b32_e32 v18, 0xffff, v18
	v_lshrrev_b32_e32 v21, 24, v10
	v_lshrrev_b16 v22, 8, v10
	v_bfe_u32 v25, v10, 16, 5
	v_and_b32_e32 v10, 31, v10
	v_lshrrev_b32_e32 v26, 24, v11
	v_lshrrev_b16 v32, 8, v8
	v_ashrrev_i32_e32 v23, 24, v15
	v_ashrrev_i32_e32 v41, 24, v14
	v_bfe_i32 v43, v14, 8, 8
	v_bfe_i32 v17, v17, 0, 8
	v_lshrrev_b16 v27, 8, v11
	v_lshrrev_b32_e32 v31, 24, v8
	v_mul_i32_i24_e32 v9, v18, v9
	v_and_b32_e32 v18, 0xffff, v22
	v_mul_i32_i24_e32 v10, v10, v13
	v_mul_i32_i24_e32 v13, v25, v29
	;; [unrolled: 1-line block ×4, first 2 shown]
	v_and_b32_e32 v26, 0xffff, v32
	v_bfe_i32 v24, v15, 16, 8
	v_bfe_i32 v15, v15, 0, 8
	;; [unrolled: 1-line block ×7, first 2 shown]
	v_bfe_u32 v30, v11, 16, 5
	v_and_b32_e32 v11, 31, v11
	v_bfe_u32 v33, v8, 16, 5
	v_and_b32_e32 v8, 31, v8
	v_and_b32_e32 v22, 0xffff, v27
	v_mul_i32_i24_e32 v27, v41, v31
	v_mul_i32_i24_e32 v17, v18, v17
	;; [unrolled: 1-line block ×3, first 2 shown]
	v_mad_i32_i24 v19, v19, v23, v21
	v_mul_i32_i24_e32 v11, v16, v11
	v_mul_i32_i24_e32 v16, v36, v30
	v_mul_i32_i24_e32 v8, v14, v8
	v_mul_i32_i24_e32 v14, v42, v33
	v_mul_i32_i24_e32 v21, v37, v22
	v_mad_i32_i24 v10, v20, v15, v10
	v_mad_i32_i24 v12, v12, v24, v13
	v_add3_u32 v9, v9, v17, v18
	v_add3_u32 v13, v19, v27, v25
	v_lshrrev_b32_e32 v15, 16, v7
	v_add3_u32 v8, v10, v8, v11
	v_add3_u32 v12, v12, v14, v16
	s_delay_alu instid0(VALU_DEP_4) | instskip(NEXT) | instid1(VALU_DEP_4)
	v_add3_u32 v9, v9, v21, v13
	v_cvt_f32_f16_e32 v10, v15
	s_delay_alu instid0(VALU_DEP_2) | instskip(NEXT) | instid1(VALU_DEP_2)
	v_add3_u32 v8, v8, v12, v9
	v_mul_f32_e32 v9, 0.5, v10
	s_delay_alu instid0(VALU_DEP_2) | instskip(NEXT) | instid1(VALU_DEP_1)
	v_cvt_f32_i32_e32 v8, v8
	v_fma_mix_f32 v7, v8, v7, v9 op_sel_hi:[0,1,0]
	s_delay_alu instid0(VALU_DEP_1)
	v_add_f32_e32 v3, v3, v7
	s_wait_alu 0xfffe
	s_and_not1_b32 exec_lo, exec_lo, s4
	s_cbranch_execnz .LBB81_3
; %bb.4:
	s_or_b32 exec_lo, exec_lo, s4
.LBB81_5:
	s_delay_alu instid0(SALU_CYCLE_1) | instskip(SKIP_1) | instid1(VALU_DEP_1)
	s_or_b32 exec_lo, exec_lo, s8
	v_mbcnt_lo_u32_b32 v2, -1, 0
	v_xor_b32_e32 v4, 16, v2
	v_xor_b32_e32 v5, 8, v2
	s_delay_alu instid0(VALU_DEP_2) | instskip(SKIP_2) | instid1(VALU_DEP_3)
	v_cmp_gt_i32_e32 vcc_lo, 32, v4
	s_wait_alu 0xfffd
	v_cndmask_b32_e32 v4, v2, v4, vcc_lo
	v_cmp_gt_i32_e32 vcc_lo, 32, v5
	s_wait_alu 0xfffd
	v_cndmask_b32_e32 v5, v2, v5, vcc_lo
	s_delay_alu instid0(VALU_DEP_1)
	v_lshlrev_b32_e32 v5, 2, v5
	v_lshlrev_b32_e32 v4, 2, v4
	ds_bpermute_b32 v4, v4, v3
	s_wait_dscnt 0x0
	v_add_f32_e32 v3, v3, v4
	ds_bpermute_b32 v4, v5, v3
	v_xor_b32_e32 v5, 4, v2
	s_delay_alu instid0(VALU_DEP_1) | instskip(SKIP_2) | instid1(VALU_DEP_1)
	v_cmp_gt_i32_e32 vcc_lo, 32, v5
	s_wait_alu 0xfffd
	v_cndmask_b32_e32 v5, v2, v5, vcc_lo
	v_lshlrev_b32_e32 v5, 2, v5
	s_wait_dscnt 0x0
	v_add_f32_e32 v3, v3, v4
	ds_bpermute_b32 v4, v5, v3
	v_xor_b32_e32 v5, 2, v2
	s_delay_alu instid0(VALU_DEP_1) | instskip(SKIP_2) | instid1(VALU_DEP_1)
	v_cmp_gt_i32_e32 vcc_lo, 32, v5
	s_wait_alu 0xfffd
	v_cndmask_b32_e32 v5, v2, v5, vcc_lo
	v_lshlrev_b32_e32 v5, 2, v5
	s_wait_dscnt 0x0
	v_add_f32_e32 v3, v3, v4
	ds_bpermute_b32 v4, v5, v3
	v_xor_b32_e32 v5, 1, v2
	s_delay_alu instid0(VALU_DEP_1) | instskip(SKIP_4) | instid1(VALU_DEP_2)
	v_cmp_gt_i32_e32 vcc_lo, 32, v5
	s_wait_alu 0xfffd
	v_cndmask_b32_e32 v5, v2, v5, vcc_lo
	v_cmp_eq_u32_e32 vcc_lo, 0, v0
	s_wait_dscnt 0x0
	v_dual_add_f32 v2, v3, v4 :: v_dual_lshlrev_b32 v3, 2, v5
	ds_bpermute_b32 v3, v3, v2
	s_and_b32 exec_lo, exec_lo, vcc_lo
	s_cbranch_execz .LBB81_7
; %bb.6:
	v_mad_co_u64_u32 v[0:1], null, s5, ttmp7, v[1:2]
	s_wait_dscnt 0x0
	v_dual_mov_b32 v1, 0 :: v_dual_add_f32 v2, v2, v3
	s_delay_alu instid0(VALU_DEP_1) | instskip(NEXT) | instid1(VALU_DEP_2)
	v_cvt_f16_f32_e32 v2, v2
	v_lshlrev_b64_e32 v[0:1], 1, v[0:1]
	s_wait_kmcnt 0x0
	s_delay_alu instid0(VALU_DEP_1) | instskip(SKIP_1) | instid1(VALU_DEP_2)
	v_add_co_u32 v0, vcc_lo, s6, v0
	s_wait_alu 0xfffd
	v_add_co_ci_u32_e64 v1, null, s7, v1, vcc_lo
	global_store_b16 v[0:1], v2, off
.LBB81_7:
	s_endpgm
	.section	.rodata,"a",@progbits
	.p2align	6, 0x0
	.amdhsa_kernel _ZL13mul_mat_vec_qIN3c104HalfELi32ELi4E10block_q5_1Li2EXadL_ZL17vec_dot_q5_1_q8_1PKvPK10block_q8_1RKiEEEvS4_S4_PT_iii
		.amdhsa_group_segment_fixed_size 0
		.amdhsa_private_segment_fixed_size 0
		.amdhsa_kernarg_size 296
		.amdhsa_user_sgpr_count 2
		.amdhsa_user_sgpr_dispatch_ptr 0
		.amdhsa_user_sgpr_queue_ptr 0
		.amdhsa_user_sgpr_kernarg_segment_ptr 1
		.amdhsa_user_sgpr_dispatch_id 0
		.amdhsa_user_sgpr_private_segment_size 0
		.amdhsa_wavefront_size32 1
		.amdhsa_uses_dynamic_stack 0
		.amdhsa_enable_private_segment 0
		.amdhsa_system_sgpr_workgroup_id_x 1
		.amdhsa_system_sgpr_workgroup_id_y 1
		.amdhsa_system_sgpr_workgroup_id_z 0
		.amdhsa_system_sgpr_workgroup_info 0
		.amdhsa_system_vgpr_workitem_id 1
		.amdhsa_next_free_vgpr 44
		.amdhsa_next_free_sgpr 11
		.amdhsa_reserve_vcc 1
		.amdhsa_float_round_mode_32 0
		.amdhsa_float_round_mode_16_64 0
		.amdhsa_float_denorm_mode_32 3
		.amdhsa_float_denorm_mode_16_64 3
		.amdhsa_fp16_overflow 0
		.amdhsa_workgroup_processor_mode 1
		.amdhsa_memory_ordered 1
		.amdhsa_forward_progress 1
		.amdhsa_inst_pref_size 12
		.amdhsa_round_robin_scheduling 0
		.amdhsa_exception_fp_ieee_invalid_op 0
		.amdhsa_exception_fp_denorm_src 0
		.amdhsa_exception_fp_ieee_div_zero 0
		.amdhsa_exception_fp_ieee_overflow 0
		.amdhsa_exception_fp_ieee_underflow 0
		.amdhsa_exception_fp_ieee_inexact 0
		.amdhsa_exception_int_div_zero 0
	.end_amdhsa_kernel
	.section	.text._ZL13mul_mat_vec_qIN3c104HalfELi32ELi4E10block_q5_1Li2EXadL_ZL17vec_dot_q5_1_q8_1PKvPK10block_q8_1RKiEEEvS4_S4_PT_iii,"axG",@progbits,_ZL13mul_mat_vec_qIN3c104HalfELi32ELi4E10block_q5_1Li2EXadL_ZL17vec_dot_q5_1_q8_1PKvPK10block_q8_1RKiEEEvS4_S4_PT_iii,comdat
.Lfunc_end81:
	.size	_ZL13mul_mat_vec_qIN3c104HalfELi32ELi4E10block_q5_1Li2EXadL_ZL17vec_dot_q5_1_q8_1PKvPK10block_q8_1RKiEEEvS4_S4_PT_iii, .Lfunc_end81-_ZL13mul_mat_vec_qIN3c104HalfELi32ELi4E10block_q5_1Li2EXadL_ZL17vec_dot_q5_1_q8_1PKvPK10block_q8_1RKiEEEvS4_S4_PT_iii
                                        ; -- End function
	.set _ZL13mul_mat_vec_qIN3c104HalfELi32ELi4E10block_q5_1Li2EXadL_ZL17vec_dot_q5_1_q8_1PKvPK10block_q8_1RKiEEEvS4_S4_PT_iii.num_vgpr, 44
	.set _ZL13mul_mat_vec_qIN3c104HalfELi32ELi4E10block_q5_1Li2EXadL_ZL17vec_dot_q5_1_q8_1PKvPK10block_q8_1RKiEEEvS4_S4_PT_iii.num_agpr, 0
	.set _ZL13mul_mat_vec_qIN3c104HalfELi32ELi4E10block_q5_1Li2EXadL_ZL17vec_dot_q5_1_q8_1PKvPK10block_q8_1RKiEEEvS4_S4_PT_iii.numbered_sgpr, 11
	.set _ZL13mul_mat_vec_qIN3c104HalfELi32ELi4E10block_q5_1Li2EXadL_ZL17vec_dot_q5_1_q8_1PKvPK10block_q8_1RKiEEEvS4_S4_PT_iii.num_named_barrier, 0
	.set _ZL13mul_mat_vec_qIN3c104HalfELi32ELi4E10block_q5_1Li2EXadL_ZL17vec_dot_q5_1_q8_1PKvPK10block_q8_1RKiEEEvS4_S4_PT_iii.private_seg_size, 0
	.set _ZL13mul_mat_vec_qIN3c104HalfELi32ELi4E10block_q5_1Li2EXadL_ZL17vec_dot_q5_1_q8_1PKvPK10block_q8_1RKiEEEvS4_S4_PT_iii.uses_vcc, 1
	.set _ZL13mul_mat_vec_qIN3c104HalfELi32ELi4E10block_q5_1Li2EXadL_ZL17vec_dot_q5_1_q8_1PKvPK10block_q8_1RKiEEEvS4_S4_PT_iii.uses_flat_scratch, 0
	.set _ZL13mul_mat_vec_qIN3c104HalfELi32ELi4E10block_q5_1Li2EXadL_ZL17vec_dot_q5_1_q8_1PKvPK10block_q8_1RKiEEEvS4_S4_PT_iii.has_dyn_sized_stack, 0
	.set _ZL13mul_mat_vec_qIN3c104HalfELi32ELi4E10block_q5_1Li2EXadL_ZL17vec_dot_q5_1_q8_1PKvPK10block_q8_1RKiEEEvS4_S4_PT_iii.has_recursion, 0
	.set _ZL13mul_mat_vec_qIN3c104HalfELi32ELi4E10block_q5_1Li2EXadL_ZL17vec_dot_q5_1_q8_1PKvPK10block_q8_1RKiEEEvS4_S4_PT_iii.has_indirect_call, 0
	.section	.AMDGPU.csdata,"",@progbits
; Kernel info:
; codeLenInByte = 1444
; TotalNumSgprs: 13
; NumVgprs: 44
; ScratchSize: 0
; MemoryBound: 0
; FloatMode: 240
; IeeeMode: 1
; LDSByteSize: 0 bytes/workgroup (compile time only)
; SGPRBlocks: 0
; VGPRBlocks: 5
; NumSGPRsForWavesPerEU: 13
; NumVGPRsForWavesPerEU: 44
; Occupancy: 16
; WaveLimiterHint : 0
; COMPUTE_PGM_RSRC2:SCRATCH_EN: 0
; COMPUTE_PGM_RSRC2:USER_SGPR: 2
; COMPUTE_PGM_RSRC2:TRAP_HANDLER: 0
; COMPUTE_PGM_RSRC2:TGID_X_EN: 1
; COMPUTE_PGM_RSRC2:TGID_Y_EN: 1
; COMPUTE_PGM_RSRC2:TGID_Z_EN: 0
; COMPUTE_PGM_RSRC2:TIDIG_COMP_CNT: 1
	.section	.text._ZL13mul_mat_vec_qIN3c104HalfELi32ELi8E10block_q8_0Li2EXadL_ZL17vec_dot_q8_0_q8_1PKvPK10block_q8_1RKiEEEvS4_S4_PT_iii,"axG",@progbits,_ZL13mul_mat_vec_qIN3c104HalfELi32ELi8E10block_q8_0Li2EXadL_ZL17vec_dot_q8_0_q8_1PKvPK10block_q8_1RKiEEEvS4_S4_PT_iii,comdat
	.globl	_ZL13mul_mat_vec_qIN3c104HalfELi32ELi8E10block_q8_0Li2EXadL_ZL17vec_dot_q8_0_q8_1PKvPK10block_q8_1RKiEEEvS4_S4_PT_iii ; -- Begin function _ZL13mul_mat_vec_qIN3c104HalfELi32ELi8E10block_q8_0Li2EXadL_ZL17vec_dot_q8_0_q8_1PKvPK10block_q8_1RKiEEEvS4_S4_PT_iii
	.p2align	8
	.type	_ZL13mul_mat_vec_qIN3c104HalfELi32ELi8E10block_q8_0Li2EXadL_ZL17vec_dot_q8_0_q8_1PKvPK10block_q8_1RKiEEEvS4_S4_PT_iii,@function
_ZL13mul_mat_vec_qIN3c104HalfELi32ELi8E10block_q8_0Li2EXadL_ZL17vec_dot_q8_0_q8_1PKvPK10block_q8_1RKiEEEvS4_S4_PT_iii: ; @_ZL13mul_mat_vec_qIN3c104HalfELi32ELi8E10block_q8_0Li2EXadL_ZL17vec_dot_q8_0_q8_1PKvPK10block_q8_1RKiEEEvS4_S4_PT_iii
; %bb.0:
	s_clause 0x1
	s_load_u16 s2, s[0:1], 0x36
	s_load_b96 s[4:6], s[0:1], 0x18
	v_bfe_u32 v1, v0, 10, 10
	s_wait_kmcnt 0x0
	s_delay_alu instid0(VALU_DEP_1)
	v_mad_co_u64_u32 v[1:2], null, ttmp9, s2, v[1:2]
	s_cmp_lt_u32 ttmp7, s6
	s_cselect_b32 s2, -1, 0
	v_cmp_gt_u32_e32 vcc_lo, s5, v1
	s_wait_alu 0xfffe
	s_and_b32 s2, s2, vcc_lo
	s_wait_alu 0xfffe
	s_and_saveexec_b32 s3, s2
	s_cbranch_execz .LBB82_7
; %bb.1:
	s_load_b64 s[6:7], s[0:1], 0x10
	s_ashr_i32 s2, s4, 31
	v_bfe_u32 v3, v0, 2, 8
	s_wait_alu 0xfffe
	s_lshr_b32 s2, s2, 27
	v_and_b32_e32 v0, 0x3ff, v0
	v_mov_b32_e32 v2, 0
	s_wait_alu 0xfffe
	s_add_co_i32 s2, s4, s2
	s_mov_b32 s8, exec_lo
	s_wait_alu 0xfffe
	s_ashr_i32 s9, s2, 5
	s_delay_alu instid0(SALU_CYCLE_1)
	v_cmpx_gt_u32_e64 s9, v3
	s_cbranch_execz .LBB82_5
; %bb.2:
	s_load_b128 s[0:3], s[0:1], 0x0
	s_addk_co_i32 s4, 0x1ff
	v_lshlrev_b32_e32 v2, 3, v0
	s_wait_alu 0xfffe
	s_ashr_i32 s10, s4, 31
	v_mul_lo_u32 v4, v1, s9
	s_lshr_b32 s10, s10, 23
	s_delay_alu instid0(SALU_CYCLE_1)
	s_add_co_i32 s4, s4, s10
	v_dual_mov_b32 v2, 0 :: v_dual_and_b32 v5, 24, v2
	s_wait_alu 0xfffe
	s_ashr_i32 s4, s4, 9
	s_mov_b32 s10, 0
	s_wait_alu 0xfffe
	s_mul_i32 s4, ttmp7, s4
	s_wait_alu 0xfffe
	s_lshl_b32 s4, s4, 4
.LBB82_3:                               ; =>This Inner Loop Header: Depth=1
	s_wait_alu 0xfffe
	v_add_nc_u32_e32 v6, s4, v3
	v_add_nc_u32_e32 v8, v4, v3
	s_wait_kmcnt 0x0
	s_delay_alu instid0(VALU_DEP_2) | instskip(NEXT) | instid1(VALU_DEP_2)
	v_mad_co_i64_i32 v[6:7], null, v6, 36, s[2:3]
	v_mad_co_i64_i32 v[8:9], null, v8, 34, s[0:1]
	s_delay_alu instid0(VALU_DEP_2) | instskip(SKIP_1) | instid1(VALU_DEP_3)
	v_add_co_u32 v10, vcc_lo, v6, v5
	s_wait_alu 0xfffd
	v_add_co_ci_u32_e64 v11, null, 0, v7, vcc_lo
	s_delay_alu instid0(VALU_DEP_3) | instskip(SKIP_1) | instid1(VALU_DEP_4)
	v_add_co_u32 v12, vcc_lo, v8, v5
	s_wait_alu 0xfffd
	v_add_co_ci_u32_e64 v13, null, 0, v9, vcc_lo
	global_load_b64 v[10:11], v[10:11], off offset:4
	s_clause 0x2
	global_load_b32 v14, v[12:13], off offset:2
	global_load_b32 v12, v[12:13], off offset:6
	global_load_u16 v8, v[8:9], off
	global_load_b32 v6, v[6:7], off
	s_wait_loadcnt 0x4
	v_lshrrev_b16 v7, 8, v10
	s_wait_loadcnt 0x3
	v_lshrrev_b16 v9, 8, v14
	v_bfe_i32 v13, v14, 0, 8
	v_ashrrev_i32_e32 v15, 24, v14
	v_bfe_i32 v14, v14, 16, 8
	v_bfe_i32 v16, v10, 0, 8
	v_ashrrev_i32_e32 v17, 24, v10
	v_bfe_i32 v10, v10, 16, 8
	s_wait_loadcnt 0x2
	v_bfe_i32 v18, v12, 0, 8
	v_bfe_i32 v20, v12, 8, 8
	;; [unrolled: 1-line block ×4, first 2 shown]
	v_ashrrev_i32_e32 v12, 24, v12
	v_ashrrev_i32_e32 v23, 24, v11
	v_bfe_i32 v9, v9, 0, 8
	v_bfe_i32 v7, v7, 0, 8
	v_mul_i32_i24_e32 v10, v10, v14
	v_mul_i32_i24_e32 v14, v17, v15
	v_bfe_i32 v19, v11, 0, 8
	v_bfe_i32 v11, v11, 16, 8
	v_mul_i32_i24_e32 v15, v21, v20
	v_mul_i32_i24_e32 v12, v23, v12
	v_mad_i32_i24 v10, v16, v13, v10
	v_mad_i32_i24 v7, v7, v9, v14
	v_mul_i32_i24_e32 v9, v11, v22
	v_mad_i32_i24 v11, v19, v18, v15
	s_wait_loadcnt 0x1
	v_cvt_f32_f16_e32 v8, v8
	s_wait_loadcnt 0x0
	v_cvt_f32_f16_e32 v6, v6
	v_add3_u32 v7, v10, v7, v12
	s_delay_alu instid0(VALU_DEP_2) | instskip(NEXT) | instid1(VALU_DEP_2)
	v_dual_mul_f32 v6, v8, v6 :: v_dual_add_nc_u32 v3, 8, v3
	v_add3_u32 v7, v7, v11, v9
	s_delay_alu instid0(VALU_DEP_2) | instskip(NEXT) | instid1(VALU_DEP_2)
	v_cmp_le_u32_e32 vcc_lo, s9, v3
	v_cvt_f32_i32_e32 v7, v7
	s_or_b32 s10, vcc_lo, s10
	s_delay_alu instid0(VALU_DEP_1)
	v_fmac_f32_e32 v2, v6, v7
	s_and_not1_b32 exec_lo, exec_lo, s10
	s_cbranch_execnz .LBB82_3
; %bb.4:
	s_or_b32 exec_lo, exec_lo, s10
.LBB82_5:
	s_delay_alu instid0(SALU_CYCLE_1) | instskip(SKIP_1) | instid1(VALU_DEP_1)
	s_or_b32 exec_lo, exec_lo, s8
	v_mbcnt_lo_u32_b32 v3, -1, 0
	v_xor_b32_e32 v4, 16, v3
	v_xor_b32_e32 v5, 8, v3
	s_delay_alu instid0(VALU_DEP_2) | instskip(SKIP_2) | instid1(VALU_DEP_3)
	v_cmp_gt_i32_e32 vcc_lo, 32, v4
	s_wait_alu 0xfffd
	v_cndmask_b32_e32 v4, v3, v4, vcc_lo
	v_cmp_gt_i32_e32 vcc_lo, 32, v5
	s_wait_alu 0xfffd
	v_cndmask_b32_e32 v5, v3, v5, vcc_lo
	s_delay_alu instid0(VALU_DEP_1)
	v_lshlrev_b32_e32 v5, 2, v5
	v_lshlrev_b32_e32 v4, 2, v4
	ds_bpermute_b32 v4, v4, v2
	s_wait_dscnt 0x0
	v_add_f32_e32 v2, v2, v4
	ds_bpermute_b32 v4, v5, v2
	v_xor_b32_e32 v5, 4, v3
	s_delay_alu instid0(VALU_DEP_1) | instskip(SKIP_3) | instid1(VALU_DEP_1)
	v_cmp_gt_i32_e32 vcc_lo, 32, v5
	s_wait_alu 0xfffd
	v_cndmask_b32_e32 v5, v3, v5, vcc_lo
	s_wait_dscnt 0x0
	v_dual_add_f32 v2, v2, v4 :: v_dual_lshlrev_b32 v5, 2, v5
	ds_bpermute_b32 v4, v5, v2
	v_xor_b32_e32 v5, 2, v3
	s_delay_alu instid0(VALU_DEP_1) | instskip(SKIP_3) | instid1(VALU_DEP_1)
	v_cmp_gt_i32_e32 vcc_lo, 32, v5
	s_wait_dscnt 0x0
	s_wait_alu 0xfffd
	v_dual_cndmask_b32 v5, v3, v5 :: v_dual_add_f32 v2, v2, v4
	v_lshlrev_b32_e32 v5, 2, v5
	ds_bpermute_b32 v4, v5, v2
	v_xor_b32_e32 v5, 1, v3
	s_delay_alu instid0(VALU_DEP_1) | instskip(SKIP_4) | instid1(VALU_DEP_2)
	v_cmp_gt_i32_e32 vcc_lo, 32, v5
	s_wait_alu 0xfffd
	v_cndmask_b32_e32 v3, v3, v5, vcc_lo
	v_cmp_eq_u32_e32 vcc_lo, 0, v0
	s_wait_dscnt 0x0
	v_dual_add_f32 v2, v2, v4 :: v_dual_lshlrev_b32 v3, 2, v3
	ds_bpermute_b32 v3, v3, v2
	s_and_b32 exec_lo, exec_lo, vcc_lo
	s_cbranch_execz .LBB82_7
; %bb.6:
	v_mad_co_u64_u32 v[0:1], null, s5, ttmp7, v[1:2]
	s_wait_dscnt 0x0
	v_dual_mov_b32 v1, 0 :: v_dual_add_f32 v2, v2, v3
	s_delay_alu instid0(VALU_DEP_1) | instskip(NEXT) | instid1(VALU_DEP_2)
	v_cvt_f16_f32_e32 v2, v2
	v_lshlrev_b64_e32 v[0:1], 1, v[0:1]
	s_wait_kmcnt 0x0
	s_delay_alu instid0(VALU_DEP_1) | instskip(SKIP_1) | instid1(VALU_DEP_2)
	v_add_co_u32 v0, vcc_lo, s6, v0
	s_wait_alu 0xfffd
	v_add_co_ci_u32_e64 v1, null, s7, v1, vcc_lo
	global_store_b16 v[0:1], v2, off
.LBB82_7:
	s_endpgm
	.section	.rodata,"a",@progbits
	.p2align	6, 0x0
	.amdhsa_kernel _ZL13mul_mat_vec_qIN3c104HalfELi32ELi8E10block_q8_0Li2EXadL_ZL17vec_dot_q8_0_q8_1PKvPK10block_q8_1RKiEEEvS4_S4_PT_iii
		.amdhsa_group_segment_fixed_size 0
		.amdhsa_private_segment_fixed_size 0
		.amdhsa_kernarg_size 296
		.amdhsa_user_sgpr_count 2
		.amdhsa_user_sgpr_dispatch_ptr 0
		.amdhsa_user_sgpr_queue_ptr 0
		.amdhsa_user_sgpr_kernarg_segment_ptr 1
		.amdhsa_user_sgpr_dispatch_id 0
		.amdhsa_user_sgpr_private_segment_size 0
		.amdhsa_wavefront_size32 1
		.amdhsa_uses_dynamic_stack 0
		.amdhsa_enable_private_segment 0
		.amdhsa_system_sgpr_workgroup_id_x 1
		.amdhsa_system_sgpr_workgroup_id_y 1
		.amdhsa_system_sgpr_workgroup_id_z 0
		.amdhsa_system_sgpr_workgroup_info 0
		.amdhsa_system_vgpr_workitem_id 1
		.amdhsa_next_free_vgpr 24
		.amdhsa_next_free_sgpr 11
		.amdhsa_reserve_vcc 1
		.amdhsa_float_round_mode_32 0
		.amdhsa_float_round_mode_16_64 0
		.amdhsa_float_denorm_mode_32 3
		.amdhsa_float_denorm_mode_16_64 3
		.amdhsa_fp16_overflow 0
		.amdhsa_workgroup_processor_mode 1
		.amdhsa_memory_ordered 1
		.amdhsa_forward_progress 1
		.amdhsa_inst_pref_size 8
		.amdhsa_round_robin_scheduling 0
		.amdhsa_exception_fp_ieee_invalid_op 0
		.amdhsa_exception_fp_denorm_src 0
		.amdhsa_exception_fp_ieee_div_zero 0
		.amdhsa_exception_fp_ieee_overflow 0
		.amdhsa_exception_fp_ieee_underflow 0
		.amdhsa_exception_fp_ieee_inexact 0
		.amdhsa_exception_int_div_zero 0
	.end_amdhsa_kernel
	.section	.text._ZL13mul_mat_vec_qIN3c104HalfELi32ELi8E10block_q8_0Li2EXadL_ZL17vec_dot_q8_0_q8_1PKvPK10block_q8_1RKiEEEvS4_S4_PT_iii,"axG",@progbits,_ZL13mul_mat_vec_qIN3c104HalfELi32ELi8E10block_q8_0Li2EXadL_ZL17vec_dot_q8_0_q8_1PKvPK10block_q8_1RKiEEEvS4_S4_PT_iii,comdat
.Lfunc_end82:
	.size	_ZL13mul_mat_vec_qIN3c104HalfELi32ELi8E10block_q8_0Li2EXadL_ZL17vec_dot_q8_0_q8_1PKvPK10block_q8_1RKiEEEvS4_S4_PT_iii, .Lfunc_end82-_ZL13mul_mat_vec_qIN3c104HalfELi32ELi8E10block_q8_0Li2EXadL_ZL17vec_dot_q8_0_q8_1PKvPK10block_q8_1RKiEEEvS4_S4_PT_iii
                                        ; -- End function
	.set _ZL13mul_mat_vec_qIN3c104HalfELi32ELi8E10block_q8_0Li2EXadL_ZL17vec_dot_q8_0_q8_1PKvPK10block_q8_1RKiEEEvS4_S4_PT_iii.num_vgpr, 24
	.set _ZL13mul_mat_vec_qIN3c104HalfELi32ELi8E10block_q8_0Li2EXadL_ZL17vec_dot_q8_0_q8_1PKvPK10block_q8_1RKiEEEvS4_S4_PT_iii.num_agpr, 0
	.set _ZL13mul_mat_vec_qIN3c104HalfELi32ELi8E10block_q8_0Li2EXadL_ZL17vec_dot_q8_0_q8_1PKvPK10block_q8_1RKiEEEvS4_S4_PT_iii.numbered_sgpr, 11
	.set _ZL13mul_mat_vec_qIN3c104HalfELi32ELi8E10block_q8_0Li2EXadL_ZL17vec_dot_q8_0_q8_1PKvPK10block_q8_1RKiEEEvS4_S4_PT_iii.num_named_barrier, 0
	.set _ZL13mul_mat_vec_qIN3c104HalfELi32ELi8E10block_q8_0Li2EXadL_ZL17vec_dot_q8_0_q8_1PKvPK10block_q8_1RKiEEEvS4_S4_PT_iii.private_seg_size, 0
	.set _ZL13mul_mat_vec_qIN3c104HalfELi32ELi8E10block_q8_0Li2EXadL_ZL17vec_dot_q8_0_q8_1PKvPK10block_q8_1RKiEEEvS4_S4_PT_iii.uses_vcc, 1
	.set _ZL13mul_mat_vec_qIN3c104HalfELi32ELi8E10block_q8_0Li2EXadL_ZL17vec_dot_q8_0_q8_1PKvPK10block_q8_1RKiEEEvS4_S4_PT_iii.uses_flat_scratch, 0
	.set _ZL13mul_mat_vec_qIN3c104HalfELi32ELi8E10block_q8_0Li2EXadL_ZL17vec_dot_q8_0_q8_1PKvPK10block_q8_1RKiEEEvS4_S4_PT_iii.has_dyn_sized_stack, 0
	.set _ZL13mul_mat_vec_qIN3c104HalfELi32ELi8E10block_q8_0Li2EXadL_ZL17vec_dot_q8_0_q8_1PKvPK10block_q8_1RKiEEEvS4_S4_PT_iii.has_recursion, 0
	.set _ZL13mul_mat_vec_qIN3c104HalfELi32ELi8E10block_q8_0Li2EXadL_ZL17vec_dot_q8_0_q8_1PKvPK10block_q8_1RKiEEEvS4_S4_PT_iii.has_indirect_call, 0
	.section	.AMDGPU.csdata,"",@progbits
; Kernel info:
; codeLenInByte = 940
; TotalNumSgprs: 13
; NumVgprs: 24
; ScratchSize: 0
; MemoryBound: 0
; FloatMode: 240
; IeeeMode: 1
; LDSByteSize: 0 bytes/workgroup (compile time only)
; SGPRBlocks: 0
; VGPRBlocks: 2
; NumSGPRsForWavesPerEU: 13
; NumVGPRsForWavesPerEU: 24
; Occupancy: 16
; WaveLimiterHint : 0
; COMPUTE_PGM_RSRC2:SCRATCH_EN: 0
; COMPUTE_PGM_RSRC2:USER_SGPR: 2
; COMPUTE_PGM_RSRC2:TRAP_HANDLER: 0
; COMPUTE_PGM_RSRC2:TGID_X_EN: 1
; COMPUTE_PGM_RSRC2:TGID_Y_EN: 1
; COMPUTE_PGM_RSRC2:TGID_Z_EN: 0
; COMPUTE_PGM_RSRC2:TIDIG_COMP_CNT: 1
	.section	.text._ZL13mul_mat_vec_qIN3c104HalfELi256ELi16E10block_q2_KLi1EXadL_ZL17vec_dot_q2_K_q8_1PKvPK10block_q8_1RKiEEEvS4_S4_PT_iii,"axG",@progbits,_ZL13mul_mat_vec_qIN3c104HalfELi256ELi16E10block_q2_KLi1EXadL_ZL17vec_dot_q2_K_q8_1PKvPK10block_q8_1RKiEEEvS4_S4_PT_iii,comdat
	.globl	_ZL13mul_mat_vec_qIN3c104HalfELi256ELi16E10block_q2_KLi1EXadL_ZL17vec_dot_q2_K_q8_1PKvPK10block_q8_1RKiEEEvS4_S4_PT_iii ; -- Begin function _ZL13mul_mat_vec_qIN3c104HalfELi256ELi16E10block_q2_KLi1EXadL_ZL17vec_dot_q2_K_q8_1PKvPK10block_q8_1RKiEEEvS4_S4_PT_iii
	.p2align	8
	.type	_ZL13mul_mat_vec_qIN3c104HalfELi256ELi16E10block_q2_KLi1EXadL_ZL17vec_dot_q2_K_q8_1PKvPK10block_q8_1RKiEEEvS4_S4_PT_iii,@function
_ZL13mul_mat_vec_qIN3c104HalfELi256ELi16E10block_q2_KLi1EXadL_ZL17vec_dot_q2_K_q8_1PKvPK10block_q8_1RKiEEEvS4_S4_PT_iii: ; @_ZL13mul_mat_vec_qIN3c104HalfELi256ELi16E10block_q2_KLi1EXadL_ZL17vec_dot_q2_K_q8_1PKvPK10block_q8_1RKiEEEvS4_S4_PT_iii
; %bb.0:
	s_clause 0x1
	s_load_u16 s2, s[0:1], 0x36
	s_load_b96 s[4:6], s[0:1], 0x18
	v_bfe_u32 v1, v0, 10, 10
	s_wait_kmcnt 0x0
	s_delay_alu instid0(VALU_DEP_1)
	v_mad_co_u64_u32 v[1:2], null, ttmp9, s2, v[1:2]
	s_cmp_lt_u32 ttmp7, s6
	s_cselect_b32 s2, -1, 0
	v_cmp_gt_u32_e32 vcc_lo, s5, v1
	s_wait_alu 0xfffe
	s_and_b32 s2, s2, vcc_lo
	s_wait_alu 0xfffe
	s_and_saveexec_b32 s3, s2
	s_cbranch_execz .LBB83_7
; %bb.1:
	s_load_b64 s[6:7], s[0:1], 0x10
	s_ashr_i32 s2, s4, 31
	v_bfe_u32 v8, v0, 4, 6
	s_wait_alu 0xfffe
	s_lshr_b32 s2, s2, 24
	v_dual_mov_b32 v3, 0 :: v_dual_and_b32 v0, 0x3ff, v0
	s_wait_alu 0xfffe
	s_add_co_i32 s2, s4, s2
	s_mov_b32 s8, exec_lo
	s_wait_alu 0xfffe
	s_ashr_i32 s9, s2, 8
	s_delay_alu instid0(SALU_CYCLE_1)
	v_cmpx_gt_u32_e64 s9, v8
	s_cbranch_execz .LBB83_5
; %bb.2:
	v_and_b32_e32 v3, 15, v0
	s_load_b128 s[0:3], s[0:1], 0x0
	v_lshrrev_b32_e32 v4, 1, v0
	s_addk_co_i32 s4, 0x1ff
	v_lshlrev_b32_e32 v12, 3, v8
	v_sub_co_u32 v2, vcc_lo, v3, 8
	s_wait_alu 0xfffe
	s_ashr_i32 s10, s4, 31
	v_lshlrev_b32_e32 v10, 2, v3
	s_lshr_b32 s10, s10, 23
	v_cndmask_b32_e32 v2, v2, v3, vcc_lo
	v_and_b32_e32 v4, 4, v4
	s_add_co_i32 s4, s4, s10
	v_mul_lo_u32 v9, v1, s9
	s_wait_alu 0xfffe
	s_ashr_i32 s4, s4, 9
	v_sub_nc_u32_e32 v5, v3, v2
	v_mov_b32_e32 v3, 0
	v_cmp_lt_u32_e32 vcc_lo, 3, v2
	s_wait_alu 0xfffe
	s_mul_i32 s4, ttmp7, s4
	s_wait_alu 0xfffe
	v_lshl_add_u32 v12, s4, 4, v12
	v_lshlrev_b64_e32 v[6:7], 2, v[2:3]
	s_wait_alu 0xfffd
	v_add_co_ci_u32_e64 v11, null, 0, v5, vcc_lo
	s_wait_kmcnt 0x0
	v_mad_co_u64_u32 v[4:5], null, v4, 36, s[2:3]
	s_mov_b32 s2, 0
	v_ashrrev_i32_e32 v2, 31, v11
.LBB83_3:                               ; =>This Inner Loop Header: Depth=1
	v_add_nc_u32_e32 v15, v9, v8
	v_mad_co_i64_i32 v[13:14], null, v12, 36, v[4:5]
	v_add_nc_u32_e32 v8, 2, v8
	v_add_nc_u32_e32 v12, 16, v12
	s_delay_alu instid0(VALU_DEP_4) | instskip(NEXT) | instid1(VALU_DEP_4)
	v_mad_co_i64_i32 v[15:16], null, 0x54, v15, s[0:1]
	v_add_co_u32 v17, vcc_lo, v13, v6
	s_wait_alu 0xfffd
	v_add_co_ci_u32_e64 v18, null, v14, v7, vcc_lo
	s_clause 0x6
	global_load_b32 v21, v[13:14], off
	global_load_b32 v22, v[13:14], off offset:36
	global_load_b32 v23, v[13:14], off offset:72
	;; [unrolled: 1-line block ×6, first 2 shown]
	v_add_co_u32 v17, vcc_lo, v15, v10
	s_wait_alu 0xfffd
	v_add_co_ci_u32_e64 v18, null, 0, v16, vcc_lo
	v_add_co_u32 v19, vcc_lo, v15, v11
	s_wait_alu 0xfffd
	v_add_co_ci_u32_e64 v20, null, v16, v2, vcc_lo
	s_clause 0x5
	global_load_b32 v17, v[17:18], off offset:16
	global_load_u8 v18, v[19:20], off
	global_load_u8 v28, v[19:20], off offset:2
	global_load_u8 v29, v[19:20], off offset:4
	;; [unrolled: 1-line block ×3, first 2 shown]
	global_load_b32 v15, v[15:16], off offset:80
	global_load_b32 v13, v[13:14], off offset:108
	v_cmp_le_u32_e32 vcc_lo, s9, v8
	s_wait_alu 0xfffe
	s_or_b32 s2, vcc_lo, s2
	s_wait_loadcnt 0xa
	v_lshrrev_b16 v14, 8, v24
	v_ashrrev_i32_e32 v16, 24, v24
	v_bfe_i32 v20, v24, 16, 8
	v_bfe_i32 v24, v24, 0, 8
	s_wait_loadcnt 0x9
	v_bfe_i32 v30, v25, 0, 8
	s_wait_loadcnt 0x8
	v_lshlrev_b32_e32 v36, 16, v26
	v_lshlrev_b32_e32 v38, 8, v26
	;; [unrolled: 1-line block ×3, first 2 shown]
	s_wait_loadcnt 0x6
	v_and_b32_e32 v45, 3, v17
	s_wait_loadcnt 0x5
	v_and_b32_e32 v49, 15, v18
	v_lshrrev_b32_e32 v18, 4, v18
	v_bfe_u32 v50, v17, 2, 2
	s_wait_loadcnt 0x4
	v_and_b32_e32 v54, 15, v28
	v_lshrrev_b32_e32 v28, 4, v28
	v_bfe_i32 v32, v25, 8, 8
	v_mul_lo_u32 v18, 0x1010101, v18
	v_lshlrev_b32_e32 v33, 8, v25
	v_bfe_i32 v34, v25, 16, 8
	v_ashrrev_i32_e32 v25, 24, v25
	v_bfe_i32 v44, v27, 16, 8
	v_bfe_u32 v46, v17, 8, 2
	v_bfe_i32 v14, v14, 0, 8
	v_bfe_u32 v51, v17, 10, 2
	v_bfe_u32 v52, v17, 18, 2
	v_bfe_u32 v53, v17, 26, 2
	v_perm_b32 v36, v38, v36, 0xc0c0703
	v_bfe_u32 v38, v17, 22, 2
	v_mul_i32_i24_e32 v45, v24, v45
	v_mul_i32_i24_e32 v50, v30, v50
	s_wait_loadcnt 0x3
	v_and_b32_e32 v58, 15, v29
	v_lshrrev_b32_e32 v29, 4, v29
	v_mul_lo_u32 v28, 0x1010101, v28
	v_bfe_i32 v35, v26, 0, 8
	v_bfe_i32 v37, v26, 8, 8
	;; [unrolled: 1-line block ×3, first 2 shown]
	v_ashrrev_i32_e32 v26, 24, v26
	v_bfe_u32 v48, v17, 24, 2
	v_bfe_u32 v57, v17, 28, 2
	v_mul_i32_i24_e32 v34, v34, v52
	v_mul_i32_i24_e32 v52, v25, v53
	;; [unrolled: 1-line block ×3, first 2 shown]
	v_mad_i32_i24 v44, v14, v46, v45
	v_mad_i32_i24 v32, v32, v51, v50
	v_lshrrev_b32_e32 v45, 24, v18
	v_lshrrev_b16 v46, 8, v18
	v_bfe_u32 v47, v17, 16, 2
	s_wait_loadcnt 0x2
	v_and_b32_e32 v61, 15, v19
	v_lshrrev_b32_e32 v19, 4, v19
	v_mul_lo_u32 v29, 0x1010101, v29
	v_perm_b32 v31, v33, v31, 0xc0c0703
	v_bfe_u32 v33, v17, 4, 2
	v_bfe_u32 v55, v17, 12, 2
	v_mul_i32_i24_e32 v48, v16, v48
	v_mul_i32_i24_e32 v53, v26, v57
	v_bfe_i32 v50, v18, 16, 8
	v_bfe_i32 v18, v18, 0, 8
	;; [unrolled: 1-line block ×3, first 2 shown]
	v_add3_u32 v32, v32, v34, v52
	v_bfe_i32 v34, v46, 0, 8
	v_mul_i32_i24_e32 v16, v45, v16
	v_bfe_u32 v56, v17, 20, 2
	v_mul_i32_i24_e32 v47, v20, v47
	v_mul_lo_u32 v19, 0x1010101, v19
	v_bfe_i32 v40, v27, 0, 8
	v_lshlrev_b32_e32 v41, 16, v27
	v_bfe_i32 v42, v27, 8, 8
	v_lshlrev_b32_e32 v43, 8, v27
	v_ashrrev_i32_e32 v27, 24, v27
	v_bfe_u32 v59, v17, 6, 2
	v_bfe_u32 v60, v17, 14, 2
	v_lshrrev_b32_e32 v17, 30, v17
	v_mul_i32_i24_e32 v37, v37, v55
	v_mad_i32_i24 v33, v35, v33, v53
	v_lshrrev_b32_e32 v53, 24, v28
	v_perm_b32 v28, v28, v28, 0xc0c0201
	v_bfe_i32 v55, v29, 0, 8
	v_mul_i32_i24_e32 v18, v18, v24
	v_mul_i32_i24_e32 v20, v50, v20
	;; [unrolled: 1-line block ×3, first 2 shown]
	v_mad_i32_i24 v14, v34, v14, v16
	v_mul_i32_i24_e32 v39, v39, v56
	v_add3_u32 v44, v44, v47, v48
	v_mul_i32_i24_e32 v17, v27, v17
	v_lshrrev_b32_e32 v56, 24, v29
	v_perm_b32 v29, v29, v29, 0xc0c0201
	v_bfe_i32 v57, v19, 0, 8
	v_mul_i32_i24_e32 v30, v35, v55
	v_dot4_i32_iu8 v24, v31, v28, v24 neg_lo:[1,1,0]
	v_add3_u32 v14, v18, v20, v14
	v_add3_u32 v33, v33, v37, v39
	v_mul_lo_u32 v37, v49, v44
	v_perm_b32 v41, v43, v41, 0xc0c0703
	v_mad_i32_i24 v17, v40, v59, v17
	v_lshrrev_b32_e32 v59, 24, v19
	v_perm_b32 v19, v19, v19, 0xc0c0201
	v_mul_i32_i24_e32 v35, v40, v57
	v_dot4_i32_iu8 v28, v36, v29, v30 neg_lo:[1,1,0]
	v_mad_i32_i24 v20, v25, v53, v24
	v_cvt_f32_i32_e32 v14, v14
	v_mul_i32_i24_e32 v42, v42, v60
	v_mul_lo_u32 v32, v54, v32
	v_dot4_i32_iu8 v18, v41, v19, v35 neg_lo:[1,1,0]
	v_cvt_f32_i32_e32 v19, v37
	v_mad_i32_i24 v25, v26, v56, v28
	v_cvt_f32_i32_e32 v20, v20
	v_fma_mix_f32 v14, v21, v14, 0 op_sel_hi:[1,0,0]
	v_add3_u32 v17, v17, v42, v38
	v_mul_lo_u32 v16, v58, v33
	v_cvt_f32_i32_e32 v24, v32
	v_mad_i32_i24 v18, v27, v59, v18
	v_fma_mix_f32 v19, v21, v19, 0 op_sel_hi:[1,0,0]
	v_cvt_f32_i32_e32 v21, v25
	v_fma_mix_f32 v14, v22, v20, v14 op_sel_hi:[1,0,0]
	v_mul_lo_u32 v17, v61, v17
	s_wait_loadcnt 0x1
	v_lshrrev_b32_e32 v43, 16, v15
	v_cvt_f32_i32_e32 v16, v16
	v_cvt_f32_i32_e32 v18, v18
	v_fma_mix_f32 v19, v22, v24, v19 op_sel_hi:[1,0,0]
	v_fma_mix_f32 v14, v23, v21, v14 op_sel_hi:[1,0,0]
	v_cvt_f32_f16_e32 v20, v43
	v_cvt_f32_i32_e32 v17, v17
	s_delay_alu instid0(VALU_DEP_4) | instskip(SKIP_2) | instid1(VALU_DEP_2)
	v_fma_mix_f32 v16, v23, v16, v19 op_sel_hi:[1,0,0]
	s_wait_loadcnt 0x0
	v_fma_mix_f32 v14, v13, v18, v14 op_sel_hi:[1,0,0]
	v_fma_mix_f32 v13, v13, v17, v16 op_sel_hi:[1,0,0]
	s_delay_alu instid0(VALU_DEP_2) | instskip(NEXT) | instid1(VALU_DEP_1)
	v_mul_f32_e32 v14, v14, v20
	v_fma_mix_f32 v13, v13, v15, -v14 op_sel_hi:[0,1,0]
	s_delay_alu instid0(VALU_DEP_1)
	v_add_f32_e32 v3, v3, v13
	s_wait_alu 0xfffe
	s_and_not1_b32 exec_lo, exec_lo, s2
	s_cbranch_execnz .LBB83_3
; %bb.4:
	s_or_b32 exec_lo, exec_lo, s2
.LBB83_5:
	s_delay_alu instid0(SALU_CYCLE_1) | instskip(SKIP_1) | instid1(VALU_DEP_1)
	s_or_b32 exec_lo, exec_lo, s8
	v_mbcnt_lo_u32_b32 v2, -1, 0
	v_xor_b32_e32 v4, 16, v2
	v_xor_b32_e32 v5, 8, v2
	s_delay_alu instid0(VALU_DEP_2) | instskip(SKIP_2) | instid1(VALU_DEP_3)
	v_cmp_gt_i32_e32 vcc_lo, 32, v4
	s_wait_alu 0xfffd
	v_cndmask_b32_e32 v4, v2, v4, vcc_lo
	v_cmp_gt_i32_e32 vcc_lo, 32, v5
	s_wait_alu 0xfffd
	v_cndmask_b32_e32 v5, v2, v5, vcc_lo
	s_delay_alu instid0(VALU_DEP_1)
	v_lshlrev_b32_e32 v5, 2, v5
	v_lshlrev_b32_e32 v4, 2, v4
	ds_bpermute_b32 v4, v4, v3
	s_wait_dscnt 0x0
	v_add_f32_e32 v3, v3, v4
	ds_bpermute_b32 v4, v5, v3
	v_xor_b32_e32 v5, 4, v2
	s_delay_alu instid0(VALU_DEP_1) | instskip(SKIP_2) | instid1(VALU_DEP_1)
	v_cmp_gt_i32_e32 vcc_lo, 32, v5
	s_wait_alu 0xfffd
	v_cndmask_b32_e32 v5, v2, v5, vcc_lo
	v_lshlrev_b32_e32 v5, 2, v5
	s_wait_dscnt 0x0
	v_add_f32_e32 v3, v3, v4
	ds_bpermute_b32 v4, v5, v3
	v_xor_b32_e32 v5, 2, v2
	s_delay_alu instid0(VALU_DEP_1) | instskip(SKIP_2) | instid1(VALU_DEP_1)
	v_cmp_gt_i32_e32 vcc_lo, 32, v5
	s_wait_alu 0xfffd
	v_cndmask_b32_e32 v5, v2, v5, vcc_lo
	v_lshlrev_b32_e32 v5, 2, v5
	s_wait_dscnt 0x0
	v_add_f32_e32 v3, v3, v4
	ds_bpermute_b32 v4, v5, v3
	v_xor_b32_e32 v5, 1, v2
	s_delay_alu instid0(VALU_DEP_1) | instskip(SKIP_4) | instid1(VALU_DEP_2)
	v_cmp_gt_i32_e32 vcc_lo, 32, v5
	s_wait_alu 0xfffd
	v_cndmask_b32_e32 v5, v2, v5, vcc_lo
	v_cmp_eq_u32_e32 vcc_lo, 0, v0
	s_wait_dscnt 0x0
	v_dual_add_f32 v2, v3, v4 :: v_dual_lshlrev_b32 v3, 2, v5
	ds_bpermute_b32 v3, v3, v2
	s_and_b32 exec_lo, exec_lo, vcc_lo
	s_cbranch_execz .LBB83_7
; %bb.6:
	v_mad_co_u64_u32 v[0:1], null, s5, ttmp7, v[1:2]
	s_wait_dscnt 0x0
	v_dual_mov_b32 v1, 0 :: v_dual_add_f32 v2, v2, v3
	s_delay_alu instid0(VALU_DEP_1) | instskip(NEXT) | instid1(VALU_DEP_2)
	v_cvt_f16_f32_e32 v2, v2
	v_lshlrev_b64_e32 v[0:1], 1, v[0:1]
	s_wait_kmcnt 0x0
	s_delay_alu instid0(VALU_DEP_1) | instskip(SKIP_1) | instid1(VALU_DEP_2)
	v_add_co_u32 v0, vcc_lo, s6, v0
	s_wait_alu 0xfffd
	v_add_co_ci_u32_e64 v1, null, s7, v1, vcc_lo
	global_store_b16 v[0:1], v2, off
.LBB83_7:
	s_endpgm
	.section	.rodata,"a",@progbits
	.p2align	6, 0x0
	.amdhsa_kernel _ZL13mul_mat_vec_qIN3c104HalfELi256ELi16E10block_q2_KLi1EXadL_ZL17vec_dot_q2_K_q8_1PKvPK10block_q8_1RKiEEEvS4_S4_PT_iii
		.amdhsa_group_segment_fixed_size 0
		.amdhsa_private_segment_fixed_size 0
		.amdhsa_kernarg_size 296
		.amdhsa_user_sgpr_count 2
		.amdhsa_user_sgpr_dispatch_ptr 0
		.amdhsa_user_sgpr_queue_ptr 0
		.amdhsa_user_sgpr_kernarg_segment_ptr 1
		.amdhsa_user_sgpr_dispatch_id 0
		.amdhsa_user_sgpr_private_segment_size 0
		.amdhsa_wavefront_size32 1
		.amdhsa_uses_dynamic_stack 0
		.amdhsa_enable_private_segment 0
		.amdhsa_system_sgpr_workgroup_id_x 1
		.amdhsa_system_sgpr_workgroup_id_y 1
		.amdhsa_system_sgpr_workgroup_id_z 0
		.amdhsa_system_sgpr_workgroup_info 0
		.amdhsa_system_vgpr_workitem_id 1
		.amdhsa_next_free_vgpr 62
		.amdhsa_next_free_sgpr 11
		.amdhsa_reserve_vcc 1
		.amdhsa_float_round_mode_32 0
		.amdhsa_float_round_mode_16_64 0
		.amdhsa_float_denorm_mode_32 3
		.amdhsa_float_denorm_mode_16_64 3
		.amdhsa_fp16_overflow 0
		.amdhsa_workgroup_processor_mode 1
		.amdhsa_memory_ordered 1
		.amdhsa_forward_progress 1
		.amdhsa_inst_pref_size 14
		.amdhsa_round_robin_scheduling 0
		.amdhsa_exception_fp_ieee_invalid_op 0
		.amdhsa_exception_fp_denorm_src 0
		.amdhsa_exception_fp_ieee_div_zero 0
		.amdhsa_exception_fp_ieee_overflow 0
		.amdhsa_exception_fp_ieee_underflow 0
		.amdhsa_exception_fp_ieee_inexact 0
		.amdhsa_exception_int_div_zero 0
	.end_amdhsa_kernel
	.section	.text._ZL13mul_mat_vec_qIN3c104HalfELi256ELi16E10block_q2_KLi1EXadL_ZL17vec_dot_q2_K_q8_1PKvPK10block_q8_1RKiEEEvS4_S4_PT_iii,"axG",@progbits,_ZL13mul_mat_vec_qIN3c104HalfELi256ELi16E10block_q2_KLi1EXadL_ZL17vec_dot_q2_K_q8_1PKvPK10block_q8_1RKiEEEvS4_S4_PT_iii,comdat
.Lfunc_end83:
	.size	_ZL13mul_mat_vec_qIN3c104HalfELi256ELi16E10block_q2_KLi1EXadL_ZL17vec_dot_q2_K_q8_1PKvPK10block_q8_1RKiEEEvS4_S4_PT_iii, .Lfunc_end83-_ZL13mul_mat_vec_qIN3c104HalfELi256ELi16E10block_q2_KLi1EXadL_ZL17vec_dot_q2_K_q8_1PKvPK10block_q8_1RKiEEEvS4_S4_PT_iii
                                        ; -- End function
	.set _ZL13mul_mat_vec_qIN3c104HalfELi256ELi16E10block_q2_KLi1EXadL_ZL17vec_dot_q2_K_q8_1PKvPK10block_q8_1RKiEEEvS4_S4_PT_iii.num_vgpr, 62
	.set _ZL13mul_mat_vec_qIN3c104HalfELi256ELi16E10block_q2_KLi1EXadL_ZL17vec_dot_q2_K_q8_1PKvPK10block_q8_1RKiEEEvS4_S4_PT_iii.num_agpr, 0
	.set _ZL13mul_mat_vec_qIN3c104HalfELi256ELi16E10block_q2_KLi1EXadL_ZL17vec_dot_q2_K_q8_1PKvPK10block_q8_1RKiEEEvS4_S4_PT_iii.numbered_sgpr, 11
	.set _ZL13mul_mat_vec_qIN3c104HalfELi256ELi16E10block_q2_KLi1EXadL_ZL17vec_dot_q2_K_q8_1PKvPK10block_q8_1RKiEEEvS4_S4_PT_iii.num_named_barrier, 0
	.set _ZL13mul_mat_vec_qIN3c104HalfELi256ELi16E10block_q2_KLi1EXadL_ZL17vec_dot_q2_K_q8_1PKvPK10block_q8_1RKiEEEvS4_S4_PT_iii.private_seg_size, 0
	.set _ZL13mul_mat_vec_qIN3c104HalfELi256ELi16E10block_q2_KLi1EXadL_ZL17vec_dot_q2_K_q8_1PKvPK10block_q8_1RKiEEEvS4_S4_PT_iii.uses_vcc, 1
	.set _ZL13mul_mat_vec_qIN3c104HalfELi256ELi16E10block_q2_KLi1EXadL_ZL17vec_dot_q2_K_q8_1PKvPK10block_q8_1RKiEEEvS4_S4_PT_iii.uses_flat_scratch, 0
	.set _ZL13mul_mat_vec_qIN3c104HalfELi256ELi16E10block_q2_KLi1EXadL_ZL17vec_dot_q2_K_q8_1PKvPK10block_q8_1RKiEEEvS4_S4_PT_iii.has_dyn_sized_stack, 0
	.set _ZL13mul_mat_vec_qIN3c104HalfELi256ELi16E10block_q2_KLi1EXadL_ZL17vec_dot_q2_K_q8_1PKvPK10block_q8_1RKiEEEvS4_S4_PT_iii.has_recursion, 0
	.set _ZL13mul_mat_vec_qIN3c104HalfELi256ELi16E10block_q2_KLi1EXadL_ZL17vec_dot_q2_K_q8_1PKvPK10block_q8_1RKiEEEvS4_S4_PT_iii.has_indirect_call, 0
	.section	.AMDGPU.csdata,"",@progbits
; Kernel info:
; codeLenInByte = 1784
; TotalNumSgprs: 13
; NumVgprs: 62
; ScratchSize: 0
; MemoryBound: 0
; FloatMode: 240
; IeeeMode: 1
; LDSByteSize: 0 bytes/workgroup (compile time only)
; SGPRBlocks: 0
; VGPRBlocks: 7
; NumSGPRsForWavesPerEU: 13
; NumVGPRsForWavesPerEU: 62
; Occupancy: 16
; WaveLimiterHint : 0
; COMPUTE_PGM_RSRC2:SCRATCH_EN: 0
; COMPUTE_PGM_RSRC2:USER_SGPR: 2
; COMPUTE_PGM_RSRC2:TRAP_HANDLER: 0
; COMPUTE_PGM_RSRC2:TGID_X_EN: 1
; COMPUTE_PGM_RSRC2:TGID_Y_EN: 1
; COMPUTE_PGM_RSRC2:TGID_Z_EN: 0
; COMPUTE_PGM_RSRC2:TIDIG_COMP_CNT: 1
	.section	.text._ZL13mul_mat_vec_qIN3c104HalfELi256ELi16E10block_q3_KLi1EXadL_ZL17vec_dot_q3_K_q8_1PKvPK10block_q8_1RKiEEEvS4_S4_PT_iii,"axG",@progbits,_ZL13mul_mat_vec_qIN3c104HalfELi256ELi16E10block_q3_KLi1EXadL_ZL17vec_dot_q3_K_q8_1PKvPK10block_q8_1RKiEEEvS4_S4_PT_iii,comdat
	.globl	_ZL13mul_mat_vec_qIN3c104HalfELi256ELi16E10block_q3_KLi1EXadL_ZL17vec_dot_q3_K_q8_1PKvPK10block_q8_1RKiEEEvS4_S4_PT_iii ; -- Begin function _ZL13mul_mat_vec_qIN3c104HalfELi256ELi16E10block_q3_KLi1EXadL_ZL17vec_dot_q3_K_q8_1PKvPK10block_q8_1RKiEEEvS4_S4_PT_iii
	.p2align	8
	.type	_ZL13mul_mat_vec_qIN3c104HalfELi256ELi16E10block_q3_KLi1EXadL_ZL17vec_dot_q3_K_q8_1PKvPK10block_q8_1RKiEEEvS4_S4_PT_iii,@function
_ZL13mul_mat_vec_qIN3c104HalfELi256ELi16E10block_q3_KLi1EXadL_ZL17vec_dot_q3_K_q8_1PKvPK10block_q8_1RKiEEEvS4_S4_PT_iii: ; @_ZL13mul_mat_vec_qIN3c104HalfELi256ELi16E10block_q3_KLi1EXadL_ZL17vec_dot_q3_K_q8_1PKvPK10block_q8_1RKiEEEvS4_S4_PT_iii
; %bb.0:
	s_clause 0x1
	s_load_u16 s2, s[0:1], 0x36
	s_load_b96 s[4:6], s[0:1], 0x18
	v_bfe_u32 v1, v0, 10, 10
	s_wait_kmcnt 0x0
	s_delay_alu instid0(VALU_DEP_1)
	v_mad_co_u64_u32 v[1:2], null, ttmp9, s2, v[1:2]
	s_cmp_lt_u32 ttmp7, s6
	s_cselect_b32 s2, -1, 0
	v_cmp_gt_u32_e32 vcc_lo, s5, v1
	s_wait_alu 0xfffe
	s_and_b32 s2, s2, vcc_lo
	s_wait_alu 0xfffe
	s_and_saveexec_b32 s3, s2
	s_cbranch_execz .LBB84_7
; %bb.1:
	s_load_b64 s[6:7], s[0:1], 0x10
	s_ashr_i32 s2, s4, 31
	v_bfe_u32 v8, v0, 4, 6
	s_wait_alu 0xfffe
	s_lshr_b32 s2, s2, 24
	v_dual_mov_b32 v3, 0 :: v_dual_and_b32 v0, 0x3ff, v0
	s_wait_alu 0xfffe
	s_add_co_i32 s2, s4, s2
	s_mov_b32 s8, exec_lo
	s_wait_alu 0xfffe
	s_ashr_i32 s9, s2, 8
	s_delay_alu instid0(SALU_CYCLE_1)
	v_cmpx_gt_u32_e64 s9, v8
	s_cbranch_execz .LBB84_5
; %bb.2:
	v_and_b32_e32 v4, 15, v0
	v_lshrrev_b32_e32 v5, 1, v0
	s_load_b128 s[0:3], s[0:1], 0x0
	s_addk_co_i32 s4, 0x1ff
	v_lshlrev_b32_e32 v35, 3, v8
	v_sub_co_u32 v2, vcc_lo, v4, 8
	v_and_b32_e32 v10, 4, v5
	s_wait_alu 0xfffe
	s_ashr_i32 s10, s4, 31
	v_mul_lo_u32 v9, v1, s9
	v_cndmask_b32_e32 v2, v2, v4, vcc_lo
	s_lshr_b32 s10, s10, 23
	s_delay_alu instid0(SALU_CYCLE_1)
	s_add_co_i32 s4, s4, s10
	s_wait_alu 0xfffe
	s_ashr_i32 s4, s4, 9
	v_sub_nc_u32_e32 v3, v4, v2
	v_cmp_lt_u32_e32 vcc_lo, 3, v2
	s_wait_alu 0xfffe
	s_mul_i32 s4, ttmp7, s4
	s_wait_alu 0xfffe
	v_lshl_add_u32 v35, s4, 4, v35
	s_wait_alu 0xfffd
	v_add_co_ci_u32_e64 v20, null, 0, v3, vcc_lo
	v_mov_b32_e32 v3, 0
	v_lshlrev_b32_e32 v11, 2, v4
	s_delay_alu instid0(VALU_DEP_3) | instskip(SKIP_3) | instid1(VALU_DEP_4)
	v_bfe_i32 v6, v20, 0, 8
	v_add_nc_u16 v21, v20, 2
	v_add_nc_u16 v26, v20, 4
	;; [unrolled: 1-line block ×3, first 2 shown]
	v_lshrrev_b16 v4, 7, v6
	s_delay_alu instid0(VALU_DEP_4) | instskip(NEXT) | instid1(VALU_DEP_4)
	v_bfe_i32 v5, v21, 0, 8
	v_bfe_i32 v6, v26, 0, 8
	s_delay_alu instid0(VALU_DEP_4) | instskip(NEXT) | instid1(VALU_DEP_4)
	v_bfe_i32 v27, v28, 0, 8
	v_and_b32_e32 v7, 0xff, v4
	s_delay_alu instid0(VALU_DEP_4) | instskip(NEXT) | instid1(VALU_DEP_2)
	v_lshrrev_b16 v12, 7, v5
	v_lshrrev_b16 v13, 5, v7
	;; [unrolled: 1-line block ×3, first 2 shown]
	s_delay_alu instid0(VALU_DEP_3) | instskip(NEXT) | instid1(VALU_DEP_3)
	v_and_b32_e32 v12, 0xff, v12
	v_add_nc_u16 v13, v20, v13
	s_delay_alu instid0(VALU_DEP_1)
	v_bfe_i32 v15, v13, 0, 8
	v_and_b32_e32 v13, 0xf8, v13
	v_lshlrev_b64_e32 v[4:5], 2, v[2:3]
	v_lshrrev_b16 v2, 7, v6
	s_wait_kmcnt 0x0
	v_mad_co_u64_u32 v[6:7], null, v10, 36, s[2:3]
	v_sub_nc_u16 v13, v20, v13
	s_mov_b32 s2, 0
	v_and_b32_e32 v22, 0xff, v2
	v_add_nc_u16 v2, v20, v14
	v_lshrrev_b16 v14, 5, v12
	v_lshrrev_b16 v12, 6, v12
	s_delay_alu instid0(VALU_DEP_4) | instskip(NEXT) | instid1(VALU_DEP_4)
	v_lshrrev_b16 v24, 5, v22
	v_bfe_i32 v16, v2, 0, 8
	v_and_b32_e32 v2, 0xfc, v2
	s_delay_alu instid0(VALU_DEP_4)
	v_add_nc_u16 v23, v21, v12
	v_add_nc_u16 v14, v21, v14
	;; [unrolled: 1-line block ×3, first 2 shown]
	v_lshrrev_b16 v12, 3, v15
	v_ashrrev_i16 v15, 2, v16
	v_bfe_i32 v19, v23, 0, 8
	v_sub_nc_u16 v16, v20, v2
	v_bfe_i32 v17, v14, 0, 8
	v_and_b32_e32 v14, 0xf8, v14
	v_and_b32_e32 v20, 0xfc, v23
	v_ashrrev_i16 v25, 2, v19
	v_lshrrev_b16 v22, 6, v22
	v_and_b32_e32 v18, 0xff, v12
	v_bfe_i32 v12, v16, 0, 8
	v_lshrrev_b16 v16, 3, v17
	v_bfe_i32 v23, v25, 0, 16
	v_bfe_i32 v25, v24, 0, 8
	v_sub_nc_u16 v17, v21, v14
	v_sub_nc_u16 v21, v21, v20
	v_and_b32_e32 v24, 0xf8, v24
	v_lshlrev_b32_e32 v20, 1, v23
	v_lshrrev_b16 v23, 3, v25
	v_add_nc_u16 v25, v26, v22
	v_lshrrev_b16 v22, 7, v27
	v_sub_nc_u16 v24, v26, v24
	v_bfe_i32 v2, v13, 0, 8
	v_bfe_i32 v15, v15, 0, 16
	;; [unrolled: 1-line block ×3, first 2 shown]
	v_and_b32_e32 v29, 0xff, v22
	v_and_b32_e32 v31, 0xfc, v25
	v_lshlrev_b32_e32 v13, 2, v18
	v_and_b32_e32 v18, 0xff, v16
	v_lshrrev_b16 v27, 2, v27
	v_lshrrev_b16 v30, 5, v29
	;; [unrolled: 1-line block ×3, first 2 shown]
	v_sub_nc_u16 v31, v26, v31
	v_bfe_i32 v16, v17, 0, 8
	v_and_b32_e32 v27, 0xff, v27
	v_add_nc_u16 v30, v28, v30
	v_add_nc_u16 v29, v28, v29
	v_bfe_i32 v21, v21, 0, 8
	v_and_b32_e32 v23, 0xff, v23
	v_lshlrev_b32_e32 v26, 1, v27
	v_bfe_i32 v32, v30, 0, 8
	v_and_b32_e32 v30, 0xf8, v30
	v_bfe_i32 v33, v29, 0, 8
	v_and_b32_e32 v29, 0xfc, v29
	v_bfe_i32 v27, v31, 0, 8
	v_lshrrev_b16 v31, 3, v32
	v_sub_nc_u16 v30, v28, v30
	v_lshrrev_b16 v32, 2, v33
	v_sub_nc_u16 v33, v28, v29
	v_bfe_i32 v24, v24, 0, 8
	v_and_b32_e32 v31, 0xff, v31
	v_bfe_i32 v29, v30, 0, 8
	v_and_b32_e32 v34, 0xff, v32
	v_bfe_i32 v30, v33, 0, 8
	v_ashrrev_i32_e32 v14, 31, v2
	v_lshlrev_b32_e32 v15, 1, v15
	v_ashrrev_i32_e32 v17, 31, v12
	v_lshlrev_b32_e32 v18, 2, v18
	v_ashrrev_i32_e32 v19, 31, v16
	v_ashrrev_i32_e32 v22, 31, v21
	v_lshlrev_b32_e32 v23, 2, v23
	v_ashrrev_i32_e32 v25, 31, v24
	;; [unrolled: 3-line block ×3, first 2 shown]
	v_lshlrev_b32_e32 v33, 1, v34
	v_ashrrev_i32_e32 v34, 31, v30
.LBB84_3:                               ; =>This Inner Loop Header: Depth=1
	v_add_nc_u32_e32 v38, v9, v8
	v_mad_co_i64_i32 v[36:37], null, v35, 36, v[6:7]
	v_add_nc_u32_e32 v8, 2, v8
	v_add_nc_u32_e32 v35, 16, v35
	s_delay_alu instid0(VALU_DEP_4) | instskip(NEXT) | instid1(VALU_DEP_4)
	v_mad_co_i64_i32 v[38:39], null, 0x6e, v38, s[0:1]
	v_add_co_u32 v40, vcc_lo, v36, v4
	s_wait_alu 0xfffd
	v_add_co_ci_u32_e64 v41, null, v37, v5, vcc_lo
	s_delay_alu instid0(VALU_DEP_3) | instskip(SKIP_1) | instid1(VALU_DEP_4)
	v_add_co_u32 v42, vcc_lo, v38, v11
	s_wait_alu 0xfffd
	v_add_co_ci_u32_e64 v43, null, 0, v39, vcc_lo
	v_add_co_u32 v44, vcc_lo, v38, v4
	s_wait_alu 0xfffd
	v_add_co_ci_u32_e64 v45, null, v39, v5, vcc_lo
	s_clause 0x3
	global_load_b32 v60, v[40:41], off offset:4
	global_load_b32 v61, v[40:41], off offset:40
	;; [unrolled: 1-line block ×4, first 2 shown]
	v_add_co_u32 v40, vcc_lo, v38, v2
	s_wait_alu 0xfffd
	v_add_co_ci_u32_e64 v41, null, v39, v14, vcc_lo
	v_add_co_u32 v46, vcc_lo, v38, v12
	s_wait_alu 0xfffd
	v_add_co_ci_u32_e64 v47, null, v39, v17, vcc_lo
	;; [unrolled: 3-line block ×8, first 2 shown]
	s_clause 0xa
	global_load_u16 v38, v[38:39], off offset:108
	global_load_b32 v39, v[44:45], off
	global_load_u8 v40, v[40:41], off offset:96
	global_load_u8 v41, v[46:47], off offset:104
	global_load_b32 v42, v[42:43], off offset:32
	global_load_u8 v43, v[48:49], off offset:96
	global_load_u8 v44, v[50:51], off offset:104
	;; [unrolled: 1-line block ×6, first 2 shown]
	s_clause 0x3
	global_load_b32 v49, v[36:37], off
	global_load_b32 v50, v[36:37], off offset:36
	global_load_b32 v51, v[36:37], off offset:72
	;; [unrolled: 1-line block ×3, first 2 shown]
	v_cmp_le_u32_e32 vcc_lo, s9, v8
	s_wait_alu 0xfffe
	s_or_b32 s2, vcc_lo, s2
	s_wait_loadcnt 0x12
	v_lshrrev_b16 v37, 8, v60
	s_wait_loadcnt 0x11
	v_lshlrev_b32_e32 v57, 8, v61
	v_ashrrev_i32_e32 v52, 24, v60
	v_bfe_i32 v53, v60, 16, 8
	v_bfe_i32 v54, v60, 0, 8
	;; [unrolled: 1-line block ×4, first 2 shown]
	s_wait_loadcnt 0x10
	v_lshlrev_b32_e32 v59, 16, v62
	v_lshlrev_b32_e32 v60, 8, v62
	v_perm_b32 v57, v61, v57, 0xc0c0703
	s_wait_loadcnt 0xf
	v_lshlrev_b32_e32 v65, 16, v63
	v_lshlrev_b32_e32 v66, 8, v63
	v_bfe_i32 v37, v37, 0, 8
	v_perm_b32 v59, v60, v59, 0xc0c0703
	v_bfe_i32 v58, v62, 0, 8
	v_ashrrev_i32_e32 v62, 24, v62
	v_perm_b32 v65, v66, v65, 0xc0c0703
	v_bfe_i32 v64, v63, 0, 8
	v_ashrrev_i32_e32 v63, 24, v63
	s_wait_loadcnt 0xd
	v_ashrrev_i32_e32 v39, v10, v39
	s_wait_loadcnt 0xc
	v_bfe_u32 v40, v40, v13, 4
	s_wait_loadcnt 0xb
	v_lshrrev_b32_e32 v41, v15, v41
	s_wait_loadcnt 0xa
	v_lshrrev_b32_e32 v69, 2, v42
	v_lshrrev_b32_e32 v61, 4, v42
	v_not_b32_e32 v39, v39
	s_wait_loadcnt 0x8
	v_lshrrev_b32_e32 v44, v20, v44
	v_lshlrev_b32_e32 v41, 4, v41
	s_wait_loadcnt 0x6
	v_lshrrev_b32_e32 v46, v26, v46
	v_and_b32_e32 v67, 0x3030303, v42
	v_lshlrev_b32_e32 v74, 1, v39
	v_bfe_u32 v68, v42, 24, 2
	v_and_or_b32 v40, v41, 48, v40
	v_lshlrev_b32_e32 v41, 2, v39
	v_bfe_u32 v43, v43, v18, 4
	v_bfe_u32 v45, v45, v23, 4
	s_wait_loadcnt 0x4
	v_lshrrev_b32_e32 v48, v33, v48
	v_lshrrev_b32_e32 v60, 6, v42
	v_and_b32_e32 v41, 0x4040404, v41
	v_lshlrev_b32_e32 v44, 4, v44
	v_and_b32_e32 v71, 0x3030303, v69
	v_lshlrev_b32_e32 v46, 4, v46
	v_bfe_u32 v72, v61, 24, 2
	v_and_b32_e32 v61, 0x3030303, v61
	v_and_b32_e32 v76, 0x4040404, v39
	v_lshrrev_b32_e32 v39, 1, v39
	v_and_b32_e32 v74, 0x4040404, v74
	v_lshrrev_b32_e32 v81, 24, v41
	v_bfe_u32 v47, v47, v31, 4
	v_lshrrev_b16 v66, 8, v67
	v_lshrrev_b32_e32 v70, 16, v67
	v_bfe_u32 v69, v69, 24, 2
	v_lshlrev_b32_e32 v48, 4, v48
	v_and_b32_e32 v60, 0x3030303, v60
	v_and_or_b32 v43, v44, 48, v43
	v_lshrrev_b16 v44, 8, v71
	v_lshrrev_b32_e32 v73, 16, v71
	v_and_or_b32 v45, v46, 48, v45
	v_lshrrev_b32_e32 v46, 16, v61
	v_lshrrev_b16 v75, 8, v61
	v_lshrrev_b32_e32 v78, 24, v76
	v_lshrrev_b32_e32 v79, 16, v76
	v_lshrrev_b16 v80, 8, v76
	v_sub_nc_u16 v61, v61, v76
	v_and_b32_e32 v39, 0x4040404, v39
	v_lshrrev_b16 v76, 8, v41
	v_lshrrev_b32_e32 v82, 16, v41
	v_sub_nc_u16 v41, v67, v41
	v_lshrrev_b16 v67, 8, v74
	v_lshrrev_b32_e32 v83, 16, v74
	v_lshrrev_b32_e32 v84, 24, v74
	v_sub_nc_u16 v68, v68, v81
	v_lshrrev_b32_e32 v42, 30, v42
	v_and_or_b32 v47, v48, 48, v47
	v_lshrrev_b32_e32 v48, 16, v60
	v_lshrrev_b16 v77, 8, v60
	v_sub_nc_u16 v71, v71, v74
	v_sub_nc_u16 v74, v75, v80
	;; [unrolled: 1-line block ×4, first 2 shown]
	v_lshrrev_b32_e32 v75, 24, v39
	v_lshrrev_b32_e32 v78, 16, v39
	v_lshrrev_b16 v79, 8, v39
	v_sub_nc_u16 v39, v60, v39
	v_sub_nc_u16 v60, v70, v82
	;; [unrolled: 1-line block ×3, first 2 shown]
	v_bfe_i32 v41, v41, 0, 8
	v_sub_nc_u16 v69, v69, v84
	v_sub_nc_u16 v70, v73, v83
	;; [unrolled: 1-line block ×3, first 2 shown]
	v_bfe_i32 v68, v68, 0, 16
	v_bfe_i32 v67, v71, 0, 8
	v_lshlrev_b16 v72, 8, v72
	v_sub_nc_u16 v42, v42, v75
	v_bfe_i32 v66, v66, 0, 16
	v_bfe_i32 v60, v60, 0, 8
	v_mul_i32_i24_e32 v41, v41, v54
	v_lshlrev_b16 v54, 8, v69
	v_and_b32_e32 v69, 0xff, v70
	v_lshlrev_b16 v44, 8, v44
	v_mul_i32_i24_e32 v52, v68, v52
	v_mul_i32_i24_e32 v55, v55, v67
	v_bfe_i32 v67, v72, 8, 8
	v_lshlrev_b16 v42, 8, v42
	v_mul_i32_i24_e32 v53, v60, v53
	v_bfe_i32 v44, v44, 8, 8
	v_or_b32_e32 v54, v69, v54
	v_mad_i32_i24 v37, v66, v37, v52
	v_subrev_nc_u32_e32 v40, 32, v40
	v_bfe_i32 v61, v61, 0, 8
	v_lshlrev_b16 v71, 8, v74
	v_sub_nc_u16 v73, v77, v79
	v_mul_i32_i24_e32 v52, v62, v67
	v_bfe_i32 v42, v42, 8, 8
	v_mad_i32_i24 v44, v56, v44, v55
	v_perm_b32 v54, v54, v70, 0xc0c0500
	v_add3_u32 v37, v41, v53, v37
	v_subrev_nc_u32_e32 v43, 32, v43
	v_sub_nc_u16 v48, v48, v78
	v_bfe_i32 v39, v39, 0, 8
	v_perm_b32 v46, v46, v71, 0xc0c0401
	v_lshlrev_b16 v41, 8, v73
	v_mad_i32_i24 v52, v58, v61, v52
	v_mul_i32_i24_e32 v42, v63, v42
	v_dot4_i32_iu8 v44, v57, v54, v44 neg_lo:[1,1,0]
	v_mul_lo_u32 v37, v40, v37
	v_subrev_nc_u32_e32 v45, 32, v45
	v_perm_b32 v40, v48, v41, 0xc0c0401
	v_dot4_i32_iu8 v41, v59, v46, v52 neg_lo:[1,1,0]
	v_mad_i32_i24 v39, v64, v39, v42
	v_mul_lo_u32 v42, v43, v44
	v_subrev_nc_u32_e32 v43, 32, v47
	v_cvt_f32_i32_e32 v37, v37
	v_mul_lo_u32 v41, v45, v41
	v_dot4_i32_iu8 v39, v65, v40, v39 neg_lo:[1,1,0]
	v_cvt_f32_i32_e32 v40, v42
	s_wait_loadcnt 0x3
	v_fma_mix_f32 v37, v49, v37, 0 op_sel_hi:[1,0,0]
	s_delay_alu instid0(VALU_DEP_3) | instskip(SKIP_2) | instid1(VALU_DEP_3)
	v_mul_lo_u32 v39, v43, v39
	v_cvt_f32_i32_e32 v41, v41
	s_wait_loadcnt 0x2
	v_fma_mix_f32 v37, v50, v40, v37 op_sel_hi:[1,0,0]
	s_delay_alu instid0(VALU_DEP_3) | instskip(SKIP_1) | instid1(VALU_DEP_2)
	v_cvt_f32_i32_e32 v39, v39
	s_wait_loadcnt 0x1
	v_fma_mix_f32 v37, v51, v41, v37 op_sel_hi:[1,0,0]
	s_wait_loadcnt 0x0
	s_delay_alu instid0(VALU_DEP_1) | instskip(NEXT) | instid1(VALU_DEP_1)
	v_fma_mix_f32 v36, v36, v39, v37 op_sel_hi:[1,0,0]
	v_fma_mix_f32 v3, v36, v38, v3 op_sel_hi:[0,1,0]
	s_wait_alu 0xfffe
	s_and_not1_b32 exec_lo, exec_lo, s2
	s_cbranch_execnz .LBB84_3
; %bb.4:
	s_or_b32 exec_lo, exec_lo, s2
.LBB84_5:
	s_delay_alu instid0(SALU_CYCLE_1) | instskip(SKIP_1) | instid1(VALU_DEP_1)
	s_or_b32 exec_lo, exec_lo, s8
	v_mbcnt_lo_u32_b32 v2, -1, 0
	v_xor_b32_e32 v4, 16, v2
	v_xor_b32_e32 v5, 8, v2
	s_delay_alu instid0(VALU_DEP_2) | instskip(SKIP_2) | instid1(VALU_DEP_3)
	v_cmp_gt_i32_e32 vcc_lo, 32, v4
	s_wait_alu 0xfffd
	v_cndmask_b32_e32 v4, v2, v4, vcc_lo
	v_cmp_gt_i32_e32 vcc_lo, 32, v5
	s_wait_alu 0xfffd
	v_cndmask_b32_e32 v5, v2, v5, vcc_lo
	s_delay_alu instid0(VALU_DEP_1)
	v_lshlrev_b32_e32 v5, 2, v5
	v_lshlrev_b32_e32 v4, 2, v4
	ds_bpermute_b32 v4, v4, v3
	s_wait_dscnt 0x0
	v_add_f32_e32 v3, v3, v4
	ds_bpermute_b32 v4, v5, v3
	v_xor_b32_e32 v5, 4, v2
	s_delay_alu instid0(VALU_DEP_1) | instskip(SKIP_2) | instid1(VALU_DEP_1)
	v_cmp_gt_i32_e32 vcc_lo, 32, v5
	s_wait_alu 0xfffd
	v_cndmask_b32_e32 v5, v2, v5, vcc_lo
	v_lshlrev_b32_e32 v5, 2, v5
	s_wait_dscnt 0x0
	v_add_f32_e32 v3, v3, v4
	ds_bpermute_b32 v4, v5, v3
	v_xor_b32_e32 v5, 2, v2
	s_delay_alu instid0(VALU_DEP_1) | instskip(SKIP_2) | instid1(VALU_DEP_1)
	v_cmp_gt_i32_e32 vcc_lo, 32, v5
	s_wait_alu 0xfffd
	v_cndmask_b32_e32 v5, v2, v5, vcc_lo
	v_lshlrev_b32_e32 v5, 2, v5
	s_wait_dscnt 0x0
	v_add_f32_e32 v3, v3, v4
	ds_bpermute_b32 v4, v5, v3
	v_xor_b32_e32 v5, 1, v2
	s_delay_alu instid0(VALU_DEP_1) | instskip(SKIP_4) | instid1(VALU_DEP_2)
	v_cmp_gt_i32_e32 vcc_lo, 32, v5
	s_wait_alu 0xfffd
	v_cndmask_b32_e32 v5, v2, v5, vcc_lo
	v_cmp_eq_u32_e32 vcc_lo, 0, v0
	s_wait_dscnt 0x0
	v_dual_add_f32 v2, v3, v4 :: v_dual_lshlrev_b32 v3, 2, v5
	ds_bpermute_b32 v3, v3, v2
	s_and_b32 exec_lo, exec_lo, vcc_lo
	s_cbranch_execz .LBB84_7
; %bb.6:
	v_mad_co_u64_u32 v[0:1], null, s5, ttmp7, v[1:2]
	s_wait_dscnt 0x0
	v_dual_mov_b32 v1, 0 :: v_dual_add_f32 v2, v2, v3
	s_delay_alu instid0(VALU_DEP_1) | instskip(NEXT) | instid1(VALU_DEP_2)
	v_cvt_f16_f32_e32 v2, v2
	v_lshlrev_b64_e32 v[0:1], 1, v[0:1]
	s_wait_kmcnt 0x0
	s_delay_alu instid0(VALU_DEP_1) | instskip(SKIP_1) | instid1(VALU_DEP_2)
	v_add_co_u32 v0, vcc_lo, s6, v0
	s_wait_alu 0xfffd
	v_add_co_ci_u32_e64 v1, null, s7, v1, vcc_lo
	global_store_b16 v[0:1], v2, off
.LBB84_7:
	s_endpgm
	.section	.rodata,"a",@progbits
	.p2align	6, 0x0
	.amdhsa_kernel _ZL13mul_mat_vec_qIN3c104HalfELi256ELi16E10block_q3_KLi1EXadL_ZL17vec_dot_q3_K_q8_1PKvPK10block_q8_1RKiEEEvS4_S4_PT_iii
		.amdhsa_group_segment_fixed_size 0
		.amdhsa_private_segment_fixed_size 0
		.amdhsa_kernarg_size 296
		.amdhsa_user_sgpr_count 2
		.amdhsa_user_sgpr_dispatch_ptr 0
		.amdhsa_user_sgpr_queue_ptr 0
		.amdhsa_user_sgpr_kernarg_segment_ptr 1
		.amdhsa_user_sgpr_dispatch_id 0
		.amdhsa_user_sgpr_private_segment_size 0
		.amdhsa_wavefront_size32 1
		.amdhsa_uses_dynamic_stack 0
		.amdhsa_enable_private_segment 0
		.amdhsa_system_sgpr_workgroup_id_x 1
		.amdhsa_system_sgpr_workgroup_id_y 1
		.amdhsa_system_sgpr_workgroup_id_z 0
		.amdhsa_system_sgpr_workgroup_info 0
		.amdhsa_system_vgpr_workitem_id 1
		.amdhsa_next_free_vgpr 85
		.amdhsa_next_free_sgpr 11
		.amdhsa_reserve_vcc 1
		.amdhsa_float_round_mode_32 0
		.amdhsa_float_round_mode_16_64 0
		.amdhsa_float_denorm_mode_32 3
		.amdhsa_float_denorm_mode_16_64 3
		.amdhsa_fp16_overflow 0
		.amdhsa_workgroup_processor_mode 1
		.amdhsa_memory_ordered 1
		.amdhsa_forward_progress 1
		.amdhsa_inst_pref_size 23
		.amdhsa_round_robin_scheduling 0
		.amdhsa_exception_fp_ieee_invalid_op 0
		.amdhsa_exception_fp_denorm_src 0
		.amdhsa_exception_fp_ieee_div_zero 0
		.amdhsa_exception_fp_ieee_overflow 0
		.amdhsa_exception_fp_ieee_underflow 0
		.amdhsa_exception_fp_ieee_inexact 0
		.amdhsa_exception_int_div_zero 0
	.end_amdhsa_kernel
	.section	.text._ZL13mul_mat_vec_qIN3c104HalfELi256ELi16E10block_q3_KLi1EXadL_ZL17vec_dot_q3_K_q8_1PKvPK10block_q8_1RKiEEEvS4_S4_PT_iii,"axG",@progbits,_ZL13mul_mat_vec_qIN3c104HalfELi256ELi16E10block_q3_KLi1EXadL_ZL17vec_dot_q3_K_q8_1PKvPK10block_q8_1RKiEEEvS4_S4_PT_iii,comdat
.Lfunc_end84:
	.size	_ZL13mul_mat_vec_qIN3c104HalfELi256ELi16E10block_q3_KLi1EXadL_ZL17vec_dot_q3_K_q8_1PKvPK10block_q8_1RKiEEEvS4_S4_PT_iii, .Lfunc_end84-_ZL13mul_mat_vec_qIN3c104HalfELi256ELi16E10block_q3_KLi1EXadL_ZL17vec_dot_q3_K_q8_1PKvPK10block_q8_1RKiEEEvS4_S4_PT_iii
                                        ; -- End function
	.set _ZL13mul_mat_vec_qIN3c104HalfELi256ELi16E10block_q3_KLi1EXadL_ZL17vec_dot_q3_K_q8_1PKvPK10block_q8_1RKiEEEvS4_S4_PT_iii.num_vgpr, 85
	.set _ZL13mul_mat_vec_qIN3c104HalfELi256ELi16E10block_q3_KLi1EXadL_ZL17vec_dot_q3_K_q8_1PKvPK10block_q8_1RKiEEEvS4_S4_PT_iii.num_agpr, 0
	.set _ZL13mul_mat_vec_qIN3c104HalfELi256ELi16E10block_q3_KLi1EXadL_ZL17vec_dot_q3_K_q8_1PKvPK10block_q8_1RKiEEEvS4_S4_PT_iii.numbered_sgpr, 11
	.set _ZL13mul_mat_vec_qIN3c104HalfELi256ELi16E10block_q3_KLi1EXadL_ZL17vec_dot_q3_K_q8_1PKvPK10block_q8_1RKiEEEvS4_S4_PT_iii.num_named_barrier, 0
	.set _ZL13mul_mat_vec_qIN3c104HalfELi256ELi16E10block_q3_KLi1EXadL_ZL17vec_dot_q3_K_q8_1PKvPK10block_q8_1RKiEEEvS4_S4_PT_iii.private_seg_size, 0
	.set _ZL13mul_mat_vec_qIN3c104HalfELi256ELi16E10block_q3_KLi1EXadL_ZL17vec_dot_q3_K_q8_1PKvPK10block_q8_1RKiEEEvS4_S4_PT_iii.uses_vcc, 1
	.set _ZL13mul_mat_vec_qIN3c104HalfELi256ELi16E10block_q3_KLi1EXadL_ZL17vec_dot_q3_K_q8_1PKvPK10block_q8_1RKiEEEvS4_S4_PT_iii.uses_flat_scratch, 0
	.set _ZL13mul_mat_vec_qIN3c104HalfELi256ELi16E10block_q3_KLi1EXadL_ZL17vec_dot_q3_K_q8_1PKvPK10block_q8_1RKiEEEvS4_S4_PT_iii.has_dyn_sized_stack, 0
	.set _ZL13mul_mat_vec_qIN3c104HalfELi256ELi16E10block_q3_KLi1EXadL_ZL17vec_dot_q3_K_q8_1PKvPK10block_q8_1RKiEEEvS4_S4_PT_iii.has_recursion, 0
	.set _ZL13mul_mat_vec_qIN3c104HalfELi256ELi16E10block_q3_KLi1EXadL_ZL17vec_dot_q3_K_q8_1PKvPK10block_q8_1RKiEEEvS4_S4_PT_iii.has_indirect_call, 0
	.section	.AMDGPU.csdata,"",@progbits
; Kernel info:
; codeLenInByte = 2880
; TotalNumSgprs: 13
; NumVgprs: 85
; ScratchSize: 0
; MemoryBound: 0
; FloatMode: 240
; IeeeMode: 1
; LDSByteSize: 0 bytes/workgroup (compile time only)
; SGPRBlocks: 0
; VGPRBlocks: 10
; NumSGPRsForWavesPerEU: 13
; NumVGPRsForWavesPerEU: 85
; Occupancy: 16
; WaveLimiterHint : 0
; COMPUTE_PGM_RSRC2:SCRATCH_EN: 0
; COMPUTE_PGM_RSRC2:USER_SGPR: 2
; COMPUTE_PGM_RSRC2:TRAP_HANDLER: 0
; COMPUTE_PGM_RSRC2:TGID_X_EN: 1
; COMPUTE_PGM_RSRC2:TGID_Y_EN: 1
; COMPUTE_PGM_RSRC2:TGID_Z_EN: 0
; COMPUTE_PGM_RSRC2:TIDIG_COMP_CNT: 1
	.section	.text._ZL13mul_mat_vec_qIN3c104HalfELi256ELi32E10block_q4_KLi2EXadL_ZL17vec_dot_q4_K_q8_1PKvPK10block_q8_1RKiEEEvS4_S4_PT_iii,"axG",@progbits,_ZL13mul_mat_vec_qIN3c104HalfELi256ELi32E10block_q4_KLi2EXadL_ZL17vec_dot_q4_K_q8_1PKvPK10block_q8_1RKiEEEvS4_S4_PT_iii,comdat
	.globl	_ZL13mul_mat_vec_qIN3c104HalfELi256ELi32E10block_q4_KLi2EXadL_ZL17vec_dot_q4_K_q8_1PKvPK10block_q8_1RKiEEEvS4_S4_PT_iii ; -- Begin function _ZL13mul_mat_vec_qIN3c104HalfELi256ELi32E10block_q4_KLi2EXadL_ZL17vec_dot_q4_K_q8_1PKvPK10block_q8_1RKiEEEvS4_S4_PT_iii
	.p2align	8
	.type	_ZL13mul_mat_vec_qIN3c104HalfELi256ELi32E10block_q4_KLi2EXadL_ZL17vec_dot_q4_K_q8_1PKvPK10block_q8_1RKiEEEvS4_S4_PT_iii,@function
_ZL13mul_mat_vec_qIN3c104HalfELi256ELi32E10block_q4_KLi2EXadL_ZL17vec_dot_q4_K_q8_1PKvPK10block_q8_1RKiEEEvS4_S4_PT_iii: ; @_ZL13mul_mat_vec_qIN3c104HalfELi256ELi32E10block_q4_KLi2EXadL_ZL17vec_dot_q4_K_q8_1PKvPK10block_q8_1RKiEEEvS4_S4_PT_iii
; %bb.0:
	s_clause 0x1
	s_load_u16 s2, s[0:1], 0x36
	s_load_b96 s[8:10], s[0:1], 0x18
	v_bfe_u32 v1, v0, 10, 10
	s_wait_kmcnt 0x0
	s_delay_alu instid0(VALU_DEP_1)
	v_mad_co_u64_u32 v[1:2], null, ttmp9, s2, v[1:2]
	s_cmp_lt_u32 ttmp7, s10
	s_cselect_b32 s2, -1, 0
	v_cmp_gt_u32_e32 vcc_lo, s9, v1
	s_wait_alu 0xfffe
	s_and_b32 s2, s2, vcc_lo
	s_wait_alu 0xfffe
	s_and_saveexec_b32 s3, s2
	s_cbranch_execz .LBB85_11
; %bb.1:
	s_load_b64 s[2:3], s[0:1], 0x10
	s_ashr_i32 s4, s8, 31
	v_bfe_u32 v8, v0, 4, 6
	s_lshr_b32 s4, s4, 24
	v_dual_mov_b32 v9, 0 :: v_dual_and_b32 v0, 0x3ff, v0
	s_add_co_i32 s4, s8, s4
	s_mov_b32 s10, exec_lo
	s_ashr_i32 s11, s4, 8
	s_delay_alu instid0(SALU_CYCLE_1)
	v_cmpx_gt_u32_e64 s11, v8
	s_cbranch_execz .LBB85_9
; %bb.2:
	s_load_b128 s[4:7], s[0:1], 0x0
	v_dual_mov_b32 v9, 0 :: v_dual_lshlrev_b32 v2, 1, v0
	s_addk_co_i32 s8, 0x1ff
	v_and_b32_e32 v5, 3, v0
	s_wait_alu 0xfffe
	s_ashr_i32 s0, s8, 31
	v_bfe_u32 v4, v2, 3, 2
	s_wait_alu 0xfffe
	s_lshr_b32 s0, s0, 23
	v_and_b32_e32 v2, 30, v2
	s_wait_alu 0xfffe
	s_add_co_i32 s8, s8, s0
	v_lshlrev_b32_e32 v6, 3, v8
	v_lshlrev_b32_e32 v3, 1, v4
	s_wait_alu 0xfffe
	s_ashr_i32 s0, s8, 9
	v_mul_lo_u32 v10, v1, s11
	v_cmp_lt_u32_e32 vcc_lo, 15, v2
	s_wait_alu 0xfffe
	s_mul_i32 s0, ttmp7, s0
	v_lshlrev_b32_e32 v11, 5, v4
	v_lshlrev_b32_e32 v12, 2, v5
	s_wait_alu 0xfffe
	v_lshl_add_u32 v13, s0, 4, v6
	v_lshlrev_b32_e32 v14, 1, v4
	s_wait_kmcnt 0x0
	v_mad_co_u64_u32 v[2:3], null, v3, 36, s[6:7]
	v_lshlrev_b32_e32 v15, 2, v5
	s_mov_b32 s1, 0
	s_branch .LBB85_4
.LBB85_3:                               ;   in Loop: Header=BB85_4 Depth=1
	s_wait_alu 0xfffe
	s_or_b32 exec_lo, exec_lo, s0
	v_mad_co_i64_i32 v[6:7], null, v13, 36, v[2:3]
	s_wait_loadcnt 0x1
	v_and_b32_e32 v25, 0xf0f0f0f, v17
	s_wait_loadcnt 0x0
	v_and_b32_e32 v27, 0xf0f0f0f, v16
	v_lshrrev_b32_e32 v34, 4, v16
	v_bfe_u32 v28, v16, 24, 4
	v_bfe_u32 v36, v17, 4, 4
	v_lshrrev_b16 v25, 8, v25
	v_add_co_u32 v20, s0, v6, v15
	s_wait_alu 0xf1ff
	v_add_co_ci_u32_e64 v21, null, 0, v7, s0
	v_lshrrev_b16 v34, 8, v34
	v_lshrrev_b16 v27, 8, v27
	v_and_b32_e32 v25, 0xffff, v25
	s_clause 0x3
	global_load_b32 v22, v[20:21], off offset:4
	global_load_b32 v23, v[20:21], off offset:20
	;; [unrolled: 1-line block ×4, first 2 shown]
	global_load_b32 v4, v[4:5], off
	s_clause 0x1
	global_load_b32 v5, v[6:7], off
	global_load_b32 v6, v[6:7], off offset:36
	v_bfe_u32 v26, v17, 24, 4
	v_and_b32_e32 v31, 15, v16
	v_bfe_u32 v32, v16, 16, 4
	v_lshrrev_b32_e32 v35, 28, v16
	v_bfe_u32 v38, v16, 4, 4
	v_bfe_u32 v16, v16, 20, 4
	v_and_b32_e32 v34, 15, v34
	v_and_b32_e32 v27, 0xffff, v27
	v_lshrrev_b16 v7, 8, v19
	v_and_b32_e32 v29, 15, v17
	v_bfe_u32 v30, v17, 16, 4
	v_and_b32_e32 v19, 0xff, v19
	v_bfe_u32 v37, v17, 12, 4
	v_and_b32_e32 v34, 0xffff, v34
	v_lshrrev_b16 v21, 8, v18
	v_and_b32_e32 v18, 0xff, v18
	v_bfe_u32 v33, v17, 20, 4
	v_lshrrev_b32_e32 v17, 28, v17
	v_and_b32_e32 v19, 0xffff, v19
	v_and_b32_e32 v7, 0xffff, v7
	;; [unrolled: 1-line block ×4, first 2 shown]
	v_add_nc_u32_e32 v8, 2, v8
	v_add_nc_u32_e32 v13, 16, v13
	s_delay_alu instid0(VALU_DEP_2)
	v_cmp_le_u32_e64 s0, s11, v8
	s_or_b32 s1, s0, s1
	s_wait_loadcnt 0x6
	v_lshrrev_b16 v39, 8, v22
	v_bfe_i32 v43, v22, 0, 8
	s_wait_loadcnt 0x5
	v_lshrrev_b16 v40, 8, v23
	v_ashrrev_i32_e32 v42, 24, v22
	v_bfe_i32 v22, v22, 16, 8
	v_bfe_i32 v39, v39, 0, 8
	v_ashrrev_i32_e32 v44, 24, v23
	s_wait_loadcnt 0x3
	v_bfe_i32 v46, v20, 0, 8
	v_bfe_i32 v47, v20, 8, 8
	v_bfe_i32 v48, v20, 16, 8
	v_ashrrev_i32_e32 v20, 24, v20
	v_add_nc_u32_e32 v51, v39, v43
	v_lshrrev_b16 v41, 8, v24
	v_bfe_i32 v45, v23, 16, 8
	v_bfe_i32 v23, v23, 0, 8
	;; [unrolled: 1-line block ×3, first 2 shown]
	v_ashrrev_i32_e32 v50, 24, v24
	v_bfe_i32 v24, v24, 16, 8
	v_bfe_i32 v40, v40, 0, 8
	v_mul_i32_i24_e32 v28, v44, v28
	v_mul_i32_i24_e32 v36, v46, v36
	v_add_nc_u32_e32 v46, v46, v20
	v_mul_i32_i24_e32 v25, v39, v25
	v_add3_u32 v39, v51, v22, v42
	v_mul_i32_i24_e32 v31, v23, v31
	v_mul_i32_i24_e32 v32, v45, v32
	v_bfe_i32 v41, v41, 0, 8
	v_mul_i32_i24_e32 v16, v24, v16
	v_mul_i32_i24_e32 v35, v50, v35
	;; [unrolled: 1-line block ×3, first 2 shown]
	v_mad_i32_i24 v26, v42, v26, v28
	v_add3_u32 v28, v46, v47, v48
	v_add3_u32 v23, v39, v40, v23
	v_mul_i32_i24_e32 v37, v47, v37
	v_mad_i32_i24 v22, v22, v30, v32
	v_mad_i32_i24 v29, v43, v29, v31
	;; [unrolled: 1-line block ×4, first 2 shown]
	v_add3_u32 v25, v25, v27, v26
	v_add3_u32 v26, v28, v41, v49
	;; [unrolled: 1-line block ×3, first 2 shown]
	v_mul_i32_i24_e32 v33, v48, v33
	v_mad_i32_i24 v17, v20, v17, v37
	v_add3_u32 v16, v16, v30, v36
	v_add3_u32 v20, v29, v22, v25
	;; [unrolled: 1-line block ×3, first 2 shown]
	v_mul_lo_u32 v19, v23, v19
	s_delay_alu instid0(VALU_DEP_4) | instskip(NEXT) | instid1(VALU_DEP_4)
	v_add3_u32 v16, v16, v17, v33
	v_mul_lo_u32 v17, v20, v18
	s_delay_alu instid0(VALU_DEP_4) | instskip(NEXT) | instid1(VALU_DEP_3)
	v_mul_lo_u32 v7, v22, v7
	v_mul_lo_u32 v16, v16, v21
	v_cvt_f32_i32_e32 v18, v19
	s_wait_loadcnt 0x2
	v_lshrrev_b32_e32 v19, 16, v4
	v_cvt_f32_i32_e32 v17, v17
	v_cvt_f32_i32_e32 v7, v7
	s_wait_loadcnt 0x1
	v_fma_mix_f32 v18, v5, v18, 0 op_sel_hi:[1,0,0]
	v_cvt_f32_f16_e32 v19, v19
	v_cvt_f32_i32_e32 v16, v16
	v_fma_mix_f32 v5, v5, v17, 0 op_sel_hi:[1,0,0]
	s_wait_loadcnt 0x0
	v_fma_mix_f32 v7, v6, v7, v18 op_sel_hi:[1,0,0]
	s_delay_alu instid0(VALU_DEP_2) | instskip(NEXT) | instid1(VALU_DEP_2)
	v_fma_mix_f32 v5, v6, v16, v5 op_sel_hi:[1,0,0]
	v_mul_f32_e32 v6, v7, v19
	s_delay_alu instid0(VALU_DEP_1) | instskip(NEXT) | instid1(VALU_DEP_1)
	v_fma_mix_f32 v4, v5, v4, -v6 op_sel_hi:[0,1,0]
	v_add_f32_e32 v9, v9, v4
	s_wait_alu 0xfffe
	s_and_not1_b32 exec_lo, exec_lo, s1
	s_cbranch_execz .LBB85_8
.LBB85_4:                               ; =>This Inner Loop Header: Depth=1
	v_add_nc_u32_e32 v4, v10, v8
                                        ; implicit-def: $vgpr18
                                        ; implicit-def: $vgpr19
	s_delay_alu instid0(VALU_DEP_1) | instskip(NEXT) | instid1(VALU_DEP_1)
	v_mad_co_i64_i32 v[4:5], null, 0x90, v4, s[4:5]
	v_add_co_u32 v6, s0, v4, v11
	s_wait_alu 0xf1ff
	s_delay_alu instid0(VALU_DEP_2) | instskip(NEXT) | instid1(VALU_DEP_2)
	v_add_co_ci_u32_e64 v7, null, 0, v5, s0
	v_add_co_u32 v6, s0, v6, v12
	s_wait_alu 0xf1ff
	s_delay_alu instid0(VALU_DEP_2)
	v_add_co_ci_u32_e64 v7, null, 0, v7, s0
	s_clause 0x1
	global_load_b32 v17, v[6:7], off offset:16
	global_load_b32 v16, v[6:7], off offset:32
	v_add_co_u32 v6, s0, v4, v14
	s_wait_alu 0xf1ff
	v_add_co_ci_u32_e64 v7, null, 0, v5, s0
	s_and_saveexec_b32 s0, vcc_lo
	s_wait_alu 0xfffe
	s_xor_b32 s0, exec_lo, s0
	s_cbranch_execz .LBB85_6
; %bb.5:                                ;   in Loop: Header=BB85_4 Depth=1
	s_clause 0x2
	global_load_u16 v18, v[6:7], off
	global_load_u16 v19, v[6:7], off offset:8
	global_load_u16 v6, v[6:7], off offset:4
	s_wait_loadcnt 0x2
	v_lshrrev_b16 v7, 2, v18
	s_wait_loadcnt 0x1
	v_lshrrev_b16 v18, 4, v19
	s_wait_loadcnt 0x0
	v_lshrrev_b16 v6, 2, v6
	v_and_b32_e32 v19, 0xf0f, v19
	v_and_b32_e32 v7, 0x3030, v7
	;; [unrolled: 1-line block ×3, first 2 shown]
	s_delay_alu instid0(VALU_DEP_4) | instskip(NEXT) | instid1(VALU_DEP_3)
	v_and_b32_e32 v6, 0x3030, v6
	v_or_b32_e32 v18, v7, v19
	s_delay_alu instid0(VALU_DEP_2)
	v_or_b32_e32 v19, v6, v20
                                        ; implicit-def: $vgpr6_vgpr7
.LBB85_6:                               ;   in Loop: Header=BB85_4 Depth=1
	s_wait_alu 0xfffe
	s_and_not1_saveexec_b32 s0, s0
	s_cbranch_execz .LBB85_3
; %bb.7:                                ;   in Loop: Header=BB85_4 Depth=1
	s_clause 0x1
	global_load_u16 v18, v[6:7], off offset:4
	global_load_u16 v6, v[6:7], off offset:8
	s_wait_loadcnt 0x1
	v_and_b32_e32 v18, 0x3f3f, v18
	s_wait_loadcnt 0x0
	v_and_b32_e32 v19, 0x3f3f, v6
	s_branch .LBB85_3
.LBB85_8:
	s_or_b32 exec_lo, exec_lo, s1
.LBB85_9:
	s_delay_alu instid0(SALU_CYCLE_1) | instskip(SKIP_1) | instid1(VALU_DEP_1)
	s_or_b32 exec_lo, exec_lo, s10
	v_mbcnt_lo_u32_b32 v2, -1, 0
	v_xor_b32_e32 v3, 16, v2
	v_xor_b32_e32 v4, 8, v2
	;; [unrolled: 1-line block ×3, first 2 shown]
	s_delay_alu instid0(VALU_DEP_3) | instskip(SKIP_1) | instid1(VALU_DEP_4)
	v_cmp_gt_i32_e32 vcc_lo, 32, v3
	v_cndmask_b32_e32 v3, v2, v3, vcc_lo
	v_cmp_gt_i32_e32 vcc_lo, 32, v4
	s_wait_alu 0xfffd
	v_cndmask_b32_e32 v4, v2, v4, vcc_lo
	v_cmp_gt_i32_e32 vcc_lo, 32, v5
	s_delay_alu instid0(VALU_DEP_2)
	v_lshlrev_b32_e32 v4, 2, v4
	v_lshlrev_b32_e32 v3, 2, v3
	s_wait_alu 0xfffd
	v_cndmask_b32_e32 v5, v2, v5, vcc_lo
	ds_bpermute_b32 v3, v3, v9
	v_lshlrev_b32_e32 v5, 2, v5
	s_wait_dscnt 0x0
	v_add_f32_e32 v3, v9, v3
	ds_bpermute_b32 v4, v4, v3
	s_wait_dscnt 0x0
	v_add_f32_e32 v3, v3, v4
	ds_bpermute_b32 v4, v5, v3
	v_xor_b32_e32 v5, 2, v2
	s_delay_alu instid0(VALU_DEP_1) | instskip(SKIP_2) | instid1(VALU_DEP_1)
	v_cmp_gt_i32_e32 vcc_lo, 32, v5
	s_wait_alu 0xfffd
	v_cndmask_b32_e32 v5, v2, v5, vcc_lo
	v_lshlrev_b32_e32 v5, 2, v5
	s_wait_dscnt 0x0
	v_add_f32_e32 v3, v3, v4
	ds_bpermute_b32 v4, v5, v3
	v_xor_b32_e32 v5, 1, v2
	s_delay_alu instid0(VALU_DEP_1) | instskip(SKIP_4) | instid1(VALU_DEP_2)
	v_cmp_gt_i32_e32 vcc_lo, 32, v5
	s_wait_alu 0xfffd
	v_cndmask_b32_e32 v5, v2, v5, vcc_lo
	v_cmp_eq_u32_e32 vcc_lo, 0, v0
	s_wait_dscnt 0x0
	v_dual_add_f32 v2, v3, v4 :: v_dual_lshlrev_b32 v3, 2, v5
	ds_bpermute_b32 v3, v3, v2
	s_and_b32 exec_lo, exec_lo, vcc_lo
	s_cbranch_execz .LBB85_11
; %bb.10:
	v_mad_co_u64_u32 v[0:1], null, s9, ttmp7, v[1:2]
	s_wait_dscnt 0x0
	v_dual_mov_b32 v1, 0 :: v_dual_add_f32 v2, v2, v3
	s_delay_alu instid0(VALU_DEP_1) | instskip(NEXT) | instid1(VALU_DEP_2)
	v_cvt_f16_f32_e32 v2, v2
	v_lshlrev_b64_e32 v[0:1], 1, v[0:1]
	s_wait_kmcnt 0x0
	s_delay_alu instid0(VALU_DEP_1) | instskip(SKIP_1) | instid1(VALU_DEP_2)
	v_add_co_u32 v0, vcc_lo, s2, v0
	s_wait_alu 0xfffd
	v_add_co_ci_u32_e64 v1, null, s3, v1, vcc_lo
	global_store_b16 v[0:1], v2, off
.LBB85_11:
	s_endpgm
	.section	.rodata,"a",@progbits
	.p2align	6, 0x0
	.amdhsa_kernel _ZL13mul_mat_vec_qIN3c104HalfELi256ELi32E10block_q4_KLi2EXadL_ZL17vec_dot_q4_K_q8_1PKvPK10block_q8_1RKiEEEvS4_S4_PT_iii
		.amdhsa_group_segment_fixed_size 0
		.amdhsa_private_segment_fixed_size 0
		.amdhsa_kernarg_size 296
		.amdhsa_user_sgpr_count 2
		.amdhsa_user_sgpr_dispatch_ptr 0
		.amdhsa_user_sgpr_queue_ptr 0
		.amdhsa_user_sgpr_kernarg_segment_ptr 1
		.amdhsa_user_sgpr_dispatch_id 0
		.amdhsa_user_sgpr_private_segment_size 0
		.amdhsa_wavefront_size32 1
		.amdhsa_uses_dynamic_stack 0
		.amdhsa_enable_private_segment 0
		.amdhsa_system_sgpr_workgroup_id_x 1
		.amdhsa_system_sgpr_workgroup_id_y 1
		.amdhsa_system_sgpr_workgroup_id_z 0
		.amdhsa_system_sgpr_workgroup_info 0
		.amdhsa_system_vgpr_workitem_id 1
		.amdhsa_next_free_vgpr 52
		.amdhsa_next_free_sgpr 12
		.amdhsa_reserve_vcc 1
		.amdhsa_float_round_mode_32 0
		.amdhsa_float_round_mode_16_64 0
		.amdhsa_float_denorm_mode_32 3
		.amdhsa_float_denorm_mode_16_64 3
		.amdhsa_fp16_overflow 0
		.amdhsa_workgroup_processor_mode 1
		.amdhsa_memory_ordered 1
		.amdhsa_forward_progress 1
		.amdhsa_inst_pref_size 14
		.amdhsa_round_robin_scheduling 0
		.amdhsa_exception_fp_ieee_invalid_op 0
		.amdhsa_exception_fp_denorm_src 0
		.amdhsa_exception_fp_ieee_div_zero 0
		.amdhsa_exception_fp_ieee_overflow 0
		.amdhsa_exception_fp_ieee_underflow 0
		.amdhsa_exception_fp_ieee_inexact 0
		.amdhsa_exception_int_div_zero 0
	.end_amdhsa_kernel
	.section	.text._ZL13mul_mat_vec_qIN3c104HalfELi256ELi32E10block_q4_KLi2EXadL_ZL17vec_dot_q4_K_q8_1PKvPK10block_q8_1RKiEEEvS4_S4_PT_iii,"axG",@progbits,_ZL13mul_mat_vec_qIN3c104HalfELi256ELi32E10block_q4_KLi2EXadL_ZL17vec_dot_q4_K_q8_1PKvPK10block_q8_1RKiEEEvS4_S4_PT_iii,comdat
.Lfunc_end85:
	.size	_ZL13mul_mat_vec_qIN3c104HalfELi256ELi32E10block_q4_KLi2EXadL_ZL17vec_dot_q4_K_q8_1PKvPK10block_q8_1RKiEEEvS4_S4_PT_iii, .Lfunc_end85-_ZL13mul_mat_vec_qIN3c104HalfELi256ELi32E10block_q4_KLi2EXadL_ZL17vec_dot_q4_K_q8_1PKvPK10block_q8_1RKiEEEvS4_S4_PT_iii
                                        ; -- End function
	.set _ZL13mul_mat_vec_qIN3c104HalfELi256ELi32E10block_q4_KLi2EXadL_ZL17vec_dot_q4_K_q8_1PKvPK10block_q8_1RKiEEEvS4_S4_PT_iii.num_vgpr, 52
	.set _ZL13mul_mat_vec_qIN3c104HalfELi256ELi32E10block_q4_KLi2EXadL_ZL17vec_dot_q4_K_q8_1PKvPK10block_q8_1RKiEEEvS4_S4_PT_iii.num_agpr, 0
	.set _ZL13mul_mat_vec_qIN3c104HalfELi256ELi32E10block_q4_KLi2EXadL_ZL17vec_dot_q4_K_q8_1PKvPK10block_q8_1RKiEEEvS4_S4_PT_iii.numbered_sgpr, 12
	.set _ZL13mul_mat_vec_qIN3c104HalfELi256ELi32E10block_q4_KLi2EXadL_ZL17vec_dot_q4_K_q8_1PKvPK10block_q8_1RKiEEEvS4_S4_PT_iii.num_named_barrier, 0
	.set _ZL13mul_mat_vec_qIN3c104HalfELi256ELi32E10block_q4_KLi2EXadL_ZL17vec_dot_q4_K_q8_1PKvPK10block_q8_1RKiEEEvS4_S4_PT_iii.private_seg_size, 0
	.set _ZL13mul_mat_vec_qIN3c104HalfELi256ELi32E10block_q4_KLi2EXadL_ZL17vec_dot_q4_K_q8_1PKvPK10block_q8_1RKiEEEvS4_S4_PT_iii.uses_vcc, 1
	.set _ZL13mul_mat_vec_qIN3c104HalfELi256ELi32E10block_q4_KLi2EXadL_ZL17vec_dot_q4_K_q8_1PKvPK10block_q8_1RKiEEEvS4_S4_PT_iii.uses_flat_scratch, 0
	.set _ZL13mul_mat_vec_qIN3c104HalfELi256ELi32E10block_q4_KLi2EXadL_ZL17vec_dot_q4_K_q8_1PKvPK10block_q8_1RKiEEEvS4_S4_PT_iii.has_dyn_sized_stack, 0
	.set _ZL13mul_mat_vec_qIN3c104HalfELi256ELi32E10block_q4_KLi2EXadL_ZL17vec_dot_q4_K_q8_1PKvPK10block_q8_1RKiEEEvS4_S4_PT_iii.has_recursion, 0
	.set _ZL13mul_mat_vec_qIN3c104HalfELi256ELi32E10block_q4_KLi2EXadL_ZL17vec_dot_q4_K_q8_1PKvPK10block_q8_1RKiEEEvS4_S4_PT_iii.has_indirect_call, 0
	.section	.AMDGPU.csdata,"",@progbits
; Kernel info:
; codeLenInByte = 1752
; TotalNumSgprs: 14
; NumVgprs: 52
; ScratchSize: 0
; MemoryBound: 0
; FloatMode: 240
; IeeeMode: 1
; LDSByteSize: 0 bytes/workgroup (compile time only)
; SGPRBlocks: 0
; VGPRBlocks: 6
; NumSGPRsForWavesPerEU: 14
; NumVGPRsForWavesPerEU: 52
; Occupancy: 16
; WaveLimiterHint : 0
; COMPUTE_PGM_RSRC2:SCRATCH_EN: 0
; COMPUTE_PGM_RSRC2:USER_SGPR: 2
; COMPUTE_PGM_RSRC2:TRAP_HANDLER: 0
; COMPUTE_PGM_RSRC2:TGID_X_EN: 1
; COMPUTE_PGM_RSRC2:TGID_Y_EN: 1
; COMPUTE_PGM_RSRC2:TGID_Z_EN: 0
; COMPUTE_PGM_RSRC2:TIDIG_COMP_CNT: 1
	.section	.text._ZL13mul_mat_vec_qIN3c104HalfELi256ELi32E10block_q5_KLi2EXadL_ZL17vec_dot_q5_K_q8_1PKvPK10block_q8_1RKiEEEvS4_S4_PT_iii,"axG",@progbits,_ZL13mul_mat_vec_qIN3c104HalfELi256ELi32E10block_q5_KLi2EXadL_ZL17vec_dot_q5_K_q8_1PKvPK10block_q8_1RKiEEEvS4_S4_PT_iii,comdat
	.globl	_ZL13mul_mat_vec_qIN3c104HalfELi256ELi32E10block_q5_KLi2EXadL_ZL17vec_dot_q5_K_q8_1PKvPK10block_q8_1RKiEEEvS4_S4_PT_iii ; -- Begin function _ZL13mul_mat_vec_qIN3c104HalfELi256ELi32E10block_q5_KLi2EXadL_ZL17vec_dot_q5_K_q8_1PKvPK10block_q8_1RKiEEEvS4_S4_PT_iii
	.p2align	8
	.type	_ZL13mul_mat_vec_qIN3c104HalfELi256ELi32E10block_q5_KLi2EXadL_ZL17vec_dot_q5_K_q8_1PKvPK10block_q8_1RKiEEEvS4_S4_PT_iii,@function
_ZL13mul_mat_vec_qIN3c104HalfELi256ELi32E10block_q5_KLi2EXadL_ZL17vec_dot_q5_K_q8_1PKvPK10block_q8_1RKiEEEvS4_S4_PT_iii: ; @_ZL13mul_mat_vec_qIN3c104HalfELi256ELi32E10block_q5_KLi2EXadL_ZL17vec_dot_q5_K_q8_1PKvPK10block_q8_1RKiEEEvS4_S4_PT_iii
; %bb.0:
	s_clause 0x1
	s_load_u16 s2, s[0:1], 0x36
	s_load_b96 s[8:10], s[0:1], 0x18
	v_bfe_u32 v1, v0, 10, 10
	s_wait_kmcnt 0x0
	s_delay_alu instid0(VALU_DEP_1)
	v_mad_co_u64_u32 v[1:2], null, ttmp9, s2, v[1:2]
	s_cmp_lt_u32 ttmp7, s10
	s_cselect_b32 s2, -1, 0
	v_cmp_gt_u32_e32 vcc_lo, s9, v1
	s_wait_alu 0xfffe
	s_and_b32 s2, s2, vcc_lo
	s_wait_alu 0xfffe
	s_and_saveexec_b32 s3, s2
	s_cbranch_execz .LBB86_11
; %bb.1:
	s_load_b64 s[2:3], s[0:1], 0x10
	s_ashr_i32 s4, s8, 31
	v_bfe_u32 v8, v0, 4, 6
	s_lshr_b32 s4, s4, 24
	v_dual_mov_b32 v9, 0 :: v_dual_and_b32 v0, 0x3ff, v0
	s_add_co_i32 s4, s8, s4
	s_mov_b32 s10, exec_lo
	s_ashr_i32 s11, s4, 8
	s_delay_alu instid0(SALU_CYCLE_1)
	v_cmpx_gt_u32_e64 s11, v8
	s_cbranch_execz .LBB86_9
; %bb.2:
	s_load_b128 s[4:7], s[0:1], 0x0
	v_dual_mov_b32 v9, 0 :: v_dual_lshlrev_b32 v2, 1, v0
	s_addk_co_i32 s8, 0x1ff
	v_and_b32_e32 v5, 3, v0
	s_wait_alu 0xfffe
	s_ashr_i32 s0, s8, 31
	v_bfe_u32 v4, v2, 3, 2
	s_wait_alu 0xfffe
	s_lshr_b32 s0, s0, 23
	v_and_b32_e32 v2, 30, v2
	s_wait_alu 0xfffe
	s_add_co_i32 s8, s8, s0
	v_lshlrev_b32_e32 v6, 3, v8
	v_lshlrev_b32_e32 v12, 1, v4
	s_wait_alu 0xfffe
	s_ashr_i32 s0, s8, 9
	v_mul_lo_u32 v10, v1, s11
	v_cmp_lt_u32_e32 vcc_lo, 15, v2
	s_wait_alu 0xfffe
	s_mul_i32 s0, ttmp7, s0
	v_lshlrev_b32_e32 v11, 5, v4
	v_lshlrev_b32_e32 v13, 2, v5
	s_wait_alu 0xfffe
	v_lshl_add_u32 v14, s0, 4, v6
	v_lshlrev_b32_e32 v15, 1, v4
	s_wait_kmcnt 0x0
	v_mad_co_u64_u32 v[2:3], null, v12, 36, s[6:7]
	v_lshlrev_b32_e32 v16, 2, v5
	s_mov_b32 s1, 0
	s_branch .LBB86_4
.LBB86_3:                               ;   in Loop: Header=BB86_4 Depth=1
	s_wait_alu 0xfffe
	s_or_b32 exec_lo, exec_lo, s0
	v_mad_co_i64_i32 v[6:7], null, v14, 36, v[2:3]
	s_wait_loadcnt 0x0
	v_ashrrev_i32_e32 v22, v12, v22
	v_ashrrev_i32_e32 v21, v12, v21
	v_and_b32_e32 v29, 0xf0f0f0f, v17
	v_and_b32_e32 v28, 0xf0f0f0f, v18
	v_lshrrev_b32_e32 v18, 4, v18
	v_lshlrev_b32_e32 v31, 4, v22
	v_add_co_u32 v23, s0, v6, v16
	s_wait_alu 0xf1ff
	v_add_co_ci_u32_e64 v24, null, 0, v7, s0
	v_lshrrev_b32_e32 v17, 4, v17
	v_lshlrev_b32_e32 v30, 4, v21
	v_and_or_b32 v29, 0x10101010, v31, v29
	s_clause 0x3
	global_load_b32 v25, v[23:24], off offset:4
	global_load_b32 v26, v[23:24], off offset:20
	;; [unrolled: 1-line block ×4, first 2 shown]
	global_load_b32 v4, v[4:5], off
	s_clause 0x1
	global_load_b32 v5, v[6:7], off
	global_load_b32 v6, v[6:7], off offset:36
	v_and_b32_e32 v18, 0xf0f0f0f, v18
	v_and_b32_e32 v17, 0xf0f0f0f, v17
	v_lshlrev_b32_e32 v21, 3, v21
	v_lshlrev_b32_e32 v22, 3, v22
	v_and_or_b32 v28, 0x10101010, v30, v28
	v_bfe_u32 v32, v29, 16, 5
	v_lshrrev_b32_e32 v30, 24, v29
	v_and_or_b32 v18, 0x10101010, v21, v18
	v_and_or_b32 v17, 0x10101010, v22, v17
	v_lshrrev_b32_e32 v21, 24, v28
	v_lshrrev_b16 v22, 8, v28
	v_lshrrev_b16 v31, 8, v29
	v_and_b32_e32 v33, 31, v28
	v_bfe_u32 v28, v28, 16, 5
	v_and_b32_e32 v29, 31, v29
	v_lshrrev_b16 v35, 8, v18
	v_lshrrev_b32_e32 v36, 24, v17
	v_lshrrev_b16 v37, 8, v17
	v_and_b32_e32 v31, 0xffff, v31
	v_and_b32_e32 v22, 0xffff, v22
	v_lshrrev_b16 v7, 8, v20
	v_and_b32_e32 v20, 0xff, v20
	v_lshrrev_b32_e32 v34, 24, v18
	v_bfe_u32 v38, v17, 16, 5
	v_and_b32_e32 v17, 31, v17
	v_and_b32_e32 v37, 0xffff, v37
	;; [unrolled: 1-line block ×3, first 2 shown]
	v_lshrrev_b16 v24, 8, v19
	v_and_b32_e32 v19, 0xff, v19
	v_and_b32_e32 v20, 0xffff, v20
	;; [unrolled: 1-line block ×3, first 2 shown]
	v_bfe_u32 v18, v18, 16, 5
	v_and_b32_e32 v7, 0xffff, v7
	v_and_b32_e32 v19, 0xffff, v19
	v_add_nc_u32_e32 v8, 2, v8
	v_add_nc_u32_e32 v14, 16, v14
	s_delay_alu instid0(VALU_DEP_2)
	v_cmp_le_u32_e64 s0, s11, v8
	s_or_b32 s1, s0, s1
	s_wait_loadcnt 0x6
	v_lshrrev_b16 v40, 8, v25
	s_wait_loadcnt 0x5
	v_bfe_i32 v44, v26, 16, 8
	s_wait_loadcnt 0x4
	v_lshrrev_b16 v42, 8, v27
	v_bfe_i32 v46, v25, 0, 8
	v_lshrrev_b16 v41, 8, v26
	v_bfe_i32 v40, v40, 0, 8
	v_ashrrev_i32_e32 v43, 24, v26
	v_ashrrev_i32_e32 v45, 24, v25
	v_bfe_i32 v25, v25, 16, 8
	v_bfe_i32 v51, v27, 0, 8
	v_mul_i32_i24_e32 v32, v44, v32
	v_bfe_i32 v42, v42, 0, 8
	v_add_nc_u32_e32 v52, v46, v40
	v_bfe_i32 v26, v26, 0, 8
	s_wait_loadcnt 0x3
	v_ashrrev_i32_e32 v47, 24, v23
	v_ashrrev_i32_e32 v50, 24, v27
	v_bfe_i32 v27, v27, 16, 8
	v_bfe_i32 v41, v41, 0, 8
	v_mul_i32_i24_e32 v30, v43, v30
	v_mad_i32_i24 v28, v25, v28, v32
	v_add_nc_u32_e32 v32, v51, v42
	v_add3_u32 v25, v52, v25, v45
	v_bfe_i32 v48, v23, 16, 8
	v_bfe_i32 v49, v23, 8, 8
	;; [unrolled: 1-line block ×3, first 2 shown]
	v_mul_i32_i24_e32 v29, v26, v29
	v_mul_i32_i24_e32 v36, v47, v36
	;; [unrolled: 1-line block ×4, first 2 shown]
	v_mad_i32_i24 v21, v45, v21, v30
	v_add3_u32 v32, v32, v27, v50
	v_add3_u32 v25, v25, v26, v41
	v_mul_i32_i24_e32 v17, v23, v17
	v_mul_i32_i24_e32 v37, v49, v37
	;; [unrolled: 1-line block ×3, first 2 shown]
	v_mad_i32_i24 v29, v46, v33, v29
	v_mul_i32_i24_e32 v30, v42, v35
	v_mad_i32_i24 v26, v50, v34, v36
	v_add3_u32 v21, v22, v31, v21
	v_add3_u32 v22, v32, v47, v23
	;; [unrolled: 1-line block ×3, first 2 shown]
	v_mad_i32_i24 v18, v27, v18, v38
	v_mad_i32_i24 v17, v51, v39, v17
	v_add3_u32 v25, v30, v37, v26
	v_add3_u32 v21, v29, v28, v21
	;; [unrolled: 1-line block ×3, first 2 shown]
	v_mul_lo_u32 v20, v23, v20
	v_and_b32_e32 v23, 0xffff, v24
	v_add3_u32 v17, v17, v18, v25
	v_mul_lo_u32 v18, v21, v19
	v_mul_lo_u32 v7, v22, v7
	s_delay_alu instid0(VALU_DEP_3)
	v_mul_lo_u32 v17, v17, v23
	v_cvt_f32_i32_e32 v19, v20
	s_wait_loadcnt 0x2
	v_lshrrev_b32_e32 v20, 16, v4
	v_cvt_f32_i32_e32 v18, v18
	v_cvt_f32_i32_e32 v7, v7
	s_wait_loadcnt 0x1
	v_fma_mix_f32 v19, v5, v19, 0 op_sel_hi:[1,0,0]
	v_cvt_f32_f16_e32 v20, v20
	v_cvt_f32_i32_e32 v17, v17
	v_fma_mix_f32 v5, v5, v18, 0 op_sel_hi:[1,0,0]
	s_wait_loadcnt 0x0
	v_fma_mix_f32 v7, v6, v7, v19 op_sel_hi:[1,0,0]
	s_delay_alu instid0(VALU_DEP_2) | instskip(NEXT) | instid1(VALU_DEP_2)
	v_fma_mix_f32 v5, v6, v17, v5 op_sel_hi:[1,0,0]
	v_mul_f32_e32 v6, v7, v20
	s_delay_alu instid0(VALU_DEP_1) | instskip(NEXT) | instid1(VALU_DEP_1)
	v_fma_mix_f32 v4, v5, v4, -v6 op_sel_hi:[0,1,0]
	v_add_f32_e32 v9, v9, v4
	s_wait_alu 0xfffe
	s_and_not1_b32 exec_lo, exec_lo, s1
	s_cbranch_execz .LBB86_8
.LBB86_4:                               ; =>This Inner Loop Header: Depth=1
	v_add_nc_u32_e32 v4, v10, v8
	s_delay_alu instid0(VALU_DEP_1) | instskip(NEXT) | instid1(VALU_DEP_1)
	v_mad_co_i64_i32 v[4:5], null, 0xb0, v4, s[4:5]
	v_add_co_u32 v6, s0, v4, v11
	s_wait_alu 0xf1ff
	s_delay_alu instid0(VALU_DEP_2) | instskip(NEXT) | instid1(VALU_DEP_2)
	v_add_co_ci_u32_e64 v7, null, 0, v5, s0
	v_add_co_u32 v6, s0, v6, v13
	s_wait_alu 0xf1ff
	s_delay_alu instid0(VALU_DEP_2)
	v_add_co_ci_u32_e64 v7, null, 0, v7, s0
	v_add_co_u32 v19, s0, v4, v13
	s_wait_alu 0xf1ff
	v_add_co_ci_u32_e64 v20, null, 0, v5, s0
	s_clause 0x3
	global_load_b32 v18, v[6:7], off offset:48
	global_load_b32 v17, v[6:7], off offset:64
	;; [unrolled: 1-line block ×4, first 2 shown]
	v_add_co_u32 v6, s0, v4, v15
	s_wait_alu 0xf1ff
	v_add_co_ci_u32_e64 v7, null, 0, v5, s0
                                        ; implicit-def: $vgpr19
                                        ; implicit-def: $vgpr20
	s_and_saveexec_b32 s0, vcc_lo
	s_wait_alu 0xfffe
	s_xor_b32 s0, exec_lo, s0
	s_cbranch_execz .LBB86_6
; %bb.5:                                ;   in Loop: Header=BB86_4 Depth=1
	s_clause 0x2
	global_load_u16 v19, v[6:7], off
	global_load_u16 v20, v[6:7], off offset:8
	global_load_u16 v6, v[6:7], off offset:4
	s_wait_loadcnt 0x2
	v_lshrrev_b16 v7, 2, v19
	s_wait_loadcnt 0x1
	v_lshrrev_b16 v19, 4, v20
	;; [unrolled: 2-line block ×3, first 2 shown]
	v_and_b32_e32 v20, 0xf0f, v20
	v_and_b32_e32 v7, 0x3030, v7
	;; [unrolled: 1-line block ×3, first 2 shown]
	s_delay_alu instid0(VALU_DEP_4) | instskip(NEXT) | instid1(VALU_DEP_3)
	v_and_b32_e32 v6, 0x3030, v6
	v_or_b32_e32 v19, v7, v20
	s_delay_alu instid0(VALU_DEP_2)
	v_or_b32_e32 v20, v6, v23
                                        ; implicit-def: $vgpr6_vgpr7
.LBB86_6:                               ;   in Loop: Header=BB86_4 Depth=1
	s_wait_alu 0xfffe
	s_and_not1_saveexec_b32 s0, s0
	s_cbranch_execz .LBB86_3
; %bb.7:                                ;   in Loop: Header=BB86_4 Depth=1
	s_clause 0x1
	global_load_u16 v19, v[6:7], off offset:4
	global_load_u16 v6, v[6:7], off offset:8
	s_wait_loadcnt 0x1
	v_and_b32_e32 v19, 0x3f3f, v19
	s_wait_loadcnt 0x0
	v_and_b32_e32 v20, 0x3f3f, v6
	s_branch .LBB86_3
.LBB86_8:
	s_or_b32 exec_lo, exec_lo, s1
.LBB86_9:
	s_delay_alu instid0(SALU_CYCLE_1) | instskip(SKIP_1) | instid1(VALU_DEP_1)
	s_or_b32 exec_lo, exec_lo, s10
	v_mbcnt_lo_u32_b32 v2, -1, 0
	v_xor_b32_e32 v3, 16, v2
	v_xor_b32_e32 v4, 8, v2
	;; [unrolled: 1-line block ×3, first 2 shown]
	s_delay_alu instid0(VALU_DEP_3) | instskip(SKIP_1) | instid1(VALU_DEP_4)
	v_cmp_gt_i32_e32 vcc_lo, 32, v3
	v_cndmask_b32_e32 v3, v2, v3, vcc_lo
	v_cmp_gt_i32_e32 vcc_lo, 32, v4
	s_wait_alu 0xfffd
	v_cndmask_b32_e32 v4, v2, v4, vcc_lo
	v_cmp_gt_i32_e32 vcc_lo, 32, v5
	s_delay_alu instid0(VALU_DEP_2)
	v_lshlrev_b32_e32 v4, 2, v4
	v_lshlrev_b32_e32 v3, 2, v3
	s_wait_alu 0xfffd
	v_cndmask_b32_e32 v5, v2, v5, vcc_lo
	ds_bpermute_b32 v3, v3, v9
	v_lshlrev_b32_e32 v5, 2, v5
	s_wait_dscnt 0x0
	v_add_f32_e32 v3, v9, v3
	ds_bpermute_b32 v4, v4, v3
	s_wait_dscnt 0x0
	v_add_f32_e32 v3, v3, v4
	ds_bpermute_b32 v4, v5, v3
	v_xor_b32_e32 v5, 2, v2
	s_delay_alu instid0(VALU_DEP_1) | instskip(SKIP_2) | instid1(VALU_DEP_1)
	v_cmp_gt_i32_e32 vcc_lo, 32, v5
	s_wait_alu 0xfffd
	v_cndmask_b32_e32 v5, v2, v5, vcc_lo
	v_lshlrev_b32_e32 v5, 2, v5
	s_wait_dscnt 0x0
	v_add_f32_e32 v3, v3, v4
	ds_bpermute_b32 v4, v5, v3
	v_xor_b32_e32 v5, 1, v2
	s_delay_alu instid0(VALU_DEP_1) | instskip(SKIP_4) | instid1(VALU_DEP_2)
	v_cmp_gt_i32_e32 vcc_lo, 32, v5
	s_wait_alu 0xfffd
	v_cndmask_b32_e32 v5, v2, v5, vcc_lo
	v_cmp_eq_u32_e32 vcc_lo, 0, v0
	s_wait_dscnt 0x0
	v_dual_add_f32 v2, v3, v4 :: v_dual_lshlrev_b32 v3, 2, v5
	ds_bpermute_b32 v3, v3, v2
	s_and_b32 exec_lo, exec_lo, vcc_lo
	s_cbranch_execz .LBB86_11
; %bb.10:
	v_mad_co_u64_u32 v[0:1], null, s9, ttmp7, v[1:2]
	s_wait_dscnt 0x0
	v_dual_mov_b32 v1, 0 :: v_dual_add_f32 v2, v2, v3
	s_delay_alu instid0(VALU_DEP_1) | instskip(NEXT) | instid1(VALU_DEP_2)
	v_cvt_f16_f32_e32 v2, v2
	v_lshlrev_b64_e32 v[0:1], 1, v[0:1]
	s_wait_kmcnt 0x0
	s_delay_alu instid0(VALU_DEP_1) | instskip(SKIP_1) | instid1(VALU_DEP_2)
	v_add_co_u32 v0, vcc_lo, s2, v0
	s_wait_alu 0xfffd
	v_add_co_ci_u32_e64 v1, null, s3, v1, vcc_lo
	global_store_b16 v[0:1], v2, off
.LBB86_11:
	s_endpgm
	.section	.rodata,"a",@progbits
	.p2align	6, 0x0
	.amdhsa_kernel _ZL13mul_mat_vec_qIN3c104HalfELi256ELi32E10block_q5_KLi2EXadL_ZL17vec_dot_q5_K_q8_1PKvPK10block_q8_1RKiEEEvS4_S4_PT_iii
		.amdhsa_group_segment_fixed_size 0
		.amdhsa_private_segment_fixed_size 0
		.amdhsa_kernarg_size 296
		.amdhsa_user_sgpr_count 2
		.amdhsa_user_sgpr_dispatch_ptr 0
		.amdhsa_user_sgpr_queue_ptr 0
		.amdhsa_user_sgpr_kernarg_segment_ptr 1
		.amdhsa_user_sgpr_dispatch_id 0
		.amdhsa_user_sgpr_private_segment_size 0
		.amdhsa_wavefront_size32 1
		.amdhsa_uses_dynamic_stack 0
		.amdhsa_enable_private_segment 0
		.amdhsa_system_sgpr_workgroup_id_x 1
		.amdhsa_system_sgpr_workgroup_id_y 1
		.amdhsa_system_sgpr_workgroup_id_z 0
		.amdhsa_system_sgpr_workgroup_info 0
		.amdhsa_system_vgpr_workitem_id 1
		.amdhsa_next_free_vgpr 53
		.amdhsa_next_free_sgpr 12
		.amdhsa_reserve_vcc 1
		.amdhsa_float_round_mode_32 0
		.amdhsa_float_round_mode_16_64 0
		.amdhsa_float_denorm_mode_32 3
		.amdhsa_float_denorm_mode_16_64 3
		.amdhsa_fp16_overflow 0
		.amdhsa_workgroup_processor_mode 1
		.amdhsa_memory_ordered 1
		.amdhsa_forward_progress 1
		.amdhsa_inst_pref_size 15
		.amdhsa_round_robin_scheduling 0
		.amdhsa_exception_fp_ieee_invalid_op 0
		.amdhsa_exception_fp_denorm_src 0
		.amdhsa_exception_fp_ieee_div_zero 0
		.amdhsa_exception_fp_ieee_overflow 0
		.amdhsa_exception_fp_ieee_underflow 0
		.amdhsa_exception_fp_ieee_inexact 0
		.amdhsa_exception_int_div_zero 0
	.end_amdhsa_kernel
	.section	.text._ZL13mul_mat_vec_qIN3c104HalfELi256ELi32E10block_q5_KLi2EXadL_ZL17vec_dot_q5_K_q8_1PKvPK10block_q8_1RKiEEEvS4_S4_PT_iii,"axG",@progbits,_ZL13mul_mat_vec_qIN3c104HalfELi256ELi32E10block_q5_KLi2EXadL_ZL17vec_dot_q5_K_q8_1PKvPK10block_q8_1RKiEEEvS4_S4_PT_iii,comdat
.Lfunc_end86:
	.size	_ZL13mul_mat_vec_qIN3c104HalfELi256ELi32E10block_q5_KLi2EXadL_ZL17vec_dot_q5_K_q8_1PKvPK10block_q8_1RKiEEEvS4_S4_PT_iii, .Lfunc_end86-_ZL13mul_mat_vec_qIN3c104HalfELi256ELi32E10block_q5_KLi2EXadL_ZL17vec_dot_q5_K_q8_1PKvPK10block_q8_1RKiEEEvS4_S4_PT_iii
                                        ; -- End function
	.set _ZL13mul_mat_vec_qIN3c104HalfELi256ELi32E10block_q5_KLi2EXadL_ZL17vec_dot_q5_K_q8_1PKvPK10block_q8_1RKiEEEvS4_S4_PT_iii.num_vgpr, 53
	.set _ZL13mul_mat_vec_qIN3c104HalfELi256ELi32E10block_q5_KLi2EXadL_ZL17vec_dot_q5_K_q8_1PKvPK10block_q8_1RKiEEEvS4_S4_PT_iii.num_agpr, 0
	.set _ZL13mul_mat_vec_qIN3c104HalfELi256ELi32E10block_q5_KLi2EXadL_ZL17vec_dot_q5_K_q8_1PKvPK10block_q8_1RKiEEEvS4_S4_PT_iii.numbered_sgpr, 12
	.set _ZL13mul_mat_vec_qIN3c104HalfELi256ELi32E10block_q5_KLi2EXadL_ZL17vec_dot_q5_K_q8_1PKvPK10block_q8_1RKiEEEvS4_S4_PT_iii.num_named_barrier, 0
	.set _ZL13mul_mat_vec_qIN3c104HalfELi256ELi32E10block_q5_KLi2EXadL_ZL17vec_dot_q5_K_q8_1PKvPK10block_q8_1RKiEEEvS4_S4_PT_iii.private_seg_size, 0
	.set _ZL13mul_mat_vec_qIN3c104HalfELi256ELi32E10block_q5_KLi2EXadL_ZL17vec_dot_q5_K_q8_1PKvPK10block_q8_1RKiEEEvS4_S4_PT_iii.uses_vcc, 1
	.set _ZL13mul_mat_vec_qIN3c104HalfELi256ELi32E10block_q5_KLi2EXadL_ZL17vec_dot_q5_K_q8_1PKvPK10block_q8_1RKiEEEvS4_S4_PT_iii.uses_flat_scratch, 0
	.set _ZL13mul_mat_vec_qIN3c104HalfELi256ELi32E10block_q5_KLi2EXadL_ZL17vec_dot_q5_K_q8_1PKvPK10block_q8_1RKiEEEvS4_S4_PT_iii.has_dyn_sized_stack, 0
	.set _ZL13mul_mat_vec_qIN3c104HalfELi256ELi32E10block_q5_KLi2EXadL_ZL17vec_dot_q5_K_q8_1PKvPK10block_q8_1RKiEEEvS4_S4_PT_iii.has_recursion, 0
	.set _ZL13mul_mat_vec_qIN3c104HalfELi256ELi32E10block_q5_KLi2EXadL_ZL17vec_dot_q5_K_q8_1PKvPK10block_q8_1RKiEEEvS4_S4_PT_iii.has_indirect_call, 0
	.section	.AMDGPU.csdata,"",@progbits
; Kernel info:
; codeLenInByte = 1872
; TotalNumSgprs: 14
; NumVgprs: 53
; ScratchSize: 0
; MemoryBound: 0
; FloatMode: 240
; IeeeMode: 1
; LDSByteSize: 0 bytes/workgroup (compile time only)
; SGPRBlocks: 0
; VGPRBlocks: 6
; NumSGPRsForWavesPerEU: 14
; NumVGPRsForWavesPerEU: 53
; Occupancy: 16
; WaveLimiterHint : 0
; COMPUTE_PGM_RSRC2:SCRATCH_EN: 0
; COMPUTE_PGM_RSRC2:USER_SGPR: 2
; COMPUTE_PGM_RSRC2:TRAP_HANDLER: 0
; COMPUTE_PGM_RSRC2:TGID_X_EN: 1
; COMPUTE_PGM_RSRC2:TGID_Y_EN: 1
; COMPUTE_PGM_RSRC2:TGID_Z_EN: 0
; COMPUTE_PGM_RSRC2:TIDIG_COMP_CNT: 1
	.section	.text._ZL13mul_mat_vec_qIN3c104HalfELi256ELi32E10block_q6_KLi1EXadL_ZL17vec_dot_q6_K_q8_1PKvPK10block_q8_1RKiEEEvS4_S4_PT_iii,"axG",@progbits,_ZL13mul_mat_vec_qIN3c104HalfELi256ELi32E10block_q6_KLi1EXadL_ZL17vec_dot_q6_K_q8_1PKvPK10block_q8_1RKiEEEvS4_S4_PT_iii,comdat
	.globl	_ZL13mul_mat_vec_qIN3c104HalfELi256ELi32E10block_q6_KLi1EXadL_ZL17vec_dot_q6_K_q8_1PKvPK10block_q8_1RKiEEEvS4_S4_PT_iii ; -- Begin function _ZL13mul_mat_vec_qIN3c104HalfELi256ELi32E10block_q6_KLi1EXadL_ZL17vec_dot_q6_K_q8_1PKvPK10block_q8_1RKiEEEvS4_S4_PT_iii
	.p2align	8
	.type	_ZL13mul_mat_vec_qIN3c104HalfELi256ELi32E10block_q6_KLi1EXadL_ZL17vec_dot_q6_K_q8_1PKvPK10block_q8_1RKiEEEvS4_S4_PT_iii,@function
_ZL13mul_mat_vec_qIN3c104HalfELi256ELi32E10block_q6_KLi1EXadL_ZL17vec_dot_q6_K_q8_1PKvPK10block_q8_1RKiEEEvS4_S4_PT_iii: ; @_ZL13mul_mat_vec_qIN3c104HalfELi256ELi32E10block_q6_KLi1EXadL_ZL17vec_dot_q6_K_q8_1PKvPK10block_q8_1RKiEEEvS4_S4_PT_iii
; %bb.0:
	s_clause 0x1
	s_load_u16 s2, s[0:1], 0x36
	s_load_b96 s[4:6], s[0:1], 0x18
	v_bfe_u32 v1, v0, 10, 10
	s_wait_kmcnt 0x0
	s_delay_alu instid0(VALU_DEP_1)
	v_mad_co_u64_u32 v[1:2], null, ttmp9, s2, v[1:2]
	s_cmp_lt_u32 ttmp7, s6
	s_cselect_b32 s2, -1, 0
	v_cmp_gt_u32_e32 vcc_lo, s5, v1
	s_wait_alu 0xfffe
	s_and_b32 s2, s2, vcc_lo
	s_wait_alu 0xfffe
	s_and_saveexec_b32 s3, s2
	s_cbranch_execz .LBB87_7
; %bb.1:
	s_load_b64 s[6:7], s[0:1], 0x10
	s_ashr_i32 s2, s4, 31
	v_bfe_u32 v4, v0, 5, 5
	s_wait_alu 0xfffe
	s_lshr_b32 s2, s2, 24
	v_dual_mov_b32 v5, 0 :: v_dual_and_b32 v0, 0x3ff, v0
	s_wait_alu 0xfffe
	s_add_co_i32 s2, s4, s2
	s_mov_b32 s8, exec_lo
	s_wait_alu 0xfffe
	s_ashr_i32 s9, s2, 8
	s_delay_alu instid0(SALU_CYCLE_1)
	v_cmpx_gt_u32_e64 s9, v4
	s_cbranch_execz .LBB87_5
; %bb.2:
	v_dual_mov_b32 v5, 0 :: v_dual_and_b32 v2, 31, v0
	s_load_b128 s[0:3], s[0:1], 0x0
	s_addk_co_i32 s4, 0x1ff
	v_lshlrev_b32_e32 v14, 3, v4
	s_delay_alu instid0(VALU_DEP_2)
	v_add_nc_u32_e32 v3, 0xf0, v2
	v_cmp_gt_u32_e32 vcc_lo, 16, v2
	v_and_b32_e32 v9, 7, v0
	v_lshlrev_b32_e32 v7, 2, v2
	s_wait_alu 0xfffe
	s_ashr_i32 s10, s4, 31
	v_mul_lo_u32 v6, v1, s9
	v_cndmask_b32_e32 v10, v3, v2, vcc_lo
	v_cmp_lt_u32_e32 vcc_lo, 15, v2
	s_lshr_b32 s10, s10, 23
	s_delay_alu instid0(SALU_CYCLE_1) | instskip(NEXT) | instid1(VALU_DEP_2)
	s_add_co_i32 s4, s4, s10
	v_and_b32_e32 v12, 0xf8, v10
	s_wait_alu 0xfffd
	v_cndmask_b32_e64 v3, 0, 4, vcc_lo
	v_cndmask_b32_e64 v11, 0, 8, vcc_lo
	v_bfe_u32 v13, v10, 2, 6
	s_wait_alu 0xfffe
	s_ashr_i32 s4, s4, 9
	v_cmp_ne_u32_e32 vcc_lo, 0, v12
	s_wait_kmcnt 0x0
	v_mad_co_u64_u32 v[2:3], null, v3, 36, s[2:3]
	v_or_b32_e32 v8, v11, v9
	s_wait_alu 0xfffe
	s_mul_i32 s4, ttmp7, s4
	s_wait_alu 0xfffd
	v_cndmask_b32_e64 v12, 0, 1, vcc_lo
	v_lshlrev_b32_e32 v9, 2, v9
	v_cndmask_b32_e64 v10, 0, 2, vcc_lo
	v_lshlrev_b32_e32 v8, 2, v8
	v_add_nc_u32_e32 v11, v13, v11
	v_mad_co_u64_u32 v[2:3], null, v12, 36, v[2:3]
	s_wait_alu 0xfffe
	v_lshl_add_u32 v12, s4, 4, v14
	s_mov_b32 s2, 0
.LBB87_3:                               ; =>This Inner Loop Header: Depth=1
	v_add_nc_u32_e32 v15, v6, v4
	s_delay_alu instid0(VALU_DEP_2) | instskip(SKIP_2) | instid1(VALU_DEP_4)
	v_mad_co_i64_i32 v[13:14], null, v12, 36, v[2:3]
	v_add_nc_u32_e32 v4, 1, v4
	v_add_nc_u32_e32 v12, 8, v12
	v_mad_co_i64_i32 v[15:16], null, 0xd2, v15, s[0:1]
	s_delay_alu instid0(VALU_DEP_4) | instskip(SKIP_2) | instid1(VALU_DEP_3)
	v_add_co_u32 v17, vcc_lo, v13, v9
	s_wait_alu 0xfffd
	v_add_co_ci_u32_e64 v18, null, 0, v14, vcc_lo
	v_add_co_u32 v19, vcc_lo, v15, v7
	s_wait_alu 0xfffd
	s_delay_alu instid0(VALU_DEP_4)
	v_add_co_ci_u32_e64 v20, null, 0, v16, vcc_lo
	v_add_co_u32 v21, vcc_lo, v15, v8
	s_wait_alu 0xfffd
	v_add_co_ci_u32_e64 v22, null, 0, v16, vcc_lo
	global_load_b32 v23, v[17:18], off offset:4
	s_clause 0x1
	global_load_b32 v19, v[19:20], off
	global_load_b32 v20, v[21:22], off offset:128
	global_load_b32 v21, v[17:18], off offset:76
	v_add_co_u32 v17, vcc_lo, v15, v11
	s_wait_alu 0xfffd
	v_add_co_ci_u32_e64 v18, null, 0, v16, vcc_lo
	s_clause 0x1
	global_load_i8 v22, v[17:18], off offset:192
	global_load_i8 v17, v[17:18], off offset:196
	s_clause 0x1
	global_load_b32 v18, v[13:14], off
	global_load_b32 v13, v[13:14], off offset:72
	global_load_u16 v14, v[15:16], off offset:208
	v_cmp_le_u32_e32 vcc_lo, s9, v4
	s_wait_alu 0xfffe
	s_or_b32 s2, vcc_lo, s2
	s_wait_loadcnt 0x8
	v_lshrrev_b16 v15, 8, v23
	s_wait_loadcnt 0x7
	v_and_b32_e32 v28, 0xf0f0f0f, v19
	s_wait_loadcnt 0x6
	v_ashrrev_i32_e32 v20, v10, v20
	v_lshrrev_b32_e32 v19, 4, v19
	v_ashrrev_i32_e32 v16, 24, v23
	v_bfe_i32 v24, v23, 16, 8
	v_bfe_i32 v23, v23, 0, 8
	v_lshlrev_b32_e32 v29, 4, v20
	v_and_b32_e32 v19, 0xf0f0f0f, v19
	s_wait_loadcnt 0x5
	v_bfe_i32 v25, v21, 0, 8
	v_bfe_i32 v15, v15, 0, 8
	;; [unrolled: 1-line block ×3, first 2 shown]
	v_and_or_b32 v28, 0x30303030, v29, v28
	v_and_or_b32 v19, 0x30303030, v20, v19
	v_bfe_i32 v27, v21, 16, 8
	v_ashrrev_i32_e32 v21, 24, v21
	s_delay_alu instid0(VALU_DEP_4) | instskip(NEXT) | instid1(VALU_DEP_4)
	v_lshrrev_b32_e32 v20, 16, v28
	v_lshrrev_b32_e32 v30, 16, v19
	v_and_b32_e32 v31, 0x3f00, v19
	v_lshlrev_b16 v19, 8, v19
	v_lshlrev_b16 v29, 8, v28
	;; [unrolled: 1-line block ×3, first 2 shown]
	v_and_b32_e32 v20, 0x3f00, v20
	v_and_b32_e32 v33, 0x3f00, v30
	v_lshlrev_b16 v30, 8, v30
	v_add_nc_u16 v19, 0xe000, v19
	v_and_b32_e32 v28, 0x3f00, v28
	v_add_nc_u16 v29, 0xe000, v29
	v_add_nc_u16 v20, 0xe000, v20
	v_add_nc_u16 v30, 0xe000, v30
	v_lshrrev_b16 v19, 8, v19
	v_add_nc_u16 v28, 0xe000, v28
	v_ashrrev_i16 v29, 8, v29
	v_add_nc_u16 v32, 0xe000, v32
	v_ashrrev_i16 v20, 8, v20
	v_lshrrev_b16 v30, 8, v30
	v_or_b32_e32 v19, v31, v19
	v_ashrrev_i16 v28, 8, v28
	v_ashrrev_i16 v32, 8, v32
	v_bfe_i32 v29, v29, 0, 16
	v_bfe_i32 v20, v20, 0, 16
	v_or_b32_e32 v30, v33, v30
	v_add_nc_u16 v19, 0xe000, v19
	v_bfe_i32 v28, v28, 0, 16
	v_bfe_i32 v31, v32, 0, 16
	v_mul_i32_i24_e32 v23, v29, v23
	v_mul_i32_i24_e32 v16, v20, v16
	v_add_nc_u16 v20, 0xe000, v30
	v_bfe_i32 v29, v19, 0, 8
	v_mul_i32_i24_e32 v24, v31, v24
	v_bfe_i32 v19, v19, 8, 8
	v_mad_i32_i24 v15, v28, v15, v16
	v_bfe_i32 v16, v20, 0, 8
	v_bfe_i32 v20, v20, 8, 8
	v_mul_i32_i24_e32 v25, v25, v29
	s_delay_alu instid0(VALU_DEP_4) | instskip(NEXT) | instid1(VALU_DEP_4)
	v_add3_u32 v15, v23, v24, v15
	v_mul_i32_i24_e32 v16, v27, v16
	s_delay_alu instid0(VALU_DEP_4) | instskip(NEXT) | instid1(VALU_DEP_4)
	v_mul_i32_i24_e32 v20, v21, v20
	v_mad_i32_i24 v19, v26, v19, v25
	s_wait_loadcnt 0x4
	v_mul_lo_u32 v15, v15, v22
	s_delay_alu instid0(VALU_DEP_2) | instskip(SKIP_1) | instid1(VALU_DEP_1)
	v_add3_u32 v16, v19, v16, v20
	s_wait_loadcnt 0x3
	v_mul_lo_u32 v16, v16, v17
	s_delay_alu instid0(VALU_DEP_3) | instskip(SKIP_1) | instid1(VALU_DEP_1)
	v_cvt_f32_i32_e32 v15, v15
	s_wait_loadcnt 0x2
	v_fma_mix_f32 v15, v18, v15, 0 op_sel_hi:[1,0,0]
	s_delay_alu instid0(VALU_DEP_3) | instskip(SKIP_1) | instid1(VALU_DEP_1)
	v_cvt_f32_i32_e32 v16, v16
	s_wait_loadcnt 0x1
	v_fma_mix_f32 v13, v13, v16, v15 op_sel_hi:[1,0,0]
	s_wait_loadcnt 0x0
	s_delay_alu instid0(VALU_DEP_1)
	v_fma_mix_f32 v5, v13, v14, v5 op_sel_hi:[0,1,0]
	s_wait_alu 0xfffe
	s_and_not1_b32 exec_lo, exec_lo, s2
	s_cbranch_execnz .LBB87_3
; %bb.4:
	s_or_b32 exec_lo, exec_lo, s2
.LBB87_5:
	s_delay_alu instid0(SALU_CYCLE_1) | instskip(SKIP_1) | instid1(VALU_DEP_1)
	s_or_b32 exec_lo, exec_lo, s8
	v_mbcnt_lo_u32_b32 v2, -1, 0
	v_xor_b32_e32 v3, 16, v2
	v_xor_b32_e32 v4, 8, v2
	s_delay_alu instid0(VALU_DEP_2) | instskip(SKIP_2) | instid1(VALU_DEP_3)
	v_cmp_gt_i32_e32 vcc_lo, 32, v3
	s_wait_alu 0xfffd
	v_cndmask_b32_e32 v3, v2, v3, vcc_lo
	v_cmp_gt_i32_e32 vcc_lo, 32, v4
	s_wait_alu 0xfffd
	v_cndmask_b32_e32 v4, v2, v4, vcc_lo
	s_delay_alu instid0(VALU_DEP_1)
	v_lshlrev_b32_e32 v4, 2, v4
	v_lshlrev_b32_e32 v3, 2, v3
	ds_bpermute_b32 v3, v3, v5
	s_wait_dscnt 0x0
	v_add_f32_e32 v3, v5, v3
	v_xor_b32_e32 v5, 4, v2
	ds_bpermute_b32 v4, v4, v3
	v_cmp_gt_i32_e32 vcc_lo, 32, v5
	s_wait_alu 0xfffd
	v_cndmask_b32_e32 v5, v2, v5, vcc_lo
	s_delay_alu instid0(VALU_DEP_1) | instskip(SKIP_4) | instid1(VALU_DEP_1)
	v_lshlrev_b32_e32 v5, 2, v5
	s_wait_dscnt 0x0
	v_add_f32_e32 v3, v3, v4
	ds_bpermute_b32 v4, v5, v3
	v_xor_b32_e32 v5, 2, v2
	v_cmp_gt_i32_e32 vcc_lo, 32, v5
	s_wait_alu 0xfffd
	v_cndmask_b32_e32 v5, v2, v5, vcc_lo
	s_delay_alu instid0(VALU_DEP_1) | instskip(SKIP_4) | instid1(VALU_DEP_1)
	v_lshlrev_b32_e32 v5, 2, v5
	s_wait_dscnt 0x0
	v_add_f32_e32 v3, v3, v4
	ds_bpermute_b32 v4, v5, v3
	v_xor_b32_e32 v5, 1, v2
	v_cmp_gt_i32_e32 vcc_lo, 32, v5
	s_wait_alu 0xfffd
	v_cndmask_b32_e32 v5, v2, v5, vcc_lo
	v_cmp_eq_u32_e32 vcc_lo, 0, v0
	s_wait_dscnt 0x0
	s_delay_alu instid0(VALU_DEP_2)
	v_dual_add_f32 v2, v3, v4 :: v_dual_lshlrev_b32 v3, 2, v5
	ds_bpermute_b32 v3, v3, v2
	s_and_b32 exec_lo, exec_lo, vcc_lo
	s_cbranch_execz .LBB87_7
; %bb.6:
	v_mad_co_u64_u32 v[0:1], null, s5, ttmp7, v[1:2]
	s_wait_dscnt 0x0
	v_dual_mov_b32 v1, 0 :: v_dual_add_f32 v2, v2, v3
	s_delay_alu instid0(VALU_DEP_1) | instskip(NEXT) | instid1(VALU_DEP_2)
	v_cvt_f16_f32_e32 v2, v2
	v_lshlrev_b64_e32 v[0:1], 1, v[0:1]
	s_wait_kmcnt 0x0
	s_delay_alu instid0(VALU_DEP_1) | instskip(SKIP_1) | instid1(VALU_DEP_2)
	v_add_co_u32 v0, vcc_lo, s6, v0
	s_wait_alu 0xfffd
	v_add_co_ci_u32_e64 v1, null, s7, v1, vcc_lo
	global_store_b16 v[0:1], v2, off
.LBB87_7:
	s_endpgm
	.section	.rodata,"a",@progbits
	.p2align	6, 0x0
	.amdhsa_kernel _ZL13mul_mat_vec_qIN3c104HalfELi256ELi32E10block_q6_KLi1EXadL_ZL17vec_dot_q6_K_q8_1PKvPK10block_q8_1RKiEEEvS4_S4_PT_iii
		.amdhsa_group_segment_fixed_size 0
		.amdhsa_private_segment_fixed_size 0
		.amdhsa_kernarg_size 296
		.amdhsa_user_sgpr_count 2
		.amdhsa_user_sgpr_dispatch_ptr 0
		.amdhsa_user_sgpr_queue_ptr 0
		.amdhsa_user_sgpr_kernarg_segment_ptr 1
		.amdhsa_user_sgpr_dispatch_id 0
		.amdhsa_user_sgpr_private_segment_size 0
		.amdhsa_wavefront_size32 1
		.amdhsa_uses_dynamic_stack 0
		.amdhsa_enable_private_segment 0
		.amdhsa_system_sgpr_workgroup_id_x 1
		.amdhsa_system_sgpr_workgroup_id_y 1
		.amdhsa_system_sgpr_workgroup_id_z 0
		.amdhsa_system_sgpr_workgroup_info 0
		.amdhsa_system_vgpr_workitem_id 1
		.amdhsa_next_free_vgpr 34
		.amdhsa_next_free_sgpr 11
		.amdhsa_reserve_vcc 1
		.amdhsa_float_round_mode_32 0
		.amdhsa_float_round_mode_16_64 0
		.amdhsa_float_denorm_mode_32 3
		.amdhsa_float_denorm_mode_16_64 3
		.amdhsa_fp16_overflow 0
		.amdhsa_workgroup_processor_mode 1
		.amdhsa_memory_ordered 1
		.amdhsa_forward_progress 1
		.amdhsa_inst_pref_size 12
		.amdhsa_round_robin_scheduling 0
		.amdhsa_exception_fp_ieee_invalid_op 0
		.amdhsa_exception_fp_denorm_src 0
		.amdhsa_exception_fp_ieee_div_zero 0
		.amdhsa_exception_fp_ieee_overflow 0
		.amdhsa_exception_fp_ieee_underflow 0
		.amdhsa_exception_fp_ieee_inexact 0
		.amdhsa_exception_int_div_zero 0
	.end_amdhsa_kernel
	.section	.text._ZL13mul_mat_vec_qIN3c104HalfELi256ELi32E10block_q6_KLi1EXadL_ZL17vec_dot_q6_K_q8_1PKvPK10block_q8_1RKiEEEvS4_S4_PT_iii,"axG",@progbits,_ZL13mul_mat_vec_qIN3c104HalfELi256ELi32E10block_q6_KLi1EXadL_ZL17vec_dot_q6_K_q8_1PKvPK10block_q8_1RKiEEEvS4_S4_PT_iii,comdat
.Lfunc_end87:
	.size	_ZL13mul_mat_vec_qIN3c104HalfELi256ELi32E10block_q6_KLi1EXadL_ZL17vec_dot_q6_K_q8_1PKvPK10block_q8_1RKiEEEvS4_S4_PT_iii, .Lfunc_end87-_ZL13mul_mat_vec_qIN3c104HalfELi256ELi32E10block_q6_KLi1EXadL_ZL17vec_dot_q6_K_q8_1PKvPK10block_q8_1RKiEEEvS4_S4_PT_iii
                                        ; -- End function
	.set _ZL13mul_mat_vec_qIN3c104HalfELi256ELi32E10block_q6_KLi1EXadL_ZL17vec_dot_q6_K_q8_1PKvPK10block_q8_1RKiEEEvS4_S4_PT_iii.num_vgpr, 34
	.set _ZL13mul_mat_vec_qIN3c104HalfELi256ELi32E10block_q6_KLi1EXadL_ZL17vec_dot_q6_K_q8_1PKvPK10block_q8_1RKiEEEvS4_S4_PT_iii.num_agpr, 0
	.set _ZL13mul_mat_vec_qIN3c104HalfELi256ELi32E10block_q6_KLi1EXadL_ZL17vec_dot_q6_K_q8_1PKvPK10block_q8_1RKiEEEvS4_S4_PT_iii.numbered_sgpr, 11
	.set _ZL13mul_mat_vec_qIN3c104HalfELi256ELi32E10block_q6_KLi1EXadL_ZL17vec_dot_q6_K_q8_1PKvPK10block_q8_1RKiEEEvS4_S4_PT_iii.num_named_barrier, 0
	.set _ZL13mul_mat_vec_qIN3c104HalfELi256ELi32E10block_q6_KLi1EXadL_ZL17vec_dot_q6_K_q8_1PKvPK10block_q8_1RKiEEEvS4_S4_PT_iii.private_seg_size, 0
	.set _ZL13mul_mat_vec_qIN3c104HalfELi256ELi32E10block_q6_KLi1EXadL_ZL17vec_dot_q6_K_q8_1PKvPK10block_q8_1RKiEEEvS4_S4_PT_iii.uses_vcc, 1
	.set _ZL13mul_mat_vec_qIN3c104HalfELi256ELi32E10block_q6_KLi1EXadL_ZL17vec_dot_q6_K_q8_1PKvPK10block_q8_1RKiEEEvS4_S4_PT_iii.uses_flat_scratch, 0
	.set _ZL13mul_mat_vec_qIN3c104HalfELi256ELi32E10block_q6_KLi1EXadL_ZL17vec_dot_q6_K_q8_1PKvPK10block_q8_1RKiEEEvS4_S4_PT_iii.has_dyn_sized_stack, 0
	.set _ZL13mul_mat_vec_qIN3c104HalfELi256ELi32E10block_q6_KLi1EXadL_ZL17vec_dot_q6_K_q8_1PKvPK10block_q8_1RKiEEEvS4_S4_PT_iii.has_recursion, 0
	.set _ZL13mul_mat_vec_qIN3c104HalfELi256ELi32E10block_q6_KLi1EXadL_ZL17vec_dot_q6_K_q8_1PKvPK10block_q8_1RKiEEEvS4_S4_PT_iii.has_indirect_call, 0
	.section	.AMDGPU.csdata,"",@progbits
; Kernel info:
; codeLenInByte = 1504
; TotalNumSgprs: 13
; NumVgprs: 34
; ScratchSize: 0
; MemoryBound: 0
; FloatMode: 240
; IeeeMode: 1
; LDSByteSize: 0 bytes/workgroup (compile time only)
; SGPRBlocks: 0
; VGPRBlocks: 4
; NumSGPRsForWavesPerEU: 13
; NumVGPRsForWavesPerEU: 34
; Occupancy: 16
; WaveLimiterHint : 0
; COMPUTE_PGM_RSRC2:SCRATCH_EN: 0
; COMPUTE_PGM_RSRC2:USER_SGPR: 2
; COMPUTE_PGM_RSRC2:TRAP_HANDLER: 0
; COMPUTE_PGM_RSRC2:TGID_X_EN: 1
; COMPUTE_PGM_RSRC2:TGID_Y_EN: 1
; COMPUTE_PGM_RSRC2:TGID_Z_EN: 0
; COMPUTE_PGM_RSRC2:TIDIG_COMP_CNT: 1
	.section	.text._ZL13mul_mat_vec_qIN3c104HalfELi256ELi8E13block_iq2_xxsLi1EXadL_ZL20vec_dot_iq2_xxs_q8_1PKvPK10block_q8_1RKiEEEvS4_S4_PT_iii,"axG",@progbits,_ZL13mul_mat_vec_qIN3c104HalfELi256ELi8E13block_iq2_xxsLi1EXadL_ZL20vec_dot_iq2_xxs_q8_1PKvPK10block_q8_1RKiEEEvS4_S4_PT_iii,comdat
	.globl	_ZL13mul_mat_vec_qIN3c104HalfELi256ELi8E13block_iq2_xxsLi1EXadL_ZL20vec_dot_iq2_xxs_q8_1PKvPK10block_q8_1RKiEEEvS4_S4_PT_iii ; -- Begin function _ZL13mul_mat_vec_qIN3c104HalfELi256ELi8E13block_iq2_xxsLi1EXadL_ZL20vec_dot_iq2_xxs_q8_1PKvPK10block_q8_1RKiEEEvS4_S4_PT_iii
	.p2align	8
	.type	_ZL13mul_mat_vec_qIN3c104HalfELi256ELi8E13block_iq2_xxsLi1EXadL_ZL20vec_dot_iq2_xxs_q8_1PKvPK10block_q8_1RKiEEEvS4_S4_PT_iii,@function
_ZL13mul_mat_vec_qIN3c104HalfELi256ELi8E13block_iq2_xxsLi1EXadL_ZL20vec_dot_iq2_xxs_q8_1PKvPK10block_q8_1RKiEEEvS4_S4_PT_iii: ; @_ZL13mul_mat_vec_qIN3c104HalfELi256ELi8E13block_iq2_xxsLi1EXadL_ZL20vec_dot_iq2_xxs_q8_1PKvPK10block_q8_1RKiEEEvS4_S4_PT_iii
; %bb.0:
	s_clause 0x1
	s_load_u16 s2, s[0:1], 0x36
	s_load_b96 s[16:18], s[0:1], 0x18
	v_bfe_u32 v1, v0, 10, 10
	s_wait_kmcnt 0x0
	s_delay_alu instid0(VALU_DEP_1)
	v_mad_co_u64_u32 v[1:2], null, ttmp9, s2, v[1:2]
	s_cmp_lt_u32 ttmp7, s18
	s_cselect_b32 s2, -1, 0
	v_cmp_gt_u32_e32 vcc_lo, s17, v1
	s_wait_alu 0xfffe
	s_and_b32 s2, s2, vcc_lo
	s_wait_alu 0xfffe
	s_and_saveexec_b32 s3, s2
	s_cbranch_execz .LBB88_7
; %bb.1:
	s_load_b64 s[18:19], s[0:1], 0x10
	s_ashr_i32 s2, s16, 31
	v_bfe_u32 v4, v0, 3, 7
	s_wait_alu 0xfffe
	s_lshr_b32 s2, s2, 24
	v_dual_mov_b32 v5, 0 :: v_dual_and_b32 v0, 0x3ff, v0
	s_wait_alu 0xfffe
	s_add_co_i32 s2, s16, s2
	s_mov_b32 s11, exec_lo
	s_wait_alu 0xfffe
	s_ashr_i32 s20, s2, 8
	s_delay_alu instid0(SALU_CYCLE_1)
	v_cmpx_gt_u32_e64 s20, v4
	s_cbranch_execz .LBB88_5
; %bb.2:
	s_load_b128 s[12:15], s[0:1], 0x0
	s_add_co_i32 s0, s16, 0x1ff
	v_dual_mov_b32 v5, 0 :: v_dual_and_b32 v2, 7, v0
	s_wait_alu 0xfffe
	s_ashr_i32 s1, s0, 31
	v_lshlrev_b32_e32 v7, 3, v4
	s_wait_alu 0xfffe
	s_lshr_b32 s1, s1, 23
	v_lshlrev_b32_e32 v8, 2, v2
	s_wait_alu 0xfffe
	s_add_co_i32 s0, s0, s1
	v_mul_lo_u32 v6, v1, s20
	s_wait_alu 0xfffe
	s_ashr_i32 s0, s0, 9
	s_wait_alu 0xfffe
	s_mul_i32 s0, ttmp7, s0
	v_lshlrev_b32_e32 v8, 1, v8
	s_wait_alu 0xfffe
	v_lshl_add_u32 v7, s0, 4, v7
	s_wait_kmcnt 0x0
	v_mad_co_u64_u32 v[2:3], null, v2, 36, s[14:15]
	s_mov_b32 s14, 0
.LBB88_3:                               ; =>This Inner Loop Header: Depth=1
	v_add_nc_u32_e32 v9, v6, v4
	v_mad_co_i64_i32 v[19:20], null, v7, 36, v[2:3]
	s_getpc_b64 s[0:1]
	s_wait_alu 0xfffe
	s_sext_i32_i16 s1, s1
	s_add_co_u32 s0, s0, _ZL11iq2xxs_grid@rel32@lo+12
	s_wait_alu 0xfffe
	s_add_co_ci_u32 s1, s1, _ZL11iq2xxs_grid@rel32@hi+24
	s_getpc_b64 s[2:3]
	s_wait_alu 0xfffe
	s_sext_i32_i16 s3, s3
	s_add_co_u32 s2, s2, _ZL12ksigns_iq2xs@rel32@lo+12
	s_wait_alu 0xfffe
	s_add_co_ci_u32 s3, s3, _ZL12ksigns_iq2xs@rel32@hi+24
	v_mad_co_i64_i32 v[17:18], null, 0x42, v9, s[12:13]
	v_add_nc_u32_e32 v4, 4, v4
	v_add_nc_u32_e32 v7, 32, v7
	s_delay_alu instid0(VALU_DEP_3) | instskip(SKIP_1) | instid1(VALU_DEP_4)
	v_add_co_u32 v9, vcc_lo, v17, v8
	s_wait_alu 0xfffd
	v_add_co_ci_u32_e64 v10, null, 0, v18, vcc_lo
	s_clause 0x1
	global_load_b32 v21, v[9:10], off offset:2
	global_load_b32 v27, v[9:10], off offset:6
	s_clause 0x1
	global_load_b128 v[9:12], v[19:20], off offset:4
	global_load_b128 v[13:16], v[19:20], off offset:20
	global_load_u16 v28, v[17:18], off
	s_wait_loadcnt 0x2
	v_bfe_i32 v39, v10, 0, 8
	v_and_b32_e32 v29, 0x7f, v27
	v_bfe_u32 v30, v27, 7, 7
	v_bfe_u32 v31, v27, 14, 7
	;; [unrolled: 1-line block ×3, first 2 shown]
	v_lshrrev_b32_e32 v27, 28, v27
	s_clause 0x2
	global_load_i8 v33, v29, s[2:3]
	global_load_i8 v34, v30, s[2:3]
	;; [unrolled: 1-line block ×3, first 2 shown]
	v_lshrrev_b32_e32 v22, 13, v21
	v_cvt_f32_ubyte0_e32 v27, v27
	v_and_b32_e32 v17, 0xff, v21
	v_lshrrev_b32_e32 v18, 5, v21
	s_wait_loadcnt 0x3
	v_cvt_f32_f16_e32 v28, v28
	v_dual_add_f32 v27, 0.5, v27 :: v_dual_and_b32 v24, 0x7f8, v22
	v_lshrrev_b32_e32 v21, 21, v21
	v_lshlrev_b32_e32 v17, 3, v17
	v_bfe_i32 v37, v9, 8, 8
	v_bfe_i32 v59, v16, 16, 8
	v_mul_f32_e32 v27, v27, v28
	v_and_b32_e32 v25, 0x7f8, v21
	v_bfe_i32 v38, v9, 16, 8
	v_bfe_i32 v50, v13, 16, 8
	;; [unrolled: 1-line block ×15, first 2 shown]
	v_ashrrev_i32_e32 v10, 24, v10
	v_bfe_i32 v42, v11, 0, 8
	v_bfe_i32 v43, v11, 8, 8
	;; [unrolled: 1-line block ×3, first 2 shown]
	v_ashrrev_i32_e32 v11, 24, v11
	v_bfe_i32 v45, v12, 0, 8
	v_bfe_i32 v46, v12, 8, 8
	v_ashrrev_i32_e32 v12, 24, v12
	v_ashrrev_i32_e32 v13, 24, v13
	;; [unrolled: 1-line block ×5, first 2 shown]
	s_wait_loadcnt 0x2
	v_and_b32_e32 v28, 1, v33
	v_and_b32_e32 v23, 0x7f8, v18
	;; [unrolled: 1-line block ×3, first 2 shown]
	global_load_i8 v36, v32, s[2:3]
	s_clause 0x3
	global_load_b64 v[17:18], v17, s[0:1]
	global_load_b64 v[21:22], v23, s[0:1]
	;; [unrolled: 1-line block ×4, first 2 shown]
	global_load_u16 v19, v[19:20], off
	v_bfe_i32 v20, v9, 0, 8
	v_ashrrev_i32_e32 v9, 24, v9
	v_and_b32_e32 v62, 8, v33
	v_cmp_eq_u16_e64 s10, 0, v28
	v_and_b32_e32 v63, 16, v33
	v_and_b32_e32 v64, 32, v33
	s_wait_loadcnt 0x7
	v_and_b32_e32 v65, 1, v34
	v_cmp_eq_u16_e64 s0, 0, v62
	v_cmp_gt_i16_e64 s2, 0, v33
	v_and_b32_e32 v67, 4, v34
	v_cmp_eq_u16_e64 s1, 0, v64
	v_and_b32_e32 v68, 8, v34
	v_and_b32_e32 v93, 16, v34
	v_cmp_gt_i16_e64 s6, 0, v34
	s_delay_alu instid0(VALU_DEP_3)
	v_cmp_eq_u16_e64 s4, 0, v68
	s_wait_loadcnt 0x4
	v_and_b32_e32 v73, 0xff, v18
	v_and_b32_e32 v71, 0xff, v17
	v_bfe_u32 v72, v17, 8, 8
	s_wait_loadcnt 0x1
	v_lshrrev_b32_e32 v88, 24, v26
	v_and_b32_e32 v91, 0xff, v26
	v_bfe_u32 v92, v26, 8, 8
	v_bfe_u32 v26, v26, 16, 8
	v_mul_i32_i24_e32 v39, v73, v39
	v_lshrrev_b32_e32 v69, 24, v17
	v_bfe_u32 v17, v17, 16, 8
	v_lshrrev_b32_e32 v81, 24, v23
	v_and_b32_e32 v83, 0xff, v23
	v_bfe_u32 v84, v23, 8, 8
	v_bfe_u32 v23, v23, 16, 8
	;; [unrolled: 1-line block ×3, first 2 shown]
	v_lshrrev_b32_e32 v87, 24, v25
	v_and_b32_e32 v89, 0xff, v25
	v_bfe_u32 v90, v25, 8, 8
	v_bfe_u32 v25, v25, 16, 8
	v_mul_i32_i24_e32 v20, v71, v20
	v_mul_i32_i24_e32 v37, v72, v37
	;; [unrolled: 1-line block ×3, first 2 shown]
	v_sub_nc_u32_e32 v59, 0, v39
	v_and_b32_e32 v60, 2, v33
	v_bfe_u32 v74, v18, 8, 8
	v_lshrrev_b32_e32 v76, 24, v22
	v_and_b32_e32 v79, 0xff, v22
	v_bfe_u32 v80, v22, 8, 8
	v_bfe_u32 v22, v22, 16, 8
	v_lshrrev_b32_e32 v82, 24, v24
	v_and_b32_e32 v85, 0xff, v24
	v_bfe_u32 v24, v24, 16, 8
	v_mul_i32_i24_e32 v17, v17, v38
	v_mul_i32_i24_e32 v9, v69, v9
	;; [unrolled: 1-line block ×6, first 2 shown]
	v_sub_nc_u32_e32 v55, 0, v20
	v_sub_nc_u32_e32 v56, 0, v37
	v_cmp_eq_u16_e32 vcc_lo, 0, v60
	v_lshrrev_b32_e32 v70, 24, v18
	v_bfe_u32 v18, v18, 16, 8
	v_mul_i32_i24_e32 v40, v74, v40
	v_mul_i32_i24_e32 v22, v22, v47
	;; [unrolled: 1-line block ×9, first 2 shown]
	v_sub_nc_u32_e32 v57, 0, v17
	v_sub_nc_u32_e32 v58, 0, v9
	s_wait_alu 0xf1ff
	v_cndmask_b32_e64 v20, v55, v20, s10
	s_wait_alu 0xfffd
	v_cndmask_b32_e32 v28, v56, v37, vcc_lo
	v_cmp_eq_u16_e32 vcc_lo, 0, v61
	v_and_b32_e32 v66, 2, v34
	v_and_b32_e32 v77, 0xff, v21
	v_bfe_u32 v78, v21, 8, 8
	v_mul_i32_i24_e32 v18, v18, v41
	v_mul_i32_i24_e32 v10, v70, v10
	v_sub_nc_u32_e32 v60, 0, v40
	s_wait_alu 0xfffd
	v_cndmask_b32_e32 v17, v57, v17, vcc_lo
	v_cndmask_b32_e64 v9, v58, v9, s0
	v_add_nc_u32_e32 v20, v28, v20
	v_cmp_eq_u16_e32 vcc_lo, 0, v63
	v_lshrrev_b32_e32 v75, 24, v21
	v_bfe_u32 v21, v21, 16, 8
	v_mul_i32_i24_e32 v42, v77, v42
	v_mul_i32_i24_e32 v43, v78, v43
	v_sub_nc_u32_e32 v62, 0, v18
	v_sub_nc_u32_e32 v64, 0, v10
	s_wait_alu 0xfffd
	v_cndmask_b32_e32 v39, v59, v39, vcc_lo
	v_cndmask_b32_e64 v40, v60, v40, s1
	v_add3_u32 v9, v20, v17, v9
	v_cmp_gt_u32_e64 s0, 64, v29
	v_mul_i32_i24_e32 v21, v21, v44
	v_mul_i32_i24_e32 v11, v75, v11
	;; [unrolled: 1-line block ×3, first 2 shown]
	v_sub_nc_u32_e32 v33, 0, v42
	v_sub_nc_u32_e32 v76, 0, v43
	v_cmp_eq_u16_e64 s3, 0, v66
	s_wait_alu 0xf1ff
	v_cndmask_b32_e64 v17, v62, v18, s0
	v_cndmask_b32_e64 v10, v10, v64, s2
	v_add3_u32 v9, v9, v39, v40
	v_cmp_eq_u16_e64 s0, 0, v65
	v_and_b32_e32 v71, 32, v34
	v_mul_i32_i24_e32 v45, v79, v45
	v_mul_i32_i24_e32 v46, v80, v46
	v_sub_nc_u32_e32 v66, 0, v21
	v_sub_nc_u32_e32 v80, 0, v11
	s_wait_alu 0xf1ff
	v_cndmask_b32_e64 v20, v33, v42, s0
	s_wait_alu 0xfffe
	v_cndmask_b32_e64 v29, v76, v43, s3
	v_add3_u32 v9, v9, v17, v10
	v_cmp_eq_u16_e64 s0, 0, v67
	v_mul_i32_i24_e32 v13, v81, v13
	v_sub_nc_u32_e32 v68, 0, v45
	v_sub_nc_u32_e32 v81, 0, v46
	v_cmp_eq_u16_e64 s5, 0, v71
	s_wait_alu 0xf1ff
	v_cndmask_b32_e64 v17, v66, v21, s0
	v_cndmask_b32_e64 v11, v80, v11, s4
	v_add3_u32 v9, v9, v20, v29
	v_cmp_eq_u16_e64 s1, 0, v93
	v_and_b32_e32 v72, 1, v35
	v_and_b32_e32 v38, 2, v35
	v_mul_i32_i24_e32 v14, v82, v14
	v_sub_nc_u32_e32 v71, 0, v22
	v_sub_nc_u32_e32 v82, 0, v12
	s_wait_alu 0xf1ff
	v_cndmask_b32_e64 v20, v68, v45, s1
	v_cndmask_b32_e64 v21, v81, v46, s5
	v_add3_u32 v9, v9, v17, v11
	v_cmp_gt_u32_e64 s1, 64, v30
	v_and_b32_e32 v69, 4, v35
	v_and_b32_e32 v73, 8, v35
	v_sub_nc_u32_e32 v34, 0, v47
	v_sub_nc_u32_e32 v83, 0, v48
	v_cmp_eq_u16_e64 s7, 0, v38
	s_wait_alu 0xf1ff
	v_cndmask_b32_e64 v17, v71, v22, s1
	v_cndmask_b32_e64 v12, v12, v82, s6
	v_add3_u32 v9, v9, v20, v21
	v_cmp_eq_u16_e64 s1, 0, v72
	v_and_b32_e32 v74, 16, v35
	v_and_b32_e32 v41, 32, v35
	v_sub_nc_u32_e32 v38, 0, v23
	v_sub_nc_u32_e32 v84, 0, v13
	v_cmp_eq_u16_e64 s8, 0, v73
	s_wait_alu 0xf1ff
	v_cndmask_b32_e64 v21, v34, v47, s1
	v_cndmask_b32_e64 v22, v83, v48, s7
	v_add3_u32 v9, v9, v17, v12
	v_cmp_eq_u16_e64 s2, 0, v69
	v_sub_nc_u32_e32 v73, 0, v49
	v_sub_nc_u32_e32 v85, 0, v50
	v_cmp_eq_u16_e64 s9, 0, v41
	v_cndmask_b32_e64 v13, v84, v13, s8
	s_wait_alu 0xf1ff
	v_cndmask_b32_e64 v12, v38, v23, s2
	v_add3_u32 v9, v9, v21, v22
	v_cmp_eq_u16_e64 s2, 0, v74
	v_and_b32_e32 v70, 1, v36
	v_and_b32_e32 v77, 2, v36
	v_sub_nc_u32_e32 v37, 0, v24
	v_sub_nc_u32_e32 v28, 0, v14
	v_cmp_gt_i16_e32 vcc_lo, 0, v35
	s_wait_alu 0xf1ff
	v_cndmask_b32_e64 v21, v73, v49, s2
	v_cndmask_b32_e64 v22, v85, v50, s9
	v_add3_u32 v9, v9, v12, v13
	v_cmp_gt_u32_e64 s2, 64, v31
	v_and_b32_e32 v78, 4, v36
	v_and_b32_e32 v44, 8, v36
	v_mul_i32_i24_e32 v15, v87, v15
	v_sub_nc_u32_e32 v18, 0, v51
	v_sub_nc_u32_e32 v10, 0, v52
	v_cmp_eq_u16_e64 s0, 0, v77
	s_wait_alu 0xf1ff
	v_cndmask_b32_e64 v13, v37, v24, s2
	s_wait_alu 0xfffd
	v_cndmask_b32_e32 v14, v14, v28, vcc_lo
	v_add3_u32 v9, v9, v21, v22
	v_cmp_eq_u16_e64 s2, 0, v70
	v_and_b32_e32 v75, 16, v36
	v_and_b32_e32 v79, 32, v36
	v_sub_nc_u32_e32 v11, 0, v25
	v_sub_nc_u32_e32 v20, 0, v15
	v_cmp_eq_u16_e64 s1, 0, v44
	s_wait_alu 0xf1ff
	v_cndmask_b32_e64 v18, v18, v51, s2
	v_cndmask_b32_e64 v10, v10, v52, s0
	v_add3_u32 v9, v9, v13, v14
	v_cmp_eq_u16_e64 s0, 0, v78
	v_mul_i32_i24_e32 v16, v88, v16
	v_sub_nc_u32_e32 v17, 0, v53
	v_sub_nc_u32_e32 v12, 0, v54
	v_cmp_eq_u16_e32 vcc_lo, 0, v79
	s_wait_alu 0xf1ff
	v_cndmask_b32_e64 v11, v11, v25, s0
	v_cndmask_b32_e64 v14, v20, v15, s1
	v_add3_u32 v9, v9, v18, v10
	v_cmp_eq_u16_e64 s0, 0, v75
	v_sub_nc_u32_e32 v13, 0, v26
	v_sub_nc_u32_e32 v10, 0, v16
	s_wait_alu 0xfffd
	v_cndmask_b32_e32 v12, v12, v54, vcc_lo
	v_add3_u32 v9, v9, v11, v14
	s_wait_alu 0xf1ff
	v_cndmask_b32_e64 v15, v17, v53, s0
	v_cmp_gt_i16_e32 vcc_lo, 0, v36
	v_cmp_gt_u32_e64 s0, 64, v32
	s_wait_loadcnt 0x0
	v_cvt_f32_f16_e32 v19, v19
	v_add3_u32 v9, v9, v15, v12
	s_wait_alu 0xfffd
	v_cndmask_b32_e32 v10, v16, v10, vcc_lo
	s_wait_alu 0xf1ff
	v_cndmask_b32_e64 v11, v13, v26, s0
	v_mul_f32_e32 v12, v27, v19
	v_cmp_le_u32_e32 vcc_lo, s20, v4
	s_delay_alu instid0(VALU_DEP_3) | instskip(NEXT) | instid1(VALU_DEP_3)
	v_add3_u32 v9, v9, v11, v10
	v_mul_f32_e32 v10, 0x3e800000, v12
	s_or_b32 s14, vcc_lo, s14
	s_delay_alu instid0(VALU_DEP_2) | instskip(NEXT) | instid1(VALU_DEP_1)
	v_cvt_f32_i32_e32 v9, v9
	v_fmac_f32_e32 v5, v10, v9
	s_wait_alu 0xfffe
	s_and_not1_b32 exec_lo, exec_lo, s14
	s_cbranch_execnz .LBB88_3
; %bb.4:
	s_or_b32 exec_lo, exec_lo, s14
.LBB88_5:
	s_delay_alu instid0(SALU_CYCLE_1) | instskip(SKIP_1) | instid1(VALU_DEP_1)
	s_or_b32 exec_lo, exec_lo, s11
	v_mbcnt_lo_u32_b32 v2, -1, 0
	v_xor_b32_e32 v3, 16, v2
	v_xor_b32_e32 v4, 8, v2
	s_delay_alu instid0(VALU_DEP_2) | instskip(SKIP_2) | instid1(VALU_DEP_3)
	v_cmp_gt_i32_e32 vcc_lo, 32, v3
	s_wait_alu 0xfffd
	v_cndmask_b32_e32 v3, v2, v3, vcc_lo
	v_cmp_gt_i32_e32 vcc_lo, 32, v4
	s_wait_alu 0xfffd
	v_cndmask_b32_e32 v4, v2, v4, vcc_lo
	s_delay_alu instid0(VALU_DEP_1)
	v_lshlrev_b32_e32 v4, 2, v4
	v_lshlrev_b32_e32 v3, 2, v3
	ds_bpermute_b32 v3, v3, v5
	s_wait_dscnt 0x0
	v_add_f32_e32 v3, v5, v3
	v_xor_b32_e32 v5, 4, v2
	ds_bpermute_b32 v4, v4, v3
	v_cmp_gt_i32_e32 vcc_lo, 32, v5
	s_wait_alu 0xfffd
	v_cndmask_b32_e32 v5, v2, v5, vcc_lo
	s_delay_alu instid0(VALU_DEP_1) | instskip(SKIP_4) | instid1(VALU_DEP_1)
	v_lshlrev_b32_e32 v5, 2, v5
	s_wait_dscnt 0x0
	v_add_f32_e32 v3, v3, v4
	ds_bpermute_b32 v4, v5, v3
	v_xor_b32_e32 v5, 2, v2
	v_cmp_gt_i32_e32 vcc_lo, 32, v5
	s_wait_alu 0xfffd
	v_cndmask_b32_e32 v5, v2, v5, vcc_lo
	s_delay_alu instid0(VALU_DEP_1) | instskip(SKIP_4) | instid1(VALU_DEP_1)
	v_lshlrev_b32_e32 v5, 2, v5
	s_wait_dscnt 0x0
	v_add_f32_e32 v3, v3, v4
	ds_bpermute_b32 v4, v5, v3
	v_xor_b32_e32 v5, 1, v2
	v_cmp_gt_i32_e32 vcc_lo, 32, v5
	s_wait_alu 0xfffd
	v_cndmask_b32_e32 v5, v2, v5, vcc_lo
	v_cmp_eq_u32_e32 vcc_lo, 0, v0
	s_wait_dscnt 0x0
	s_delay_alu instid0(VALU_DEP_2)
	v_dual_add_f32 v2, v3, v4 :: v_dual_lshlrev_b32 v3, 2, v5
	ds_bpermute_b32 v3, v3, v2
	s_and_b32 exec_lo, exec_lo, vcc_lo
	s_cbranch_execz .LBB88_7
; %bb.6:
	v_mad_co_u64_u32 v[0:1], null, s17, ttmp7, v[1:2]
	s_wait_dscnt 0x0
	v_dual_mov_b32 v1, 0 :: v_dual_add_f32 v2, v2, v3
	s_delay_alu instid0(VALU_DEP_1) | instskip(NEXT) | instid1(VALU_DEP_2)
	v_cvt_f16_f32_e32 v2, v2
	v_lshlrev_b64_e32 v[0:1], 1, v[0:1]
	s_wait_kmcnt 0x0
	s_delay_alu instid0(VALU_DEP_1) | instskip(SKIP_1) | instid1(VALU_DEP_2)
	v_add_co_u32 v0, vcc_lo, s18, v0
	s_wait_alu 0xfffd
	v_add_co_ci_u32_e64 v1, null, s19, v1, vcc_lo
	global_store_b16 v[0:1], v2, off
.LBB88_7:
	s_endpgm
	.section	.rodata,"a",@progbits
	.p2align	6, 0x0
	.amdhsa_kernel _ZL13mul_mat_vec_qIN3c104HalfELi256ELi8E13block_iq2_xxsLi1EXadL_ZL20vec_dot_iq2_xxs_q8_1PKvPK10block_q8_1RKiEEEvS4_S4_PT_iii
		.amdhsa_group_segment_fixed_size 0
		.amdhsa_private_segment_fixed_size 0
		.amdhsa_kernarg_size 296
		.amdhsa_user_sgpr_count 2
		.amdhsa_user_sgpr_dispatch_ptr 0
		.amdhsa_user_sgpr_queue_ptr 0
		.amdhsa_user_sgpr_kernarg_segment_ptr 1
		.amdhsa_user_sgpr_dispatch_id 0
		.amdhsa_user_sgpr_private_segment_size 0
		.amdhsa_wavefront_size32 1
		.amdhsa_uses_dynamic_stack 0
		.amdhsa_enable_private_segment 0
		.amdhsa_system_sgpr_workgroup_id_x 1
		.amdhsa_system_sgpr_workgroup_id_y 1
		.amdhsa_system_sgpr_workgroup_id_z 0
		.amdhsa_system_sgpr_workgroup_info 0
		.amdhsa_system_vgpr_workitem_id 1
		.amdhsa_next_free_vgpr 94
		.amdhsa_next_free_sgpr 21
		.amdhsa_reserve_vcc 1
		.amdhsa_float_round_mode_32 0
		.amdhsa_float_round_mode_16_64 0
		.amdhsa_float_denorm_mode_32 3
		.amdhsa_float_denorm_mode_16_64 3
		.amdhsa_fp16_overflow 0
		.amdhsa_workgroup_processor_mode 1
		.amdhsa_memory_ordered 1
		.amdhsa_forward_progress 1
		.amdhsa_inst_pref_size 20
		.amdhsa_round_robin_scheduling 0
		.amdhsa_exception_fp_ieee_invalid_op 0
		.amdhsa_exception_fp_denorm_src 0
		.amdhsa_exception_fp_ieee_div_zero 0
		.amdhsa_exception_fp_ieee_overflow 0
		.amdhsa_exception_fp_ieee_underflow 0
		.amdhsa_exception_fp_ieee_inexact 0
		.amdhsa_exception_int_div_zero 0
	.end_amdhsa_kernel
	.section	.text._ZL13mul_mat_vec_qIN3c104HalfELi256ELi8E13block_iq2_xxsLi1EXadL_ZL20vec_dot_iq2_xxs_q8_1PKvPK10block_q8_1RKiEEEvS4_S4_PT_iii,"axG",@progbits,_ZL13mul_mat_vec_qIN3c104HalfELi256ELi8E13block_iq2_xxsLi1EXadL_ZL20vec_dot_iq2_xxs_q8_1PKvPK10block_q8_1RKiEEEvS4_S4_PT_iii,comdat
.Lfunc_end88:
	.size	_ZL13mul_mat_vec_qIN3c104HalfELi256ELi8E13block_iq2_xxsLi1EXadL_ZL20vec_dot_iq2_xxs_q8_1PKvPK10block_q8_1RKiEEEvS4_S4_PT_iii, .Lfunc_end88-_ZL13mul_mat_vec_qIN3c104HalfELi256ELi8E13block_iq2_xxsLi1EXadL_ZL20vec_dot_iq2_xxs_q8_1PKvPK10block_q8_1RKiEEEvS4_S4_PT_iii
                                        ; -- End function
	.set _ZL13mul_mat_vec_qIN3c104HalfELi256ELi8E13block_iq2_xxsLi1EXadL_ZL20vec_dot_iq2_xxs_q8_1PKvPK10block_q8_1RKiEEEvS4_S4_PT_iii.num_vgpr, 94
	.set _ZL13mul_mat_vec_qIN3c104HalfELi256ELi8E13block_iq2_xxsLi1EXadL_ZL20vec_dot_iq2_xxs_q8_1PKvPK10block_q8_1RKiEEEvS4_S4_PT_iii.num_agpr, 0
	.set _ZL13mul_mat_vec_qIN3c104HalfELi256ELi8E13block_iq2_xxsLi1EXadL_ZL20vec_dot_iq2_xxs_q8_1PKvPK10block_q8_1RKiEEEvS4_S4_PT_iii.numbered_sgpr, 21
	.set _ZL13mul_mat_vec_qIN3c104HalfELi256ELi8E13block_iq2_xxsLi1EXadL_ZL20vec_dot_iq2_xxs_q8_1PKvPK10block_q8_1RKiEEEvS4_S4_PT_iii.num_named_barrier, 0
	.set _ZL13mul_mat_vec_qIN3c104HalfELi256ELi8E13block_iq2_xxsLi1EXadL_ZL20vec_dot_iq2_xxs_q8_1PKvPK10block_q8_1RKiEEEvS4_S4_PT_iii.private_seg_size, 0
	.set _ZL13mul_mat_vec_qIN3c104HalfELi256ELi8E13block_iq2_xxsLi1EXadL_ZL20vec_dot_iq2_xxs_q8_1PKvPK10block_q8_1RKiEEEvS4_S4_PT_iii.uses_vcc, 1
	.set _ZL13mul_mat_vec_qIN3c104HalfELi256ELi8E13block_iq2_xxsLi1EXadL_ZL20vec_dot_iq2_xxs_q8_1PKvPK10block_q8_1RKiEEEvS4_S4_PT_iii.uses_flat_scratch, 0
	.set _ZL13mul_mat_vec_qIN3c104HalfELi256ELi8E13block_iq2_xxsLi1EXadL_ZL20vec_dot_iq2_xxs_q8_1PKvPK10block_q8_1RKiEEEvS4_S4_PT_iii.has_dyn_sized_stack, 0
	.set _ZL13mul_mat_vec_qIN3c104HalfELi256ELi8E13block_iq2_xxsLi1EXadL_ZL20vec_dot_iq2_xxs_q8_1PKvPK10block_q8_1RKiEEEvS4_S4_PT_iii.has_recursion, 0
	.set _ZL13mul_mat_vec_qIN3c104HalfELi256ELi8E13block_iq2_xxsLi1EXadL_ZL20vec_dot_iq2_xxs_q8_1PKvPK10block_q8_1RKiEEEvS4_S4_PT_iii.has_indirect_call, 0
	.section	.AMDGPU.csdata,"",@progbits
; Kernel info:
; codeLenInByte = 2524
; TotalNumSgprs: 23
; NumVgprs: 94
; ScratchSize: 0
; MemoryBound: 0
; FloatMode: 240
; IeeeMode: 1
; LDSByteSize: 0 bytes/workgroup (compile time only)
; SGPRBlocks: 0
; VGPRBlocks: 11
; NumSGPRsForWavesPerEU: 23
; NumVGPRsForWavesPerEU: 94
; Occupancy: 16
; WaveLimiterHint : 0
; COMPUTE_PGM_RSRC2:SCRATCH_EN: 0
; COMPUTE_PGM_RSRC2:USER_SGPR: 2
; COMPUTE_PGM_RSRC2:TRAP_HANDLER: 0
; COMPUTE_PGM_RSRC2:TGID_X_EN: 1
; COMPUTE_PGM_RSRC2:TGID_Y_EN: 1
; COMPUTE_PGM_RSRC2:TGID_Z_EN: 0
; COMPUTE_PGM_RSRC2:TIDIG_COMP_CNT: 1
	.section	.text._ZL13mul_mat_vec_qIN3c104HalfELi256ELi8E12block_iq2_xsLi1EXadL_ZL19vec_dot_iq2_xs_q8_1PKvPK10block_q8_1RKiEEEvS4_S4_PT_iii,"axG",@progbits,_ZL13mul_mat_vec_qIN3c104HalfELi256ELi8E12block_iq2_xsLi1EXadL_ZL19vec_dot_iq2_xs_q8_1PKvPK10block_q8_1RKiEEEvS4_S4_PT_iii,comdat
	.globl	_ZL13mul_mat_vec_qIN3c104HalfELi256ELi8E12block_iq2_xsLi1EXadL_ZL19vec_dot_iq2_xs_q8_1PKvPK10block_q8_1RKiEEEvS4_S4_PT_iii ; -- Begin function _ZL13mul_mat_vec_qIN3c104HalfELi256ELi8E12block_iq2_xsLi1EXadL_ZL19vec_dot_iq2_xs_q8_1PKvPK10block_q8_1RKiEEEvS4_S4_PT_iii
	.p2align	8
	.type	_ZL13mul_mat_vec_qIN3c104HalfELi256ELi8E12block_iq2_xsLi1EXadL_ZL19vec_dot_iq2_xs_q8_1PKvPK10block_q8_1RKiEEEvS4_S4_PT_iii,@function
_ZL13mul_mat_vec_qIN3c104HalfELi256ELi8E12block_iq2_xsLi1EXadL_ZL19vec_dot_iq2_xs_q8_1PKvPK10block_q8_1RKiEEEvS4_S4_PT_iii: ; @_ZL13mul_mat_vec_qIN3c104HalfELi256ELi8E12block_iq2_xsLi1EXadL_ZL19vec_dot_iq2_xs_q8_1PKvPK10block_q8_1RKiEEEvS4_S4_PT_iii
; %bb.0:
	s_clause 0x1
	s_load_u16 s2, s[0:1], 0x36
	s_load_b96 s[40:42], s[0:1], 0x18
	v_bfe_u32 v1, v0, 10, 10
	s_wait_kmcnt 0x0
	s_delay_alu instid0(VALU_DEP_1)
	v_mad_co_u64_u32 v[1:2], null, ttmp9, s2, v[1:2]
	s_cmp_lt_u32 ttmp7, s42
	s_cselect_b32 s2, -1, 0
	v_cmp_gt_u32_e32 vcc_lo, s41, v1
	s_wait_alu 0xfffe
	s_and_b32 s2, s2, vcc_lo
	s_wait_alu 0xfffe
	s_and_saveexec_b32 s3, s2
	s_cbranch_execz .LBB89_7
; %bb.1:
	s_load_b64 s[30:31], s[0:1], 0x10
	s_ashr_i32 s2, s40, 31
	v_bfe_u32 v6, v0, 3, 7
	s_wait_alu 0xfffe
	s_lshr_b32 s2, s2, 24
	v_dual_mov_b32 v7, 0 :: v_dual_and_b32 v0, 0x3ff, v0
	s_wait_alu 0xfffe
	s_add_co_i32 s2, s40, s2
	s_mov_b32 s33, exec_lo
	s_wait_alu 0xfffe
	s_ashr_i32 s34, s2, 8
	s_delay_alu instid0(SALU_CYCLE_1)
	v_cmpx_gt_u32_e64 s34, v6
	s_cbranch_execz .LBB89_5
; %bb.2:
	s_load_b128 s[36:39], s[0:1], 0x0
	s_add_co_i32 s0, s40, 0x1ff
	v_dual_mov_b32 v7, 0 :: v_dual_and_b32 v8, 7, v0
	s_wait_alu 0xfffe
	s_ashr_i32 s1, s0, 31
	v_lshlrev_b32_e32 v4, 3, v6
	s_wait_alu 0xfffe
	s_lshr_b32 s1, s1, 23
	v_lshlrev_b32_e32 v5, 2, v8
	s_wait_alu 0xfffe
	s_add_co_i32 s0, s0, s1
	v_mul_lo_u32 v9, v1, s34
	s_wait_alu 0xfffe
	s_ashr_i32 s0, s0, 9
	s_mov_b32 s35, 0
	s_wait_alu 0xfffe
	s_mul_i32 s0, ttmp7, s0
	v_lshlrev_b32_e32 v11, 1, v5
	s_wait_alu 0xfffe
	v_lshl_add_u32 v10, s0, 4, v4
	s_wait_kmcnt 0x0
	v_mad_co_u64_u32 v[2:3], null, v8, 36, s[38:39]
.LBB89_3:                               ; =>This Inner Loop Header: Depth=1
	v_add_nc_u32_e32 v4, v9, v6
	s_delay_alu instid0(VALU_DEP_2)
	v_mad_co_i64_i32 v[22:23], null, v10, 36, v[2:3]
	s_getpc_b64 s[0:1]
	s_wait_alu 0xfffe
	s_sext_i32_i16 s1, s1
	s_add_co_u32 s0, s0, _ZL10iq2xs_grid@rel32@lo+12
	s_wait_alu 0xfffe
	s_add_co_ci_u32 s1, s1, _ZL10iq2xs_grid@rel32@hi+24
	s_getpc_b64 s[2:3]
	s_wait_alu 0xfffe
	s_sext_i32_i16 s3, s3
	s_add_co_u32 s2, s2, _ZL12ksigns_iq2xs@rel32@lo+12
	s_wait_alu 0xfffe
	s_add_co_ci_u32 s3, s3, _ZL12ksigns_iq2xs@rel32@hi+24
	v_mad_co_i64_i32 v[20:21], null, 0x4a, v4, s[36:37]
	v_add_nc_u32_e32 v6, 4, v6
	v_add_nc_u32_e32 v10, 32, v10
	s_delay_alu instid0(VALU_DEP_3) | instskip(SKIP_1) | instid1(VALU_DEP_4)
	v_add_co_u32 v4, vcc_lo, v20, v11
	s_wait_alu 0xfffd
	v_add_co_ci_u32_e64 v5, null, 0, v21, vcc_lo
	v_add_co_u32 v24, vcc_lo, v20, v8
	s_wait_alu 0xfffd
	v_add_co_ci_u32_e64 v25, null, 0, v21, vcc_lo
	global_load_b64 v[4:5], v[4:5], off offset:2
	s_clause 0x1
	global_load_b128 v[12:15], v[22:23], off offset:4
	global_load_b128 v[16:19], v[22:23], off offset:20
	s_clause 0x1
	global_load_u8 v30, v[24:25], off offset:66
	global_load_u16 v31, v[20:21], off
	s_wait_loadcnt 0x3
	v_bfe_i32 v36, v12, 8, 8
	v_and_b32_e32 v20, 0x1ff, v4
	v_lshrrev_b32_e32 v24, 13, v4
	v_and_b32_e32 v26, 0x1ff, v5
	v_lshrrev_b32_e32 v28, 13, v5
	v_bfe_u32 v21, v4, 9, 7
	v_lshrrev_b32_e32 v25, 25, v4
	v_bfe_u32 v27, v5, 9, 7
	v_lshrrev_b32_e32 v29, 25, v5
	v_lshlrev_b32_e32 v20, 3, v20
	v_and_b32_e32 v24, 0xff8, v24
	v_lshlrev_b32_e32 v26, 3, v26
	v_and_b32_e32 v28, 0xff8, v28
	s_clause 0x3
	global_load_i8 v32, v21, s[2:3]
	global_load_i8 v33, v25, s[2:3]
	;; [unrolled: 1-line block ×4, first 2 shown]
	s_clause 0x3
	global_load_b64 v[20:21], v20, s[0:1]
	global_load_b64 v[24:25], v24, s[0:1]
	;; [unrolled: 1-line block ×4, first 2 shown]
	global_load_u16 v22, v[22:23], off
	v_bfe_i32 v38, v13, 0, 8
	v_bfe_i32 v39, v13, 8, 8
	s_wait_loadcnt 0xb
	v_bfe_i32 v47, v16, 0, 8
	v_bfe_i32 v48, v16, 8, 8
	s_wait_loadcnt 0xa
	v_lshrrev_b16 v59, 4, v30
	v_bfe_i32 v23, v12, 0, 8
	v_bfe_i32 v37, v12, 16, 8
	v_ashrrev_i32_e32 v12, 24, v12
	v_bfe_i32 v40, v13, 16, 8
	v_ashrrev_i32_e32 v13, 24, v13
	;; [unrolled: 2-line block ×3, first 2 shown]
	v_bfe_i32 v50, v17, 0, 8
	v_bfe_i32 v51, v17, 8, 8
	;; [unrolled: 1-line block ×4, first 2 shown]
	v_cvt_f32_ubyte0_e32 v59, v59
	v_bfe_i32 v41, v14, 0, 8
	v_bfe_i32 v42, v14, 8, 8
	;; [unrolled: 1-line block ×3, first 2 shown]
	v_ashrrev_i32_e32 v14, 24, v14
	v_bfe_i32 v44, v15, 0, 8
	v_bfe_i32 v45, v15, 8, 8
	;; [unrolled: 1-line block ×3, first 2 shown]
	v_ashrrev_i32_e32 v15, 24, v15
	v_bfe_i32 v55, v18, 16, 8
	v_bfe_i32 v52, v17, 16, 8
	v_ashrrev_i32_e32 v17, 24, v17
	v_bfe_i32 v54, v18, 8, 8
	v_bfe_i32 v57, v19, 8, 8
	;; [unrolled: 1-line block ×3, first 2 shown]
	v_lshrrev_b32_e32 v60, 16, v4
	v_cmp_gt_i16_e64 s4, 0, v4
	v_ashrrev_i32_e32 v18, 24, v18
	v_lshrrev_b32_e32 v61, 16, v5
	v_cmp_gt_i16_e64 s19, 0, v5
	v_ashrrev_i32_e32 v19, 24, v19
	v_and_b32_e32 v30, 15, v30
	s_delay_alu instid0(VALU_DEP_4)
	v_cmp_gt_i16_e64 s27, 0, v61
	s_wait_loadcnt 0x5
	v_cmp_gt_i16_e64 s28, 0, v35
	s_wait_loadcnt 0x4
	v_bfe_u32 v72, v20, 8, 8
	v_and_b32_e32 v73, 0xff, v21
	v_bfe_u32 v74, v21, 8, 8
	s_wait_loadcnt 0x2
	v_and_b32_e32 v83, 0xff, v26
	v_bfe_u32 v84, v26, 8, 8
	v_and_b32_e32 v63, 2, v32
	v_and_b32_e32 v64, 4, v32
	;; [unrolled: 1-line block ×4, first 2 shown]
	v_lshrrev_b32_e32 v69, 24, v20
	v_lshrrev_b32_e32 v70, 24, v21
	v_and_b32_e32 v71, 0xff, v20
	v_bfe_u32 v20, v20, 16, 8
	v_bfe_u32 v21, v21, 16, 8
	v_lshrrev_b32_e32 v81, 24, v26
	v_bfe_u32 v26, v26, 16, 8
	v_and_b32_e32 v85, 0xff, v27
	v_bfe_u32 v86, v27, 8, 8
	s_wait_loadcnt 0x1
	v_and_b32_e32 v89, 0xff, v28
	v_and_b32_e32 v91, 0xff, v29
	v_mul_i32_i24_e32 v36, v72, v36
	v_mul_i32_i24_e32 v38, v73, v38
	v_and_b32_e32 v73, 1, v34
	v_mul_i32_i24_e32 v39, v74, v39
	v_and_b32_e32 v74, 2, v34
	v_mul_i32_i24_e32 v47, v83, v47
	v_mul_i32_i24_e32 v48, v84, v48
	v_and_b32_e32 v62, 1, v32
	v_and_b32_e32 v68, 1, v33
	v_lshrrev_b32_e32 v75, 24, v24
	v_lshrrev_b32_e32 v76, 24, v25
	v_and_b32_e32 v77, 0xff, v24
	v_bfe_u32 v78, v24, 8, 8
	v_bfe_u32 v24, v24, 16, 8
	v_and_b32_e32 v79, 0xff, v25
	v_bfe_u32 v80, v25, 8, 8
	v_bfe_u32 v25, v25, 16, 8
	v_lshrrev_b32_e32 v87, 24, v28
	v_bfe_u32 v90, v28, 8, 8
	v_bfe_u32 v28, v28, 16, 8
	v_and_b32_e32 v93, 2, v33
	v_mul_i32_i24_e32 v23, v71, v23
	v_and_b32_e32 v71, 4, v33
	v_and_b32_e32 v72, 8, v33
	v_mul_i32_i24_e32 v20, v20, v37
	v_and_b32_e32 v37, 16, v33
	v_mul_i32_i24_e32 v12, v69, v12
	;; [unrolled: 2-line block ×5, first 2 shown]
	v_mul_i32_i24_e32 v16, v81, v16
	v_mul_i32_i24_e32 v49, v85, v50
	;; [unrolled: 1-line block ×5, first 2 shown]
	v_sub_nc_u32_e32 v56, 0, v36
	v_cmp_eq_u16_e32 vcc_lo, 0, v63
	v_cmp_eq_u16_e64 s0, 0, v64
	v_sub_nc_u32_e32 v63, 0, v38
	v_cmp_eq_u16_e64 s2, 0, v66
	v_sub_nc_u32_e32 v64, 0, v39
	v_cmp_eq_u16_e64 s3, 0, v67
	v_cmp_gt_i16_e64 s12, 0, v33
	v_sub_nc_u32_e32 v33, 0, v47
	v_cmp_eq_u16_e64 s13, 0, v73
	v_sub_nc_u32_e32 v73, 0, v48
	v_cmp_eq_u16_e64 s14, 0, v74
	s_wait_loadcnt 0x0
	v_cvt_f32_f16_e32 v22, v22
	v_and_b32_e32 v65, 8, v32
	v_lshrrev_b32_e32 v82, 24, v27
	v_bfe_u32 v27, v27, 16, 8
	v_lshrrev_b32_e32 v88, 24, v29
	v_bfe_u32 v92, v29, 8, 8
	v_bfe_u32 v29, v29, 16, 8
	v_mul_i32_i24_e32 v41, v77, v41
	v_and_b32_e32 v77, 16, v34
	v_mul_i32_i24_e32 v42, v78, v42
	v_and_b32_e32 v78, 32, v34
	;; [unrolled: 2-line block ×8, first 2 shown]
	v_mul_i32_i24_e32 v28, v28, v55
	v_sub_nc_u32_e32 v55, 0, v23
	v_sub_nc_u32_e32 v4, 0, v13
	v_cmp_gt_i16_e64 s5, 0, v32
	v_sub_nc_u32_e32 v74, 0, v26
	v_cmp_eq_u16_e64 s15, 0, v40
	v_sub_nc_u32_e32 v40, 0, v16
	v_cmp_eq_u16_e64 s16, 0, v70
	v_cmp_eq_u16_e64 s29, 0, v62
	s_wait_alu 0xfffd
	v_cndmask_b32_e32 v35, v56, v36, vcc_lo
	s_wait_alu 0xf1ff
	v_cndmask_b32_e64 v36, v63, v38, s2
	s_wait_alu 0xfffe
	v_cndmask_b32_e64 v38, v64, v39, s3
	v_cndmask_b32_e64 v33, v33, v47, s13
	;; [unrolled: 1-line block ×3, first 2 shown]
	v_mul_i32_i24_e32 v27, v27, v52
	v_mul_i32_i24_e32 v17, v82, v17
	;; [unrolled: 1-line block ×5, first 2 shown]
	v_sub_nc_u32_e32 v57, 0, v20
	v_sub_nc_u32_e32 v58, 0, v12
	v_cmp_eq_u16_e64 s1, 0, v65
	v_sub_nc_u32_e32 v70, 0, v49
	v_cmp_eq_u16_e64 s17, 0, v77
	;; [unrolled: 2-line block ×3, first 2 shown]
	v_cndmask_b32_e64 v23, v55, v23, s29
	v_cndmask_b32_e64 v4, v13, v4, s5
	;; [unrolled: 1-line block ×4, first 2 shown]
	v_add_nc_u32_e32 v26, v39, v33
	v_sub_nc_u32_e32 v78, 0, v27
	v_sub_nc_u32_e32 v5, 0, v17
	v_cmp_gt_i16_e64 s20, 0, v34
	v_cndmask_b32_e64 v20, v57, v20, s0
	s_wait_alu 0xf1ff
	v_cndmask_b32_e64 v12, v58, v12, s1
	v_cndmask_b32_e64 v33, v70, v49, s17
	;; [unrolled: 1-line block ×3, first 2 shown]
	v_add_nc_u32_e32 v23, v35, v23
	v_add3_u32 v13, v26, v13, v16
	v_mul_i32_i24_e32 v18, v87, v18
	v_sub_nc_u32_e32 v65, 0, v21
	v_sub_nc_u32_e32 v34, 0, v51
	v_cmp_eq_u16_e64 s21, 0, v43
	v_sub_nc_u32_e32 v43, 0, v52
	v_cmp_eq_u16_e64 s22, 0, v75
	v_cndmask_b32_e64 v26, v27, v78, s19
	v_cndmask_b32_e64 v5, v17, v5, s20
	v_add3_u32 v12, v23, v20, v12
	v_add3_u32 v13, v13, v33, v39
	v_sub_nc_u32_e32 v32, 0, v41
	v_cmp_eq_u16_e64 s6, 0, v68
	v_sub_nc_u32_e32 v66, 0, v42
	v_cmp_eq_u16_e64 s7, 0, v93
	;; [unrolled: 2-line block ×5, first 2 shown]
	v_cndmask_b32_e64 v21, v21, v65, s4
	s_wait_alu 0xf1ff
	v_cndmask_b32_e64 v20, v34, v51, s21
	v_cndmask_b32_e64 v23, v43, v52, s22
	v_add3_u32 v12, v12, v36, v38
	v_add3_u32 v5, v13, v26, v5
	v_mul_i32_i24_e32 v19, v88, v19
	v_sub_nc_u32_e32 v67, 0, v24
	v_cmp_eq_u16_e64 s8, 0, v71
	v_sub_nc_u32_e32 v80, 0, v53
	v_cmp_eq_u16_e64 s25, 0, v46
	;; [unrolled: 2-line block ×3, first 2 shown]
	v_cndmask_b32_e64 v32, v32, v41, s6
	v_cndmask_b32_e64 v16, v66, v42, s7
	;; [unrolled: 1-line block ×5, first 2 shown]
	v_add3_u32 v4, v12, v21, v4
	v_add3_u32 v5, v5, v20, v23
	v_sub_nc_u32_e32 v71, 0, v44
	v_cmp_eq_u16_e64 s10, 0, v37
	v_sub_nc_u32_e32 v37, 0, v45
	v_cmp_eq_u16_e64 s11, 0, v69
	v_sub_nc_u32_e32 v76, 0, v29
	v_sub_nc_u32_e32 v61, 0, v19
	s_wait_alu 0xf1ff
	v_cndmask_b32_e64 v17, v67, v24, s8
	v_cndmask_b32_e64 v20, v80, v53, s25
	;; [unrolled: 1-line block ×3, first 2 shown]
	v_add3_u32 v4, v4, v32, v16
	v_add3_u32 v5, v5, v14, v18
	v_sub_nc_u32_e32 v69, 0, v25
	v_sub_nc_u32_e32 v72, 0, v15
	v_cndmask_b32_e64 v12, v71, v44, s10
	v_cndmask_b32_e64 v14, v37, v45, s11
	;; [unrolled: 1-line block ×4, first 2 shown]
	v_add3_u32 v4, v4, v17, v13
	v_add3_u32 v5, v5, v20, v21
	v_cmp_gt_i16_e32 vcc_lo, 0, v60
	v_cndmask_b32_e64 v15, v15, v72, s12
	s_delay_alu instid0(VALU_DEP_4) | instskip(NEXT) | instid1(VALU_DEP_4)
	v_add3_u32 v4, v4, v12, v14
	v_add3_u32 v5, v5, v16, v18
	s_wait_alu 0xfffd
	v_cndmask_b32_e32 v13, v25, v69, vcc_lo
	v_cvt_f32_f16_e32 v12, v31
	v_cvt_f32_ubyte0_e32 v14, v30
	v_add_f32_e32 v16, 0.5, v59
	v_cvt_f32_i32_e32 v5, v5
	v_add3_u32 v4, v4, v13, v15
	v_mul_f32_e32 v12, v12, v22
	v_add_f32_e32 v13, 0.5, v14
	v_cmp_le_u32_e32 vcc_lo, s34, v6
	v_mul_f32_e32 v5, v16, v5
	v_cvt_f32_i32_e32 v4, v4
	v_mul_f32_e32 v12, 0x3e800000, v12
	s_or_b32 s35, vcc_lo, s35
	s_delay_alu instid0(VALU_DEP_2) | instskip(NEXT) | instid1(VALU_DEP_1)
	v_fmac_f32_e32 v5, v13, v4
	v_fmac_f32_e32 v7, v12, v5
	s_wait_alu 0xfffe
	s_and_not1_b32 exec_lo, exec_lo, s35
	s_cbranch_execnz .LBB89_3
; %bb.4:
	s_or_b32 exec_lo, exec_lo, s35
.LBB89_5:
	s_delay_alu instid0(SALU_CYCLE_1) | instskip(SKIP_1) | instid1(VALU_DEP_1)
	s_or_b32 exec_lo, exec_lo, s33
	v_mbcnt_lo_u32_b32 v2, -1, 0
	v_xor_b32_e32 v3, 16, v2
	v_xor_b32_e32 v4, 8, v2
	;; [unrolled: 1-line block ×3, first 2 shown]
	s_delay_alu instid0(VALU_DEP_3)
	v_cmp_gt_i32_e32 vcc_lo, 32, v3
	s_wait_alu 0xfffd
	v_cndmask_b32_e32 v3, v2, v3, vcc_lo
	v_cmp_gt_i32_e32 vcc_lo, 32, v4
	s_wait_alu 0xfffd
	v_cndmask_b32_e32 v4, v2, v4, vcc_lo
	v_cmp_gt_i32_e32 vcc_lo, 32, v5
	s_delay_alu instid0(VALU_DEP_2)
	v_lshlrev_b32_e32 v4, 2, v4
	v_lshlrev_b32_e32 v3, 2, v3
	s_wait_alu 0xfffd
	v_cndmask_b32_e32 v5, v2, v5, vcc_lo
	ds_bpermute_b32 v3, v3, v7
	v_lshlrev_b32_e32 v5, 2, v5
	s_wait_dscnt 0x0
	v_add_f32_e32 v3, v7, v3
	ds_bpermute_b32 v4, v4, v3
	s_wait_dscnt 0x0
	v_add_f32_e32 v3, v3, v4
	ds_bpermute_b32 v4, v5, v3
	v_xor_b32_e32 v5, 2, v2
	s_delay_alu instid0(VALU_DEP_1) | instskip(SKIP_2) | instid1(VALU_DEP_1)
	v_cmp_gt_i32_e32 vcc_lo, 32, v5
	s_wait_alu 0xfffd
	v_cndmask_b32_e32 v5, v2, v5, vcc_lo
	v_lshlrev_b32_e32 v5, 2, v5
	s_wait_dscnt 0x0
	v_add_f32_e32 v3, v3, v4
	ds_bpermute_b32 v4, v5, v3
	v_xor_b32_e32 v5, 1, v2
	s_delay_alu instid0(VALU_DEP_1) | instskip(SKIP_4) | instid1(VALU_DEP_2)
	v_cmp_gt_i32_e32 vcc_lo, 32, v5
	s_wait_alu 0xfffd
	v_cndmask_b32_e32 v5, v2, v5, vcc_lo
	v_cmp_eq_u32_e32 vcc_lo, 0, v0
	s_wait_dscnt 0x0
	v_dual_add_f32 v2, v3, v4 :: v_dual_lshlrev_b32 v3, 2, v5
	ds_bpermute_b32 v3, v3, v2
	s_and_b32 exec_lo, exec_lo, vcc_lo
	s_cbranch_execz .LBB89_7
; %bb.6:
	v_mad_co_u64_u32 v[0:1], null, s41, ttmp7, v[1:2]
	s_wait_dscnt 0x0
	v_dual_mov_b32 v1, 0 :: v_dual_add_f32 v2, v2, v3
	s_delay_alu instid0(VALU_DEP_1) | instskip(NEXT) | instid1(VALU_DEP_2)
	v_cvt_f16_f32_e32 v2, v2
	v_lshlrev_b64_e32 v[0:1], 1, v[0:1]
	s_wait_kmcnt 0x0
	s_delay_alu instid0(VALU_DEP_1) | instskip(SKIP_1) | instid1(VALU_DEP_2)
	v_add_co_u32 v0, vcc_lo, s30, v0
	s_wait_alu 0xfffd
	v_add_co_ci_u32_e64 v1, null, s31, v1, vcc_lo
	global_store_b16 v[0:1], v2, off
.LBB89_7:
	s_endpgm
	.section	.rodata,"a",@progbits
	.p2align	6, 0x0
	.amdhsa_kernel _ZL13mul_mat_vec_qIN3c104HalfELi256ELi8E12block_iq2_xsLi1EXadL_ZL19vec_dot_iq2_xs_q8_1PKvPK10block_q8_1RKiEEEvS4_S4_PT_iii
		.amdhsa_group_segment_fixed_size 0
		.amdhsa_private_segment_fixed_size 0
		.amdhsa_kernarg_size 296
		.amdhsa_user_sgpr_count 2
		.amdhsa_user_sgpr_dispatch_ptr 0
		.amdhsa_user_sgpr_queue_ptr 0
		.amdhsa_user_sgpr_kernarg_segment_ptr 1
		.amdhsa_user_sgpr_dispatch_id 0
		.amdhsa_user_sgpr_private_segment_size 0
		.amdhsa_wavefront_size32 1
		.amdhsa_uses_dynamic_stack 0
		.amdhsa_enable_private_segment 0
		.amdhsa_system_sgpr_workgroup_id_x 1
		.amdhsa_system_sgpr_workgroup_id_y 1
		.amdhsa_system_sgpr_workgroup_id_z 0
		.amdhsa_system_sgpr_workgroup_info 0
		.amdhsa_system_vgpr_workitem_id 1
		.amdhsa_next_free_vgpr 94
		.amdhsa_next_free_sgpr 43
		.amdhsa_reserve_vcc 1
		.amdhsa_float_round_mode_32 0
		.amdhsa_float_round_mode_16_64 0
		.amdhsa_float_denorm_mode_32 3
		.amdhsa_float_denorm_mode_16_64 3
		.amdhsa_fp16_overflow 0
		.amdhsa_workgroup_processor_mode 1
		.amdhsa_memory_ordered 1
		.amdhsa_forward_progress 1
		.amdhsa_inst_pref_size 20
		.amdhsa_round_robin_scheduling 0
		.amdhsa_exception_fp_ieee_invalid_op 0
		.amdhsa_exception_fp_denorm_src 0
		.amdhsa_exception_fp_ieee_div_zero 0
		.amdhsa_exception_fp_ieee_overflow 0
		.amdhsa_exception_fp_ieee_underflow 0
		.amdhsa_exception_fp_ieee_inexact 0
		.amdhsa_exception_int_div_zero 0
	.end_amdhsa_kernel
	.section	.text._ZL13mul_mat_vec_qIN3c104HalfELi256ELi8E12block_iq2_xsLi1EXadL_ZL19vec_dot_iq2_xs_q8_1PKvPK10block_q8_1RKiEEEvS4_S4_PT_iii,"axG",@progbits,_ZL13mul_mat_vec_qIN3c104HalfELi256ELi8E12block_iq2_xsLi1EXadL_ZL19vec_dot_iq2_xs_q8_1PKvPK10block_q8_1RKiEEEvS4_S4_PT_iii,comdat
.Lfunc_end89:
	.size	_ZL13mul_mat_vec_qIN3c104HalfELi256ELi8E12block_iq2_xsLi1EXadL_ZL19vec_dot_iq2_xs_q8_1PKvPK10block_q8_1RKiEEEvS4_S4_PT_iii, .Lfunc_end89-_ZL13mul_mat_vec_qIN3c104HalfELi256ELi8E12block_iq2_xsLi1EXadL_ZL19vec_dot_iq2_xs_q8_1PKvPK10block_q8_1RKiEEEvS4_S4_PT_iii
                                        ; -- End function
	.set _ZL13mul_mat_vec_qIN3c104HalfELi256ELi8E12block_iq2_xsLi1EXadL_ZL19vec_dot_iq2_xs_q8_1PKvPK10block_q8_1RKiEEEvS4_S4_PT_iii.num_vgpr, 94
	.set _ZL13mul_mat_vec_qIN3c104HalfELi256ELi8E12block_iq2_xsLi1EXadL_ZL19vec_dot_iq2_xs_q8_1PKvPK10block_q8_1RKiEEEvS4_S4_PT_iii.num_agpr, 0
	.set _ZL13mul_mat_vec_qIN3c104HalfELi256ELi8E12block_iq2_xsLi1EXadL_ZL19vec_dot_iq2_xs_q8_1PKvPK10block_q8_1RKiEEEvS4_S4_PT_iii.numbered_sgpr, 43
	.set _ZL13mul_mat_vec_qIN3c104HalfELi256ELi8E12block_iq2_xsLi1EXadL_ZL19vec_dot_iq2_xs_q8_1PKvPK10block_q8_1RKiEEEvS4_S4_PT_iii.num_named_barrier, 0
	.set _ZL13mul_mat_vec_qIN3c104HalfELi256ELi8E12block_iq2_xsLi1EXadL_ZL19vec_dot_iq2_xs_q8_1PKvPK10block_q8_1RKiEEEvS4_S4_PT_iii.private_seg_size, 0
	.set _ZL13mul_mat_vec_qIN3c104HalfELi256ELi8E12block_iq2_xsLi1EXadL_ZL19vec_dot_iq2_xs_q8_1PKvPK10block_q8_1RKiEEEvS4_S4_PT_iii.uses_vcc, 1
	.set _ZL13mul_mat_vec_qIN3c104HalfELi256ELi8E12block_iq2_xsLi1EXadL_ZL19vec_dot_iq2_xs_q8_1PKvPK10block_q8_1RKiEEEvS4_S4_PT_iii.uses_flat_scratch, 0
	.set _ZL13mul_mat_vec_qIN3c104HalfELi256ELi8E12block_iq2_xsLi1EXadL_ZL19vec_dot_iq2_xs_q8_1PKvPK10block_q8_1RKiEEEvS4_S4_PT_iii.has_dyn_sized_stack, 0
	.set _ZL13mul_mat_vec_qIN3c104HalfELi256ELi8E12block_iq2_xsLi1EXadL_ZL19vec_dot_iq2_xs_q8_1PKvPK10block_q8_1RKiEEEvS4_S4_PT_iii.has_recursion, 0
	.set _ZL13mul_mat_vec_qIN3c104HalfELi256ELi8E12block_iq2_xsLi1EXadL_ZL19vec_dot_iq2_xs_q8_1PKvPK10block_q8_1RKiEEEvS4_S4_PT_iii.has_indirect_call, 0
	.section	.AMDGPU.csdata,"",@progbits
; Kernel info:
; codeLenInByte = 2544
; TotalNumSgprs: 45
; NumVgprs: 94
; ScratchSize: 0
; MemoryBound: 0
; FloatMode: 240
; IeeeMode: 1
; LDSByteSize: 0 bytes/workgroup (compile time only)
; SGPRBlocks: 0
; VGPRBlocks: 11
; NumSGPRsForWavesPerEU: 45
; NumVGPRsForWavesPerEU: 94
; Occupancy: 16
; WaveLimiterHint : 0
; COMPUTE_PGM_RSRC2:SCRATCH_EN: 0
; COMPUTE_PGM_RSRC2:USER_SGPR: 2
; COMPUTE_PGM_RSRC2:TRAP_HANDLER: 0
; COMPUTE_PGM_RSRC2:TGID_X_EN: 1
; COMPUTE_PGM_RSRC2:TGID_Y_EN: 1
; COMPUTE_PGM_RSRC2:TGID_Z_EN: 0
; COMPUTE_PGM_RSRC2:TIDIG_COMP_CNT: 1
	.section	.text._ZL13mul_mat_vec_qIN3c104HalfELi256ELi8E13block_iq3_xxsLi1EXadL_ZL20vec_dot_iq3_xxs_q8_1PKvPK10block_q8_1RKiEEEvS4_S4_PT_iii,"axG",@progbits,_ZL13mul_mat_vec_qIN3c104HalfELi256ELi8E13block_iq3_xxsLi1EXadL_ZL20vec_dot_iq3_xxs_q8_1PKvPK10block_q8_1RKiEEEvS4_S4_PT_iii,comdat
	.globl	_ZL13mul_mat_vec_qIN3c104HalfELi256ELi8E13block_iq3_xxsLi1EXadL_ZL20vec_dot_iq3_xxs_q8_1PKvPK10block_q8_1RKiEEEvS4_S4_PT_iii ; -- Begin function _ZL13mul_mat_vec_qIN3c104HalfELi256ELi8E13block_iq3_xxsLi1EXadL_ZL20vec_dot_iq3_xxs_q8_1PKvPK10block_q8_1RKiEEEvS4_S4_PT_iii
	.p2align	8
	.type	_ZL13mul_mat_vec_qIN3c104HalfELi256ELi8E13block_iq3_xxsLi1EXadL_ZL20vec_dot_iq3_xxs_q8_1PKvPK10block_q8_1RKiEEEvS4_S4_PT_iii,@function
_ZL13mul_mat_vec_qIN3c104HalfELi256ELi8E13block_iq3_xxsLi1EXadL_ZL20vec_dot_iq3_xxs_q8_1PKvPK10block_q8_1RKiEEEvS4_S4_PT_iii: ; @_ZL13mul_mat_vec_qIN3c104HalfELi256ELi8E13block_iq3_xxsLi1EXadL_ZL20vec_dot_iq3_xxs_q8_1PKvPK10block_q8_1RKiEEEvS4_S4_PT_iii
; %bb.0:
	s_clause 0x1
	s_load_u16 s2, s[0:1], 0x36
	s_load_b96 s[4:6], s[0:1], 0x18
	v_bfe_u32 v1, v0, 10, 10
	s_wait_kmcnt 0x0
	s_delay_alu instid0(VALU_DEP_1)
	v_mad_co_u64_u32 v[1:2], null, ttmp9, s2, v[1:2]
	s_cmp_lt_u32 ttmp7, s6
	s_cselect_b32 s2, -1, 0
	v_cmp_gt_u32_e32 vcc_lo, s5, v1
	s_wait_alu 0xfffe
	s_and_b32 s2, s2, vcc_lo
	s_wait_alu 0xfffe
	s_and_saveexec_b32 s3, s2
	s_cbranch_execz .LBB90_9
; %bb.1:
	s_load_b64 s[6:7], s[0:1], 0x10
	s_ashr_i32 s2, s4, 31
	v_bfe_u32 v14, v0, 3, 7
	s_wait_alu 0xfffe
	s_lshr_b32 s2, s2, 24
	v_dual_mov_b32 v15, 0 :: v_dual_and_b32 v0, 0x3ff, v0
	s_wait_alu 0xfffe
	s_add_co_i32 s2, s4, s2
	s_mov_b32 s8, exec_lo
	s_wait_alu 0xfffe
	s_ashr_i32 s9, s2, 8
	s_delay_alu instid0(SALU_CYCLE_1)
	v_cmpx_gt_u32_e64 s9, v14
	s_cbranch_execz .LBB90_7
; %bb.2:
	s_load_b128 s[0:3], s[0:1], 0x0
	v_dual_mov_b32 v15, 0 :: v_dual_and_b32 v2, 7, v0
	s_addk_co_i32 s4, 0x1ff
	v_mul_lo_u32 v16, v1, s9
	s_wait_alu 0xfffe
	s_ashr_i32 s10, s4, 31
	v_lshlrev_b32_e32 v4, 3, v2
	s_lshr_b32 s10, s10, 23
	v_lshlrev_b32_e32 v8, 1, v2
	s_add_co_i32 s4, s4, s10
	s_mov_b32 s10, 0
	s_wait_alu 0xfffe
	s_ashr_i32 s4, s4, 9
	v_add_nc_u32_e32 v17, v14, v16
	s_wait_alu 0xfffe
	s_mul_i32 s4, ttmp7, s4
	v_lshlrev_b32_e32 v19, 1, v8
	s_wait_alu 0xfffe
	s_lshl_b32 s4, s4, 4
	s_getpc_b64 s[12:13]
	s_sext_i32_i16 s13, s13
	s_add_co_u32 s12, s12, _ZL11iq3xxs_grid@rel32@lo+8
	s_add_co_ci_u32 s13, s13, _ZL11iq3xxs_grid@rel32@hi+16
	s_wait_alu 0xfffe
	v_lshl_add_u32 v18, v14, 3, s4
	s_wait_kmcnt 0x0
	v_mad_co_u64_u32 v[2:3], null, v2, 36, s[2:3]
	v_add_co_u32 v4, s2, s0, v4
	s_wait_alu 0xf1ff
	v_add_co_ci_u32_e64 v5, null, s1, 0, s2
	s_delay_alu instid0(VALU_DEP_2) | instskip(NEXT) | instid1(VALU_DEP_1)
	v_add_co_u32 v4, vcc_lo, v4, 2
	v_add_co_ci_u32_e64 v5, null, 0, v5, vcc_lo
	v_add_co_u32 v6, vcc_lo, v2, 4
	s_wait_alu 0xfffd
	v_add_co_ci_u32_e64 v7, null, 0, v3, vcc_lo
.LBB90_3:                               ; =>This Loop Header: Depth=1
                                        ;     Child Loop BB90_4 Depth 2
	v_add_nc_u32_e32 v8, v14, v16
	v_mad_co_i64_i32 v[12:13], null, 0x62, v17, v[4:5]
	v_mov_b32_e32 v20, 0
	s_mov_b64 s[2:3], 0
	s_delay_alu instid0(VALU_DEP_3) | instskip(NEXT) | instid1(VALU_DEP_1)
	v_mad_co_i64_i32 v[8:9], null, 0x62, v8, s[0:1]
	v_add_co_u32 v10, vcc_lo, v8, v19
	s_wait_alu 0xfffd
	s_delay_alu instid0(VALU_DEP_2)
	v_add_co_ci_u32_e64 v11, null, 0, v9, vcc_lo
	global_load_b32 v21, v[10:11], off offset:66
	v_mad_co_i64_i32 v[10:11], null, v18, 36, v[6:7]
.LBB90_4:                               ;   Parent Loop BB90_3 Depth=1
                                        ; =>  This Inner Loop Header: Depth=2
	global_load_u16 v26, v[12:13], off
	s_wait_loadcnt 0x1
	v_and_b32_e32 v24, 0x7f, v21
	s_wait_alu 0xfffe
	v_add_co_u32 v22, vcc_lo, v10, s2
	s_getpc_b64 s[14:15]
	s_sext_i32_i16 s15, s15
	s_add_co_u32 s14, s14, _ZL8ksigns64@rel32@lo+8
	s_add_co_ci_u32 s15, s15, _ZL8ksigns64@rel32@hi+16
	s_wait_alu 0xfffd
	v_add_co_ci_u32_e64 v23, null, s3, v11, vcc_lo
	v_lshlrev_b32_e32 v24, 3, v24
	v_add_co_u32 v12, vcc_lo, v12, 2
	v_lshrrev_b32_e32 v21, 7, v21
	s_wait_alu 0xfffd
	v_add_co_ci_u32_e64 v13, null, 0, v13, vcc_lo
	global_load_b64 v[24:25], v24, s[14:15]
	s_add_nc_u64 s[2:3], s[2:3], 8
	s_wait_alu 0xfffe
	s_cmp_lg_u32 s2, 32
	s_wait_loadcnt 0x1
	v_lshrrev_b16 v27, 8, v26
	v_and_b32_e32 v26, 0xff, v26
	s_delay_alu instid0(VALU_DEP_2) | instskip(NEXT) | instid1(VALU_DEP_2)
	v_and_b32_e32 v27, 0xffff, v27
	v_lshlrev_b32_e32 v26, 2, v26
	s_delay_alu instid0(VALU_DEP_2)
	v_lshlrev_b32_e32 v27, 2, v27
	s_clause 0x1
	global_load_b32 v26, v26, s[12:13]
	global_load_b32 v27, v27, s[12:13]
	global_load_b64 v[22:23], v[22:23], off
	s_wait_loadcnt 0x3
	v_and_b32_e32 v35, 0xff0000, v24
	v_and_b32_e32 v34, 0xff000000, v24
	;; [unrolled: 1-line block ×6, first 2 shown]
	s_wait_loadcnt 0x2
	v_xor_b32_e32 v26, v24, v26
	s_wait_loadcnt 0x1
	v_xor_b32_e32 v27, v25, v27
	s_wait_loadcnt 0x0
	v_lshrrev_b16 v28, 8, v22
	v_lshrrev_b16 v29, 8, v23
	v_ashrrev_i32_e32 v32, 24, v23
	v_sub_nc_u32_e32 v35, v26, v35
	v_sub_nc_u32_e32 v24, v26, v24
	;; [unrolled: 1-line block ×6, first 2 shown]
	v_perm_b32 v24, v35, v24, 0xc060c00
	v_sub_nc_u32_e32 v35, v27, v38
	v_sub_nc_u32_e32 v27, v27, v37
	v_bfe_i32 v33, v23, 16, 8
	v_lshrrev_b16 v26, 8, v26
	v_ashrrev_i32_e32 v30, 24, v22
	v_perm_b32 v25, v35, v25, 0xc060c00
	v_lshrrev_b16 v35, 8, v36
	v_ashrrev_i32_e32 v27, 24, v27
	v_bfe_i32 v31, v22, 16, 8
	v_bfe_i32 v22, v22, 0, 8
	;; [unrolled: 1-line block ×6, first 2 shown]
	v_ashrrev_i32_e32 v34, 24, v34
	v_bfe_i32 v36, v24, 0, 8
	v_bfe_i32 v24, v24, 16, 8
	;; [unrolled: 1-line block ×5, first 2 shown]
	v_mul_i32_i24_e32 v27, v27, v32
	v_mul_i32_i24_e32 v32, v37, v33
	;; [unrolled: 1-line block ×6, first 2 shown]
	v_mad_i32_i24 v27, v34, v30, v27
	v_mad_i32_i24 v24, v24, v31, v32
	s_delay_alu instid0(VALU_DEP_2) | instskip(NEXT) | instid1(VALU_DEP_2)
	v_add3_u32 v25, v26, v25, v27
	v_add3_u32 v22, v22, v23, v24
	s_delay_alu instid0(VALU_DEP_1)
	v_add3_u32 v20, v22, v25, v20
	s_cbranch_scc1 .LBB90_4
; %bb.5:                                ;   in Loop: Header=BB90_3 Depth=1
	v_lshl_add_u32 v10, v14, 3, s4
	v_add_nc_u32_e32 v14, 4, v14
	v_add_nc_u32_e32 v18, 32, v18
	;; [unrolled: 1-line block ×3, first 2 shown]
	s_delay_alu instid0(VALU_DEP_4) | instskip(SKIP_4) | instid1(VALU_DEP_2)
	v_mad_co_i64_i32 v[10:11], null, v10, 36, v[2:3]
	global_load_u16 v8, v[8:9], off
	global_load_b32 v9, v[10:11], off
	v_cvt_f32_u32_e32 v10, v21
	v_cmp_le_u32_e32 vcc_lo, s9, v14
	v_add_f32_e32 v10, 0.5, v10
	s_or_b32 s10, vcc_lo, s10
	s_wait_loadcnt 0x1
	v_cvt_f32_f16_e32 v8, v8
	s_wait_loadcnt 0x0
	v_cvt_f32_f16_e32 v9, v9
	s_delay_alu instid0(VALU_DEP_2) | instskip(NEXT) | instid1(VALU_DEP_1)
	v_mul_f32_e32 v8, v10, v8
	v_mul_f32_e32 v8, v8, v9
	v_cvt_f32_i32_e32 v9, v20
	s_delay_alu instid0(VALU_DEP_2) | instskip(NEXT) | instid1(VALU_DEP_1)
	v_mul_f32_e32 v8, 0.5, v8
	v_fmac_f32_e32 v15, v8, v9
	s_and_not1_b32 exec_lo, exec_lo, s10
	s_cbranch_execnz .LBB90_3
; %bb.6:
	s_or_b32 exec_lo, exec_lo, s10
.LBB90_7:
	s_delay_alu instid0(SALU_CYCLE_1) | instskip(SKIP_1) | instid1(VALU_DEP_1)
	s_or_b32 exec_lo, exec_lo, s8
	v_mbcnt_lo_u32_b32 v2, -1, 0
	v_xor_b32_e32 v3, 16, v2
	v_xor_b32_e32 v4, 8, v2
	;; [unrolled: 1-line block ×3, first 2 shown]
	s_delay_alu instid0(VALU_DEP_3)
	v_cmp_gt_i32_e32 vcc_lo, 32, v3
	s_wait_alu 0xfffd
	v_cndmask_b32_e32 v3, v2, v3, vcc_lo
	v_cmp_gt_i32_e32 vcc_lo, 32, v4
	s_wait_alu 0xfffd
	v_cndmask_b32_e32 v4, v2, v4, vcc_lo
	v_cmp_gt_i32_e32 vcc_lo, 32, v5
	s_delay_alu instid0(VALU_DEP_2)
	v_lshlrev_b32_e32 v4, 2, v4
	v_lshlrev_b32_e32 v3, 2, v3
	s_wait_alu 0xfffd
	v_cndmask_b32_e32 v5, v2, v5, vcc_lo
	ds_bpermute_b32 v3, v3, v15
	v_lshlrev_b32_e32 v5, 2, v5
	s_wait_dscnt 0x0
	v_add_f32_e32 v3, v15, v3
	ds_bpermute_b32 v4, v4, v3
	s_wait_dscnt 0x0
	v_add_f32_e32 v3, v3, v4
	ds_bpermute_b32 v4, v5, v3
	v_xor_b32_e32 v5, 2, v2
	s_delay_alu instid0(VALU_DEP_1) | instskip(SKIP_2) | instid1(VALU_DEP_1)
	v_cmp_gt_i32_e32 vcc_lo, 32, v5
	s_wait_alu 0xfffd
	v_cndmask_b32_e32 v5, v2, v5, vcc_lo
	v_lshlrev_b32_e32 v5, 2, v5
	s_wait_dscnt 0x0
	v_add_f32_e32 v3, v3, v4
	ds_bpermute_b32 v4, v5, v3
	v_xor_b32_e32 v5, 1, v2
	s_delay_alu instid0(VALU_DEP_1) | instskip(SKIP_4) | instid1(VALU_DEP_2)
	v_cmp_gt_i32_e32 vcc_lo, 32, v5
	s_wait_alu 0xfffd
	v_cndmask_b32_e32 v5, v2, v5, vcc_lo
	v_cmp_eq_u32_e32 vcc_lo, 0, v0
	s_wait_dscnt 0x0
	v_dual_add_f32 v2, v3, v4 :: v_dual_lshlrev_b32 v3, 2, v5
	ds_bpermute_b32 v3, v3, v2
	s_and_b32 exec_lo, exec_lo, vcc_lo
	s_cbranch_execz .LBB90_9
; %bb.8:
	v_mad_co_u64_u32 v[0:1], null, s5, ttmp7, v[1:2]
	s_wait_dscnt 0x0
	v_dual_mov_b32 v1, 0 :: v_dual_add_f32 v2, v2, v3
	s_delay_alu instid0(VALU_DEP_1) | instskip(NEXT) | instid1(VALU_DEP_2)
	v_cvt_f16_f32_e32 v2, v2
	v_lshlrev_b64_e32 v[0:1], 1, v[0:1]
	s_wait_kmcnt 0x0
	s_delay_alu instid0(VALU_DEP_1) | instskip(SKIP_1) | instid1(VALU_DEP_2)
	v_add_co_u32 v0, vcc_lo, s6, v0
	s_wait_alu 0xfffd
	v_add_co_ci_u32_e64 v1, null, s7, v1, vcc_lo
	global_store_b16 v[0:1], v2, off
.LBB90_9:
	s_endpgm
	.section	.rodata,"a",@progbits
	.p2align	6, 0x0
	.amdhsa_kernel _ZL13mul_mat_vec_qIN3c104HalfELi256ELi8E13block_iq3_xxsLi1EXadL_ZL20vec_dot_iq3_xxs_q8_1PKvPK10block_q8_1RKiEEEvS4_S4_PT_iii
		.amdhsa_group_segment_fixed_size 0
		.amdhsa_private_segment_fixed_size 0
		.amdhsa_kernarg_size 296
		.amdhsa_user_sgpr_count 2
		.amdhsa_user_sgpr_dispatch_ptr 0
		.amdhsa_user_sgpr_queue_ptr 0
		.amdhsa_user_sgpr_kernarg_segment_ptr 1
		.amdhsa_user_sgpr_dispatch_id 0
		.amdhsa_user_sgpr_private_segment_size 0
		.amdhsa_wavefront_size32 1
		.amdhsa_uses_dynamic_stack 0
		.amdhsa_enable_private_segment 0
		.amdhsa_system_sgpr_workgroup_id_x 1
		.amdhsa_system_sgpr_workgroup_id_y 1
		.amdhsa_system_sgpr_workgroup_id_z 0
		.amdhsa_system_sgpr_workgroup_info 0
		.amdhsa_system_vgpr_workitem_id 1
		.amdhsa_next_free_vgpr 40
		.amdhsa_next_free_sgpr 16
		.amdhsa_reserve_vcc 1
		.amdhsa_float_round_mode_32 0
		.amdhsa_float_round_mode_16_64 0
		.amdhsa_float_denorm_mode_32 3
		.amdhsa_float_denorm_mode_16_64 3
		.amdhsa_fp16_overflow 0
		.amdhsa_workgroup_processor_mode 1
		.amdhsa_memory_ordered 1
		.amdhsa_forward_progress 1
		.amdhsa_inst_pref_size 11
		.amdhsa_round_robin_scheduling 0
		.amdhsa_exception_fp_ieee_invalid_op 0
		.amdhsa_exception_fp_denorm_src 0
		.amdhsa_exception_fp_ieee_div_zero 0
		.amdhsa_exception_fp_ieee_overflow 0
		.amdhsa_exception_fp_ieee_underflow 0
		.amdhsa_exception_fp_ieee_inexact 0
		.amdhsa_exception_int_div_zero 0
	.end_amdhsa_kernel
	.section	.text._ZL13mul_mat_vec_qIN3c104HalfELi256ELi8E13block_iq3_xxsLi1EXadL_ZL20vec_dot_iq3_xxs_q8_1PKvPK10block_q8_1RKiEEEvS4_S4_PT_iii,"axG",@progbits,_ZL13mul_mat_vec_qIN3c104HalfELi256ELi8E13block_iq3_xxsLi1EXadL_ZL20vec_dot_iq3_xxs_q8_1PKvPK10block_q8_1RKiEEEvS4_S4_PT_iii,comdat
.Lfunc_end90:
	.size	_ZL13mul_mat_vec_qIN3c104HalfELi256ELi8E13block_iq3_xxsLi1EXadL_ZL20vec_dot_iq3_xxs_q8_1PKvPK10block_q8_1RKiEEEvS4_S4_PT_iii, .Lfunc_end90-_ZL13mul_mat_vec_qIN3c104HalfELi256ELi8E13block_iq3_xxsLi1EXadL_ZL20vec_dot_iq3_xxs_q8_1PKvPK10block_q8_1RKiEEEvS4_S4_PT_iii
                                        ; -- End function
	.set _ZL13mul_mat_vec_qIN3c104HalfELi256ELi8E13block_iq3_xxsLi1EXadL_ZL20vec_dot_iq3_xxs_q8_1PKvPK10block_q8_1RKiEEEvS4_S4_PT_iii.num_vgpr, 40
	.set _ZL13mul_mat_vec_qIN3c104HalfELi256ELi8E13block_iq3_xxsLi1EXadL_ZL20vec_dot_iq3_xxs_q8_1PKvPK10block_q8_1RKiEEEvS4_S4_PT_iii.num_agpr, 0
	.set _ZL13mul_mat_vec_qIN3c104HalfELi256ELi8E13block_iq3_xxsLi1EXadL_ZL20vec_dot_iq3_xxs_q8_1PKvPK10block_q8_1RKiEEEvS4_S4_PT_iii.numbered_sgpr, 16
	.set _ZL13mul_mat_vec_qIN3c104HalfELi256ELi8E13block_iq3_xxsLi1EXadL_ZL20vec_dot_iq3_xxs_q8_1PKvPK10block_q8_1RKiEEEvS4_S4_PT_iii.num_named_barrier, 0
	.set _ZL13mul_mat_vec_qIN3c104HalfELi256ELi8E13block_iq3_xxsLi1EXadL_ZL20vec_dot_iq3_xxs_q8_1PKvPK10block_q8_1RKiEEEvS4_S4_PT_iii.private_seg_size, 0
	.set _ZL13mul_mat_vec_qIN3c104HalfELi256ELi8E13block_iq3_xxsLi1EXadL_ZL20vec_dot_iq3_xxs_q8_1PKvPK10block_q8_1RKiEEEvS4_S4_PT_iii.uses_vcc, 1
	.set _ZL13mul_mat_vec_qIN3c104HalfELi256ELi8E13block_iq3_xxsLi1EXadL_ZL20vec_dot_iq3_xxs_q8_1PKvPK10block_q8_1RKiEEEvS4_S4_PT_iii.uses_flat_scratch, 0
	.set _ZL13mul_mat_vec_qIN3c104HalfELi256ELi8E13block_iq3_xxsLi1EXadL_ZL20vec_dot_iq3_xxs_q8_1PKvPK10block_q8_1RKiEEEvS4_S4_PT_iii.has_dyn_sized_stack, 0
	.set _ZL13mul_mat_vec_qIN3c104HalfELi256ELi8E13block_iq3_xxsLi1EXadL_ZL20vec_dot_iq3_xxs_q8_1PKvPK10block_q8_1RKiEEEvS4_S4_PT_iii.has_recursion, 0
	.set _ZL13mul_mat_vec_qIN3c104HalfELi256ELi8E13block_iq3_xxsLi1EXadL_ZL20vec_dot_iq3_xxs_q8_1PKvPK10block_q8_1RKiEEEvS4_S4_PT_iii.has_indirect_call, 0
	.section	.AMDGPU.csdata,"",@progbits
; Kernel info:
; codeLenInByte = 1408
; TotalNumSgprs: 18
; NumVgprs: 40
; ScratchSize: 0
; MemoryBound: 0
; FloatMode: 240
; IeeeMode: 1
; LDSByteSize: 0 bytes/workgroup (compile time only)
; SGPRBlocks: 0
; VGPRBlocks: 4
; NumSGPRsForWavesPerEU: 18
; NumVGPRsForWavesPerEU: 40
; Occupancy: 16
; WaveLimiterHint : 0
; COMPUTE_PGM_RSRC2:SCRATCH_EN: 0
; COMPUTE_PGM_RSRC2:USER_SGPR: 2
; COMPUTE_PGM_RSRC2:TRAP_HANDLER: 0
; COMPUTE_PGM_RSRC2:TGID_X_EN: 1
; COMPUTE_PGM_RSRC2:TGID_Y_EN: 1
; COMPUTE_PGM_RSRC2:TGID_Z_EN: 0
; COMPUTE_PGM_RSRC2:TIDIG_COMP_CNT: 1
	.section	.text._ZL13mul_mat_vec_qIN3c104HalfELi256ELi8E11block_iq1_sLi1EXadL_ZL18vec_dot_iq1_s_q8_1PKvPK10block_q8_1RKiEEEvS4_S4_PT_iii,"axG",@progbits,_ZL13mul_mat_vec_qIN3c104HalfELi256ELi8E11block_iq1_sLi1EXadL_ZL18vec_dot_iq1_s_q8_1PKvPK10block_q8_1RKiEEEvS4_S4_PT_iii,comdat
	.globl	_ZL13mul_mat_vec_qIN3c104HalfELi256ELi8E11block_iq1_sLi1EXadL_ZL18vec_dot_iq1_s_q8_1PKvPK10block_q8_1RKiEEEvS4_S4_PT_iii ; -- Begin function _ZL13mul_mat_vec_qIN3c104HalfELi256ELi8E11block_iq1_sLi1EXadL_ZL18vec_dot_iq1_s_q8_1PKvPK10block_q8_1RKiEEEvS4_S4_PT_iii
	.p2align	8
	.type	_ZL13mul_mat_vec_qIN3c104HalfELi256ELi8E11block_iq1_sLi1EXadL_ZL18vec_dot_iq1_s_q8_1PKvPK10block_q8_1RKiEEEvS4_S4_PT_iii,@function
_ZL13mul_mat_vec_qIN3c104HalfELi256ELi8E11block_iq1_sLi1EXadL_ZL18vec_dot_iq1_s_q8_1PKvPK10block_q8_1RKiEEEvS4_S4_PT_iii: ; @_ZL13mul_mat_vec_qIN3c104HalfELi256ELi8E11block_iq1_sLi1EXadL_ZL18vec_dot_iq1_s_q8_1PKvPK10block_q8_1RKiEEEvS4_S4_PT_iii
; %bb.0:
	s_clause 0x1
	s_load_u16 s2, s[0:1], 0x36
	s_load_b96 s[4:6], s[0:1], 0x18
	v_bfe_u32 v1, v0, 10, 10
	s_wait_kmcnt 0x0
	s_delay_alu instid0(VALU_DEP_1)
	v_mad_co_u64_u32 v[1:2], null, ttmp9, s2, v[1:2]
	s_cmp_lt_u32 ttmp7, s6
	s_cselect_b32 s2, -1, 0
	v_cmp_gt_u32_e32 vcc_lo, s5, v1
	s_wait_alu 0xfffe
	s_and_b32 s2, s2, vcc_lo
	s_wait_alu 0xfffe
	s_and_saveexec_b32 s3, s2
	s_cbranch_execz .LBB91_7
; %bb.1:
	s_load_b64 s[6:7], s[0:1], 0x10
	s_ashr_i32 s2, s4, 31
	v_bfe_u32 v4, v0, 3, 7
	s_wait_alu 0xfffe
	s_lshr_b32 s2, s2, 24
	v_dual_mov_b32 v5, 0 :: v_dual_and_b32 v0, 0x3ff, v0
	s_wait_alu 0xfffe
	s_add_co_i32 s2, s4, s2
	s_mov_b32 s8, exec_lo
	s_wait_alu 0xfffe
	s_ashr_i32 s9, s2, 8
	s_delay_alu instid0(SALU_CYCLE_1)
	v_cmpx_gt_u32_e64 s9, v4
	s_cbranch_execz .LBB91_5
; %bb.2:
	s_load_b128 s[0:3], s[0:1], 0x0
	s_addk_co_i32 s4, 0x1ff
	v_and_b32_e32 v9, 7, v0
	s_wait_alu 0xfffe
	s_ashr_i32 s10, s4, 31
	v_lshlrev_b32_e32 v7, 3, v4
	s_lshr_b32 s10, s10, 23
	v_mul_lo_u32 v6, v1, s9
	s_add_co_i32 s4, s4, s10
	v_dual_mov_b32 v5, 0 :: v_dual_lshlrev_b32 v8, 1, v9
	s_wait_alu 0xfffe
	s_ashr_i32 s4, s4, 9
	s_mov_b32 s10, 0xb7000000
	s_wait_alu 0xfffe
	s_mul_i32 s4, ttmp7, s4
	v_lshlrev_b32_e32 v8, 1, v8
	s_wait_alu 0xfffe
	v_lshl_add_u32 v7, s4, 4, v7
	s_mov_b32 s4, 0
	s_wait_kmcnt 0x0
	v_mad_co_u64_u32 v[2:3], null, v9, 36, s[2:3]
	v_lshlrev_b32_e32 v9, 1, v9
.LBB91_3:                               ; =>This Inner Loop Header: Depth=1
	v_add_nc_u32_e32 v10, v6, v4
	s_delay_alu instid0(VALU_DEP_3)
	v_mad_co_i64_i32 v[20:21], null, v7, 36, v[2:3]
	s_getpc_b64 s[2:3]
	s_wait_alu 0xfffe
	s_sext_i32_i16 s3, s3
	s_add_co_u32 s2, s2, _ZL13iq1s_grid_gpu@rel32@lo+12
	s_wait_alu 0xfffe
	s_add_co_ci_u32 s3, s3, _ZL13iq1s_grid_gpu@rel32@hi+24
	v_add_nc_u32_e32 v4, 4, v4
	v_mad_co_i64_i32 v[18:19], null, v10, 50, s[0:1]
	v_add_nc_u32_e32 v7, 32, v7
	s_delay_alu instid0(VALU_DEP_2) | instskip(SKIP_1) | instid1(VALU_DEP_3)
	v_add_co_u32 v10, vcc_lo, v18, v8
	s_wait_alu 0xfffd
	v_add_co_ci_u32_e64 v11, null, 0, v19, vcc_lo
	v_add_co_u32 v12, vcc_lo, v18, v9
	s_wait_alu 0xfffd
	v_add_co_ci_u32_e64 v13, null, 0, v19, vcc_lo
	s_clause 0x1
	global_load_b32 v22, v[10:11], off offset:2
	global_load_u16 v23, v[12:13], off offset:34
	s_clause 0x1
	global_load_b128 v[10:13], v[20:21], off offset:4
	global_load_b128 v[14:17], v[20:21], off offset:20
	global_load_u16 v18, v[18:19], off
	v_cmp_le_u32_e32 vcc_lo, s9, v4
	s_or_b32 s4, vcc_lo, s4
	s_wait_loadcnt 0x2
	v_ashrrev_i32_e32 v31, 24, v11
	v_and_b32_e32 v24, 0xff, v22
	v_lshlrev_b32_e32 v25, 8, v23
	v_bfe_u32 v26, v22, 8, 8
	v_lshlrev_b32_e32 v27, 5, v23
	v_lshrrev_b32_e32 v19, 24, v22
	v_bfe_u32 v22, v22, 16, 8
	v_lshlrev_b32_e32 v28, 2, v23
	v_lshrrev_b32_e32 v29, 1, v23
	v_and_or_b32 v24, 0x700, v25, v24
	v_and_or_b32 v25, 0x700, v27, v26
	v_lshrrev_b16 v26, 8, v11
	v_and_or_b32 v22, 0x700, v28, v22
	v_and_or_b32 v19, 0x700, v29, v19
	v_lshlrev_b32_e32 v24, 3, v24
	v_lshlrev_b32_e32 v25, 3, v25
	v_bfe_i32 v32, v11, 16, 8
	v_lshlrev_b32_e32 v22, 3, v22
	v_lshlrev_b32_e32 v19, 3, v19
	s_clause 0x3
	global_load_b32 v24, v24, s[2:3]
	global_load_b32 v25, v25, s[2:3]
	;; [unrolled: 1-line block ×4, first 2 shown]
	global_load_b32 v20, v[20:21], off
	v_bfe_i32 v11, v11, 0, 8
	s_wait_loadcnt 0x6
	v_lshrrev_b16 v40, 8, v17
	v_ashrrev_i32_e32 v47, 24, v17
	v_bfe_i32 v48, v17, 16, 8
	v_bfe_i32 v17, v17, 0, 8
	v_lshrrev_b16 v21, 8, v10
	v_lshrrev_b16 v27, 8, v12
	v_lshrrev_b16 v28, 8, v13
	v_bfe_i32 v29, v10, 16, 8
	v_ashrrev_i32_e32 v35, 24, v13
	v_bfe_i32 v36, v13, 16, 8
	v_bfe_i32 v13, v13, 0, 8
	;; [unrolled: 1-line block ×3, first 2 shown]
	v_ashrrev_i32_e32 v10, 24, v10
	v_ashrrev_i32_e32 v33, 24, v12
	v_lshrrev_b16 v37, 8, v14
	v_lshrrev_b16 v38, 8, v15
	v_ashrrev_i32_e32 v43, 24, v15
	v_bfe_i32 v44, v15, 16, 8
	v_bfe_i32 v15, v15, 0, 8
	;; [unrolled: 1-line block ×7, first 2 shown]
	v_lshrrev_b16 v39, 8, v16
	v_ashrrev_i32_e32 v41, 24, v14
	v_bfe_i32 v28, v28, 0, 8
	v_bfe_i32 v37, v37, 0, 8
	;; [unrolled: 1-line block ×4, first 2 shown]
	v_ashrrev_i32_e32 v45, 24, v16
	v_bfe_i32 v38, v38, 0, 8
	v_bfe_i32 v39, v39, 0, 8
	;; [unrolled: 1-line block ×5, first 2 shown]
	s_wait_loadcnt 0x4
	v_lshrrev_b32_e32 v51, 4, v24
	v_bfe_u32 v49, v24, 24, 4
	v_and_b32_e32 v50, 0xf0f0f0f, v24
	v_lshrrev_b32_e32 v52, 28, v24
	v_bfe_u32 v53, v24, 16, 4
	v_and_b32_e32 v54, 15, v24
	v_bfe_u32 v55, v24, 20, 4
	v_bfe_u32 v24, v24, 4, 4
	s_wait_loadcnt 0x3
	v_and_b32_e32 v57, 0xf0f0f0f, v25
	v_lshrrev_b32_e32 v58, 4, v25
	s_wait_loadcnt 0x1
	v_bfe_u32 v70, v19, 24, 4
	v_and_b32_e32 v71, 0xf0f0f0f, v19
	v_lshrrev_b32_e32 v72, 4, v19
	v_lshrrev_b32_e32 v73, 28, v19
	v_bfe_u32 v74, v19, 16, 4
	v_and_b32_e32 v75, 15, v19
	v_bfe_u32 v76, v19, 20, 4
	v_bfe_u32 v19, v19, 4, 4
	v_lshrrev_b16 v51, 8, v51
	v_bfe_u32 v56, v25, 24, 4
	v_lshrrev_b32_e32 v59, 28, v25
	v_bfe_u32 v60, v25, 16, 4
	v_and_b32_e32 v61, 15, v25
	v_bfe_u32 v62, v25, 20, 4
	v_bfe_u32 v25, v25, 4, 4
	v_and_b32_e32 v64, 0xf0f0f0f, v22
	v_lshrrev_b32_e32 v65, 4, v22
	v_lshrrev_b16 v50, 8, v50
	v_mul_i32_i24_e32 v11, v24, v11
	v_mul_i32_i24_e32 v24, v55, v32
	;; [unrolled: 1-line block ×3, first 2 shown]
	v_lshrrev_b16 v32, 8, v57
	v_lshrrev_b16 v52, 8, v58
	v_mul_i32_i24_e32 v17, v19, v17
	v_mul_i32_i24_e32 v19, v76, v48
	v_and_b32_e32 v48, 15, v51
	v_bfe_u32 v63, v22, 24, 4
	v_lshrrev_b32_e32 v66, 28, v22
	v_bfe_u32 v67, v22, 16, 4
	v_and_b32_e32 v68, 15, v22
	v_bfe_u32 v69, v22, 20, 4
	v_bfe_u32 v22, v22, 4, 4
	v_mul_i32_i24_e32 v13, v25, v13
	v_mul_i32_i24_e32 v25, v62, v36
	v_lshrrev_b16 v36, 8, v64
	v_lshrrev_b16 v55, 8, v65
	v_and_b32_e32 v50, 0xffff, v50
	v_and_b32_e32 v51, 15, v52
	;; [unrolled: 1-line block ×3, first 2 shown]
	v_mad_i32_i24 v24, v53, v29, v24
	v_and_b32_e32 v29, 0xffff, v48
	v_mul_i32_i24_e32 v33, v33, v56
	v_mul_i32_i24_e32 v35, v59, v35
	;; [unrolled: 1-line block ×4, first 2 shown]
	v_lshrrev_b16 v44, 8, v71
	v_lshrrev_b16 v56, 8, v72
	v_and_b32_e32 v52, 15, v55
	v_and_b32_e32 v36, 0xffff, v36
	v_mad_i32_i24 v10, v49, v10, v31
	v_mad_i32_i24 v11, v54, v30, v11
	v_mul_i32_i24_e32 v21, v50, v21
	v_mul_i32_i24_e32 v27, v27, v32
	v_and_b32_e32 v30, 0xffff, v51
	v_mul_i32_i24_e32 v26, v29, v26
	v_mul_i32_i24_e32 v12, v12, v61
	;; [unrolled: 1-line block ×5, first 2 shown]
	v_and_b32_e32 v55, 15, v56
	v_and_b32_e32 v44, 0xffff, v44
	v_mul_i32_i24_e32 v31, v37, v36
	v_and_b32_e32 v32, 0xffff, v52
	v_add3_u32 v10, v10, v33, v35
	v_mul_i32_i24_e32 v28, v30, v28
	v_add3_u32 v21, v21, v26, v27
	v_mul_i32_i24_e32 v14, v14, v68
	v_mul_i32_i24_e32 v42, v42, v67
	;; [unrolled: 1-line block ×5, first 2 shown]
	v_and_b32_e32 v36, 0xffff, v55
	v_add3_u32 v24, v24, v34, v25
	v_add3_u32 v11, v11, v12, v13
	v_mul_i32_i24_e32 v12, v32, v38
	v_add3_u32 v10, v10, v41, v43
	v_add3_u32 v13, v21, v28, v31
	v_mul_i32_i24_e32 v16, v16, v75
	v_mul_i32_i24_e32 v46, v46, v74
	;; [unrolled: 1-line block ×3, first 2 shown]
	v_add3_u32 v11, v11, v14, v15
	v_add3_u32 v14, v24, v42, v22
	;; [unrolled: 1-line block ×4, first 2 shown]
	s_delay_alu instid0(VALU_DEP_4) | instskip(NEXT) | instid1(VALU_DEP_4)
	v_add3_u32 v11, v11, v16, v17
	v_add3_u32 v13, v14, v46, v19
	v_and_b32_e32 v14, 0x8000, v23
	s_delay_alu instid0(VALU_DEP_4) | instskip(SKIP_1) | instid1(VALU_DEP_2)
	v_add3_u32 v10, v12, v21, v10
	v_lshrrev_b32_e32 v12, 11, v23
	v_add3_u32 v10, v11, v13, v10
	s_wait_loadcnt 0x0
	v_cvt_f32_f16_e32 v11, v20
	s_delay_alu instid0(VALU_DEP_3) | instskip(SKIP_3) | instid1(VALU_DEP_4)
	v_and_or_b32 v12, v12, 14, 1
	v_cvt_f32_u32_e32 v13, v14
	v_cvt_f32_f16_e32 v14, v18
	v_cvt_f32_i32_e32 v10, v10
	v_cvt_f32_ubyte0_e32 v12, v12
	s_delay_alu instid0(VALU_DEP_2) | instskip(NEXT) | instid1(VALU_DEP_2)
	v_dual_fmaak_f32 v13, s10, v13, 0xbf600000 :: v_dual_mul_f32 v10, v11, v10
	v_mul_f32_e32 v11, v12, v14
	s_delay_alu instid0(VALU_DEP_2) | instskip(NEXT) | instid1(VALU_DEP_1)
	v_fma_mix_f32 v10, v13, v20, v10 op_sel:[0,1,0] op_sel_hi:[0,1,0]
	v_fmac_f32_e32 v5, v11, v10
	s_wait_alu 0xfffe
	s_and_not1_b32 exec_lo, exec_lo, s4
	s_cbranch_execnz .LBB91_3
; %bb.4:
	s_or_b32 exec_lo, exec_lo, s4
.LBB91_5:
	s_delay_alu instid0(SALU_CYCLE_1) | instskip(SKIP_1) | instid1(VALU_DEP_1)
	s_or_b32 exec_lo, exec_lo, s8
	v_mbcnt_lo_u32_b32 v2, -1, 0
	v_xor_b32_e32 v3, 16, v2
	v_xor_b32_e32 v4, 8, v2
	s_delay_alu instid0(VALU_DEP_2) | instskip(SKIP_2) | instid1(VALU_DEP_3)
	v_cmp_gt_i32_e32 vcc_lo, 32, v3
	s_wait_alu 0xfffd
	v_cndmask_b32_e32 v3, v2, v3, vcc_lo
	v_cmp_gt_i32_e32 vcc_lo, 32, v4
	s_wait_alu 0xfffd
	v_cndmask_b32_e32 v4, v2, v4, vcc_lo
	s_delay_alu instid0(VALU_DEP_1)
	v_lshlrev_b32_e32 v4, 2, v4
	v_lshlrev_b32_e32 v3, 2, v3
	ds_bpermute_b32 v3, v3, v5
	s_wait_dscnt 0x0
	v_add_f32_e32 v3, v5, v3
	v_xor_b32_e32 v5, 4, v2
	ds_bpermute_b32 v4, v4, v3
	v_cmp_gt_i32_e32 vcc_lo, 32, v5
	s_wait_alu 0xfffd
	v_cndmask_b32_e32 v5, v2, v5, vcc_lo
	s_delay_alu instid0(VALU_DEP_1) | instskip(SKIP_4) | instid1(VALU_DEP_1)
	v_lshlrev_b32_e32 v5, 2, v5
	s_wait_dscnt 0x0
	v_add_f32_e32 v3, v3, v4
	ds_bpermute_b32 v4, v5, v3
	v_xor_b32_e32 v5, 2, v2
	v_cmp_gt_i32_e32 vcc_lo, 32, v5
	s_wait_alu 0xfffd
	v_cndmask_b32_e32 v5, v2, v5, vcc_lo
	s_delay_alu instid0(VALU_DEP_1) | instskip(SKIP_4) | instid1(VALU_DEP_1)
	v_lshlrev_b32_e32 v5, 2, v5
	s_wait_dscnt 0x0
	v_add_f32_e32 v3, v3, v4
	ds_bpermute_b32 v4, v5, v3
	v_xor_b32_e32 v5, 1, v2
	v_cmp_gt_i32_e32 vcc_lo, 32, v5
	s_wait_alu 0xfffd
	v_cndmask_b32_e32 v5, v2, v5, vcc_lo
	v_cmp_eq_u32_e32 vcc_lo, 0, v0
	s_wait_dscnt 0x0
	s_delay_alu instid0(VALU_DEP_2)
	v_dual_add_f32 v2, v3, v4 :: v_dual_lshlrev_b32 v3, 2, v5
	ds_bpermute_b32 v3, v3, v2
	s_and_b32 exec_lo, exec_lo, vcc_lo
	s_cbranch_execz .LBB91_7
; %bb.6:
	v_mad_co_u64_u32 v[0:1], null, s5, ttmp7, v[1:2]
	s_wait_dscnt 0x0
	v_dual_mov_b32 v1, 0 :: v_dual_add_f32 v2, v2, v3
	s_delay_alu instid0(VALU_DEP_1) | instskip(NEXT) | instid1(VALU_DEP_2)
	v_cvt_f16_f32_e32 v2, v2
	v_lshlrev_b64_e32 v[0:1], 1, v[0:1]
	s_wait_kmcnt 0x0
	s_delay_alu instid0(VALU_DEP_1) | instskip(SKIP_1) | instid1(VALU_DEP_2)
	v_add_co_u32 v0, vcc_lo, s6, v0
	s_wait_alu 0xfffd
	v_add_co_ci_u32_e64 v1, null, s7, v1, vcc_lo
	global_store_b16 v[0:1], v2, off
.LBB91_7:
	s_endpgm
	.section	.rodata,"a",@progbits
	.p2align	6, 0x0
	.amdhsa_kernel _ZL13mul_mat_vec_qIN3c104HalfELi256ELi8E11block_iq1_sLi1EXadL_ZL18vec_dot_iq1_s_q8_1PKvPK10block_q8_1RKiEEEvS4_S4_PT_iii
		.amdhsa_group_segment_fixed_size 0
		.amdhsa_private_segment_fixed_size 0
		.amdhsa_kernarg_size 296
		.amdhsa_user_sgpr_count 2
		.amdhsa_user_sgpr_dispatch_ptr 0
		.amdhsa_user_sgpr_queue_ptr 0
		.amdhsa_user_sgpr_kernarg_segment_ptr 1
		.amdhsa_user_sgpr_dispatch_id 0
		.amdhsa_user_sgpr_private_segment_size 0
		.amdhsa_wavefront_size32 1
		.amdhsa_uses_dynamic_stack 0
		.amdhsa_enable_private_segment 0
		.amdhsa_system_sgpr_workgroup_id_x 1
		.amdhsa_system_sgpr_workgroup_id_y 1
		.amdhsa_system_sgpr_workgroup_id_z 0
		.amdhsa_system_sgpr_workgroup_info 0
		.amdhsa_system_vgpr_workitem_id 1
		.amdhsa_next_free_vgpr 77
		.amdhsa_next_free_sgpr 11
		.amdhsa_reserve_vcc 1
		.amdhsa_float_round_mode_32 0
		.amdhsa_float_round_mode_16_64 0
		.amdhsa_float_denorm_mode_32 3
		.amdhsa_float_denorm_mode_16_64 3
		.amdhsa_fp16_overflow 0
		.amdhsa_workgroup_processor_mode 1
		.amdhsa_memory_ordered 1
		.amdhsa_forward_progress 1
		.amdhsa_inst_pref_size 16
		.amdhsa_round_robin_scheduling 0
		.amdhsa_exception_fp_ieee_invalid_op 0
		.amdhsa_exception_fp_denorm_src 0
		.amdhsa_exception_fp_ieee_div_zero 0
		.amdhsa_exception_fp_ieee_overflow 0
		.amdhsa_exception_fp_ieee_underflow 0
		.amdhsa_exception_fp_ieee_inexact 0
		.amdhsa_exception_int_div_zero 0
	.end_amdhsa_kernel
	.section	.text._ZL13mul_mat_vec_qIN3c104HalfELi256ELi8E11block_iq1_sLi1EXadL_ZL18vec_dot_iq1_s_q8_1PKvPK10block_q8_1RKiEEEvS4_S4_PT_iii,"axG",@progbits,_ZL13mul_mat_vec_qIN3c104HalfELi256ELi8E11block_iq1_sLi1EXadL_ZL18vec_dot_iq1_s_q8_1PKvPK10block_q8_1RKiEEEvS4_S4_PT_iii,comdat
.Lfunc_end91:
	.size	_ZL13mul_mat_vec_qIN3c104HalfELi256ELi8E11block_iq1_sLi1EXadL_ZL18vec_dot_iq1_s_q8_1PKvPK10block_q8_1RKiEEEvS4_S4_PT_iii, .Lfunc_end91-_ZL13mul_mat_vec_qIN3c104HalfELi256ELi8E11block_iq1_sLi1EXadL_ZL18vec_dot_iq1_s_q8_1PKvPK10block_q8_1RKiEEEvS4_S4_PT_iii
                                        ; -- End function
	.set _ZL13mul_mat_vec_qIN3c104HalfELi256ELi8E11block_iq1_sLi1EXadL_ZL18vec_dot_iq1_s_q8_1PKvPK10block_q8_1RKiEEEvS4_S4_PT_iii.num_vgpr, 77
	.set _ZL13mul_mat_vec_qIN3c104HalfELi256ELi8E11block_iq1_sLi1EXadL_ZL18vec_dot_iq1_s_q8_1PKvPK10block_q8_1RKiEEEvS4_S4_PT_iii.num_agpr, 0
	.set _ZL13mul_mat_vec_qIN3c104HalfELi256ELi8E11block_iq1_sLi1EXadL_ZL18vec_dot_iq1_s_q8_1PKvPK10block_q8_1RKiEEEvS4_S4_PT_iii.numbered_sgpr, 11
	.set _ZL13mul_mat_vec_qIN3c104HalfELi256ELi8E11block_iq1_sLi1EXadL_ZL18vec_dot_iq1_s_q8_1PKvPK10block_q8_1RKiEEEvS4_S4_PT_iii.num_named_barrier, 0
	.set _ZL13mul_mat_vec_qIN3c104HalfELi256ELi8E11block_iq1_sLi1EXadL_ZL18vec_dot_iq1_s_q8_1PKvPK10block_q8_1RKiEEEvS4_S4_PT_iii.private_seg_size, 0
	.set _ZL13mul_mat_vec_qIN3c104HalfELi256ELi8E11block_iq1_sLi1EXadL_ZL18vec_dot_iq1_s_q8_1PKvPK10block_q8_1RKiEEEvS4_S4_PT_iii.uses_vcc, 1
	.set _ZL13mul_mat_vec_qIN3c104HalfELi256ELi8E11block_iq1_sLi1EXadL_ZL18vec_dot_iq1_s_q8_1PKvPK10block_q8_1RKiEEEvS4_S4_PT_iii.uses_flat_scratch, 0
	.set _ZL13mul_mat_vec_qIN3c104HalfELi256ELi8E11block_iq1_sLi1EXadL_ZL18vec_dot_iq1_s_q8_1PKvPK10block_q8_1RKiEEEvS4_S4_PT_iii.has_dyn_sized_stack, 0
	.set _ZL13mul_mat_vec_qIN3c104HalfELi256ELi8E11block_iq1_sLi1EXadL_ZL18vec_dot_iq1_s_q8_1PKvPK10block_q8_1RKiEEEvS4_S4_PT_iii.has_recursion, 0
	.set _ZL13mul_mat_vec_qIN3c104HalfELi256ELi8E11block_iq1_sLi1EXadL_ZL18vec_dot_iq1_s_q8_1PKvPK10block_q8_1RKiEEEvS4_S4_PT_iii.has_indirect_call, 0
	.section	.AMDGPU.csdata,"",@progbits
; Kernel info:
; codeLenInByte = 1936
; TotalNumSgprs: 13
; NumVgprs: 77
; ScratchSize: 0
; MemoryBound: 0
; FloatMode: 240
; IeeeMode: 1
; LDSByteSize: 0 bytes/workgroup (compile time only)
; SGPRBlocks: 0
; VGPRBlocks: 9
; NumSGPRsForWavesPerEU: 13
; NumVGPRsForWavesPerEU: 77
; Occupancy: 16
; WaveLimiterHint : 0
; COMPUTE_PGM_RSRC2:SCRATCH_EN: 0
; COMPUTE_PGM_RSRC2:USER_SGPR: 2
; COMPUTE_PGM_RSRC2:TRAP_HANDLER: 0
; COMPUTE_PGM_RSRC2:TGID_X_EN: 1
; COMPUTE_PGM_RSRC2:TGID_Y_EN: 1
; COMPUTE_PGM_RSRC2:TGID_Z_EN: 0
; COMPUTE_PGM_RSRC2:TIDIG_COMP_CNT: 1
	.section	.text._ZL13mul_mat_vec_qIN3c104HalfELi32ELi4E12block_iq4_nlLi2EXadL_ZL19vec_dot_iq4_nl_q8_1PKvPK10block_q8_1RKiEEEvS4_S4_PT_iii,"axG",@progbits,_ZL13mul_mat_vec_qIN3c104HalfELi32ELi4E12block_iq4_nlLi2EXadL_ZL19vec_dot_iq4_nl_q8_1PKvPK10block_q8_1RKiEEEvS4_S4_PT_iii,comdat
	.globl	_ZL13mul_mat_vec_qIN3c104HalfELi32ELi4E12block_iq4_nlLi2EXadL_ZL19vec_dot_iq4_nl_q8_1PKvPK10block_q8_1RKiEEEvS4_S4_PT_iii ; -- Begin function _ZL13mul_mat_vec_qIN3c104HalfELi32ELi4E12block_iq4_nlLi2EXadL_ZL19vec_dot_iq4_nl_q8_1PKvPK10block_q8_1RKiEEEvS4_S4_PT_iii
	.p2align	8
	.type	_ZL13mul_mat_vec_qIN3c104HalfELi32ELi4E12block_iq4_nlLi2EXadL_ZL19vec_dot_iq4_nl_q8_1PKvPK10block_q8_1RKiEEEvS4_S4_PT_iii,@function
_ZL13mul_mat_vec_qIN3c104HalfELi32ELi4E12block_iq4_nlLi2EXadL_ZL19vec_dot_iq4_nl_q8_1PKvPK10block_q8_1RKiEEEvS4_S4_PT_iii: ; @_ZL13mul_mat_vec_qIN3c104HalfELi32ELi4E12block_iq4_nlLi2EXadL_ZL19vec_dot_iq4_nl_q8_1PKvPK10block_q8_1RKiEEEvS4_S4_PT_iii
; %bb.0:
	s_clause 0x1
	s_load_u16 s2, s[0:1], 0x36
	s_load_b96 s[4:6], s[0:1], 0x18
	v_bfe_u32 v1, v0, 10, 10
	s_wait_kmcnt 0x0
	s_delay_alu instid0(VALU_DEP_1)
	v_mad_co_u64_u32 v[1:2], null, ttmp9, s2, v[1:2]
	s_cmp_lt_u32 ttmp7, s6
	s_cselect_b32 s2, -1, 0
	v_cmp_gt_u32_e32 vcc_lo, s5, v1
	s_wait_alu 0xfffe
	s_and_b32 s2, s2, vcc_lo
	s_wait_alu 0xfffe
	s_and_saveexec_b32 s3, s2
	s_cbranch_execz .LBB92_7
; %bb.1:
	s_load_b64 s[6:7], s[0:1], 0x10
	s_ashr_i32 s2, s4, 31
	v_bfe_u32 v2, v0, 1, 9
	s_wait_alu 0xfffe
	s_lshr_b32 s2, s2, 27
	v_dual_mov_b32 v3, 0 :: v_dual_and_b32 v0, 0x3ff, v0
	s_wait_alu 0xfffe
	s_add_co_i32 s2, s4, s2
	s_mov_b32 s8, exec_lo
	s_wait_alu 0xfffe
	s_ashr_i32 s9, s2, 5
	s_delay_alu instid0(SALU_CYCLE_1)
	v_cmpx_gt_u32_e64 s9, v2
	s_cbranch_execz .LBB92_5
; %bb.2:
	v_lshlrev_b32_e32 v3, 1, v0
	s_load_b128 s[0:3], s[0:1], 0x0
	s_addk_co_i32 s4, 0x1ff
	v_mul_lo_u32 v4, v1, s9
	s_wait_alu 0xfffe
	s_ashr_i32 s10, s4, 31
	v_dual_mov_b32 v3, 0 :: v_dual_and_b32 v6, 2, v3
	s_lshr_b32 s10, s10, 23
	s_delay_alu instid0(SALU_CYCLE_1) | instskip(NEXT) | instid1(VALU_DEP_1)
	s_add_co_i32 s4, s4, s10
	v_lshlrev_b32_e32 v5, 1, v6
	s_wait_alu 0xfffe
	s_ashr_i32 s4, s4, 9
	v_lshlrev_b32_e32 v6, 2, v6
	s_wait_alu 0xfffe
	s_mul_i32 s4, ttmp7, s4
	s_wait_alu 0xfffe
	s_lshl_b32 s10, s4, 4
	v_lshlrev_b32_e32 v5, 1, v5
	s_mov_b32 s4, 0
	s_getpc_b64 s[12:13]
	s_sext_i32_i16 s13, s13
	s_add_co_u32 s12, s12, _ZL13kvalues_iq4nl@rel32@lo+8
	s_add_co_ci_u32 s13, s13, _ZL13kvalues_iq4nl@rel32@hi+16
.LBB92_3:                               ; =>This Inner Loop Header: Depth=1
	v_add_nc_u32_e32 v7, v4, v2
	v_add_nc_u32_e32 v11, s10, v2
	s_wait_kmcnt 0x0
	s_delay_alu instid0(VALU_DEP_2) | instskip(NEXT) | instid1(VALU_DEP_2)
	v_mad_co_i64_i32 v[7:8], null, v7, 18, s[0:1]
	v_mad_co_i64_i32 v[11:12], null, v11, 36, s[2:3]
	s_delay_alu instid0(VALU_DEP_2) | instskip(SKIP_1) | instid1(VALU_DEP_3)
	v_add_co_u32 v9, vcc_lo, v7, v5
	s_wait_alu 0xfffd
	v_add_co_ci_u32_e64 v10, null, 0, v8, vcc_lo
	s_delay_alu instid0(VALU_DEP_3) | instskip(SKIP_1) | instid1(VALU_DEP_4)
	v_add_co_u32 v13, vcc_lo, v11, v6
	s_wait_alu 0xfffd
	v_add_co_ci_u32_e64 v14, null, 0, v12, vcc_lo
	global_load_b64 v[9:10], v[9:10], off offset:2
	global_load_b64 v[15:16], v[13:14], off offset:4
	s_wait_loadcnt 0x1
	v_and_b32_e32 v18, 15, v9
	v_bfe_u32 v19, v9, 8, 4
	v_bfe_u32 v20, v9, 16, 4
	;; [unrolled: 1-line block ×5, first 2 shown]
	v_lshrrev_b32_e32 v23, 28, v9
	v_bfe_u32 v9, v9, 4, 4
	s_clause 0x7
	global_load_i8 v18, v18, s[12:13]
	global_load_i8 v19, v19, s[12:13]
	;; [unrolled: 1-line block ×8, first 2 shown]
	v_and_b32_e32 v25, 15, v10
	v_bfe_u32 v26, v10, 8, 4
	v_bfe_u32 v27, v10, 16, 4
	;; [unrolled: 1-line block ×5, first 2 shown]
	v_lshrrev_b32_e32 v30, 28, v10
	v_bfe_u32 v9, v10, 4, 4
	s_clause 0x7
	global_load_i8 v25, v25, s[12:13]
	global_load_i8 v26, v26, s[12:13]
	;; [unrolled: 1-line block ×8, first 2 shown]
	global_load_b64 v[9:10], v[13:14], off offset:20
	global_load_u16 v7, v[7:8], off
	global_load_b32 v8, v[11:12], off
	s_wait_loadcnt 0x11
	v_perm_b32 v11, v19, v18, 0xc0c0400
	s_wait_loadcnt 0xe
	v_perm_b32 v13, v21, v31, 0xc0c0400
	;; [unrolled: 2-line block ×4, first 2 shown]
	s_delay_alu instid0(VALU_DEP_2) | instskip(NEXT) | instid1(VALU_DEP_2)
	v_or_b32_e32 v13, v14, v13
	v_or_b32_e32 v11, v12, v11
	s_wait_loadcnt 0x9
	v_perm_b32 v12, v26, v25, 0xc0c0400
	s_wait_loadcnt 0x4
	v_perm_b32 v17, v24, v27, 0x4000c0c
	;; [unrolled: 2-line block ×3, first 2 shown]
	s_wait_loadcnt 0x1
	v_cvt_f32_f16_e32 v7, v7
	v_dot4_i32_iu8 v11, v15, v11, 0 neg_lo:[1,1,0]
	v_perm_b32 v15, v30, v29, 0x4000c0c
	v_or_b32_e32 v12, v17, v12
	s_wait_loadcnt 0x0
	v_cvt_f32_f16_e32 v8, v8
	v_dot4_i32_iu8 v9, v9, v13, v11 neg_lo:[1,1,0]
	v_or_b32_e32 v11, v15, v14
	s_delay_alu instid0(VALU_DEP_3) | instskip(NEXT) | instid1(VALU_DEP_3)
	v_mul_f32_e32 v7, v7, v8
	v_dot4_i32_iu8 v9, v16, v12, v9 neg_lo:[1,1,0]
	s_delay_alu instid0(VALU_DEP_1) | instskip(NEXT) | instid1(VALU_DEP_1)
	v_dot4_i32_iu8 v9, v10, v11, v9 neg_lo:[1,1,0]
	v_cvt_f32_i32_e32 v8, v9
	s_delay_alu instid0(VALU_DEP_1) | instskip(NEXT) | instid1(VALU_DEP_1)
	v_dual_fmac_f32 v3, v7, v8 :: v_dual_add_nc_u32 v2, 16, v2
	v_cmp_le_u32_e32 vcc_lo, s9, v2
	s_wait_alu 0xfffe
	s_or_b32 s4, vcc_lo, s4
	s_wait_alu 0xfffe
	s_and_not1_b32 exec_lo, exec_lo, s4
	s_cbranch_execnz .LBB92_3
; %bb.4:
	s_or_b32 exec_lo, exec_lo, s4
.LBB92_5:
	s_delay_alu instid0(SALU_CYCLE_1) | instskip(SKIP_1) | instid1(VALU_DEP_1)
	s_or_b32 exec_lo, exec_lo, s8
	v_mbcnt_lo_u32_b32 v2, -1, 0
	v_xor_b32_e32 v4, 16, v2
	v_xor_b32_e32 v5, 8, v2
	s_delay_alu instid0(VALU_DEP_2) | instskip(SKIP_2) | instid1(VALU_DEP_3)
	v_cmp_gt_i32_e32 vcc_lo, 32, v4
	s_wait_alu 0xfffd
	v_cndmask_b32_e32 v4, v2, v4, vcc_lo
	v_cmp_gt_i32_e32 vcc_lo, 32, v5
	s_wait_alu 0xfffd
	v_cndmask_b32_e32 v5, v2, v5, vcc_lo
	s_delay_alu instid0(VALU_DEP_1)
	v_lshlrev_b32_e32 v5, 2, v5
	v_lshlrev_b32_e32 v4, 2, v4
	ds_bpermute_b32 v4, v4, v3
	s_wait_dscnt 0x0
	v_add_f32_e32 v3, v3, v4
	ds_bpermute_b32 v4, v5, v3
	v_xor_b32_e32 v5, 4, v2
	s_delay_alu instid0(VALU_DEP_1) | instskip(SKIP_2) | instid1(VALU_DEP_1)
	v_cmp_gt_i32_e32 vcc_lo, 32, v5
	s_wait_alu 0xfffd
	v_cndmask_b32_e32 v5, v2, v5, vcc_lo
	v_lshlrev_b32_e32 v5, 2, v5
	s_wait_dscnt 0x0
	v_add_f32_e32 v3, v3, v4
	ds_bpermute_b32 v4, v5, v3
	v_xor_b32_e32 v5, 2, v2
	s_delay_alu instid0(VALU_DEP_1) | instskip(SKIP_2) | instid1(VALU_DEP_1)
	v_cmp_gt_i32_e32 vcc_lo, 32, v5
	s_wait_alu 0xfffd
	v_cndmask_b32_e32 v5, v2, v5, vcc_lo
	v_lshlrev_b32_e32 v5, 2, v5
	s_wait_dscnt 0x0
	v_add_f32_e32 v3, v3, v4
	ds_bpermute_b32 v4, v5, v3
	v_xor_b32_e32 v5, 1, v2
	s_delay_alu instid0(VALU_DEP_1) | instskip(SKIP_4) | instid1(VALU_DEP_2)
	v_cmp_gt_i32_e32 vcc_lo, 32, v5
	s_wait_alu 0xfffd
	v_cndmask_b32_e32 v5, v2, v5, vcc_lo
	v_cmp_eq_u32_e32 vcc_lo, 0, v0
	s_wait_dscnt 0x0
	v_dual_add_f32 v2, v3, v4 :: v_dual_lshlrev_b32 v3, 2, v5
	ds_bpermute_b32 v3, v3, v2
	s_and_b32 exec_lo, exec_lo, vcc_lo
	s_cbranch_execz .LBB92_7
; %bb.6:
	v_mad_co_u64_u32 v[0:1], null, s5, ttmp7, v[1:2]
	s_wait_dscnt 0x0
	v_dual_mov_b32 v1, 0 :: v_dual_add_f32 v2, v2, v3
	s_delay_alu instid0(VALU_DEP_1) | instskip(NEXT) | instid1(VALU_DEP_2)
	v_cvt_f16_f32_e32 v2, v2
	v_lshlrev_b64_e32 v[0:1], 1, v[0:1]
	s_wait_kmcnt 0x0
	s_delay_alu instid0(VALU_DEP_1) | instskip(SKIP_1) | instid1(VALU_DEP_2)
	v_add_co_u32 v0, vcc_lo, s6, v0
	s_wait_alu 0xfffd
	v_add_co_ci_u32_e64 v1, null, s7, v1, vcc_lo
	global_store_b16 v[0:1], v2, off
.LBB92_7:
	s_endpgm
	.section	.rodata,"a",@progbits
	.p2align	6, 0x0
	.amdhsa_kernel _ZL13mul_mat_vec_qIN3c104HalfELi32ELi4E12block_iq4_nlLi2EXadL_ZL19vec_dot_iq4_nl_q8_1PKvPK10block_q8_1RKiEEEvS4_S4_PT_iii
		.amdhsa_group_segment_fixed_size 0
		.amdhsa_private_segment_fixed_size 0
		.amdhsa_kernarg_size 296
		.amdhsa_user_sgpr_count 2
		.amdhsa_user_sgpr_dispatch_ptr 0
		.amdhsa_user_sgpr_queue_ptr 0
		.amdhsa_user_sgpr_kernarg_segment_ptr 1
		.amdhsa_user_sgpr_dispatch_id 0
		.amdhsa_user_sgpr_private_segment_size 0
		.amdhsa_wavefront_size32 1
		.amdhsa_uses_dynamic_stack 0
		.amdhsa_enable_private_segment 0
		.amdhsa_system_sgpr_workgroup_id_x 1
		.amdhsa_system_sgpr_workgroup_id_y 1
		.amdhsa_system_sgpr_workgroup_id_z 0
		.amdhsa_system_sgpr_workgroup_info 0
		.amdhsa_system_vgpr_workitem_id 1
		.amdhsa_next_free_vgpr 33
		.amdhsa_next_free_sgpr 14
		.amdhsa_reserve_vcc 1
		.amdhsa_float_round_mode_32 0
		.amdhsa_float_round_mode_16_64 0
		.amdhsa_float_denorm_mode_32 3
		.amdhsa_float_denorm_mode_16_64 3
		.amdhsa_fp16_overflow 0
		.amdhsa_workgroup_processor_mode 1
		.amdhsa_memory_ordered 1
		.amdhsa_forward_progress 1
		.amdhsa_inst_pref_size 10
		.amdhsa_round_robin_scheduling 0
		.amdhsa_exception_fp_ieee_invalid_op 0
		.amdhsa_exception_fp_denorm_src 0
		.amdhsa_exception_fp_ieee_div_zero 0
		.amdhsa_exception_fp_ieee_overflow 0
		.amdhsa_exception_fp_ieee_underflow 0
		.amdhsa_exception_fp_ieee_inexact 0
		.amdhsa_exception_int_div_zero 0
	.end_amdhsa_kernel
	.section	.text._ZL13mul_mat_vec_qIN3c104HalfELi32ELi4E12block_iq4_nlLi2EXadL_ZL19vec_dot_iq4_nl_q8_1PKvPK10block_q8_1RKiEEEvS4_S4_PT_iii,"axG",@progbits,_ZL13mul_mat_vec_qIN3c104HalfELi32ELi4E12block_iq4_nlLi2EXadL_ZL19vec_dot_iq4_nl_q8_1PKvPK10block_q8_1RKiEEEvS4_S4_PT_iii,comdat
.Lfunc_end92:
	.size	_ZL13mul_mat_vec_qIN3c104HalfELi32ELi4E12block_iq4_nlLi2EXadL_ZL19vec_dot_iq4_nl_q8_1PKvPK10block_q8_1RKiEEEvS4_S4_PT_iii, .Lfunc_end92-_ZL13mul_mat_vec_qIN3c104HalfELi32ELi4E12block_iq4_nlLi2EXadL_ZL19vec_dot_iq4_nl_q8_1PKvPK10block_q8_1RKiEEEvS4_S4_PT_iii
                                        ; -- End function
	.set _ZL13mul_mat_vec_qIN3c104HalfELi32ELi4E12block_iq4_nlLi2EXadL_ZL19vec_dot_iq4_nl_q8_1PKvPK10block_q8_1RKiEEEvS4_S4_PT_iii.num_vgpr, 33
	.set _ZL13mul_mat_vec_qIN3c104HalfELi32ELi4E12block_iq4_nlLi2EXadL_ZL19vec_dot_iq4_nl_q8_1PKvPK10block_q8_1RKiEEEvS4_S4_PT_iii.num_agpr, 0
	.set _ZL13mul_mat_vec_qIN3c104HalfELi32ELi4E12block_iq4_nlLi2EXadL_ZL19vec_dot_iq4_nl_q8_1PKvPK10block_q8_1RKiEEEvS4_S4_PT_iii.numbered_sgpr, 14
	.set _ZL13mul_mat_vec_qIN3c104HalfELi32ELi4E12block_iq4_nlLi2EXadL_ZL19vec_dot_iq4_nl_q8_1PKvPK10block_q8_1RKiEEEvS4_S4_PT_iii.num_named_barrier, 0
	.set _ZL13mul_mat_vec_qIN3c104HalfELi32ELi4E12block_iq4_nlLi2EXadL_ZL19vec_dot_iq4_nl_q8_1PKvPK10block_q8_1RKiEEEvS4_S4_PT_iii.private_seg_size, 0
	.set _ZL13mul_mat_vec_qIN3c104HalfELi32ELi4E12block_iq4_nlLi2EXadL_ZL19vec_dot_iq4_nl_q8_1PKvPK10block_q8_1RKiEEEvS4_S4_PT_iii.uses_vcc, 1
	.set _ZL13mul_mat_vec_qIN3c104HalfELi32ELi4E12block_iq4_nlLi2EXadL_ZL19vec_dot_iq4_nl_q8_1PKvPK10block_q8_1RKiEEEvS4_S4_PT_iii.uses_flat_scratch, 0
	.set _ZL13mul_mat_vec_qIN3c104HalfELi32ELi4E12block_iq4_nlLi2EXadL_ZL19vec_dot_iq4_nl_q8_1PKvPK10block_q8_1RKiEEEvS4_S4_PT_iii.has_dyn_sized_stack, 0
	.set _ZL13mul_mat_vec_qIN3c104HalfELi32ELi4E12block_iq4_nlLi2EXadL_ZL19vec_dot_iq4_nl_q8_1PKvPK10block_q8_1RKiEEEvS4_S4_PT_iii.has_recursion, 0
	.set _ZL13mul_mat_vec_qIN3c104HalfELi32ELi4E12block_iq4_nlLi2EXadL_ZL19vec_dot_iq4_nl_q8_1PKvPK10block_q8_1RKiEEEvS4_S4_PT_iii.has_indirect_call, 0
	.section	.AMDGPU.csdata,"",@progbits
; Kernel info:
; codeLenInByte = 1268
; TotalNumSgprs: 16
; NumVgprs: 33
; ScratchSize: 0
; MemoryBound: 0
; FloatMode: 240
; IeeeMode: 1
; LDSByteSize: 0 bytes/workgroup (compile time only)
; SGPRBlocks: 0
; VGPRBlocks: 4
; NumSGPRsForWavesPerEU: 16
; NumVGPRsForWavesPerEU: 33
; Occupancy: 16
; WaveLimiterHint : 0
; COMPUTE_PGM_RSRC2:SCRATCH_EN: 0
; COMPUTE_PGM_RSRC2:USER_SGPR: 2
; COMPUTE_PGM_RSRC2:TRAP_HANDLER: 0
; COMPUTE_PGM_RSRC2:TGID_X_EN: 1
; COMPUTE_PGM_RSRC2:TGID_Y_EN: 1
; COMPUTE_PGM_RSRC2:TGID_Z_EN: 0
; COMPUTE_PGM_RSRC2:TIDIG_COMP_CNT: 1
	.section	.text._ZL13mul_mat_vec_qIN3c104HalfELi256ELi8E11block_iq3_sLi1EXadL_ZL18vec_dot_iq3_s_q8_1PKvPK10block_q8_1RKiEEEvS4_S4_PT_iii,"axG",@progbits,_ZL13mul_mat_vec_qIN3c104HalfELi256ELi8E11block_iq3_sLi1EXadL_ZL18vec_dot_iq3_s_q8_1PKvPK10block_q8_1RKiEEEvS4_S4_PT_iii,comdat
	.globl	_ZL13mul_mat_vec_qIN3c104HalfELi256ELi8E11block_iq3_sLi1EXadL_ZL18vec_dot_iq3_s_q8_1PKvPK10block_q8_1RKiEEEvS4_S4_PT_iii ; -- Begin function _ZL13mul_mat_vec_qIN3c104HalfELi256ELi8E11block_iq3_sLi1EXadL_ZL18vec_dot_iq3_s_q8_1PKvPK10block_q8_1RKiEEEvS4_S4_PT_iii
	.p2align	8
	.type	_ZL13mul_mat_vec_qIN3c104HalfELi256ELi8E11block_iq3_sLi1EXadL_ZL18vec_dot_iq3_s_q8_1PKvPK10block_q8_1RKiEEEvS4_S4_PT_iii,@function
_ZL13mul_mat_vec_qIN3c104HalfELi256ELi8E11block_iq3_sLi1EXadL_ZL18vec_dot_iq3_s_q8_1PKvPK10block_q8_1RKiEEEvS4_S4_PT_iii: ; @_ZL13mul_mat_vec_qIN3c104HalfELi256ELi8E11block_iq3_sLi1EXadL_ZL18vec_dot_iq3_s_q8_1PKvPK10block_q8_1RKiEEEvS4_S4_PT_iii
; %bb.0:
	s_clause 0x1
	s_load_u16 s2, s[0:1], 0x36
	s_load_b96 s[4:6], s[0:1], 0x18
	v_bfe_u32 v1, v0, 10, 10
	s_wait_kmcnt 0x0
	s_delay_alu instid0(VALU_DEP_1)
	v_mad_co_u64_u32 v[1:2], null, ttmp9, s2, v[1:2]
	s_cmp_lt_u32 ttmp7, s6
	s_cselect_b32 s2, -1, 0
	v_cmp_gt_u32_e32 vcc_lo, s5, v1
	s_wait_alu 0xfffe
	s_and_b32 s2, s2, vcc_lo
	s_wait_alu 0xfffe
	s_and_saveexec_b32 s3, s2
	s_cbranch_execz .LBB93_9
; %bb.1:
	s_load_b64 s[6:7], s[0:1], 0x10
	s_ashr_i32 s2, s4, 31
	v_bfe_u32 v19, v0, 3, 7
	s_wait_alu 0xfffe
	s_lshr_b32 s2, s2, 24
	v_and_b32_e32 v0, 0x3ff, v0
	v_mov_b32_e32 v18, 0
	s_wait_alu 0xfffe
	s_add_co_i32 s2, s4, s2
	s_mov_b32 s8, exec_lo
	s_wait_alu 0xfffe
	s_ashr_i32 s9, s2, 8
	s_delay_alu instid0(SALU_CYCLE_1)
	v_cmpx_gt_u32_e64 s9, v19
	s_cbranch_execz .LBB93_7
; %bb.2:
	s_load_b128 s[0:3], s[0:1], 0x0
	v_dual_mov_b32 v18, 0 :: v_dual_and_b32 v21, 7, v0
	s_addk_co_i32 s4, 0x1ff
	v_lshlrev_b32_e32 v2, 2, v0
	s_wait_alu 0xfffe
	s_ashr_i32 s10, s4, 31
	v_lshlrev_b32_e32 v3, 2, v21
	v_lshlrev_b32_e32 v6, 3, v21
	s_lshr_b32 s10, s10, 23
	v_mul_lo_u32 v20, v1, s9
	s_add_co_i32 s4, s4, s10
	v_and_b32_e32 v23, 4, v2
	s_wait_alu 0xfffe
	s_ashr_i32 s4, s4, 9
	v_bfe_u32 v22, v0, 1, 2
	s_wait_alu 0xfffe
	s_mul_i32 s4, ttmp7, s4
	v_add_nc_u32_e32 v24, v19, v20
	s_wait_kmcnt 0x0
	v_add_co_u32 v4, s10, s0, v3
	s_delay_alu instid0(VALU_DEP_1)
	v_add_co_ci_u32_e64 v5, null, s1, 0, s10
	v_mad_co_u64_u32 v[2:3], null, v21, 36, s[2:3]
	v_add_co_u32 v6, s2, s0, v6
	s_wait_alu 0xf1ff
	v_add_co_ci_u32_e64 v7, null, s1, 0, s2
	v_add_co_u32 v4, vcc_lo, 0x4a, v4
	s_delay_alu instid0(VALU_DEP_1)
	v_add_co_ci_u32_e64 v5, null, 0, v5, vcc_lo
	v_add_co_u32 v6, vcc_lo, v6, 2
	s_wait_alu 0xfffd
	v_add_co_ci_u32_e64 v7, null, 0, v7, vcc_lo
	s_wait_alu 0xfffe
	s_lshl_b32 s2, s4, 4
	s_mov_b32 s3, 0
.LBB93_3:                               ; =>This Loop Header: Depth=1
                                        ;     Child Loop BB93_4 Depth 2
	v_dual_mov_b32 v25, 0 :: v_dual_add_nc_u32 v8, v19, v20
	v_mad_co_i64_i32 v[12:13], null, 0x6e, v24, v[4:5]
	v_mad_co_i64_i32 v[14:15], null, 0x6e, v24, v[6:7]
	s_delay_alu instid0(VALU_DEP_3)
	v_mad_co_i64_i32 v[8:9], null, 0x6e, v8, s[0:1]
	s_mov_b32 s4, 7
	v_add_co_u32 v10, vcc_lo, v8, v21
	s_wait_alu 0xfffd
	v_add_co_ci_u32_e64 v11, null, 0, v9, vcc_lo
	global_load_u8 v26, v[10:11], off offset:66
	s_wait_alu 0xfffe
	v_lshl_add_u32 v10, v19, 3, s2
	s_delay_alu instid0(VALU_DEP_1) | instskip(NEXT) | instid1(VALU_DEP_1)
	v_mad_co_i64_i32 v[10:11], null, v10, 36, v[2:3]
	v_add_co_u32 v16, vcc_lo, v10, 4
	s_wait_alu 0xfffd
	s_delay_alu instid0(VALU_DEP_2)
	v_add_co_ci_u32_e64 v17, null, 0, v11, vcc_lo
.LBB93_4:                               ;   Parent Loop BB93_3 Depth=1
                                        ; =>  This Inner Loop Header: Depth=2
	global_load_u16 v27, v[14:15], off
	global_load_u8 v29, v[12:13], off
	s_add_co_i32 s12, s4, 1
	s_wait_loadcnt 0x2
	v_lshlrev_b32_e32 v28, s4, v26
	s_wait_alu 0xfffe
	v_lshlrev_b32_e32 v30, s12, v26
	s_getpc_b64 s[10:11]
	s_wait_alu 0xfffe
	s_sext_i32_i16 s11, s11
	s_add_co_u32 s10, s10, _ZL10iq3xs_grid@rel32@lo+12
	s_wait_alu 0xfffe
	s_add_co_ci_u32 s11, s11, _ZL10iq3xs_grid@rel32@hi+24
	s_add_co_i32 s4, s4, -2
	s_wait_alu 0xfffe
	s_cmp_lg_u32 s4, -1
	s_wait_loadcnt 0x1
	v_lshrrev_b16 v31, 8, v27
	v_and_b32_e32 v27, 0xff, v27
	s_wait_loadcnt 0x0
	v_and_b32_e32 v32, 15, v29
	v_lshrrev_b16 v29, 4, v29
	v_and_b32_e32 v31, 0xffff, v31
	v_and_or_b32 v27, 0x100, v30, v27
	s_delay_alu instid0(VALU_DEP_4) | instskip(NEXT) | instid1(VALU_DEP_4)
	v_and_b32_e32 v32, 0xffff, v32
	v_and_b32_e32 v29, 0xffff, v29
	s_delay_alu instid0(VALU_DEP_4) | instskip(NEXT) | instid1(VALU_DEP_4)
	v_and_or_b32 v28, 0x100, v28, v31
	v_lshlrev_b32_e32 v27, 2, v27
	s_delay_alu instid0(VALU_DEP_4) | instskip(NEXT) | instid1(VALU_DEP_4)
	v_mul_lo_u32 v32, 0x1010101, v32
	v_mul_lo_u32 v29, 0x1010101, v29
	s_delay_alu instid0(VALU_DEP_4)
	v_lshlrev_b32_e32 v28, 2, v28
	s_clause 0x1
	global_load_b32 v30, v27, s[10:11]
	global_load_b32 v31, v28, s[10:11]
	global_load_b64 v[27:28], v[16:17], off
	v_not_b32_e32 v32, v32
	v_add_co_u32 v16, vcc_lo, v16, 8
	s_wait_alu 0xfffd
	v_add_co_ci_u32_e64 v17, null, 0, v17, vcc_lo
	s_delay_alu instid0(VALU_DEP_3)
	v_and_b32_e32 v39, 0x8040201, v32
	v_and_b32_e32 v40, 0x40000, v32
	;; [unrolled: 1-line block ×3, first 2 shown]
	v_not_b32_e32 v29, v29
	v_and_b32_e32 v32, 1, v32
	v_cmp_gt_u32_e32 vcc_lo, 0x1000000, v39
	s_delay_alu instid0(VALU_DEP_3)
	v_and_b32_e32 v42, 0x8040201, v29
	v_and_b32_e32 v43, 0x40000, v29
	s_wait_alu 0xfffd
	v_cndmask_b32_e64 v39, 0, -1, vcc_lo
	v_cmp_eq_u32_e32 vcc_lo, 0, v40
	v_and_b32_e32 v44, 0x200, v29
	v_and_b32_e32 v29, 1, v29
	s_delay_alu instid0(VALU_DEP_4)
	v_lshlrev_b32_e32 v39, 24, v39
	s_wait_alu 0xfffd
	v_cndmask_b32_e64 v40, 0, 0xff0000, vcc_lo
	v_cmp_eq_u32_e32 vcc_lo, 0, v41
	s_wait_alu 0xfffd
	v_cndmask_b32_e64 v41, 0, 0xff00, vcc_lo
	v_cmp_eq_u32_e32 vcc_lo, 0, v32
	s_wait_alu 0xfffd
	v_cndmask_b32_e64 v32, 0, 0xff, vcc_lo
	v_cmp_gt_u32_e32 vcc_lo, 0x1000000, v42
	s_delay_alu instid0(VALU_DEP_2) | instskip(SKIP_3) | instid1(VALU_DEP_3)
	v_or_b32_e32 v45, v41, v32
	s_wait_alu 0xfffd
	v_cndmask_b32_e64 v42, 0, -1, vcc_lo
	v_cmp_eq_u32_e32 vcc_lo, 0, v43
	v_or3_b32 v45, v45, v40, v39
	s_delay_alu instid0(VALU_DEP_3)
	v_lshlrev_b32_e32 v42, 24, v42
	s_wait_alu 0xfffd
	v_cndmask_b32_e64 v43, 0, 0xff0000, vcc_lo
	v_cmp_eq_u32_e32 vcc_lo, 0, v44
	s_wait_alu 0xfffd
	v_cndmask_b32_e64 v44, 0, 0xff00, vcc_lo
	v_cmp_eq_u32_e32 vcc_lo, 0, v29
	s_wait_alu 0xfffd
	v_cndmask_b32_e64 v29, 0, 0xff, vcc_lo
	v_add_co_u32 v12, vcc_lo, v12, 1
	s_wait_alu 0xfffd
	v_add_co_ci_u32_e64 v13, null, 0, v13, vcc_lo
	s_delay_alu instid0(VALU_DEP_3) | instskip(SKIP_3) | instid1(VALU_DEP_3)
	v_or_b32_e32 v46, v44, v29
	v_add_co_u32 v14, vcc_lo, v14, 2
	s_wait_alu 0xfffd
	v_add_co_ci_u32_e64 v15, null, 0, v15, vcc_lo
	v_or3_b32 v46, v46, v43, v42
	s_wait_loadcnt 0x2
	v_xor_b32_e32 v30, v45, v30
	s_wait_loadcnt 0x1
	s_delay_alu instid0(VALU_DEP_2)
	v_xor_b32_e32 v31, v46, v31
	s_wait_loadcnt 0x0
	v_lshrrev_b16 v33, 8, v27
	v_ashrrev_i32_e32 v35, 24, v27
	v_bfe_i32 v36, v27, 16, 8
	v_sub_nc_u32_e32 v40, v30, v40
	v_sub_nc_u32_e32 v32, v30, v32
	;; [unrolled: 1-line block ×6, first 2 shown]
	v_perm_b32 v32, v40, v32, 0xc060c00
	v_bfe_i32 v27, v27, 0, 8
	v_lshrrev_b16 v40, 8, v41
	v_sub_nc_u32_e32 v41, v31, v44
	v_sub_nc_u32_e32 v31, v31, v42
	v_perm_b32 v29, v39, v29, 0xc060c00
	v_bfe_i32 v39, v32, 0, 8
	v_lshrrev_b16 v34, 8, v28
	v_ashrrev_i32_e32 v37, 24, v28
	v_bfe_i32 v38, v28, 16, 8
	v_bfe_i32 v33, v33, 0, 8
	v_lshrrev_b16 v41, 8, v41
	v_bfe_i32 v40, v40, 0, 8
	v_ashrrev_i32_e32 v31, 24, v31
	v_mul_i32_i24_e32 v27, v39, v27
	v_bfe_i32 v39, v29, 16, 8
	v_bfe_i32 v28, v28, 0, 8
	;; [unrolled: 1-line block ×3, first 2 shown]
	v_ashrrev_i32_e32 v30, 24, v30
	v_bfe_i32 v32, v32, 16, 8
	v_mul_i32_i24_e32 v33, v40, v33
	v_bfe_i32 v29, v29, 0, 8
	v_bfe_i32 v40, v41, 0, 8
	v_mul_i32_i24_e32 v31, v31, v37
	v_mul_i32_i24_e32 v37, v39, v38
	s_delay_alu instid0(VALU_DEP_4) | instskip(NEXT) | instid1(VALU_DEP_4)
	v_mul_i32_i24_e32 v28, v29, v28
	v_mul_i32_i24_e32 v29, v40, v34
	s_delay_alu instid0(VALU_DEP_4) | instskip(NEXT) | instid1(VALU_DEP_4)
	v_mad_i32_i24 v30, v30, v35, v31
	v_mad_i32_i24 v31, v32, v36, v37
	s_delay_alu instid0(VALU_DEP_2) | instskip(NEXT) | instid1(VALU_DEP_2)
	v_add3_u32 v29, v33, v29, v30
	v_add3_u32 v27, v27, v28, v31
	s_delay_alu instid0(VALU_DEP_1)
	v_add3_u32 v25, v27, v29, v25
	s_cbranch_scc1 .LBB93_4
; %bb.5:                                ;   in Loop: Header=BB93_3 Depth=1
	v_add_co_u32 v12, vcc_lo, v8, v22
	s_wait_alu 0xfffd
	v_add_co_ci_u32_e64 v13, null, 0, v9, vcc_lo
	v_add_nc_u32_e32 v24, 4, v24
	s_clause 0x1
	global_load_u8 v12, v[12:13], off offset:106
	global_load_u16 v8, v[8:9], off
	global_load_b32 v9, v[10:11], off
	v_add_nc_u32_e32 v19, 4, v19
	s_delay_alu instid0(VALU_DEP_1)
	v_cmp_le_u32_e32 vcc_lo, s9, v19
	s_or_b32 s3, vcc_lo, s3
	s_wait_loadcnt 0x2
	v_bfe_u32 v10, v12, v23, 4
	s_wait_loadcnt 0x1
	v_cvt_f32_f16_e32 v8, v8
	s_wait_loadcnt 0x0
	v_cvt_f32_f16_e32 v9, v9
	v_cvt_f32_ubyte0_e32 v10, v10
	s_delay_alu instid0(VALU_DEP_1) | instskip(NEXT) | instid1(VALU_DEP_1)
	v_add_f32_e32 v10, 0.5, v10
	v_mul_f32_e32 v8, v10, v8
	s_delay_alu instid0(VALU_DEP_1) | instskip(SKIP_1) | instid1(VALU_DEP_2)
	v_mul_f32_e32 v8, v8, v9
	v_cvt_f32_i32_e32 v9, v25
	v_mul_f32_e32 v8, 0.5, v8
	s_delay_alu instid0(VALU_DEP_1)
	v_fmac_f32_e32 v18, v8, v9
	s_wait_alu 0xfffe
	s_and_not1_b32 exec_lo, exec_lo, s3
	s_cbranch_execnz .LBB93_3
; %bb.6:
	s_or_b32 exec_lo, exec_lo, s3
.LBB93_7:
	s_delay_alu instid0(SALU_CYCLE_1) | instskip(SKIP_1) | instid1(VALU_DEP_1)
	s_or_b32 exec_lo, exec_lo, s8
	v_mbcnt_lo_u32_b32 v2, -1, 0
	v_xor_b32_e32 v3, 16, v2
	v_xor_b32_e32 v4, 8, v2
	;; [unrolled: 1-line block ×3, first 2 shown]
	s_delay_alu instid0(VALU_DEP_3)
	v_cmp_gt_i32_e32 vcc_lo, 32, v3
	s_wait_alu 0xfffd
	v_cndmask_b32_e32 v3, v2, v3, vcc_lo
	v_cmp_gt_i32_e32 vcc_lo, 32, v4
	s_wait_alu 0xfffd
	v_cndmask_b32_e32 v4, v2, v4, vcc_lo
	;; [unrolled: 3-line block ×3, first 2 shown]
	s_delay_alu instid0(VALU_DEP_1)
	v_lshlrev_b32_e32 v5, 2, v5
	v_lshlrev_b32_e32 v4, 2, v4
	;; [unrolled: 1-line block ×3, first 2 shown]
	ds_bpermute_b32 v3, v3, v18
	s_wait_dscnt 0x0
	v_add_f32_e32 v3, v18, v3
	ds_bpermute_b32 v4, v4, v3
	s_wait_dscnt 0x0
	v_add_f32_e32 v3, v3, v4
	ds_bpermute_b32 v4, v5, v3
	v_xor_b32_e32 v5, 2, v2
	s_delay_alu instid0(VALU_DEP_1) | instskip(SKIP_2) | instid1(VALU_DEP_1)
	v_cmp_gt_i32_e32 vcc_lo, 32, v5
	s_wait_alu 0xfffd
	v_cndmask_b32_e32 v5, v2, v5, vcc_lo
	v_lshlrev_b32_e32 v5, 2, v5
	s_wait_dscnt 0x0
	v_add_f32_e32 v3, v3, v4
	ds_bpermute_b32 v4, v5, v3
	v_xor_b32_e32 v5, 1, v2
	s_delay_alu instid0(VALU_DEP_1) | instskip(SKIP_4) | instid1(VALU_DEP_2)
	v_cmp_gt_i32_e32 vcc_lo, 32, v5
	s_wait_alu 0xfffd
	v_cndmask_b32_e32 v5, v2, v5, vcc_lo
	v_cmp_eq_u32_e32 vcc_lo, 0, v0
	s_wait_dscnt 0x0
	v_dual_add_f32 v2, v3, v4 :: v_dual_lshlrev_b32 v3, 2, v5
	ds_bpermute_b32 v3, v3, v2
	s_and_b32 exec_lo, exec_lo, vcc_lo
	s_cbranch_execz .LBB93_9
; %bb.8:
	v_mad_co_u64_u32 v[0:1], null, s5, ttmp7, v[1:2]
	s_wait_dscnt 0x0
	v_dual_mov_b32 v1, 0 :: v_dual_add_f32 v2, v2, v3
	s_delay_alu instid0(VALU_DEP_1) | instskip(NEXT) | instid1(VALU_DEP_2)
	v_cvt_f16_f32_e32 v2, v2
	v_lshlrev_b64_e32 v[0:1], 1, v[0:1]
	s_wait_kmcnt 0x0
	s_delay_alu instid0(VALU_DEP_1) | instskip(SKIP_1) | instid1(VALU_DEP_2)
	v_add_co_u32 v0, vcc_lo, s6, v0
	s_wait_alu 0xfffd
	v_add_co_ci_u32_e64 v1, null, s7, v1, vcc_lo
	global_store_b16 v[0:1], v2, off
.LBB93_9:
	s_endpgm
	.section	.rodata,"a",@progbits
	.p2align	6, 0x0
	.amdhsa_kernel _ZL13mul_mat_vec_qIN3c104HalfELi256ELi8E11block_iq3_sLi1EXadL_ZL18vec_dot_iq3_s_q8_1PKvPK10block_q8_1RKiEEEvS4_S4_PT_iii
		.amdhsa_group_segment_fixed_size 0
		.amdhsa_private_segment_fixed_size 0
		.amdhsa_kernarg_size 296
		.amdhsa_user_sgpr_count 2
		.amdhsa_user_sgpr_dispatch_ptr 0
		.amdhsa_user_sgpr_queue_ptr 0
		.amdhsa_user_sgpr_kernarg_segment_ptr 1
		.amdhsa_user_sgpr_dispatch_id 0
		.amdhsa_user_sgpr_private_segment_size 0
		.amdhsa_wavefront_size32 1
		.amdhsa_uses_dynamic_stack 0
		.amdhsa_enable_private_segment 0
		.amdhsa_system_sgpr_workgroup_id_x 1
		.amdhsa_system_sgpr_workgroup_id_y 1
		.amdhsa_system_sgpr_workgroup_id_z 0
		.amdhsa_system_sgpr_workgroup_info 0
		.amdhsa_system_vgpr_workitem_id 1
		.amdhsa_next_free_vgpr 47
		.amdhsa_next_free_sgpr 13
		.amdhsa_reserve_vcc 1
		.amdhsa_float_round_mode_32 0
		.amdhsa_float_round_mode_16_64 0
		.amdhsa_float_denorm_mode_32 3
		.amdhsa_float_denorm_mode_16_64 3
		.amdhsa_fp16_overflow 0
		.amdhsa_workgroup_processor_mode 1
		.amdhsa_memory_ordered 1
		.amdhsa_forward_progress 1
		.amdhsa_inst_pref_size 15
		.amdhsa_round_robin_scheduling 0
		.amdhsa_exception_fp_ieee_invalid_op 0
		.amdhsa_exception_fp_denorm_src 0
		.amdhsa_exception_fp_ieee_div_zero 0
		.amdhsa_exception_fp_ieee_overflow 0
		.amdhsa_exception_fp_ieee_underflow 0
		.amdhsa_exception_fp_ieee_inexact 0
		.amdhsa_exception_int_div_zero 0
	.end_amdhsa_kernel
	.section	.text._ZL13mul_mat_vec_qIN3c104HalfELi256ELi8E11block_iq3_sLi1EXadL_ZL18vec_dot_iq3_s_q8_1PKvPK10block_q8_1RKiEEEvS4_S4_PT_iii,"axG",@progbits,_ZL13mul_mat_vec_qIN3c104HalfELi256ELi8E11block_iq3_sLi1EXadL_ZL18vec_dot_iq3_s_q8_1PKvPK10block_q8_1RKiEEEvS4_S4_PT_iii,comdat
.Lfunc_end93:
	.size	_ZL13mul_mat_vec_qIN3c104HalfELi256ELi8E11block_iq3_sLi1EXadL_ZL18vec_dot_iq3_s_q8_1PKvPK10block_q8_1RKiEEEvS4_S4_PT_iii, .Lfunc_end93-_ZL13mul_mat_vec_qIN3c104HalfELi256ELi8E11block_iq3_sLi1EXadL_ZL18vec_dot_iq3_s_q8_1PKvPK10block_q8_1RKiEEEvS4_S4_PT_iii
                                        ; -- End function
	.set _ZL13mul_mat_vec_qIN3c104HalfELi256ELi8E11block_iq3_sLi1EXadL_ZL18vec_dot_iq3_s_q8_1PKvPK10block_q8_1RKiEEEvS4_S4_PT_iii.num_vgpr, 47
	.set _ZL13mul_mat_vec_qIN3c104HalfELi256ELi8E11block_iq3_sLi1EXadL_ZL18vec_dot_iq3_s_q8_1PKvPK10block_q8_1RKiEEEvS4_S4_PT_iii.num_agpr, 0
	.set _ZL13mul_mat_vec_qIN3c104HalfELi256ELi8E11block_iq3_sLi1EXadL_ZL18vec_dot_iq3_s_q8_1PKvPK10block_q8_1RKiEEEvS4_S4_PT_iii.numbered_sgpr, 13
	.set _ZL13mul_mat_vec_qIN3c104HalfELi256ELi8E11block_iq3_sLi1EXadL_ZL18vec_dot_iq3_s_q8_1PKvPK10block_q8_1RKiEEEvS4_S4_PT_iii.num_named_barrier, 0
	.set _ZL13mul_mat_vec_qIN3c104HalfELi256ELi8E11block_iq3_sLi1EXadL_ZL18vec_dot_iq3_s_q8_1PKvPK10block_q8_1RKiEEEvS4_S4_PT_iii.private_seg_size, 0
	.set _ZL13mul_mat_vec_qIN3c104HalfELi256ELi8E11block_iq3_sLi1EXadL_ZL18vec_dot_iq3_s_q8_1PKvPK10block_q8_1RKiEEEvS4_S4_PT_iii.uses_vcc, 1
	.set _ZL13mul_mat_vec_qIN3c104HalfELi256ELi8E11block_iq3_sLi1EXadL_ZL18vec_dot_iq3_s_q8_1PKvPK10block_q8_1RKiEEEvS4_S4_PT_iii.uses_flat_scratch, 0
	.set _ZL13mul_mat_vec_qIN3c104HalfELi256ELi8E11block_iq3_sLi1EXadL_ZL18vec_dot_iq3_s_q8_1PKvPK10block_q8_1RKiEEEvS4_S4_PT_iii.has_dyn_sized_stack, 0
	.set _ZL13mul_mat_vec_qIN3c104HalfELi256ELi8E11block_iq3_sLi1EXadL_ZL18vec_dot_iq3_s_q8_1PKvPK10block_q8_1RKiEEEvS4_S4_PT_iii.has_recursion, 0
	.set _ZL13mul_mat_vec_qIN3c104HalfELi256ELi8E11block_iq3_sLi1EXadL_ZL18vec_dot_iq3_s_q8_1PKvPK10block_q8_1RKiEEEvS4_S4_PT_iii.has_indirect_call, 0
	.section	.AMDGPU.csdata,"",@progbits
; Kernel info:
; codeLenInByte = 1844
; TotalNumSgprs: 15
; NumVgprs: 47
; ScratchSize: 0
; MemoryBound: 0
; FloatMode: 240
; IeeeMode: 1
; LDSByteSize: 0 bytes/workgroup (compile time only)
; SGPRBlocks: 0
; VGPRBlocks: 5
; NumSGPRsForWavesPerEU: 15
; NumVGPRsForWavesPerEU: 47
; Occupancy: 16
; WaveLimiterHint : 0
; COMPUTE_PGM_RSRC2:SCRATCH_EN: 0
; COMPUTE_PGM_RSRC2:USER_SGPR: 2
; COMPUTE_PGM_RSRC2:TRAP_HANDLER: 0
; COMPUTE_PGM_RSRC2:TGID_X_EN: 1
; COMPUTE_PGM_RSRC2:TGID_Y_EN: 1
; COMPUTE_PGM_RSRC2:TGID_Z_EN: 0
; COMPUTE_PGM_RSRC2:TIDIG_COMP_CNT: 1
	.section	.text._ZL13mul_mat_vec_qIN3c104HalfELi256ELi8E11block_iq2_sLi1EXadL_ZL18vec_dot_iq2_s_q8_1PKvPK10block_q8_1RKiEEEvS4_S4_PT_iii,"axG",@progbits,_ZL13mul_mat_vec_qIN3c104HalfELi256ELi8E11block_iq2_sLi1EXadL_ZL18vec_dot_iq2_s_q8_1PKvPK10block_q8_1RKiEEEvS4_S4_PT_iii,comdat
	.globl	_ZL13mul_mat_vec_qIN3c104HalfELi256ELi8E11block_iq2_sLi1EXadL_ZL18vec_dot_iq2_s_q8_1PKvPK10block_q8_1RKiEEEvS4_S4_PT_iii ; -- Begin function _ZL13mul_mat_vec_qIN3c104HalfELi256ELi8E11block_iq2_sLi1EXadL_ZL18vec_dot_iq2_s_q8_1PKvPK10block_q8_1RKiEEEvS4_S4_PT_iii
	.p2align	8
	.type	_ZL13mul_mat_vec_qIN3c104HalfELi256ELi8E11block_iq2_sLi1EXadL_ZL18vec_dot_iq2_s_q8_1PKvPK10block_q8_1RKiEEEvS4_S4_PT_iii,@function
_ZL13mul_mat_vec_qIN3c104HalfELi256ELi8E11block_iq2_sLi1EXadL_ZL18vec_dot_iq2_s_q8_1PKvPK10block_q8_1RKiEEEvS4_S4_PT_iii: ; @_ZL13mul_mat_vec_qIN3c104HalfELi256ELi8E11block_iq2_sLi1EXadL_ZL18vec_dot_iq2_s_q8_1PKvPK10block_q8_1RKiEEEvS4_S4_PT_iii
; %bb.0:
	s_clause 0x1
	s_load_u16 s2, s[0:1], 0x36
	s_load_b96 s[4:6], s[0:1], 0x18
	v_bfe_u32 v1, v0, 10, 10
	s_wait_kmcnt 0x0
	s_delay_alu instid0(VALU_DEP_1)
	v_mad_co_u64_u32 v[1:2], null, ttmp9, s2, v[1:2]
	s_cmp_lt_u32 ttmp7, s6
	s_cselect_b32 s2, -1, 0
	v_cmp_gt_u32_e32 vcc_lo, s5, v1
	s_wait_alu 0xfffe
	s_and_b32 s2, s2, vcc_lo
	s_wait_alu 0xfffe
	s_and_saveexec_b32 s3, s2
	s_cbranch_execz .LBB94_7
; %bb.1:
	s_load_b64 s[6:7], s[0:1], 0x10
	s_ashr_i32 s2, s4, 31
	v_bfe_u32 v4, v0, 3, 7
	s_wait_alu 0xfffe
	s_lshr_b32 s2, s2, 24
	v_dual_mov_b32 v5, 0 :: v_dual_and_b32 v0, 0x3ff, v0
	s_wait_alu 0xfffe
	s_add_co_i32 s2, s4, s2
	s_mov_b32 s8, exec_lo
	s_wait_alu 0xfffe
	s_ashr_i32 s9, s2, 8
	s_delay_alu instid0(SALU_CYCLE_1)
	v_cmpx_gt_u32_e64 s9, v4
	s_cbranch_execz .LBB94_5
; %bb.2:
	s_load_b128 s[0:3], s[0:1], 0x0
	s_addk_co_i32 s4, 0x1ff
	v_dual_mov_b32 v5, 0 :: v_dual_and_b32 v6, 7, v0
	s_wait_alu 0xfffe
	s_ashr_i32 s10, s4, 31
	v_lshlrev_b32_e32 v9, 3, v4
	s_lshr_b32 s10, s10, 23
	v_mul_lo_u32 v7, v1, s9
	s_add_co_i32 s4, s4, s10
	v_lshlrev_b32_e32 v8, 2, v6
	s_wait_alu 0xfffe
	s_ashr_i32 s4, s4, 9
	s_wait_alu 0xfffe
	s_mul_i32 s4, ttmp7, s4
	s_wait_alu 0xfffe
	v_lshl_add_u32 v9, s4, 4, v9
	s_mov_b32 s4, 0
	s_wait_kmcnt 0x0
	v_mad_co_u64_u32 v[2:3], null, v6, 36, s[2:3]
.LBB94_3:                               ; =>This Inner Loop Header: Depth=1
	v_add_nc_u32_e32 v10, v7, v4
	s_delay_alu instid0(VALU_DEP_2)
	v_mad_co_i64_i32 v[22:23], null, v9, 36, v[2:3]
	s_getpc_b64 s[2:3]
	s_wait_alu 0xfffe
	s_sext_i32_i16 s3, s3
	s_add_co_u32 s2, s2, _ZL9iq2s_grid@rel32@lo+12
	s_wait_alu 0xfffe
	s_add_co_ci_u32 s3, s3, _ZL9iq2s_grid@rel32@hi+24
	v_add_nc_u32_e32 v4, 4, v4
	v_mad_co_i64_i32 v[18:19], null, 0x52, v10, s[0:1]
	v_add_nc_u32_e32 v9, 32, v9
	s_delay_alu instid0(VALU_DEP_2) | instskip(SKIP_1) | instid1(VALU_DEP_3)
	v_add_co_u32 v20, vcc_lo, v18, v8
	s_wait_alu 0xfffd
	v_add_co_ci_u32_e64 v21, null, 0, v19, vcc_lo
	v_add_co_u32 v10, vcc_lo, v18, v6
	s_wait_alu 0xfffd
	v_add_co_ci_u32_e64 v11, null, 0, v19, vcc_lo
	s_clause 0x2
	global_load_b32 v24, v[20:21], off offset:2
	global_load_u8 v25, v[10:11], off offset:66
	global_load_u8 v30, v[10:11], off offset:74
	s_clause 0x1
	global_load_b128 v[10:13], v[22:23], off offset:4
	global_load_b128 v[14:17], v[22:23], off offset:20
	global_load_b32 v31, v[20:21], off offset:34
	s_wait_loadcnt 0x5
	v_and_b32_e32 v21, 0xff, v24
	s_wait_loadcnt 0x4
	v_lshlrev_b32_e32 v26, 8, v25
	v_bfe_u32 v27, v24, 8, 8
	v_lshlrev_b32_e32 v28, 6, v25
	v_lshrrev_b32_e32 v20, 24, v24
	v_bfe_u32 v24, v24, 16, 8
	v_lshlrev_b32_e32 v29, 4, v25
	v_lshlrev_b32_e32 v25, 2, v25
	v_and_or_b32 v21, 0x300, v26, v21
	v_and_or_b32 v26, 0x300, v28, v27
	s_wait_loadcnt 0x1
	v_perm_b32 v32, v14, v15, 0xc0c0400
	v_and_or_b32 v24, 0x300, v29, v24
	v_and_or_b32 v20, 0x300, v25, v20
	v_lshlrev_b32_e32 v21, 3, v21
	v_lshlrev_b32_e32 v25, 3, v26
	v_perm_b32 v33, v17, v16, 0x4000c0c
	v_lshlrev_b32_e32 v26, 3, v24
	v_lshlrev_b32_e32 v28, 3, v20
	s_clause 0x3
	global_load_b64 v[20:21], v21, s[2:3]
	global_load_b64 v[24:25], v25, s[2:3]
	;; [unrolled: 1-line block ×4, first 2 shown]
	global_load_b32 v22, v[22:23], off
	global_load_u16 v18, v[18:19], off
	v_perm_b32 v19, v14, v15, 0xc0c0602
	v_perm_b32 v23, v17, v16, 0x6020c0c
	;; [unrolled: 1-line block ×14, first 2 shown]
	v_or_b32_e32 v13, v23, v19
	v_or_b32_e32 v19, v33, v32
	s_wait_loadcnt 0x6
	v_and_b32_e32 v32, 15, v31
	v_or_b32_e32 v14, v15, v14
	v_or_b32_e32 v15, v17, v16
	;; [unrolled: 1-line block ×4, first 2 shown]
	v_mul_lo_u32 v32, 0x1010101, v32
	v_bfe_u32 v36, v31, 20, 4
	v_or_b32_e32 v10, v11, v10
	v_lshrrev_b32_e32 v11, 8, v31
	v_lshrrev_b32_e32 v23, 24, v31
	v_lshrrev_b16 v33, 4, v31
	v_mul_lo_u32 v36, 0x1010101, v36
	v_lshrrev_b16 v37, 4, v30
	v_not_b32_e32 v32, v32
	v_lshrrev_b16 v23, 4, v23
	v_and_b32_e32 v33, 15, v33
	v_lshrrev_b16 v11, 4, v11
	v_and_b32_e32 v30, 15, v30
	v_and_b32_e32 v38, 0x8040201, v32
	;; [unrolled: 1-line block ×5, first 2 shown]
	v_not_b32_e32 v36, v36
	v_cmp_gt_u32_e32 vcc_lo, 0x1000000, v38
	v_and_b32_e32 v33, 0xffff, v33
	v_and_b32_e32 v23, 0xffff, v23
	;; [unrolled: 1-line block ×4, first 2 shown]
	s_wait_alu 0xfffd
	v_cndmask_b32_e64 v38, 0, -1, vcc_lo
	v_cmp_eq_u32_e32 vcc_lo, 0, v39
	v_and_b32_e32 v48, 0x40000, v36
	v_and_b32_e32 v49, 0x200, v36
	;; [unrolled: 1-line block ×3, first 2 shown]
	v_mul_lo_u32 v33, 0x1010101, v33
	s_wait_alu 0xfffd
	v_cndmask_b32_e64 v39, 0, 0xff0000, vcc_lo
	v_cmp_eq_u32_e32 vcc_lo, 0, v40
	v_mul_lo_u32 v23, 0x1010101, v23
	v_and_b32_e32 v11, 0xffff, v11
	v_lshlrev_b32_e32 v38, 24, v38
	s_wait_alu 0xfffd
	v_cndmask_b32_e64 v40, 0, 0xff00, vcc_lo
	v_cmp_eq_u32_e32 vcc_lo, 0, v32
	v_not_b32_e32 v33, v33
	v_mul_lo_u32 v11, 0x1010101, v11
	v_not_b32_e32 v23, v23
	s_wait_alu 0xfffd
	v_cndmask_b32_e64 v32, 0, 0xff, vcc_lo
	v_and_b32_e32 v54, 0x8040201, v33
	v_and_b32_e32 v55, 0x40000, v33
	;; [unrolled: 1-line block ×7, first 2 shown]
	v_not_b32_e32 v11, v11
	v_and_b32_e32 v23, 1, v23
	v_or_b32_e32 v53, v40, v32
	s_delay_alu instid0(VALU_DEP_3)
	v_and_b32_e32 v64, 0x8040201, v11
	v_and_b32_e32 v66, 0x200, v11
	;; [unrolled: 1-line block ×4, first 2 shown]
	v_or3_b32 v53, v53, v39, v38
	s_wait_loadcnt 0x5
	s_delay_alu instid0(VALU_DEP_1)
	v_xor_b32_e32 v20, v53, v20
	s_wait_loadcnt 0x1
	v_cvt_f32_f16_e32 v12, v22
	v_or_b32_e32 v22, v35, v34
	v_bfe_u32 v34, v31, 8, 4
	v_bfe_u32 v35, v31, 16, 4
	;; [unrolled: 1-line block ×3, first 2 shown]
	v_sub_nc_u32_e32 v38, v20, v38
	v_sub_nc_u32_e32 v39, v20, v39
	v_mul_lo_u32 v34, 0x1010101, v34
	v_mul_lo_u32 v35, 0x1010101, v35
	v_mul_lo_u32 v31, 0x1010101, v31
	v_sub_nc_u32_e32 v40, v20, v40
	v_sub_nc_u32_e32 v20, v20, v32
	v_not_b32_e32 v34, v34
	v_not_b32_e32 v35, v35
	;; [unrolled: 1-line block ×3, first 2 shown]
	s_delay_alu instid0(VALU_DEP_3)
	v_and_b32_e32 v41, 0x8040201, v34
	v_and_b32_e32 v42, 0x40000, v34
	;; [unrolled: 1-line block ×5, first 2 shown]
	v_cmp_gt_u32_e32 vcc_lo, 0x1000000, v41
	v_and_b32_e32 v45, 0x40000, v35
	v_and_b32_e32 v46, 0x200, v35
	;; [unrolled: 1-line block ×4, first 2 shown]
	s_wait_alu 0xfffd
	v_cndmask_b32_e64 v41, 0, -1, vcc_lo
	v_cmp_eq_u32_e32 vcc_lo, 0, v42
	v_and_b32_e32 v51, 0x40000, v31
	v_and_b32_e32 v52, 0x200, v31
	;; [unrolled: 1-line block ×3, first 2 shown]
	v_lshlrev_b32_e32 v41, 24, v41
	s_wait_alu 0xfffd
	v_cndmask_b32_e64 v42, 0, 0xff0000, vcc_lo
	v_cmp_eq_u32_e32 vcc_lo, 0, v43
	s_wait_alu 0xfffd
	v_cndmask_b32_e64 v43, 0, 0xff00, vcc_lo
	v_cmp_eq_u32_e32 vcc_lo, 0, v34
	s_wait_alu 0xfffd
	v_cndmask_b32_e64 v34, 0, 0xff, vcc_lo
	v_cmp_gt_u32_e32 vcc_lo, 0x1000000, v44
	s_delay_alu instid0(VALU_DEP_2) | instskip(SKIP_3) | instid1(VALU_DEP_3)
	v_or_b32_e32 v57, v43, v34
	s_wait_alu 0xfffd
	v_cndmask_b32_e64 v44, 0, -1, vcc_lo
	v_cmp_eq_u32_e32 vcc_lo, 0, v45
	v_or3_b32 v57, v57, v42, v41
	s_delay_alu instid0(VALU_DEP_3)
	v_lshlrev_b32_e32 v44, 24, v44
	s_wait_alu 0xfffd
	v_cndmask_b32_e64 v45, 0, 0xff0000, vcc_lo
	v_cmp_eq_u32_e32 vcc_lo, 0, v46
	v_xor_b32_e32 v24, v57, v24
	s_wait_alu 0xfffd
	v_cndmask_b32_e64 v46, 0, 0xff00, vcc_lo
	v_cmp_eq_u32_e32 vcc_lo, 0, v35
	s_wait_alu 0xfffd
	v_cndmask_b32_e64 v35, 0, 0xff, vcc_lo
	v_cmp_gt_u32_e32 vcc_lo, 0x1000000, v47
	s_delay_alu instid0(VALU_DEP_2) | instskip(SKIP_3) | instid1(VALU_DEP_3)
	v_or_b32_e32 v58, v46, v35
	s_wait_alu 0xfffd
	v_cndmask_b32_e64 v47, 0, -1, vcc_lo
	v_cmp_eq_u32_e32 vcc_lo, 0, v48
	v_or3_b32 v58, v58, v45, v44
	s_delay_alu instid0(VALU_DEP_3)
	v_lshlrev_b32_e32 v47, 24, v47
	s_wait_alu 0xfffd
	v_cndmask_b32_e64 v48, 0, 0xff0000, vcc_lo
	v_cmp_eq_u32_e32 vcc_lo, 0, v49
	v_xor_b32_e32 v26, v58, v26
	;; [unrolled: 18-line block ×5, first 2 shown]
	s_wait_alu 0xfffd
	v_cndmask_b32_e64 v63, 0, 0xff00, vcc_lo
	v_cmp_eq_u32_e32 vcc_lo, 0, v23
	s_delay_alu instid0(VALU_DEP_3)
	v_sub_nc_u32_e32 v32, v21, v54
	v_sub_nc_u32_e32 v53, v21, v55
	;; [unrolled: 1-line block ×4, first 2 shown]
	s_wait_alu 0xfffd
	v_cndmask_b32_e64 v23, 0, 0xff, vcc_lo
	v_cmp_gt_u32_e32 vcc_lo, 0x1000000, v64
	v_sub_nc_u32_e32 v33, v24, v41
	v_sub_nc_u32_e32 v41, v24, v42
	;; [unrolled: 1-line block ×3, first 2 shown]
	v_or_b32_e32 v68, v63, v23
	s_wait_alu 0xfffd
	v_cndmask_b32_e64 v64, 0, -1, vcc_lo
	v_cmp_eq_u32_e32 vcc_lo, 0, v66
	v_sub_nc_u32_e32 v24, v24, v34
	v_or3_b32 v68, v68, v62, v61
	s_delay_alu instid0(VALU_DEP_4)
	v_lshlrev_b32_e32 v64, 24, v64
	s_wait_alu 0xfffd
	v_cndmask_b32_e64 v66, 0, 0xff00, vcc_lo
	v_cmp_eq_u32_e32 vcc_lo, 0, v11
	v_perm_b32 v41, v41, v24, 0xc060c00
	v_xor_b32_e32 v29, v68, v29
	s_wait_alu 0xfffd
	v_cndmask_b32_e64 v11, 0, 0xff, vcc_lo
	v_cmp_eq_u32_e32 vcc_lo, 0, v65
	s_delay_alu instid0(VALU_DEP_3) | instskip(NEXT) | instid1(VALU_DEP_3)
	v_sub_nc_u32_e32 v23, v29, v23
	v_or_b32_e32 v69, v66, v11
	s_wait_alu 0xfffd
	v_cndmask_b32_e64 v65, 0, 0xff0000, vcc_lo
	v_cmp_le_u32_e32 vcc_lo, s9, v4
	s_delay_alu instid0(VALU_DEP_2) | instskip(SKIP_1) | instid1(VALU_DEP_1)
	v_or3_b32 v69, v69, v65, v64
	s_or_b32 s4, vcc_lo, s4
	v_xor_b32_e32 v25, v69, v25
	s_delay_alu instid0(VALU_DEP_1)
	v_sub_nc_u32_e32 v34, v25, v64
	v_sub_nc_u32_e32 v43, v25, v65
	;; [unrolled: 1-line block ×19, first 2 shown]
	v_perm_b32 v44, v44, v26, 0xc060c00
	v_perm_b32 v46, v46, v27, 0xc060c00
	;; [unrolled: 1-line block ×21, first 2 shown]
	v_or_b32_e32 v23, v23, v26
	v_or_b32_e32 v25, v27, v25
	;; [unrolled: 1-line block ×3, first 2 shown]
	v_perm_b32 v27, v29, v39, 0xc0c0602
	v_perm_b32 v28, v43, v41, 0x6020c0c
	v_or_b32_e32 v11, v11, v20
	v_or_b32_e32 v20, v24, v21
	;; [unrolled: 1-line block ×4, first 2 shown]
	v_dot4_i32_iu8 v22, v25, v22, 0 neg_lo:[1,1,0]
	v_dot4_i32_iu8 v14, v26, v14, 0 neg_lo:[1,1,0]
	;; [unrolled: 1-line block ×3, first 2 shown]
	v_or_b32_e32 v23, v28, v27
	v_dot4_i32_iu8 v17, v20, v17, 0 neg_lo:[1,1,0]
	v_dot4_i32_iu8 v10, v21, v10, 0 neg_lo:[1,1,0]
	;; [unrolled: 1-line block ×3, first 2 shown]
	v_add_nc_u32_e32 v14, v14, v22
	v_cvt_f32_ubyte0_e32 v20, v37
	v_dot4_i32_iu8 v11, v11, v16, 0 neg_lo:[1,1,0]
	v_dot4_i32_iu8 v15, v23, v15, 0 neg_lo:[1,1,0]
	v_add_nc_u32_e32 v10, v10, v17
	v_add3_u32 v13, v19, v13, v14
	s_wait_loadcnt 0x0
	v_cvt_f32_f16_e32 v14, v18
	v_cvt_f32_ubyte0_e32 v16, v30
	v_add_f32_e32 v17, 0.5, v20
	v_add3_u32 v10, v11, v15, v10
	v_cvt_f32_i32_e32 v11, v13
	v_mul_f32_e32 v12, v14, v12
	v_add_f32_e32 v13, 0.5, v16
	s_delay_alu instid0(VALU_DEP_4) | instskip(NEXT) | instid1(VALU_DEP_3)
	v_cvt_f32_i32_e32 v10, v10
	v_dual_mul_f32 v11, v17, v11 :: v_dual_mul_f32 v12, 0x3e800000, v12
	s_delay_alu instid0(VALU_DEP_1) | instskip(NEXT) | instid1(VALU_DEP_1)
	v_fmac_f32_e32 v11, v13, v10
	v_fmac_f32_e32 v5, v12, v11
	s_wait_alu 0xfffe
	s_and_not1_b32 exec_lo, exec_lo, s4
	s_cbranch_execnz .LBB94_3
; %bb.4:
	s_or_b32 exec_lo, exec_lo, s4
.LBB94_5:
	s_delay_alu instid0(SALU_CYCLE_1) | instskip(SKIP_1) | instid1(VALU_DEP_1)
	s_or_b32 exec_lo, exec_lo, s8
	v_mbcnt_lo_u32_b32 v2, -1, 0
	v_xor_b32_e32 v3, 16, v2
	v_xor_b32_e32 v4, 8, v2
	s_delay_alu instid0(VALU_DEP_2) | instskip(SKIP_2) | instid1(VALU_DEP_3)
	v_cmp_gt_i32_e32 vcc_lo, 32, v3
	s_wait_alu 0xfffd
	v_cndmask_b32_e32 v3, v2, v3, vcc_lo
	v_cmp_gt_i32_e32 vcc_lo, 32, v4
	s_wait_alu 0xfffd
	v_cndmask_b32_e32 v4, v2, v4, vcc_lo
	s_delay_alu instid0(VALU_DEP_1)
	v_lshlrev_b32_e32 v4, 2, v4
	v_lshlrev_b32_e32 v3, 2, v3
	ds_bpermute_b32 v3, v3, v5
	s_wait_dscnt 0x0
	v_add_f32_e32 v3, v5, v3
	v_xor_b32_e32 v5, 4, v2
	ds_bpermute_b32 v4, v4, v3
	v_cmp_gt_i32_e32 vcc_lo, 32, v5
	s_wait_alu 0xfffd
	v_cndmask_b32_e32 v5, v2, v5, vcc_lo
	s_delay_alu instid0(VALU_DEP_1) | instskip(SKIP_4) | instid1(VALU_DEP_1)
	v_lshlrev_b32_e32 v5, 2, v5
	s_wait_dscnt 0x0
	v_add_f32_e32 v3, v3, v4
	ds_bpermute_b32 v4, v5, v3
	v_xor_b32_e32 v5, 2, v2
	v_cmp_gt_i32_e32 vcc_lo, 32, v5
	s_wait_alu 0xfffd
	v_cndmask_b32_e32 v5, v2, v5, vcc_lo
	s_delay_alu instid0(VALU_DEP_1) | instskip(SKIP_4) | instid1(VALU_DEP_1)
	v_lshlrev_b32_e32 v5, 2, v5
	s_wait_dscnt 0x0
	v_add_f32_e32 v3, v3, v4
	ds_bpermute_b32 v4, v5, v3
	v_xor_b32_e32 v5, 1, v2
	v_cmp_gt_i32_e32 vcc_lo, 32, v5
	s_wait_alu 0xfffd
	v_cndmask_b32_e32 v5, v2, v5, vcc_lo
	v_cmp_eq_u32_e32 vcc_lo, 0, v0
	s_wait_dscnt 0x0
	s_delay_alu instid0(VALU_DEP_2)
	v_dual_add_f32 v2, v3, v4 :: v_dual_lshlrev_b32 v3, 2, v5
	ds_bpermute_b32 v3, v3, v2
	s_and_b32 exec_lo, exec_lo, vcc_lo
	s_cbranch_execz .LBB94_7
; %bb.6:
	v_mad_co_u64_u32 v[0:1], null, s5, ttmp7, v[1:2]
	s_wait_dscnt 0x0
	v_dual_mov_b32 v1, 0 :: v_dual_add_f32 v2, v2, v3
	s_delay_alu instid0(VALU_DEP_1) | instskip(NEXT) | instid1(VALU_DEP_2)
	v_cvt_f16_f32_e32 v2, v2
	v_lshlrev_b64_e32 v[0:1], 1, v[0:1]
	s_wait_kmcnt 0x0
	s_delay_alu instid0(VALU_DEP_1) | instskip(SKIP_1) | instid1(VALU_DEP_2)
	v_add_co_u32 v0, vcc_lo, s6, v0
	s_wait_alu 0xfffd
	v_add_co_ci_u32_e64 v1, null, s7, v1, vcc_lo
	global_store_b16 v[0:1], v2, off
.LBB94_7:
	s_endpgm
	.section	.rodata,"a",@progbits
	.p2align	6, 0x0
	.amdhsa_kernel _ZL13mul_mat_vec_qIN3c104HalfELi256ELi8E11block_iq2_sLi1EXadL_ZL18vec_dot_iq2_s_q8_1PKvPK10block_q8_1RKiEEEvS4_S4_PT_iii
		.amdhsa_group_segment_fixed_size 0
		.amdhsa_private_segment_fixed_size 0
		.amdhsa_kernarg_size 296
		.amdhsa_user_sgpr_count 2
		.amdhsa_user_sgpr_dispatch_ptr 0
		.amdhsa_user_sgpr_queue_ptr 0
		.amdhsa_user_sgpr_kernarg_segment_ptr 1
		.amdhsa_user_sgpr_dispatch_id 0
		.amdhsa_user_sgpr_private_segment_size 0
		.amdhsa_wavefront_size32 1
		.amdhsa_uses_dynamic_stack 0
		.amdhsa_enable_private_segment 0
		.amdhsa_system_sgpr_workgroup_id_x 1
		.amdhsa_system_sgpr_workgroup_id_y 1
		.amdhsa_system_sgpr_workgroup_id_z 0
		.amdhsa_system_sgpr_workgroup_info 0
		.amdhsa_system_vgpr_workitem_id 1
		.amdhsa_next_free_vgpr 70
		.amdhsa_next_free_sgpr 11
		.amdhsa_reserve_vcc 1
		.amdhsa_float_round_mode_32 0
		.amdhsa_float_round_mode_16_64 0
		.amdhsa_float_denorm_mode_32 3
		.amdhsa_float_denorm_mode_16_64 3
		.amdhsa_fp16_overflow 0
		.amdhsa_workgroup_processor_mode 1
		.amdhsa_memory_ordered 1
		.amdhsa_forward_progress 1
		.amdhsa_inst_pref_size 25
		.amdhsa_round_robin_scheduling 0
		.amdhsa_exception_fp_ieee_invalid_op 0
		.amdhsa_exception_fp_denorm_src 0
		.amdhsa_exception_fp_ieee_div_zero 0
		.amdhsa_exception_fp_ieee_overflow 0
		.amdhsa_exception_fp_ieee_underflow 0
		.amdhsa_exception_fp_ieee_inexact 0
		.amdhsa_exception_int_div_zero 0
	.end_amdhsa_kernel
	.section	.text._ZL13mul_mat_vec_qIN3c104HalfELi256ELi8E11block_iq2_sLi1EXadL_ZL18vec_dot_iq2_s_q8_1PKvPK10block_q8_1RKiEEEvS4_S4_PT_iii,"axG",@progbits,_ZL13mul_mat_vec_qIN3c104HalfELi256ELi8E11block_iq2_sLi1EXadL_ZL18vec_dot_iq2_s_q8_1PKvPK10block_q8_1RKiEEEvS4_S4_PT_iii,comdat
.Lfunc_end94:
	.size	_ZL13mul_mat_vec_qIN3c104HalfELi256ELi8E11block_iq2_sLi1EXadL_ZL18vec_dot_iq2_s_q8_1PKvPK10block_q8_1RKiEEEvS4_S4_PT_iii, .Lfunc_end94-_ZL13mul_mat_vec_qIN3c104HalfELi256ELi8E11block_iq2_sLi1EXadL_ZL18vec_dot_iq2_s_q8_1PKvPK10block_q8_1RKiEEEvS4_S4_PT_iii
                                        ; -- End function
	.set _ZL13mul_mat_vec_qIN3c104HalfELi256ELi8E11block_iq2_sLi1EXadL_ZL18vec_dot_iq2_s_q8_1PKvPK10block_q8_1RKiEEEvS4_S4_PT_iii.num_vgpr, 70
	.set _ZL13mul_mat_vec_qIN3c104HalfELi256ELi8E11block_iq2_sLi1EXadL_ZL18vec_dot_iq2_s_q8_1PKvPK10block_q8_1RKiEEEvS4_S4_PT_iii.num_agpr, 0
	.set _ZL13mul_mat_vec_qIN3c104HalfELi256ELi8E11block_iq2_sLi1EXadL_ZL18vec_dot_iq2_s_q8_1PKvPK10block_q8_1RKiEEEvS4_S4_PT_iii.numbered_sgpr, 11
	.set _ZL13mul_mat_vec_qIN3c104HalfELi256ELi8E11block_iq2_sLi1EXadL_ZL18vec_dot_iq2_s_q8_1PKvPK10block_q8_1RKiEEEvS4_S4_PT_iii.num_named_barrier, 0
	.set _ZL13mul_mat_vec_qIN3c104HalfELi256ELi8E11block_iq2_sLi1EXadL_ZL18vec_dot_iq2_s_q8_1PKvPK10block_q8_1RKiEEEvS4_S4_PT_iii.private_seg_size, 0
	.set _ZL13mul_mat_vec_qIN3c104HalfELi256ELi8E11block_iq2_sLi1EXadL_ZL18vec_dot_iq2_s_q8_1PKvPK10block_q8_1RKiEEEvS4_S4_PT_iii.uses_vcc, 1
	.set _ZL13mul_mat_vec_qIN3c104HalfELi256ELi8E11block_iq2_sLi1EXadL_ZL18vec_dot_iq2_s_q8_1PKvPK10block_q8_1RKiEEEvS4_S4_PT_iii.uses_flat_scratch, 0
	.set _ZL13mul_mat_vec_qIN3c104HalfELi256ELi8E11block_iq2_sLi1EXadL_ZL18vec_dot_iq2_s_q8_1PKvPK10block_q8_1RKiEEEvS4_S4_PT_iii.has_dyn_sized_stack, 0
	.set _ZL13mul_mat_vec_qIN3c104HalfELi256ELi8E11block_iq2_sLi1EXadL_ZL18vec_dot_iq2_s_q8_1PKvPK10block_q8_1RKiEEEvS4_S4_PT_iii.has_recursion, 0
	.set _ZL13mul_mat_vec_qIN3c104HalfELi256ELi8E11block_iq2_sLi1EXadL_ZL18vec_dot_iq2_s_q8_1PKvPK10block_q8_1RKiEEEvS4_S4_PT_iii.has_indirect_call, 0
	.section	.AMDGPU.csdata,"",@progbits
; Kernel info:
; codeLenInByte = 3132
; TotalNumSgprs: 13
; NumVgprs: 70
; ScratchSize: 0
; MemoryBound: 0
; FloatMode: 240
; IeeeMode: 1
; LDSByteSize: 0 bytes/workgroup (compile time only)
; SGPRBlocks: 0
; VGPRBlocks: 8
; NumSGPRsForWavesPerEU: 13
; NumVGPRsForWavesPerEU: 70
; Occupancy: 16
; WaveLimiterHint : 0
; COMPUTE_PGM_RSRC2:SCRATCH_EN: 0
; COMPUTE_PGM_RSRC2:USER_SGPR: 2
; COMPUTE_PGM_RSRC2:TRAP_HANDLER: 0
; COMPUTE_PGM_RSRC2:TGID_X_EN: 1
; COMPUTE_PGM_RSRC2:TGID_Y_EN: 1
; COMPUTE_PGM_RSRC2:TGID_Z_EN: 0
; COMPUTE_PGM_RSRC2:TIDIG_COMP_CNT: 1
	.section	.text._ZL13mul_mat_vec_qIN3c104HalfELi256ELi8E12block_iq4_xsLi1EXadL_ZL19vec_dot_iq4_xs_q8_1PKvPK10block_q8_1RKiEEEvS4_S4_PT_iii,"axG",@progbits,_ZL13mul_mat_vec_qIN3c104HalfELi256ELi8E12block_iq4_xsLi1EXadL_ZL19vec_dot_iq4_xs_q8_1PKvPK10block_q8_1RKiEEEvS4_S4_PT_iii,comdat
	.globl	_ZL13mul_mat_vec_qIN3c104HalfELi256ELi8E12block_iq4_xsLi1EXadL_ZL19vec_dot_iq4_xs_q8_1PKvPK10block_q8_1RKiEEEvS4_S4_PT_iii ; -- Begin function _ZL13mul_mat_vec_qIN3c104HalfELi256ELi8E12block_iq4_xsLi1EXadL_ZL19vec_dot_iq4_xs_q8_1PKvPK10block_q8_1RKiEEEvS4_S4_PT_iii
	.p2align	8
	.type	_ZL13mul_mat_vec_qIN3c104HalfELi256ELi8E12block_iq4_xsLi1EXadL_ZL19vec_dot_iq4_xs_q8_1PKvPK10block_q8_1RKiEEEvS4_S4_PT_iii,@function
_ZL13mul_mat_vec_qIN3c104HalfELi256ELi8E12block_iq4_xsLi1EXadL_ZL19vec_dot_iq4_xs_q8_1PKvPK10block_q8_1RKiEEEvS4_S4_PT_iii: ; @_ZL13mul_mat_vec_qIN3c104HalfELi256ELi8E12block_iq4_xsLi1EXadL_ZL19vec_dot_iq4_xs_q8_1PKvPK10block_q8_1RKiEEEvS4_S4_PT_iii
; %bb.0:
	s_clause 0x1
	s_load_u16 s2, s[0:1], 0x36
	s_load_b96 s[4:6], s[0:1], 0x18
	v_bfe_u32 v1, v0, 10, 10
	s_wait_kmcnt 0x0
	s_delay_alu instid0(VALU_DEP_1)
	v_mad_co_u64_u32 v[1:2], null, ttmp9, s2, v[1:2]
	s_cmp_lt_u32 ttmp7, s6
	s_cselect_b32 s2, -1, 0
	v_cmp_gt_u32_e32 vcc_lo, s5, v1
	s_wait_alu 0xfffe
	s_and_b32 s2, s2, vcc_lo
	s_wait_alu 0xfffe
	s_and_saveexec_b32 s3, s2
	s_cbranch_execz .LBB95_7
; %bb.1:
	s_load_b64 s[6:7], s[0:1], 0x10
	s_ashr_i32 s2, s4, 31
	v_bfe_u32 v5, v0, 3, 7
	s_wait_alu 0xfffe
	s_lshr_b32 s2, s2, 24
	v_and_b32_e32 v0, 0x3ff, v0
	v_mov_b32_e32 v4, 0
	s_wait_alu 0xfffe
	s_add_co_i32 s2, s4, s2
	s_mov_b32 s8, exec_lo
	s_wait_alu 0xfffe
	s_ashr_i32 s9, s2, 8
	s_delay_alu instid0(SALU_CYCLE_1)
	v_cmpx_gt_u32_e64 s9, v5
	s_cbranch_execz .LBB95_5
; %bb.2:
	s_load_b128 s[0:3], s[0:1], 0x0
	s_addk_co_i32 s4, 0x1ff
	v_dual_mov_b32 v4, 0 :: v_dual_and_b32 v9, 7, v0
	s_wait_alu 0xfffe
	s_ashr_i32 s10, s4, 31
	v_lshlrev_b32_e32 v8, 2, v0
	s_lshr_b32 s10, s10, 23
	v_lshlrev_b32_e32 v10, 3, v5
	s_add_co_i32 s4, s4, s10
	v_lshlrev_b32_e32 v11, 2, v9
	s_wait_alu 0xfffe
	s_ashr_i32 s4, s4, 9
	v_mul_lo_u32 v6, v1, s9
	s_wait_alu 0xfffe
	s_mul_i32 s4, ttmp7, s4
	v_bfe_u32 v7, v0, 1, 2
	v_and_b32_e32 v8, 4, v8
	s_wait_alu 0xfffe
	v_lshl_add_u32 v10, s4, 4, v10
	v_lshlrev_b32_e32 v11, 2, v11
	s_mov_b32 s4, 0
	s_wait_kmcnt 0x0
	v_mad_co_u64_u32 v[2:3], null, v9, 36, s[2:3]
	v_lshlrev_b32_e32 v9, 1, v9
.LBB95_3:                               ; =>This Inner Loop Header: Depth=1
	v_add_nc_u32_e32 v12, v6, v5
	s_delay_alu instid0(VALU_DEP_3)
	v_mad_co_i64_i32 v[20:21], null, v10, 36, v[2:3]
	s_getpc_b64 s[2:3]
	s_wait_alu 0xfffe
	s_sext_i32_i16 s3, s3
	s_add_co_u32 s2, s2, _ZL13kvalues_iq4nl@rel32@lo+12
	s_wait_alu 0xfffe
	s_add_co_ci_u32 s3, s3, _ZL13kvalues_iq4nl@rel32@hi+24
	v_add_nc_u32_e32 v5, 4, v5
	v_mad_co_i64_i32 v[24:25], null, 0x88, v12, s[0:1]
	v_add_nc_u32_e32 v10, 32, v10
	s_delay_alu instid0(VALU_DEP_2) | instskip(SKIP_1) | instid1(VALU_DEP_3)
	v_add_co_u32 v12, vcc_lo, v24, v11
	s_wait_alu 0xfffd
	v_add_co_ci_u32_e64 v13, null, 0, v25, vcc_lo
	v_add_co_u32 v16, vcc_lo, v24, v7
	s_wait_alu 0xfffd
	v_add_co_ci_u32_e64 v17, null, 0, v25, vcc_lo
	s_clause 0x1
	global_load_b128 v[12:15], v[12:13], off offset:8
	global_load_u8 v26, v[16:17], off offset:4
	s_clause 0x2
	global_load_b32 v27, v[20:21], off
	global_load_b128 v[16:19], v[20:21], off offset:4
	global_load_b128 v[20:23], v[20:21], off offset:20
	global_load_b32 v24, v[24:25], off
	v_cmp_le_u32_e32 vcc_lo, s9, v5
	s_or_b32 s4, vcc_lo, s4
	s_wait_loadcnt 0x2
	v_perm_b32 v16, v16, v16, 0x3020001
	v_and_b32_e32 v28, 15, v12
	v_bfe_u32 v29, v12, 8, 4
	v_bfe_u32 v30, v12, 16, 4
	;; [unrolled: 1-line block ×5, first 2 shown]
	v_lshrrev_b32_e32 v32, 28, v12
	v_bfe_u32 v12, v12, 12, 4
	v_bfe_u32 v34, v13, 24, 4
	v_and_b32_e32 v35, 15, v13
	v_bfe_u32 v36, v13, 8, 4
	v_bfe_u32 v37, v13, 16, 4
	v_bfe_u32 v38, v13, 20, 4
	v_lshrrev_b32_e32 v39, 28, v13
	v_bfe_u32 v40, v13, 4, 4
	v_bfe_u32 v13, v13, 12, 4
	v_bfe_u32 v41, v14, 24, 4
	v_and_b32_e32 v42, 15, v14
	v_bfe_u32 v43, v14, 8, 4
	v_bfe_u32 v44, v14, 16, 4
	v_bfe_u32 v45, v14, 20, 4
	v_lshrrev_b32_e32 v46, 28, v14
	v_bfe_u32 v47, v14, 4, 4
	;; [unrolled: 8-line block ×3, first 2 shown]
	v_bfe_u32 v15, v15, 12, 4
	s_clause 0x1f
	global_load_i8 v28, v28, s[2:3]
	global_load_i8 v29, v29, s[2:3]
	;; [unrolled: 1-line block ×32, first 2 shown]
	s_wait_loadcnt 0x20
	v_lshrrev_b32_e32 v55, 16, v24
	v_perm_b32 v20, v20, v20, 0x3020001
	v_bfe_u32 v26, v26, v8, 4
	s_delay_alu instid0(VALU_DEP_3) | instskip(NEXT) | instid1(VALU_DEP_1)
	v_lshrrev_b32_e32 v55, v9, v55
	v_lshlrev_b32_e32 v55, 4, v55
	s_delay_alu instid0(VALU_DEP_1)
	v_and_or_b32 v26, v55, 48, v26
	s_wait_loadcnt 0x1e
	v_perm_b32 v28, v28, v29, 0xc0c0400
	s_wait_loadcnt 0x1b
	v_perm_b32 v12, v33, v12, 0xc0c0400
	;; [unrolled: 2-line block ×5, first 2 shown]
	v_or_b32_e32 v12, v29, v12
	s_wait_loadcnt 0x13
	v_perm_b32 v13, v13, v40, 0xc0c0400
	v_or_b32_e32 v25, v25, v28
	s_wait_loadcnt 0x11
	v_perm_b32 v32, v39, v38, 0x4000c0c
	s_wait_loadcnt 0x10
	v_perm_b32 v31, v34, v37, 0x4000c0c
	v_dot4_i32_iu8 v12, v20, v12, 0 neg_lo:[1,1,0]
	s_wait_loadcnt 0xe
	v_perm_b32 v33, v43, v42, 0xc0c0400
	v_dot4_i32_iu8 v16, v16, v25, 0 neg_lo:[1,1,0]
	v_or_b32_e32 v13, v32, v13
	s_wait_loadcnt 0xb
	v_perm_b32 v14, v14, v47, 0xc0c0400
	v_or_b32_e32 v28, v31, v30
	s_wait_loadcnt 0x9
	v_perm_b32 v35, v46, v45, 0x4000c0c
	s_wait_loadcnt 0x8
	v_perm_b32 v34, v41, v44, 0x4000c0c
	v_dot4_i32_iu8 v12, v21, v13, v12 neg_lo:[1,1,0]
	s_wait_loadcnt 0x6
	v_perm_b32 v36, v50, v49, 0xc0c0400
	v_dot4_i32_iu8 v16, v17, v28, v16 neg_lo:[1,1,0]
	v_or_b32_e32 v14, v35, v14
	v_or_b32_e32 v25, v34, v33
	s_wait_loadcnt 0x2
	v_perm_b32 v20, v53, v52, 0x4000c0c
	s_wait_loadcnt 0x1
	v_perm_b32 v37, v48, v51, 0x4000c0c
	s_wait_loadcnt 0x0
	v_perm_b32 v15, v15, v54, 0xc0c0400
	v_subrev_nc_u32_e32 v13, 32, v26
	v_dot4_i32_iu8 v16, v18, v25, v16 neg_lo:[1,1,0]
	v_dot4_i32_iu8 v12, v22, v14, v12 neg_lo:[1,1,0]
	v_or_b32_e32 v17, v37, v36
	v_or_b32_e32 v15, v20, v15
	v_cvt_f32_f16_e32 v14, v24
	v_cvt_f32_i32_e32 v13, v13
	s_delay_alu instid0(VALU_DEP_4) | instskip(NEXT) | instid1(VALU_DEP_4)
	v_dot4_i32_iu8 v16, v19, v17, v16 neg_lo:[1,1,0]
	v_dot4_i32_iu8 v12, v23, v15, v12 neg_lo:[1,1,0]
	v_cvt_f32_f16_e32 v15, v27
	s_delay_alu instid0(VALU_DEP_2) | instskip(NEXT) | instid1(VALU_DEP_1)
	v_dual_mul_f32 v13, v14, v13 :: v_dual_add_nc_u32 v12, v12, v16
	v_mul_f32_e32 v13, v13, v15
	s_delay_alu instid0(VALU_DEP_2) | instskip(NEXT) | instid1(VALU_DEP_1)
	v_cvt_f32_i32_e32 v12, v12
	v_fmac_f32_e32 v4, v13, v12
	s_wait_alu 0xfffe
	s_and_not1_b32 exec_lo, exec_lo, s4
	s_cbranch_execnz .LBB95_3
; %bb.4:
	s_or_b32 exec_lo, exec_lo, s4
.LBB95_5:
	s_delay_alu instid0(SALU_CYCLE_1) | instskip(SKIP_1) | instid1(VALU_DEP_1)
	s_or_b32 exec_lo, exec_lo, s8
	v_mbcnt_lo_u32_b32 v2, -1, 0
	v_xor_b32_e32 v3, 16, v2
	v_xor_b32_e32 v5, 8, v2
	s_delay_alu instid0(VALU_DEP_2) | instskip(SKIP_2) | instid1(VALU_DEP_3)
	v_cmp_gt_i32_e32 vcc_lo, 32, v3
	s_wait_alu 0xfffd
	v_cndmask_b32_e32 v3, v2, v3, vcc_lo
	v_cmp_gt_i32_e32 vcc_lo, 32, v5
	s_delay_alu instid0(VALU_DEP_2)
	v_lshlrev_b32_e32 v3, 2, v3
	s_wait_alu 0xfffd
	v_cndmask_b32_e32 v5, v2, v5, vcc_lo
	ds_bpermute_b32 v3, v3, v4
	v_lshlrev_b32_e32 v5, 2, v5
	s_wait_dscnt 0x0
	v_add_f32_e32 v3, v4, v3
	ds_bpermute_b32 v4, v5, v3
	v_xor_b32_e32 v5, 4, v2
	s_delay_alu instid0(VALU_DEP_1) | instskip(SKIP_2) | instid1(VALU_DEP_1)
	v_cmp_gt_i32_e32 vcc_lo, 32, v5
	s_wait_alu 0xfffd
	v_cndmask_b32_e32 v5, v2, v5, vcc_lo
	v_lshlrev_b32_e32 v5, 2, v5
	s_wait_dscnt 0x0
	v_add_f32_e32 v3, v3, v4
	ds_bpermute_b32 v4, v5, v3
	v_xor_b32_e32 v5, 2, v2
	s_delay_alu instid0(VALU_DEP_1) | instskip(SKIP_2) | instid1(VALU_DEP_1)
	v_cmp_gt_i32_e32 vcc_lo, 32, v5
	s_wait_alu 0xfffd
	v_cndmask_b32_e32 v5, v2, v5, vcc_lo
	v_lshlrev_b32_e32 v5, 2, v5
	s_wait_dscnt 0x0
	v_add_f32_e32 v3, v3, v4
	ds_bpermute_b32 v4, v5, v3
	v_xor_b32_e32 v5, 1, v2
	s_delay_alu instid0(VALU_DEP_1) | instskip(SKIP_4) | instid1(VALU_DEP_2)
	v_cmp_gt_i32_e32 vcc_lo, 32, v5
	s_wait_alu 0xfffd
	v_cndmask_b32_e32 v5, v2, v5, vcc_lo
	v_cmp_eq_u32_e32 vcc_lo, 0, v0
	s_wait_dscnt 0x0
	v_dual_add_f32 v2, v3, v4 :: v_dual_lshlrev_b32 v3, 2, v5
	ds_bpermute_b32 v3, v3, v2
	s_and_b32 exec_lo, exec_lo, vcc_lo
	s_cbranch_execz .LBB95_7
; %bb.6:
	v_mad_co_u64_u32 v[0:1], null, s5, ttmp7, v[1:2]
	s_wait_dscnt 0x0
	v_dual_mov_b32 v1, 0 :: v_dual_add_f32 v2, v2, v3
	s_delay_alu instid0(VALU_DEP_1) | instskip(NEXT) | instid1(VALU_DEP_2)
	v_cvt_f16_f32_e32 v2, v2
	v_lshlrev_b64_e32 v[0:1], 1, v[0:1]
	s_wait_kmcnt 0x0
	s_delay_alu instid0(VALU_DEP_1) | instskip(SKIP_1) | instid1(VALU_DEP_2)
	v_add_co_u32 v0, vcc_lo, s6, v0
	s_wait_alu 0xfffd
	v_add_co_ci_u32_e64 v1, null, s7, v1, vcc_lo
	global_store_b16 v[0:1], v2, off
.LBB95_7:
	s_endpgm
	.section	.rodata,"a",@progbits
	.p2align	6, 0x0
	.amdhsa_kernel _ZL13mul_mat_vec_qIN3c104HalfELi256ELi8E12block_iq4_xsLi1EXadL_ZL19vec_dot_iq4_xs_q8_1PKvPK10block_q8_1RKiEEEvS4_S4_PT_iii
		.amdhsa_group_segment_fixed_size 0
		.amdhsa_private_segment_fixed_size 0
		.amdhsa_kernarg_size 296
		.amdhsa_user_sgpr_count 2
		.amdhsa_user_sgpr_dispatch_ptr 0
		.amdhsa_user_sgpr_queue_ptr 0
		.amdhsa_user_sgpr_kernarg_segment_ptr 1
		.amdhsa_user_sgpr_dispatch_id 0
		.amdhsa_user_sgpr_private_segment_size 0
		.amdhsa_wavefront_size32 1
		.amdhsa_uses_dynamic_stack 0
		.amdhsa_enable_private_segment 0
		.amdhsa_system_sgpr_workgroup_id_x 1
		.amdhsa_system_sgpr_workgroup_id_y 1
		.amdhsa_system_sgpr_workgroup_id_z 0
		.amdhsa_system_sgpr_workgroup_info 0
		.amdhsa_system_vgpr_workitem_id 1
		.amdhsa_next_free_vgpr 56
		.amdhsa_next_free_sgpr 11
		.amdhsa_reserve_vcc 1
		.amdhsa_float_round_mode_32 0
		.amdhsa_float_round_mode_16_64 0
		.amdhsa_float_denorm_mode_32 3
		.amdhsa_float_denorm_mode_16_64 3
		.amdhsa_fp16_overflow 0
		.amdhsa_workgroup_processor_mode 1
		.amdhsa_memory_ordered 1
		.amdhsa_forward_progress 1
		.amdhsa_inst_pref_size 15
		.amdhsa_round_robin_scheduling 0
		.amdhsa_exception_fp_ieee_invalid_op 0
		.amdhsa_exception_fp_denorm_src 0
		.amdhsa_exception_fp_ieee_div_zero 0
		.amdhsa_exception_fp_ieee_overflow 0
		.amdhsa_exception_fp_ieee_underflow 0
		.amdhsa_exception_fp_ieee_inexact 0
		.amdhsa_exception_int_div_zero 0
	.end_amdhsa_kernel
	.section	.text._ZL13mul_mat_vec_qIN3c104HalfELi256ELi8E12block_iq4_xsLi1EXadL_ZL19vec_dot_iq4_xs_q8_1PKvPK10block_q8_1RKiEEEvS4_S4_PT_iii,"axG",@progbits,_ZL13mul_mat_vec_qIN3c104HalfELi256ELi8E12block_iq4_xsLi1EXadL_ZL19vec_dot_iq4_xs_q8_1PKvPK10block_q8_1RKiEEEvS4_S4_PT_iii,comdat
.Lfunc_end95:
	.size	_ZL13mul_mat_vec_qIN3c104HalfELi256ELi8E12block_iq4_xsLi1EXadL_ZL19vec_dot_iq4_xs_q8_1PKvPK10block_q8_1RKiEEEvS4_S4_PT_iii, .Lfunc_end95-_ZL13mul_mat_vec_qIN3c104HalfELi256ELi8E12block_iq4_xsLi1EXadL_ZL19vec_dot_iq4_xs_q8_1PKvPK10block_q8_1RKiEEEvS4_S4_PT_iii
                                        ; -- End function
	.set _ZL13mul_mat_vec_qIN3c104HalfELi256ELi8E12block_iq4_xsLi1EXadL_ZL19vec_dot_iq4_xs_q8_1PKvPK10block_q8_1RKiEEEvS4_S4_PT_iii.num_vgpr, 56
	.set _ZL13mul_mat_vec_qIN3c104HalfELi256ELi8E12block_iq4_xsLi1EXadL_ZL19vec_dot_iq4_xs_q8_1PKvPK10block_q8_1RKiEEEvS4_S4_PT_iii.num_agpr, 0
	.set _ZL13mul_mat_vec_qIN3c104HalfELi256ELi8E12block_iq4_xsLi1EXadL_ZL19vec_dot_iq4_xs_q8_1PKvPK10block_q8_1RKiEEEvS4_S4_PT_iii.numbered_sgpr, 11
	.set _ZL13mul_mat_vec_qIN3c104HalfELi256ELi8E12block_iq4_xsLi1EXadL_ZL19vec_dot_iq4_xs_q8_1PKvPK10block_q8_1RKiEEEvS4_S4_PT_iii.num_named_barrier, 0
	.set _ZL13mul_mat_vec_qIN3c104HalfELi256ELi8E12block_iq4_xsLi1EXadL_ZL19vec_dot_iq4_xs_q8_1PKvPK10block_q8_1RKiEEEvS4_S4_PT_iii.private_seg_size, 0
	.set _ZL13mul_mat_vec_qIN3c104HalfELi256ELi8E12block_iq4_xsLi1EXadL_ZL19vec_dot_iq4_xs_q8_1PKvPK10block_q8_1RKiEEEvS4_S4_PT_iii.uses_vcc, 1
	.set _ZL13mul_mat_vec_qIN3c104HalfELi256ELi8E12block_iq4_xsLi1EXadL_ZL19vec_dot_iq4_xs_q8_1PKvPK10block_q8_1RKiEEEvS4_S4_PT_iii.uses_flat_scratch, 0
	.set _ZL13mul_mat_vec_qIN3c104HalfELi256ELi8E12block_iq4_xsLi1EXadL_ZL19vec_dot_iq4_xs_q8_1PKvPK10block_q8_1RKiEEEvS4_S4_PT_iii.has_dyn_sized_stack, 0
	.set _ZL13mul_mat_vec_qIN3c104HalfELi256ELi8E12block_iq4_xsLi1EXadL_ZL19vec_dot_iq4_xs_q8_1PKvPK10block_q8_1RKiEEEvS4_S4_PT_iii.has_recursion, 0
	.set _ZL13mul_mat_vec_qIN3c104HalfELi256ELi8E12block_iq4_xsLi1EXadL_ZL19vec_dot_iq4_xs_q8_1PKvPK10block_q8_1RKiEEEvS4_S4_PT_iii.has_indirect_call, 0
	.section	.AMDGPU.csdata,"",@progbits
; Kernel info:
; codeLenInByte = 1864
; TotalNumSgprs: 13
; NumVgprs: 56
; ScratchSize: 0
; MemoryBound: 0
; FloatMode: 240
; IeeeMode: 1
; LDSByteSize: 0 bytes/workgroup (compile time only)
; SGPRBlocks: 0
; VGPRBlocks: 6
; NumSGPRsForWavesPerEU: 13
; NumVGPRsForWavesPerEU: 56
; Occupancy: 16
; WaveLimiterHint : 0
; COMPUTE_PGM_RSRC2:SCRATCH_EN: 0
; COMPUTE_PGM_RSRC2:USER_SGPR: 2
; COMPUTE_PGM_RSRC2:TRAP_HANDLER: 0
; COMPUTE_PGM_RSRC2:TGID_X_EN: 1
; COMPUTE_PGM_RSRC2:TGID_Y_EN: 1
; COMPUTE_PGM_RSRC2:TGID_Z_EN: 0
; COMPUTE_PGM_RSRC2:TIDIG_COMP_CNT: 1
	.section	.text._ZL13mul_mat_vec_qIN3c104HalfELi256ELi8E11block_iq1_mLi1EXadL_ZL18vec_dot_iq1_m_q8_1PKvPK10block_q8_1RKiEEEvS4_S4_PT_iii,"axG",@progbits,_ZL13mul_mat_vec_qIN3c104HalfELi256ELi8E11block_iq1_mLi1EXadL_ZL18vec_dot_iq1_m_q8_1PKvPK10block_q8_1RKiEEEvS4_S4_PT_iii,comdat
	.globl	_ZL13mul_mat_vec_qIN3c104HalfELi256ELi8E11block_iq1_mLi1EXadL_ZL18vec_dot_iq1_m_q8_1PKvPK10block_q8_1RKiEEEvS4_S4_PT_iii ; -- Begin function _ZL13mul_mat_vec_qIN3c104HalfELi256ELi8E11block_iq1_mLi1EXadL_ZL18vec_dot_iq1_m_q8_1PKvPK10block_q8_1RKiEEEvS4_S4_PT_iii
	.p2align	8
	.type	_ZL13mul_mat_vec_qIN3c104HalfELi256ELi8E11block_iq1_mLi1EXadL_ZL18vec_dot_iq1_m_q8_1PKvPK10block_q8_1RKiEEEvS4_S4_PT_iii,@function
_ZL13mul_mat_vec_qIN3c104HalfELi256ELi8E11block_iq1_mLi1EXadL_ZL18vec_dot_iq1_m_q8_1PKvPK10block_q8_1RKiEEEvS4_S4_PT_iii: ; @_ZL13mul_mat_vec_qIN3c104HalfELi256ELi8E11block_iq1_mLi1EXadL_ZL18vec_dot_iq1_m_q8_1PKvPK10block_q8_1RKiEEEvS4_S4_PT_iii
; %bb.0:
	s_clause 0x1
	s_load_u16 s2, s[0:1], 0x36
	s_load_b96 s[4:6], s[0:1], 0x18
	v_bfe_u32 v1, v0, 10, 10
	s_wait_kmcnt 0x0
	s_delay_alu instid0(VALU_DEP_1)
	v_mad_co_u64_u32 v[1:2], null, ttmp9, s2, v[1:2]
	s_cmp_lt_u32 ttmp7, s6
	s_cselect_b32 s2, -1, 0
	v_cmp_gt_u32_e32 vcc_lo, s5, v1
	s_wait_alu 0xfffe
	s_and_b32 s2, s2, vcc_lo
	s_wait_alu 0xfffe
	s_and_saveexec_b32 s3, s2
	s_cbranch_execz .LBB96_7
; %bb.1:
	s_load_b64 s[6:7], s[0:1], 0x10
	s_ashr_i32 s2, s4, 31
	v_bfe_u32 v5, v0, 3, 7
	s_wait_alu 0xfffe
	s_lshr_b32 s2, s2, 24
	v_and_b32_e32 v0, 0x3ff, v0
	v_mov_b32_e32 v4, 0
	s_wait_alu 0xfffe
	s_add_co_i32 s2, s4, s2
	s_mov_b32 s8, exec_lo
	s_wait_alu 0xfffe
	s_ashr_i32 s9, s2, 8
	s_delay_alu instid0(SALU_CYCLE_1)
	v_cmpx_gt_u32_e64 s9, v5
	s_cbranch_execz .LBB96_5
; %bb.2:
	s_load_b128 s[0:3], s[0:1], 0x0
	s_addk_co_i32 s4, 0x1ff
	v_and_b32_e32 v8, 1, v0
	s_wait_alu 0xfffe
	s_ashr_i32 s10, s4, 31
	v_and_b32_e32 v10, 7, v0
	s_lshr_b32 s10, s10, 23
	v_dual_mov_b32 v4, 0 :: v_dual_lshlrev_b32 v9, 3, v5
	s_add_co_i32 s4, s4, s10
	v_bfe_u32 v11, v0, 1, 2
	v_cmp_eq_u32_e32 vcc_lo, 1, v8
	s_wait_alu 0xfffe
	s_ashr_i32 s4, s4, 9
	v_mul_lo_u32 v6, v1, s9
	s_wait_alu 0xfffe
	s_mul_i32 s4, ttmp7, s4
	v_lshlrev_b32_e32 v7, 1, v10
	v_cndmask_b32_e64 v8, 0, 6, vcc_lo
	s_wait_alu 0xfffe
	v_lshl_add_u32 v9, s4, 4, v9
	v_lshlrev_b32_e32 v11, 1, v11
	s_mov_b32 s4, 0
	s_mov_b32 s10, 0xbd000000
	s_wait_kmcnt 0x0
	v_mad_co_u64_u32 v[2:3], null, v10, 36, s[2:3]
	v_lshlrev_b32_e32 v10, 2, v10
.LBB96_3:                               ; =>This Inner Loop Header: Depth=1
	v_add_nc_u32_e32 v12, v6, v5
	s_delay_alu instid0(VALU_DEP_3)
	v_mad_co_i64_i32 v[20:21], null, v9, 36, v[2:3]
	s_getpc_b64 s[2:3]
	s_wait_alu 0xfffe
	s_sext_i32_i16 s3, s3
	s_add_co_u32 s2, s2, _ZL13iq1s_grid_gpu@rel32@lo+12
	s_wait_alu 0xfffe
	s_add_co_ci_u32 s3, s3, _ZL13iq1s_grid_gpu@rel32@hi+24
	v_add_nc_u32_e32 v5, 4, v5
	v_mad_co_i64_i32 v[16:17], null, v12, 56, s[0:1]
	v_add_nc_u32_e32 v9, 32, v9
	s_delay_alu instid0(VALU_DEP_2) | instskip(SKIP_1) | instid1(VALU_DEP_3)
	v_add_co_u32 v12, vcc_lo, v16, v7
	s_wait_alu 0xfffd
	v_add_co_ci_u32_e64 v13, null, 0, v17, vcc_lo
	v_add_co_u32 v14, vcc_lo, v16, v11
	s_wait_alu 0xfffd
	v_add_co_ci_u32_e64 v15, null, 0, v17, vcc_lo
	;; [unrolled: 3-line block ×3, first 2 shown]
	s_clause 0x2
	global_load_u16 v24, v[14:15], off offset:48
	global_load_u16 v25, v[12:13], off offset:32
	global_load_b32 v18, v[18:19], off
	global_load_b128 v[12:15], v[20:21], off offset:20
	global_load_b64 v[22:23], v[16:17], off offset:48
	v_cmp_le_u32_e32 vcc_lo, s9, v5
	s_or_b32 s4, vcc_lo, s4
	s_wait_loadcnt 0x4
	v_lshrrev_b32_e32 v24, v8, v24
	s_wait_loadcnt 0x3
	v_lshrrev_b16 v26, 4, v25
	s_wait_loadcnt 0x1
	v_lshrrev_b16 v45, 8, v13
	v_lshrrev_b16 v47, 8, v15
	;; [unrolled: 1-line block ×3, first 2 shown]
	v_ashrrev_i32_e32 v48, 24, v12
	v_bfe_i32 v49, v12, 16, 8
	v_bfe_i32 v12, v12, 0, 8
	;; [unrolled: 1-line block ×5, first 2 shown]
	v_lshrrev_b16 v46, 8, v14
	v_ashrrev_i32_e32 v50, 24, v13
	v_bfe_i32 v51, v13, 16, 8
	v_bfe_i32 v13, v13, 0, 8
	v_ashrrev_i32_e32 v54, 24, v15
	v_bfe_i32 v55, v15, 16, 8
	v_bfe_i32 v15, v15, 0, 8
	v_add_nc_u32_e32 v57, v45, v12
	s_wait_loadcnt 0x0
	v_pk_lshrrev_b16 v22, 0x8000c, v22
	v_add_nc_u32_e32 v59, v47, v52
	v_bfe_i32 v44, v44, 0, 8
	v_bfe_i32 v46, v46, 0, 8
	v_add3_u32 v57, v57, v13, v51
	v_lshrrev_b32_e32 v60, 16, v22
	v_add3_u32 v59, v59, v15, v55
	v_ashrrev_i32_e32 v53, 24, v14
	v_bfe_i32 v14, v14, 16, 8
	v_pk_lshrrev_b16 v23, 4, v23
	v_and_b32_e32 v60, 0xf0, v60
	v_add3_u32 v57, v57, v50, v44
	v_add3_u32 v59, v59, v54, v46
	v_lshlrev_b32_e32 v27, 8, v25
	v_lshrrev_b16 v28, 8, v25
	v_lshrrev_b16 v29, 12, v25
	v_and_b32_e32 v25, 8, v25
	v_and_b32_e32 v23, 0xf0000f00, v23
	v_or_b32_e32 v22, v60, v22
	v_add3_u32 v57, v57, v49, v48
	v_add3_u32 v59, v59, v14, v53
	v_bfe_u32 v17, v18, 8, 8
	v_bfe_u32 v19, v18, 16, 8
	v_cvt_f32_ubyte0_e32 v25, v25
	v_and_b32_e32 v30, 15, v26
	v_lshrrev_b32_e32 v62, 16, v23
	v_or_b32_e32 v22, v22, v23
	v_cvt_f32_i32_e32 v23, v57
	v_cvt_f32_i32_e32 v57, v59
	v_and_b32_e32 v16, 0xff, v18
	v_alignbit_b32 v18, v29, v18, 24
	v_and_b32_e32 v29, 8, v29
	v_dual_fmaak_f32 v25, s10, v25, 0xbf600000 :: v_dual_and_b32 v26, 8, v26
	s_delay_alu instid0(VALU_DEP_4) | instskip(NEXT) | instid1(VALU_DEP_4)
	v_and_or_b32 v16, 0x700, v27, v16
	v_and_b32_e32 v18, 0x7ff, v18
	s_delay_alu instid0(VALU_DEP_4) | instskip(SKIP_3) | instid1(VALU_DEP_4)
	v_cvt_f32_ubyte0_e32 v29, v29
	v_lshlrev_b32_e32 v30, 8, v30
	v_cvt_f32_ubyte0_e32 v26, v26
	v_lshlrev_b32_e32 v27, 8, v28
	v_dual_fmaak_f32 v29, s10, v29, 0xbf600000 :: v_dual_lshlrev_b32 v16, 3, v16
	s_delay_alu instid0(VALU_DEP_4) | instskip(NEXT) | instid1(VALU_DEP_4)
	v_and_or_b32 v17, 0x700, v30, v17
	v_fmaak_f32 v26, s10, v26, 0xbf600000
	s_delay_alu instid0(VALU_DEP_4)
	v_and_or_b32 v19, 0x700, v27, v19
	global_load_b32 v27, v16, s[2:3]
	v_lshlrev_b32_e32 v18, 3, v18
	v_lshlrev_b32_e32 v17, 3, v17
	;; [unrolled: 1-line block ×4, first 2 shown]
	s_clause 0x2
	global_load_b32 v30, v17, s[2:3]
	global_load_b32 v31, v16, s[2:3]
	;; [unrolled: 1-line block ×3, first 2 shown]
	s_clause 0x1
	global_load_b128 v[16:19], v[20:21], off offset:4
	global_load_b32 v20, v[20:21], off
	v_and_b32_e32 v61, 14, v61
	v_and_b32_e32 v28, 8, v28
	v_lshrrev_b32_e32 v24, 2, v24
	s_delay_alu instid0(VALU_DEP_3) | instskip(NEXT) | instid1(VALU_DEP_3)
	v_or_b32_e32 v60, 1, v61
	v_cvt_f32_ubyte0_e32 v28, v28
	s_delay_alu instid0(VALU_DEP_3) | instskip(NEXT) | instid1(VALU_DEP_2)
	v_and_b32_e32 v24, 14, v24
	v_fmaak_f32 v28, s10, v28, 0xbf600000
	s_delay_alu instid0(VALU_DEP_2)
	v_or_b32_e32 v24, 1, v24
	s_wait_loadcnt 0x5
	v_and_b32_e32 v61, 0xf0f0f0f, v27
	v_bfe_u32 v59, v27, 24, 4
	v_lshrrev_b32_e32 v63, 4, v27
	v_lshrrev_b32_e32 v64, 28, v27
	v_bfe_u32 v65, v27, 16, 4
	v_lshrrev_b16 v61, 8, v61
	v_and_b32_e32 v66, 15, v27
	s_wait_loadcnt 0x1
	v_lshrrev_b16 v21, 8, v16
	v_lshrrev_b16 v35, 8, v19
	v_ashrrev_i32_e32 v36, 24, v16
	v_bfe_i32 v37, v16, 16, 8
	v_bfe_i32 v16, v16, 0, 8
	;; [unrolled: 1-line block ×5, first 2 shown]
	v_lshrrev_b16 v33, 8, v17
	v_lshrrev_b16 v34, 8, v18
	v_ashrrev_i32_e32 v42, 24, v19
	v_bfe_i32 v43, v19, 16, 8
	v_bfe_i32 v19, v19, 0, 8
	v_add_nc_u32_e32 v56, v21, v16
	v_add_nc_u32_e32 v58, v35, v40
	v_ashrrev_i32_e32 v38, 24, v17
	v_bfe_i32 v39, v17, 16, 8
	v_bfe_i32 v17, v17, 0, 8
	;; [unrolled: 1-line block ×4, first 2 shown]
	v_add3_u32 v56, v56, v37, v36
	v_add3_u32 v58, v58, v19, v43
	v_ashrrev_i32_e32 v41, 24, v18
	v_bfe_i32 v18, v18, 16, 8
	v_bfe_u32 v67, v27, 20, 4
	v_add3_u32 v56, v56, v33, v17
	v_add3_u32 v58, v58, v42, v34
	v_bfe_u32 v27, v27, 4, 4
	v_lshrrev_b16 v63, 8, v63
	v_mul_i32_i24_e32 v36, v59, v36
	v_and_b32_e32 v59, 0xffff, v61
	v_bfe_u32 v61, v30, 24, 4
	v_lshrrev_b32_e32 v71, 4, v31
	v_add3_u32 v56, v56, v39, v38
	v_add3_u32 v58, v58, v18, v41
	v_mul_i32_i24_e32 v37, v65, v37
	v_mul_i32_i24_e32 v17, v27, v17
	;; [unrolled: 1-line block ×3, first 2 shown]
	v_and_b32_e32 v39, 15, v63
	v_and_b32_e32 v63, 0xf0f0f0f, v30
	v_lshrrev_b32_e32 v65, 28, v30
	v_bfe_u32 v76, v32, 24, 4
	v_and_b32_e32 v77, 0xf0f0f0f, v32
	v_lshrrev_b32_e32 v78, 4, v32
	v_lshrrev_b32_e32 v79, 28, v32
	v_and_b32_e32 v80, 15, v32
	v_bfe_u32 v81, v32, 16, 4
	v_bfe_u32 v82, v32, 20, 4
	;; [unrolled: 1-line block ×3, first 2 shown]
	v_mul_i32_i24_e32 v41, v41, v61
	v_lshrrev_b16 v61, 8, v71
	v_mul_i32_i24_e32 v16, v66, v16
	v_mul_i32_i24_e32 v38, v64, v38
	v_lshrrev_b32_e32 v64, 4, v30
	v_and_b32_e32 v66, 15, v30
	v_bfe_u32 v67, v30, 16, 4
	v_bfe_u32 v68, v30, 20, 4
	v_bfe_u32 v30, v30, 4, 4
	v_and_b32_e32 v70, 0xf0f0f0f, v31
	v_lshrrev_b16 v63, 8, v63
	v_mul_i32_i24_e32 v42, v65, v42
	v_lshrrev_b16 v65, 8, v78
	v_mul_i32_i24_e32 v15, v32, v15
	v_mul_i32_i24_e32 v32, v82, v55
	v_and_b32_e32 v55, 15, v61
	v_bfe_u32 v69, v31, 24, 4
	v_lshrrev_b32_e32 v72, 28, v31
	v_and_b32_e32 v39, 0xffff, v39
	v_lshrrev_b16 v64, 8, v64
	v_mul_i32_i24_e32 v19, v30, v19
	v_mul_i32_i24_e32 v30, v68, v43
	v_lshrrev_b16 v43, 8, v70
	v_and_b32_e32 v61, 0xffff, v63
	v_and_b32_e32 v63, 15, v65
	;; [unrolled: 1-line block ×3, first 2 shown]
	v_bfe_u32 v73, v31, 16, 4
	v_and_b32_e32 v74, 15, v31
	v_bfe_u32 v75, v31, 20, 4
	v_bfe_u32 v31, v31, 4, 4
	v_mul_i32_i24_e32 v48, v48, v69
	v_mul_i32_i24_e32 v50, v72, v50
	;; [unrolled: 1-line block ×4, first 2 shown]
	v_and_b32_e32 v39, 15, v64
	v_add3_u32 v27, v37, v27, v30
	v_add3_u32 v30, v36, v38, v42
	v_and_b32_e32 v36, 0xffff, v43
	v_and_b32_e32 v37, 0xffff, v63
	v_mul_i32_i24_e32 v38, v55, v45
	v_mul_i32_i24_e32 v12, v12, v74
	;; [unrolled: 1-line block ×5, first 2 shown]
	v_lshrrev_b16 v51, 8, v77
	v_add3_u32 v43, v48, v50, v54
	v_and_b32_e32 v39, 0xffff, v39
	v_mul_i32_i24_e32 v37, v37, v47
	v_mad_i32_i24 v36, v44, v36, v38
	v_mul_i32_i24_e32 v14, v14, v81
	v_mul_i32_i24_e32 v53, v53, v76
	v_and_b32_e32 v42, 0xffff, v51
	v_add3_u32 v31, v49, v31, v32
	v_add3_u32 v12, v12, v13, v15
	v_mad_i32_i24 v13, v59, v21, v33
	v_mul_i32_i24_e32 v15, v39, v35
	v_add3_u32 v21, v36, v37, v43
	v_mul_i32_i24_e32 v18, v18, v67
	v_add3_u32 v16, v16, v17, v19
	v_mad_i32_i24 v14, v52, v80, v14
	v_mad_i32_i24 v17, v46, v42, v53
	v_add3_u32 v13, v13, v15, v30
	v_add3_u32 v12, v12, v31, v21
	v_cvt_f32_i32_e32 v56, v56
	v_fma_f32 v15, v28, v23, 0
	v_mad_i32_i24 v18, v40, v66, v18
	v_mad_i32_i24 v19, v34, v61, v41
	v_add3_u32 v13, v16, v27, v13
	v_add3_u32 v12, v14, v17, v12
	v_cvt_f32_i32_e32 v14, v58
	v_fma_f32 v16, v25, v56, 0
	v_fmac_f32_e32 v15, v29, v57
	v_add3_u32 v13, v18, v19, v13
	v_cvt_f32_i32_e32 v12, v12
	v_cvt_f32_ubyte0_e32 v17, v24
	v_or_b32_e32 v18, v22, v62
	v_fmac_f32_e32 v16, v26, v14
	v_cvt_f32_i32_e32 v13, v13
	v_add_f32_e32 v12, v15, v12
	s_wait_loadcnt 0x0
	v_cvt_f32_f16_e32 v14, v20
	v_cvt_f32_ubyte0_e32 v15, v60
	v_cvt_f32_f16_e32 v18, v18
	v_add_f32_e32 v13, v16, v13
	v_mul_f32_e32 v12, v12, v17
	s_delay_alu instid0(VALU_DEP_3) | instskip(NEXT) | instid1(VALU_DEP_2)
	v_mul_f32_e32 v14, v14, v18
	v_fmac_f32_e32 v12, v13, v15
	s_delay_alu instid0(VALU_DEP_1)
	v_fmac_f32_e32 v4, v14, v12
	s_wait_alu 0xfffe
	s_and_not1_b32 exec_lo, exec_lo, s4
	s_cbranch_execnz .LBB96_3
; %bb.4:
	s_or_b32 exec_lo, exec_lo, s4
.LBB96_5:
	s_delay_alu instid0(SALU_CYCLE_1) | instskip(SKIP_1) | instid1(VALU_DEP_1)
	s_or_b32 exec_lo, exec_lo, s8
	v_mbcnt_lo_u32_b32 v2, -1, 0
	v_xor_b32_e32 v3, 16, v2
	v_xor_b32_e32 v5, 8, v2
	s_delay_alu instid0(VALU_DEP_2) | instskip(SKIP_2) | instid1(VALU_DEP_3)
	v_cmp_gt_i32_e32 vcc_lo, 32, v3
	s_wait_alu 0xfffd
	v_cndmask_b32_e32 v3, v2, v3, vcc_lo
	v_cmp_gt_i32_e32 vcc_lo, 32, v5
	s_delay_alu instid0(VALU_DEP_2)
	v_lshlrev_b32_e32 v3, 2, v3
	s_wait_alu 0xfffd
	v_cndmask_b32_e32 v5, v2, v5, vcc_lo
	ds_bpermute_b32 v3, v3, v4
	v_lshlrev_b32_e32 v5, 2, v5
	s_wait_dscnt 0x0
	v_add_f32_e32 v3, v4, v3
	ds_bpermute_b32 v4, v5, v3
	v_xor_b32_e32 v5, 4, v2
	s_delay_alu instid0(VALU_DEP_1) | instskip(SKIP_2) | instid1(VALU_DEP_1)
	v_cmp_gt_i32_e32 vcc_lo, 32, v5
	s_wait_alu 0xfffd
	v_cndmask_b32_e32 v5, v2, v5, vcc_lo
	v_lshlrev_b32_e32 v5, 2, v5
	s_wait_dscnt 0x0
	v_add_f32_e32 v3, v3, v4
	ds_bpermute_b32 v4, v5, v3
	v_xor_b32_e32 v5, 2, v2
	s_delay_alu instid0(VALU_DEP_1) | instskip(SKIP_2) | instid1(VALU_DEP_1)
	v_cmp_gt_i32_e32 vcc_lo, 32, v5
	s_wait_alu 0xfffd
	v_cndmask_b32_e32 v5, v2, v5, vcc_lo
	v_lshlrev_b32_e32 v5, 2, v5
	s_wait_dscnt 0x0
	v_add_f32_e32 v3, v3, v4
	ds_bpermute_b32 v4, v5, v3
	v_xor_b32_e32 v5, 1, v2
	s_delay_alu instid0(VALU_DEP_1) | instskip(SKIP_4) | instid1(VALU_DEP_2)
	v_cmp_gt_i32_e32 vcc_lo, 32, v5
	s_wait_alu 0xfffd
	v_cndmask_b32_e32 v5, v2, v5, vcc_lo
	v_cmp_eq_u32_e32 vcc_lo, 0, v0
	s_wait_dscnt 0x0
	v_dual_add_f32 v2, v3, v4 :: v_dual_lshlrev_b32 v3, 2, v5
	ds_bpermute_b32 v3, v3, v2
	s_and_b32 exec_lo, exec_lo, vcc_lo
	s_cbranch_execz .LBB96_7
; %bb.6:
	v_mad_co_u64_u32 v[0:1], null, s5, ttmp7, v[1:2]
	s_wait_dscnt 0x0
	v_dual_mov_b32 v1, 0 :: v_dual_add_f32 v2, v2, v3
	s_delay_alu instid0(VALU_DEP_1) | instskip(NEXT) | instid1(VALU_DEP_2)
	v_cvt_f16_f32_e32 v2, v2
	v_lshlrev_b64_e32 v[0:1], 1, v[0:1]
	s_wait_kmcnt 0x0
	s_delay_alu instid0(VALU_DEP_1) | instskip(SKIP_1) | instid1(VALU_DEP_2)
	v_add_co_u32 v0, vcc_lo, s6, v0
	s_wait_alu 0xfffd
	v_add_co_ci_u32_e64 v1, null, s7, v1, vcc_lo
	global_store_b16 v[0:1], v2, off
.LBB96_7:
	s_endpgm
	.section	.rodata,"a",@progbits
	.p2align	6, 0x0
	.amdhsa_kernel _ZL13mul_mat_vec_qIN3c104HalfELi256ELi8E11block_iq1_mLi1EXadL_ZL18vec_dot_iq1_m_q8_1PKvPK10block_q8_1RKiEEEvS4_S4_PT_iii
		.amdhsa_group_segment_fixed_size 0
		.amdhsa_private_segment_fixed_size 0
		.amdhsa_kernarg_size 296
		.amdhsa_user_sgpr_count 2
		.amdhsa_user_sgpr_dispatch_ptr 0
		.amdhsa_user_sgpr_queue_ptr 0
		.amdhsa_user_sgpr_kernarg_segment_ptr 1
		.amdhsa_user_sgpr_dispatch_id 0
		.amdhsa_user_sgpr_private_segment_size 0
		.amdhsa_wavefront_size32 1
		.amdhsa_uses_dynamic_stack 0
		.amdhsa_enable_private_segment 0
		.amdhsa_system_sgpr_workgroup_id_x 1
		.amdhsa_system_sgpr_workgroup_id_y 1
		.amdhsa_system_sgpr_workgroup_id_z 0
		.amdhsa_system_sgpr_workgroup_info 0
		.amdhsa_system_vgpr_workitem_id 1
		.amdhsa_next_free_vgpr 83
		.amdhsa_next_free_sgpr 11
		.amdhsa_reserve_vcc 1
		.amdhsa_float_round_mode_32 0
		.amdhsa_float_round_mode_16_64 0
		.amdhsa_float_denorm_mode_32 3
		.amdhsa_float_denorm_mode_16_64 3
		.amdhsa_fp16_overflow 0
		.amdhsa_workgroup_processor_mode 1
		.amdhsa_memory_ordered 1
		.amdhsa_forward_progress 1
		.amdhsa_inst_pref_size 19
		.amdhsa_round_robin_scheduling 0
		.amdhsa_exception_fp_ieee_invalid_op 0
		.amdhsa_exception_fp_denorm_src 0
		.amdhsa_exception_fp_ieee_div_zero 0
		.amdhsa_exception_fp_ieee_overflow 0
		.amdhsa_exception_fp_ieee_underflow 0
		.amdhsa_exception_fp_ieee_inexact 0
		.amdhsa_exception_int_div_zero 0
	.end_amdhsa_kernel
	.section	.text._ZL13mul_mat_vec_qIN3c104HalfELi256ELi8E11block_iq1_mLi1EXadL_ZL18vec_dot_iq1_m_q8_1PKvPK10block_q8_1RKiEEEvS4_S4_PT_iii,"axG",@progbits,_ZL13mul_mat_vec_qIN3c104HalfELi256ELi8E11block_iq1_mLi1EXadL_ZL18vec_dot_iq1_m_q8_1PKvPK10block_q8_1RKiEEEvS4_S4_PT_iii,comdat
.Lfunc_end96:
	.size	_ZL13mul_mat_vec_qIN3c104HalfELi256ELi8E11block_iq1_mLi1EXadL_ZL18vec_dot_iq1_m_q8_1PKvPK10block_q8_1RKiEEEvS4_S4_PT_iii, .Lfunc_end96-_ZL13mul_mat_vec_qIN3c104HalfELi256ELi8E11block_iq1_mLi1EXadL_ZL18vec_dot_iq1_m_q8_1PKvPK10block_q8_1RKiEEEvS4_S4_PT_iii
                                        ; -- End function
	.set _ZL13mul_mat_vec_qIN3c104HalfELi256ELi8E11block_iq1_mLi1EXadL_ZL18vec_dot_iq1_m_q8_1PKvPK10block_q8_1RKiEEEvS4_S4_PT_iii.num_vgpr, 83
	.set _ZL13mul_mat_vec_qIN3c104HalfELi256ELi8E11block_iq1_mLi1EXadL_ZL18vec_dot_iq1_m_q8_1PKvPK10block_q8_1RKiEEEvS4_S4_PT_iii.num_agpr, 0
	.set _ZL13mul_mat_vec_qIN3c104HalfELi256ELi8E11block_iq1_mLi1EXadL_ZL18vec_dot_iq1_m_q8_1PKvPK10block_q8_1RKiEEEvS4_S4_PT_iii.numbered_sgpr, 11
	.set _ZL13mul_mat_vec_qIN3c104HalfELi256ELi8E11block_iq1_mLi1EXadL_ZL18vec_dot_iq1_m_q8_1PKvPK10block_q8_1RKiEEEvS4_S4_PT_iii.num_named_barrier, 0
	.set _ZL13mul_mat_vec_qIN3c104HalfELi256ELi8E11block_iq1_mLi1EXadL_ZL18vec_dot_iq1_m_q8_1PKvPK10block_q8_1RKiEEEvS4_S4_PT_iii.private_seg_size, 0
	.set _ZL13mul_mat_vec_qIN3c104HalfELi256ELi8E11block_iq1_mLi1EXadL_ZL18vec_dot_iq1_m_q8_1PKvPK10block_q8_1RKiEEEvS4_S4_PT_iii.uses_vcc, 1
	.set _ZL13mul_mat_vec_qIN3c104HalfELi256ELi8E11block_iq1_mLi1EXadL_ZL18vec_dot_iq1_m_q8_1PKvPK10block_q8_1RKiEEEvS4_S4_PT_iii.uses_flat_scratch, 0
	.set _ZL13mul_mat_vec_qIN3c104HalfELi256ELi8E11block_iq1_mLi1EXadL_ZL18vec_dot_iq1_m_q8_1PKvPK10block_q8_1RKiEEEvS4_S4_PT_iii.has_dyn_sized_stack, 0
	.set _ZL13mul_mat_vec_qIN3c104HalfELi256ELi8E11block_iq1_mLi1EXadL_ZL18vec_dot_iq1_m_q8_1PKvPK10block_q8_1RKiEEEvS4_S4_PT_iii.has_recursion, 0
	.set _ZL13mul_mat_vec_qIN3c104HalfELi256ELi8E11block_iq1_mLi1EXadL_ZL18vec_dot_iq1_m_q8_1PKvPK10block_q8_1RKiEEEvS4_S4_PT_iii.has_indirect_call, 0
	.section	.AMDGPU.csdata,"",@progbits
; Kernel info:
; codeLenInByte = 2312
; TotalNumSgprs: 13
; NumVgprs: 83
; ScratchSize: 0
; MemoryBound: 0
; FloatMode: 240
; IeeeMode: 1
; LDSByteSize: 0 bytes/workgroup (compile time only)
; SGPRBlocks: 0
; VGPRBlocks: 10
; NumSGPRsForWavesPerEU: 13
; NumVGPRsForWavesPerEU: 83
; Occupancy: 16
; WaveLimiterHint : 0
; COMPUTE_PGM_RSRC2:SCRATCH_EN: 0
; COMPUTE_PGM_RSRC2:USER_SGPR: 2
; COMPUTE_PGM_RSRC2:TRAP_HANDLER: 0
; COMPUTE_PGM_RSRC2:TGID_X_EN: 1
; COMPUTE_PGM_RSRC2:TGID_Y_EN: 1
; COMPUTE_PGM_RSRC2:TGID_Z_EN: 0
; COMPUTE_PGM_RSRC2:TIDIG_COMP_CNT: 1
	.section	.text._ZL13quantize_q8_1IN3c108BFloat16EEvPKT_Pvii,"axG",@progbits,_ZL13quantize_q8_1IN3c108BFloat16EEvPKT_Pvii,comdat
	.globl	_ZL13quantize_q8_1IN3c108BFloat16EEvPKT_Pvii ; -- Begin function _ZL13quantize_q8_1IN3c108BFloat16EEvPKT_Pvii
	.p2align	8
	.type	_ZL13quantize_q8_1IN3c108BFloat16EEvPKT_Pvii,@function
_ZL13quantize_q8_1IN3c108BFloat16EEvPKT_Pvii: ; @_ZL13quantize_q8_1IN3c108BFloat16EEvPKT_Pvii
; %bb.0:
	s_clause 0x1
	s_load_b32 s4, s[0:1], 0x24
	s_load_b64 s[2:3], s[0:1], 0x10
	v_and_b32_e32 v1, 0x3ff, v0
	s_wait_kmcnt 0x0
	s_and_b32 s4, s4, 0xffff
	s_delay_alu instid0(VALU_DEP_1) | instid1(SALU_CYCLE_1)
	v_mad_co_u64_u32 v[1:2], null, ttmp9, s4, v[1:2]
	s_mov_b32 s4, exec_lo
	v_cmpx_gt_u32_e64 s3, v1
	s_cbranch_execz .LBB97_7
; %bb.1:
	s_add_nc_u64 s[4:5], s[0:1], 24
	v_bfe_u32 v0, v0, 10, 10
	s_load_u16 s4, s[4:5], 0xe
	s_wait_kmcnt 0x0
	s_delay_alu instid0(VALU_DEP_1)
	v_mad_co_u64_u32 v[2:3], null, ttmp7, s4, v[0:1]
	v_dual_mov_b32 v3, 0 :: v_dual_mov_b32 v0, 0
	s_mov_b32 s4, exec_lo
	v_cmpx_gt_u32_e64 s2, v1
	s_cbranch_execz .LBB97_3
; %bb.2:
	s_load_b64 s[6:7], s[0:1], 0x0
	s_delay_alu instid0(VALU_DEP_3) | instskip(SKIP_1) | instid1(VALU_DEP_1)
	v_mad_co_u64_u32 v[4:5], null, v2, s2, v[1:2]
	v_mov_b32_e32 v5, 0
	v_lshlrev_b64_e32 v[4:5], 1, v[4:5]
	s_wait_kmcnt 0x0
	s_delay_alu instid0(VALU_DEP_1) | instskip(NEXT) | instid1(VALU_DEP_1)
	v_add_co_u32 v4, vcc_lo, s6, v4
	v_add_co_ci_u32_e64 v5, null, s7, v5, vcc_lo
	global_load_u16 v0, v[4:5], off
	s_wait_loadcnt 0x0
	v_lshlrev_b32_e32 v0, 16, v0
.LBB97_3:
	s_wait_alu 0xfffe
	s_or_b32 exec_lo, exec_lo, s4
	v_mbcnt_lo_u32_b32 v4, -1, 0
	s_delay_alu instid0(VALU_DEP_2)
	v_max_num_f32_e64 v8, |v0|, |v0|
	s_load_b64 s[0:1], s[0:1], 0x8
	s_mov_b32 s2, exec_lo
	v_and_b32_e32 v6, 0x7fffffff, v0
	v_xor_b32_e32 v5, 16, v4
	v_xor_b32_e32 v7, 8, v4
	;; [unrolled: 1-line block ×5, first 2 shown]
	v_cmp_gt_i32_e32 vcc_lo, 32, v5
	s_wait_alu 0xfffd
	v_cndmask_b32_e32 v5, v4, v5, vcc_lo
	v_cmp_gt_i32_e32 vcc_lo, 32, v7
	s_delay_alu instid0(VALU_DEP_2)
	v_lshlrev_b32_e32 v5, 2, v5
	ds_bpermute_b32 v6, v5, v6
	s_wait_dscnt 0x0
	v_max_num_f32_e32 v6, v6, v6
	ds_bpermute_b32 v5, v5, v0
	v_max_num_f32_e32 v6, v8, v6
	s_wait_alu 0xfffd
	v_cndmask_b32_e32 v7, v4, v7, vcc_lo
	v_cmp_gt_i32_e32 vcc_lo, 32, v9
	s_delay_alu instid0(VALU_DEP_2)
	v_lshlrev_b32_e32 v7, 2, v7
	s_wait_alu 0xfffd
	v_cndmask_b32_e32 v9, v4, v9, vcc_lo
	v_cmp_gt_i32_e32 vcc_lo, 32, v10
	s_wait_alu 0xfffd
	v_cndmask_b32_e32 v10, v4, v10, vcc_lo
	v_cmp_gt_i32_e32 vcc_lo, 32, v11
	s_wait_dscnt 0x0
	v_add_f32_e32 v5, v0, v5
	s_wait_alu 0xfffd
	v_cndmask_b32_e32 v4, v4, v11, vcc_lo
	s_delay_alu instid0(VALU_DEP_1)
	v_lshlrev_b32_e32 v11, 2, v4
	v_lshlrev_b32_e32 v10, 2, v10
	;; [unrolled: 1-line block ×3, first 2 shown]
	ds_bpermute_b32 v8, v7, v6
	s_wait_dscnt 0x0
	v_max_num_f32_e32 v8, v8, v8
	ds_bpermute_b32 v7, v7, v5
	v_max_num_f32_e32 v6, v6, v8
	ds_bpermute_b32 v8, v9, v6
	s_wait_dscnt 0x1
	v_add_f32_e32 v5, v5, v7
	ds_bpermute_b32 v7, v9, v5
	s_wait_dscnt 0x1
	v_max_num_f32_e32 v8, v8, v8
	s_delay_alu instid0(VALU_DEP_1) | instskip(SKIP_3) | instid1(VALU_DEP_1)
	v_max_num_f32_e32 v6, v6, v8
	ds_bpermute_b32 v8, v10, v6
	s_wait_dscnt 0x0
	v_max_num_f32_e32 v8, v8, v8
	v_max_num_f32_e32 v4, v6, v8
	ds_bpermute_b32 v6, v11, v4
	s_wait_dscnt 0x0
	v_max_num_f32_e32 v6, v6, v6
	s_delay_alu instid0(VALU_DEP_1) | instskip(SKIP_1) | instid1(VALU_DEP_2)
	v_max_num_f32_e32 v8, v4, v6
	v_add_f32_e32 v4, v5, v7
	v_div_scale_f32 v6, null, 0x42fe0000, 0x42fe0000, v8
	ds_bpermute_b32 v5, v10, v4
	v_div_scale_f32 v10, vcc_lo, v8, 0x42fe0000, v8
	v_rcp_f32_e32 v9, v6
	s_delay_alu instid0(TRANS32_DEP_1) | instskip(NEXT) | instid1(VALU_DEP_1)
	v_fma_f32 v7, -v6, v9, 1.0
	v_fmac_f32_e32 v9, v7, v9
	s_wait_dscnt 0x0
	v_add_f32_e32 v4, v4, v5
	s_delay_alu instid0(VALU_DEP_2) | instskip(SKIP_2) | instid1(VALU_DEP_1)
	v_mul_f32_e32 v7, v10, v9
	ds_bpermute_b32 v5, v11, v4
	v_fma_f32 v12, -v6, v7, v10
	v_fmac_f32_e32 v7, v12, v9
	s_delay_alu instid0(VALU_DEP_1) | instskip(SKIP_1) | instid1(VALU_DEP_1)
	v_fma_f32 v6, -v6, v7, v10
	s_wait_alu 0xfffd
	v_div_fmas_f32 v6, v6, v9, v7
	s_delay_alu instid0(VALU_DEP_1)
	v_div_fixup_f32 v6, v6, 0x42fe0000, v8
	v_cmpx_neq_f32_e32 0, v8
	s_cbranch_execz .LBB97_5
; %bb.4:
	s_delay_alu instid0(VALU_DEP_2) | instskip(SKIP_1) | instid1(VALU_DEP_2)
	v_div_scale_f32 v3, null, v6, v6, v0
	v_div_scale_f32 v9, vcc_lo, v0, v6, v0
	v_rcp_f32_e32 v7, v3
	s_delay_alu instid0(TRANS32_DEP_1) | instskip(NEXT) | instid1(VALU_DEP_1)
	v_fma_f32 v8, -v3, v7, 1.0
	v_fmac_f32_e32 v7, v8, v7
	s_delay_alu instid0(VALU_DEP_1) | instskip(NEXT) | instid1(VALU_DEP_1)
	v_mul_f32_e32 v8, v9, v7
	v_fma_f32 v10, -v3, v8, v9
	s_delay_alu instid0(VALU_DEP_1) | instskip(NEXT) | instid1(VALU_DEP_1)
	v_fmac_f32_e32 v8, v10, v7
	v_fma_f32 v3, -v3, v8, v9
	s_wait_alu 0xfffd
	s_delay_alu instid0(VALU_DEP_1) | instskip(NEXT) | instid1(VALU_DEP_1)
	v_div_fmas_f32 v3, v3, v7, v8
	v_div_fixup_f32 v0, v3, v6, v0
	s_delay_alu instid0(VALU_DEP_1) | instskip(NEXT) | instid1(VALU_DEP_1)
	v_trunc_f32_e32 v3, v0
	v_sub_f32_e32 v7, v0, v3
	s_delay_alu instid0(VALU_DEP_1) | instskip(SKIP_1) | instid1(VALU_DEP_1)
	v_cmp_ge_f32_e64 s4, |v7|, 0.5
	s_wait_alu 0xf1ff
	v_cndmask_b32_e64 v7, 0, 1.0, s4
	s_delay_alu instid0(VALU_DEP_1) | instskip(NEXT) | instid1(VALU_DEP_1)
	v_bfi_b32 v0, 0x7fffffff, v7, v0
	v_add_f32_e32 v0, v3, v0
	s_delay_alu instid0(VALU_DEP_1)
	v_cvt_i32_f32_e32 v3, v0
.LBB97_5:
	s_wait_alu 0xfffe
	s_or_b32 exec_lo, exec_lo, s2
	v_mad_co_u64_u32 v[0:1], null, v2, s3, v[1:2]
	s_delay_alu instid0(VALU_DEP_1) | instskip(NEXT) | instid1(VALU_DEP_1)
	v_ashrrev_i32_e32 v1, 31, v0
	v_lshrrev_b32_e32 v1, 27, v1
	s_delay_alu instid0(VALU_DEP_1) | instskip(NEXT) | instid1(VALU_DEP_1)
	v_add_nc_u32_e32 v1, v0, v1
	v_and_b32_e32 v2, 0xffffffe0, v1
	v_ashrrev_i32_e32 v1, 5, v1
	s_delay_alu instid0(VALU_DEP_2) | instskip(SKIP_1) | instid1(VALU_DEP_2)
	v_sub_nc_u32_e32 v2, v0, v2
	s_wait_kmcnt 0x0
	v_mad_co_i64_i32 v[0:1], null, v1, 36, s[0:1]
	s_delay_alu instid0(VALU_DEP_2) | instskip(NEXT) | instid1(VALU_DEP_2)
	v_ashrrev_i32_e32 v8, 31, v2
	v_add_co_u32 v7, vcc_lo, v0, v2
	s_wait_alu 0xfffd
	s_delay_alu instid0(VALU_DEP_2)
	v_add_co_ci_u32_e64 v8, null, v1, v8, vcc_lo
	v_cmp_gt_i32_e32 vcc_lo, 1, v2
	global_store_b8 v[7:8], v3, off offset:4
	s_and_b32 exec_lo, exec_lo, vcc_lo
	s_cbranch_execz .LBB97_7
; %bb.6:
	s_wait_dscnt 0x0
	v_add_f32_e32 v2, v4, v5
	v_cvt_f16_f32_e32 v3, v6
	s_delay_alu instid0(VALU_DEP_2) | instskip(NEXT) | instid1(VALU_DEP_1)
	v_cvt_f16_f32_e32 v2, v2
	v_pack_b32_f16 v2, v3, v2
	global_store_b32 v[0:1], v2, off
.LBB97_7:
	s_endpgm
	.section	.rodata,"a",@progbits
	.p2align	6, 0x0
	.amdhsa_kernel _ZL13quantize_q8_1IN3c108BFloat16EEvPKT_Pvii
		.amdhsa_group_segment_fixed_size 0
		.amdhsa_private_segment_fixed_size 0
		.amdhsa_kernarg_size 280
		.amdhsa_user_sgpr_count 2
		.amdhsa_user_sgpr_dispatch_ptr 0
		.amdhsa_user_sgpr_queue_ptr 0
		.amdhsa_user_sgpr_kernarg_segment_ptr 1
		.amdhsa_user_sgpr_dispatch_id 0
		.amdhsa_user_sgpr_private_segment_size 0
		.amdhsa_wavefront_size32 1
		.amdhsa_uses_dynamic_stack 0
		.amdhsa_enable_private_segment 0
		.amdhsa_system_sgpr_workgroup_id_x 1
		.amdhsa_system_sgpr_workgroup_id_y 1
		.amdhsa_system_sgpr_workgroup_id_z 0
		.amdhsa_system_sgpr_workgroup_info 0
		.amdhsa_system_vgpr_workitem_id 1
		.amdhsa_next_free_vgpr 13
		.amdhsa_next_free_sgpr 8
		.amdhsa_reserve_vcc 1
		.amdhsa_float_round_mode_32 0
		.amdhsa_float_round_mode_16_64 0
		.amdhsa_float_denorm_mode_32 3
		.amdhsa_float_denorm_mode_16_64 3
		.amdhsa_fp16_overflow 0
		.amdhsa_workgroup_processor_mode 1
		.amdhsa_memory_ordered 1
		.amdhsa_forward_progress 1
		.amdhsa_inst_pref_size 8
		.amdhsa_round_robin_scheduling 0
		.amdhsa_exception_fp_ieee_invalid_op 0
		.amdhsa_exception_fp_denorm_src 0
		.amdhsa_exception_fp_ieee_div_zero 0
		.amdhsa_exception_fp_ieee_overflow 0
		.amdhsa_exception_fp_ieee_underflow 0
		.amdhsa_exception_fp_ieee_inexact 0
		.amdhsa_exception_int_div_zero 0
	.end_amdhsa_kernel
	.section	.text._ZL13quantize_q8_1IN3c108BFloat16EEvPKT_Pvii,"axG",@progbits,_ZL13quantize_q8_1IN3c108BFloat16EEvPKT_Pvii,comdat
.Lfunc_end97:
	.size	_ZL13quantize_q8_1IN3c108BFloat16EEvPKT_Pvii, .Lfunc_end97-_ZL13quantize_q8_1IN3c108BFloat16EEvPKT_Pvii
                                        ; -- End function
	.set _ZL13quantize_q8_1IN3c108BFloat16EEvPKT_Pvii.num_vgpr, 13
	.set _ZL13quantize_q8_1IN3c108BFloat16EEvPKT_Pvii.num_agpr, 0
	.set _ZL13quantize_q8_1IN3c108BFloat16EEvPKT_Pvii.numbered_sgpr, 8
	.set _ZL13quantize_q8_1IN3c108BFloat16EEvPKT_Pvii.num_named_barrier, 0
	.set _ZL13quantize_q8_1IN3c108BFloat16EEvPKT_Pvii.private_seg_size, 0
	.set _ZL13quantize_q8_1IN3c108BFloat16EEvPKT_Pvii.uses_vcc, 1
	.set _ZL13quantize_q8_1IN3c108BFloat16EEvPKT_Pvii.uses_flat_scratch, 0
	.set _ZL13quantize_q8_1IN3c108BFloat16EEvPKT_Pvii.has_dyn_sized_stack, 0
	.set _ZL13quantize_q8_1IN3c108BFloat16EEvPKT_Pvii.has_recursion, 0
	.set _ZL13quantize_q8_1IN3c108BFloat16EEvPKT_Pvii.has_indirect_call, 0
	.section	.AMDGPU.csdata,"",@progbits
; Kernel info:
; codeLenInByte = 976
; TotalNumSgprs: 10
; NumVgprs: 13
; ScratchSize: 0
; MemoryBound: 0
; FloatMode: 240
; IeeeMode: 1
; LDSByteSize: 0 bytes/workgroup (compile time only)
; SGPRBlocks: 0
; VGPRBlocks: 1
; NumSGPRsForWavesPerEU: 10
; NumVGPRsForWavesPerEU: 13
; Occupancy: 16
; WaveLimiterHint : 0
; COMPUTE_PGM_RSRC2:SCRATCH_EN: 0
; COMPUTE_PGM_RSRC2:USER_SGPR: 2
; COMPUTE_PGM_RSRC2:TRAP_HANDLER: 0
; COMPUTE_PGM_RSRC2:TGID_X_EN: 1
; COMPUTE_PGM_RSRC2:TGID_Y_EN: 1
; COMPUTE_PGM_RSRC2:TGID_Z_EN: 0
; COMPUTE_PGM_RSRC2:TIDIG_COMP_CNT: 1
	.section	.text._ZL13mul_mat_vec_qIN3c108BFloat16ELi32ELi4E10block_q4_0Li2EXadL_ZL17vec_dot_q4_0_q8_1PKvPK10block_q8_1RKiEEEvS4_S4_PT_iii,"axG",@progbits,_ZL13mul_mat_vec_qIN3c108BFloat16ELi32ELi4E10block_q4_0Li2EXadL_ZL17vec_dot_q4_0_q8_1PKvPK10block_q8_1RKiEEEvS4_S4_PT_iii,comdat
	.globl	_ZL13mul_mat_vec_qIN3c108BFloat16ELi32ELi4E10block_q4_0Li2EXadL_ZL17vec_dot_q4_0_q8_1PKvPK10block_q8_1RKiEEEvS4_S4_PT_iii ; -- Begin function _ZL13mul_mat_vec_qIN3c108BFloat16ELi32ELi4E10block_q4_0Li2EXadL_ZL17vec_dot_q4_0_q8_1PKvPK10block_q8_1RKiEEEvS4_S4_PT_iii
	.p2align	8
	.type	_ZL13mul_mat_vec_qIN3c108BFloat16ELi32ELi4E10block_q4_0Li2EXadL_ZL17vec_dot_q4_0_q8_1PKvPK10block_q8_1RKiEEEvS4_S4_PT_iii,@function
_ZL13mul_mat_vec_qIN3c108BFloat16ELi32ELi4E10block_q4_0Li2EXadL_ZL17vec_dot_q4_0_q8_1PKvPK10block_q8_1RKiEEEvS4_S4_PT_iii: ; @_ZL13mul_mat_vec_qIN3c108BFloat16ELi32ELi4E10block_q4_0Li2EXadL_ZL17vec_dot_q4_0_q8_1PKvPK10block_q8_1RKiEEEvS4_S4_PT_iii
; %bb.0:
	s_clause 0x1
	s_load_u16 s2, s[0:1], 0x36
	s_load_b96 s[4:6], s[0:1], 0x18
	v_bfe_u32 v1, v0, 10, 10
	s_wait_kmcnt 0x0
	s_delay_alu instid0(VALU_DEP_1)
	v_mad_co_u64_u32 v[1:2], null, ttmp9, s2, v[1:2]
	s_cmp_lt_u32 ttmp7, s6
	s_cselect_b32 s2, -1, 0
	v_cmp_gt_u32_e32 vcc_lo, s5, v1
	s_wait_alu 0xfffe
	s_and_b32 s2, s2, vcc_lo
	s_wait_alu 0xfffe
	s_and_saveexec_b32 s3, s2
	s_cbranch_execz .LBB98_7
; %bb.1:
	s_load_b64 s[6:7], s[0:1], 0x10
	s_ashr_i32 s2, s4, 31
	v_bfe_u32 v3, v0, 1, 9
	s_wait_alu 0xfffe
	s_lshr_b32 s2, s2, 27
	v_and_b32_e32 v0, 0x3ff, v0
	v_mov_b32_e32 v2, 0
	s_wait_alu 0xfffe
	s_add_co_i32 s2, s4, s2
	s_mov_b32 s8, exec_lo
	s_wait_alu 0xfffe
	s_ashr_i32 s9, s2, 5
	s_delay_alu instid0(SALU_CYCLE_1)
	v_cmpx_gt_u32_e64 s9, v3
	s_cbranch_execz .LBB98_5
; %bb.2:
	s_load_b128 s[0:3], s[0:1], 0x0
	s_addk_co_i32 s4, 0x1ff
	v_lshlrev_b32_e32 v2, 3, v0
	s_wait_alu 0xfffe
	s_ashr_i32 s10, s4, 31
	v_mul_lo_u32 v4, v1, s9
	s_lshr_b32 s10, s10, 23
	s_delay_alu instid0(SALU_CYCLE_1)
	s_add_co_i32 s4, s4, s10
	v_dual_mov_b32 v2, 0 :: v_dual_and_b32 v5, 8, v2
	s_wait_alu 0xfffe
	s_ashr_i32 s4, s4, 9
	s_mov_b32 s10, 0
	s_wait_alu 0xfffe
	s_mul_i32 s4, ttmp7, s4
	s_wait_alu 0xfffe
	s_lshl_b32 s4, s4, 4
.LBB98_3:                               ; =>This Inner Loop Header: Depth=1
	v_add_nc_u32_e32 v6, v4, v3
	s_wait_alu 0xfffe
	v_add_nc_u32_e32 v8, s4, v3
	v_add_nc_u32_e32 v3, 16, v3
	s_wait_kmcnt 0x0
	v_mad_co_i64_i32 v[6:7], null, v6, 18, s[0:1]
	s_delay_alu instid0(VALU_DEP_3) | instskip(NEXT) | instid1(VALU_DEP_2)
	v_mad_co_i64_i32 v[8:9], null, v8, 36, s[2:3]
	v_add_co_u32 v10, vcc_lo, v6, v5
	s_wait_alu 0xfffd
	s_delay_alu instid0(VALU_DEP_3) | instskip(NEXT) | instid1(VALU_DEP_3)
	v_add_co_ci_u32_e64 v11, null, 0, v7, vcc_lo
	v_add_co_u32 v12, vcc_lo, v8, v5
	s_wait_alu 0xfffd
	s_delay_alu instid0(VALU_DEP_4)
	v_add_co_ci_u32_e64 v13, null, 0, v9, vcc_lo
	global_load_b64 v[10:11], v[10:11], off offset:2
	s_clause 0x2
	global_load_b64 v[14:15], v[12:13], off offset:4
	global_load_b64 v[12:13], v[12:13], off offset:20
	global_load_b32 v8, v[8:9], off
	global_load_u16 v6, v[6:7], off
	v_cmp_le_u32_e32 vcc_lo, s9, v3
	s_or_b32 s10, vcc_lo, s10
	s_wait_loadcnt 0x4
	v_lshrrev_b32_e32 v18, 4, v10
	v_bfe_u32 v16, v10, 24, 4
	s_wait_loadcnt 0x2
	v_lshrrev_b16 v9, 8, v12
	v_and_b32_e32 v17, 0xf0f0f0f, v10
	v_lshrrev_b32_e32 v19, 28, v10
	v_bfe_u32 v20, v10, 16, 4
	v_and_b32_e32 v21, 15, v10
	v_bfe_u32 v24, v10, 20, 4
	v_bfe_u32 v10, v10, 4, 4
	v_ashrrev_i32_e32 v25, 24, v12
	v_bfe_i32 v26, v12, 16, 8
	v_bfe_i32 v12, v12, 0, 8
	v_and_b32_e32 v28, 0xf0f0f0f, v11
	v_lshrrev_b32_e32 v29, 4, v11
	v_lshrrev_b16 v18, 8, v18
	v_lshrrev_b16 v7, 8, v14
	;; [unrolled: 1-line block ×3, first 2 shown]
	v_mul_i32_i24_e32 v10, v10, v12
	v_mul_i32_i24_e32 v12, v24, v26
	;; [unrolled: 1-line block ×3, first 2 shown]
	v_lshrrev_b16 v24, 8, v28
	v_lshrrev_b16 v25, 8, v29
	v_and_b32_e32 v18, 15, v18
	v_bfe_i32 v22, v14, 16, 8
	v_bfe_i32 v23, v14, 0, 8
	v_ashrrev_i32_e32 v14, 24, v14
	v_bfe_u32 v27, v11, 24, 4
	v_lshrrev_b32_e32 v30, 28, v11
	v_ashrrev_i32_e32 v33, 24, v15
	v_bfe_i32 v35, v15, 8, 8
	v_ashrrev_i32_e32 v37, 24, v13
	v_bfe_i32 v7, v7, 0, 8
	v_bfe_i32 v9, v9, 0, 8
	v_and_b32_e32 v17, 0xffff, v17
	v_and_b32_e32 v24, 0xffff, v24
	;; [unrolled: 1-line block ×4, first 2 shown]
	v_bfe_u32 v31, v11, 16, 4
	v_and_b32_e32 v32, 15, v11
	v_bfe_i32 v34, v15, 16, 8
	v_bfe_i32 v15, v15, 0, 8
	v_bfe_u32 v36, v11, 20, 4
	v_bfe_u32 v11, v11, 4, 4
	v_bfe_i32 v38, v13, 16, 8
	v_bfe_i32 v39, v13, 8, 8
	v_bfe_i32 v13, v13, 0, 8
	v_mul_i32_i24_e32 v27, v33, v27
	v_mul_i32_i24_e32 v28, v37, v30
	v_mad_i32_i24 v14, v16, v14, v19
	v_mul_i32_i24_e32 v7, v17, v7
	v_mul_i32_i24_e32 v16, v35, v24
	v_and_b32_e32 v17, 0xffff, v25
	v_mul_i32_i24_e32 v9, v18, v9
	v_mul_i32_i24_e32 v15, v15, v32
	;; [unrolled: 1-line block ×5, first 2 shown]
	v_mad_i32_i24 v10, v21, v23, v10
	v_mad_i32_i24 v12, v20, v22, v12
	v_add3_u32 v14, v14, v27, v28
	v_mul_i32_i24_e32 v17, v39, v17
	v_add3_u32 v7, v7, v9, v16
	s_wait_loadcnt 0x1
	v_lshrrev_b32_e32 v9, 16, v8
	v_add3_u32 v12, v12, v26, v13
	v_add3_u32 v10, v10, v15, v11
	;; [unrolled: 1-line block ×3, first 2 shown]
	s_delay_alu instid0(VALU_DEP_4) | instskip(NEXT) | instid1(VALU_DEP_2)
	v_cvt_f32_f16_e32 v9, v9
	v_add3_u32 v7, v10, v12, v7
	s_delay_alu instid0(VALU_DEP_2) | instskip(NEXT) | instid1(VALU_DEP_2)
	v_mul_f32_e32 v9, -4.0, v9
	v_cvt_f32_i32_e32 v7, v7
	s_delay_alu instid0(VALU_DEP_1) | instskip(SKIP_1) | instid1(VALU_DEP_1)
	v_fma_mix_f32 v7, v8, v7, v9 op_sel_hi:[1,0,0]
	s_wait_loadcnt 0x0
	v_fma_mix_f32 v2, v7, v6, v2 op_sel_hi:[0,1,0]
	s_and_not1_b32 exec_lo, exec_lo, s10
	s_cbranch_execnz .LBB98_3
; %bb.4:
	s_or_b32 exec_lo, exec_lo, s10
.LBB98_5:
	s_delay_alu instid0(SALU_CYCLE_1) | instskip(SKIP_1) | instid1(VALU_DEP_1)
	s_or_b32 exec_lo, exec_lo, s8
	v_mbcnt_lo_u32_b32 v3, -1, 0
	v_xor_b32_e32 v4, 16, v3
	v_xor_b32_e32 v5, 8, v3
	s_delay_alu instid0(VALU_DEP_2) | instskip(SKIP_2) | instid1(VALU_DEP_3)
	v_cmp_gt_i32_e32 vcc_lo, 32, v4
	s_wait_alu 0xfffd
	v_cndmask_b32_e32 v4, v3, v4, vcc_lo
	v_cmp_gt_i32_e32 vcc_lo, 32, v5
	s_wait_alu 0xfffd
	v_cndmask_b32_e32 v5, v3, v5, vcc_lo
	s_delay_alu instid0(VALU_DEP_1)
	v_lshlrev_b32_e32 v5, 2, v5
	v_lshlrev_b32_e32 v4, 2, v4
	ds_bpermute_b32 v4, v4, v2
	s_wait_dscnt 0x0
	v_add_f32_e32 v2, v2, v4
	ds_bpermute_b32 v4, v5, v2
	v_xor_b32_e32 v5, 4, v3
	s_delay_alu instid0(VALU_DEP_1) | instskip(SKIP_3) | instid1(VALU_DEP_1)
	v_cmp_gt_i32_e32 vcc_lo, 32, v5
	s_wait_alu 0xfffd
	v_cndmask_b32_e32 v5, v3, v5, vcc_lo
	s_wait_dscnt 0x0
	v_dual_add_f32 v2, v2, v4 :: v_dual_lshlrev_b32 v5, 2, v5
	ds_bpermute_b32 v4, v5, v2
	v_xor_b32_e32 v5, 2, v3
	s_delay_alu instid0(VALU_DEP_1) | instskip(SKIP_3) | instid1(VALU_DEP_1)
	v_cmp_gt_i32_e32 vcc_lo, 32, v5
	s_wait_dscnt 0x0
	s_wait_alu 0xfffd
	v_dual_cndmask_b32 v5, v3, v5 :: v_dual_add_f32 v2, v2, v4
	v_lshlrev_b32_e32 v5, 2, v5
	ds_bpermute_b32 v4, v5, v2
	v_xor_b32_e32 v5, 1, v3
	s_delay_alu instid0(VALU_DEP_1) | instskip(SKIP_4) | instid1(VALU_DEP_2)
	v_cmp_gt_i32_e32 vcc_lo, 32, v5
	s_wait_alu 0xfffd
	v_cndmask_b32_e32 v3, v3, v5, vcc_lo
	v_cmp_eq_u32_e32 vcc_lo, 0, v0
	s_wait_dscnt 0x0
	v_dual_add_f32 v2, v2, v4 :: v_dual_lshlrev_b32 v3, 2, v3
	ds_bpermute_b32 v3, v3, v2
	s_and_b32 exec_lo, exec_lo, vcc_lo
	s_cbranch_execz .LBB98_7
; %bb.6:
	s_wait_dscnt 0x0
	v_add_f32_e32 v2, v2, v3
	s_delay_alu instid0(VALU_DEP_1) | instskip(SKIP_3) | instid1(VALU_DEP_2)
	v_mad_co_u64_u32 v[0:1], null, s5, ttmp7, v[1:2]
	v_mov_b32_e32 v1, 0
	v_bfe_u32 v3, v2, 16, 1
	v_cmp_o_f32_e32 vcc_lo, v2, v2
	v_add3_u32 v3, v2, v3, 0x7fff
	s_delay_alu instid0(VALU_DEP_4) | instskip(NEXT) | instid1(VALU_DEP_2)
	v_lshlrev_b64_e32 v[0:1], 1, v[0:1]
	v_lshrrev_b32_e32 v3, 16, v3
	s_wait_alu 0xfffd
	s_delay_alu instid0(VALU_DEP_1) | instskip(SKIP_1) | instid1(VALU_DEP_3)
	v_cndmask_b32_e32 v2, 0x7fc0, v3, vcc_lo
	s_wait_kmcnt 0x0
	v_add_co_u32 v0, vcc_lo, s6, v0
	s_wait_alu 0xfffd
	v_add_co_ci_u32_e64 v1, null, s7, v1, vcc_lo
	global_store_b16 v[0:1], v2, off
.LBB98_7:
	s_endpgm
	.section	.rodata,"a",@progbits
	.p2align	6, 0x0
	.amdhsa_kernel _ZL13mul_mat_vec_qIN3c108BFloat16ELi32ELi4E10block_q4_0Li2EXadL_ZL17vec_dot_q4_0_q8_1PKvPK10block_q8_1RKiEEEvS4_S4_PT_iii
		.amdhsa_group_segment_fixed_size 0
		.amdhsa_private_segment_fixed_size 0
		.amdhsa_kernarg_size 296
		.amdhsa_user_sgpr_count 2
		.amdhsa_user_sgpr_dispatch_ptr 0
		.amdhsa_user_sgpr_queue_ptr 0
		.amdhsa_user_sgpr_kernarg_segment_ptr 1
		.amdhsa_user_sgpr_dispatch_id 0
		.amdhsa_user_sgpr_private_segment_size 0
		.amdhsa_wavefront_size32 1
		.amdhsa_uses_dynamic_stack 0
		.amdhsa_enable_private_segment 0
		.amdhsa_system_sgpr_workgroup_id_x 1
		.amdhsa_system_sgpr_workgroup_id_y 1
		.amdhsa_system_sgpr_workgroup_id_z 0
		.amdhsa_system_sgpr_workgroup_info 0
		.amdhsa_system_vgpr_workitem_id 1
		.amdhsa_next_free_vgpr 40
		.amdhsa_next_free_sgpr 11
		.amdhsa_reserve_vcc 1
		.amdhsa_float_round_mode_32 0
		.amdhsa_float_round_mode_16_64 0
		.amdhsa_float_denorm_mode_32 3
		.amdhsa_float_denorm_mode_16_64 3
		.amdhsa_fp16_overflow 0
		.amdhsa_workgroup_processor_mode 1
		.amdhsa_memory_ordered 1
		.amdhsa_forward_progress 1
		.amdhsa_inst_pref_size 10
		.amdhsa_round_robin_scheduling 0
		.amdhsa_exception_fp_ieee_invalid_op 0
		.amdhsa_exception_fp_denorm_src 0
		.amdhsa_exception_fp_ieee_div_zero 0
		.amdhsa_exception_fp_ieee_overflow 0
		.amdhsa_exception_fp_ieee_underflow 0
		.amdhsa_exception_fp_ieee_inexact 0
		.amdhsa_exception_int_div_zero 0
	.end_amdhsa_kernel
	.section	.text._ZL13mul_mat_vec_qIN3c108BFloat16ELi32ELi4E10block_q4_0Li2EXadL_ZL17vec_dot_q4_0_q8_1PKvPK10block_q8_1RKiEEEvS4_S4_PT_iii,"axG",@progbits,_ZL13mul_mat_vec_qIN3c108BFloat16ELi32ELi4E10block_q4_0Li2EXadL_ZL17vec_dot_q4_0_q8_1PKvPK10block_q8_1RKiEEEvS4_S4_PT_iii,comdat
.Lfunc_end98:
	.size	_ZL13mul_mat_vec_qIN3c108BFloat16ELi32ELi4E10block_q4_0Li2EXadL_ZL17vec_dot_q4_0_q8_1PKvPK10block_q8_1RKiEEEvS4_S4_PT_iii, .Lfunc_end98-_ZL13mul_mat_vec_qIN3c108BFloat16ELi32ELi4E10block_q4_0Li2EXadL_ZL17vec_dot_q4_0_q8_1PKvPK10block_q8_1RKiEEEvS4_S4_PT_iii
                                        ; -- End function
	.set _ZL13mul_mat_vec_qIN3c108BFloat16ELi32ELi4E10block_q4_0Li2EXadL_ZL17vec_dot_q4_0_q8_1PKvPK10block_q8_1RKiEEEvS4_S4_PT_iii.num_vgpr, 40
	.set _ZL13mul_mat_vec_qIN3c108BFloat16ELi32ELi4E10block_q4_0Li2EXadL_ZL17vec_dot_q4_0_q8_1PKvPK10block_q8_1RKiEEEvS4_S4_PT_iii.num_agpr, 0
	.set _ZL13mul_mat_vec_qIN3c108BFloat16ELi32ELi4E10block_q4_0Li2EXadL_ZL17vec_dot_q4_0_q8_1PKvPK10block_q8_1RKiEEEvS4_S4_PT_iii.numbered_sgpr, 11
	.set _ZL13mul_mat_vec_qIN3c108BFloat16ELi32ELi4E10block_q4_0Li2EXadL_ZL17vec_dot_q4_0_q8_1PKvPK10block_q8_1RKiEEEvS4_S4_PT_iii.num_named_barrier, 0
	.set _ZL13mul_mat_vec_qIN3c108BFloat16ELi32ELi4E10block_q4_0Li2EXadL_ZL17vec_dot_q4_0_q8_1PKvPK10block_q8_1RKiEEEvS4_S4_PT_iii.private_seg_size, 0
	.set _ZL13mul_mat_vec_qIN3c108BFloat16ELi32ELi4E10block_q4_0Li2EXadL_ZL17vec_dot_q4_0_q8_1PKvPK10block_q8_1RKiEEEvS4_S4_PT_iii.uses_vcc, 1
	.set _ZL13mul_mat_vec_qIN3c108BFloat16ELi32ELi4E10block_q4_0Li2EXadL_ZL17vec_dot_q4_0_q8_1PKvPK10block_q8_1RKiEEEvS4_S4_PT_iii.uses_flat_scratch, 0
	.set _ZL13mul_mat_vec_qIN3c108BFloat16ELi32ELi4E10block_q4_0Li2EXadL_ZL17vec_dot_q4_0_q8_1PKvPK10block_q8_1RKiEEEvS4_S4_PT_iii.has_dyn_sized_stack, 0
	.set _ZL13mul_mat_vec_qIN3c108BFloat16ELi32ELi4E10block_q4_0Li2EXadL_ZL17vec_dot_q4_0_q8_1PKvPK10block_q8_1RKiEEEvS4_S4_PT_iii.has_recursion, 0
	.set _ZL13mul_mat_vec_qIN3c108BFloat16ELi32ELi4E10block_q4_0Li2EXadL_ZL17vec_dot_q4_0_q8_1PKvPK10block_q8_1RKiEEEvS4_S4_PT_iii.has_indirect_call, 0
	.section	.AMDGPU.csdata,"",@progbits
; Kernel info:
; codeLenInByte = 1228
; TotalNumSgprs: 13
; NumVgprs: 40
; ScratchSize: 0
; MemoryBound: 0
; FloatMode: 240
; IeeeMode: 1
; LDSByteSize: 0 bytes/workgroup (compile time only)
; SGPRBlocks: 0
; VGPRBlocks: 4
; NumSGPRsForWavesPerEU: 13
; NumVGPRsForWavesPerEU: 40
; Occupancy: 16
; WaveLimiterHint : 0
; COMPUTE_PGM_RSRC2:SCRATCH_EN: 0
; COMPUTE_PGM_RSRC2:USER_SGPR: 2
; COMPUTE_PGM_RSRC2:TRAP_HANDLER: 0
; COMPUTE_PGM_RSRC2:TGID_X_EN: 1
; COMPUTE_PGM_RSRC2:TGID_Y_EN: 1
; COMPUTE_PGM_RSRC2:TGID_Z_EN: 0
; COMPUTE_PGM_RSRC2:TIDIG_COMP_CNT: 1
	.section	.text._ZL13mul_mat_vec_qIN3c108BFloat16ELi32ELi4E10block_q4_1Li2EXadL_ZL17vec_dot_q4_1_q8_1PKvPK10block_q8_1RKiEEEvS4_S4_PT_iii,"axG",@progbits,_ZL13mul_mat_vec_qIN3c108BFloat16ELi32ELi4E10block_q4_1Li2EXadL_ZL17vec_dot_q4_1_q8_1PKvPK10block_q8_1RKiEEEvS4_S4_PT_iii,comdat
	.globl	_ZL13mul_mat_vec_qIN3c108BFloat16ELi32ELi4E10block_q4_1Li2EXadL_ZL17vec_dot_q4_1_q8_1PKvPK10block_q8_1RKiEEEvS4_S4_PT_iii ; -- Begin function _ZL13mul_mat_vec_qIN3c108BFloat16ELi32ELi4E10block_q4_1Li2EXadL_ZL17vec_dot_q4_1_q8_1PKvPK10block_q8_1RKiEEEvS4_S4_PT_iii
	.p2align	8
	.type	_ZL13mul_mat_vec_qIN3c108BFloat16ELi32ELi4E10block_q4_1Li2EXadL_ZL17vec_dot_q4_1_q8_1PKvPK10block_q8_1RKiEEEvS4_S4_PT_iii,@function
_ZL13mul_mat_vec_qIN3c108BFloat16ELi32ELi4E10block_q4_1Li2EXadL_ZL17vec_dot_q4_1_q8_1PKvPK10block_q8_1RKiEEEvS4_S4_PT_iii: ; @_ZL13mul_mat_vec_qIN3c108BFloat16ELi32ELi4E10block_q4_1Li2EXadL_ZL17vec_dot_q4_1_q8_1PKvPK10block_q8_1RKiEEEvS4_S4_PT_iii
; %bb.0:
	s_clause 0x1
	s_load_u16 s2, s[0:1], 0x36
	s_load_b96 s[4:6], s[0:1], 0x18
	v_bfe_u32 v1, v0, 10, 10
	s_wait_kmcnt 0x0
	s_delay_alu instid0(VALU_DEP_1)
	v_mad_co_u64_u32 v[1:2], null, ttmp9, s2, v[1:2]
	s_cmp_lt_u32 ttmp7, s6
	s_cselect_b32 s2, -1, 0
	v_cmp_gt_u32_e32 vcc_lo, s5, v1
	s_wait_alu 0xfffe
	s_and_b32 s2, s2, vcc_lo
	s_wait_alu 0xfffe
	s_and_saveexec_b32 s3, s2
	s_cbranch_execz .LBB99_7
; %bb.1:
	s_load_b64 s[6:7], s[0:1], 0x10
	s_ashr_i32 s2, s4, 31
	v_bfe_u32 v3, v0, 1, 9
	s_wait_alu 0xfffe
	s_lshr_b32 s2, s2, 27
	v_and_b32_e32 v0, 0x3ff, v0
	v_mov_b32_e32 v2, 0
	s_wait_alu 0xfffe
	s_add_co_i32 s2, s4, s2
	s_mov_b32 s8, exec_lo
	s_wait_alu 0xfffe
	s_ashr_i32 s9, s2, 5
	s_delay_alu instid0(SALU_CYCLE_1)
	v_cmpx_gt_u32_e64 s9, v3
	s_cbranch_execz .LBB99_5
; %bb.2:
	s_load_b128 s[0:3], s[0:1], 0x0
	s_addk_co_i32 s4, 0x1ff
	v_lshlrev_b32_e32 v2, 3, v0
	s_wait_alu 0xfffe
	s_ashr_i32 s10, s4, 31
	v_mul_lo_u32 v4, v1, s9
	s_lshr_b32 s10, s10, 23
	s_delay_alu instid0(SALU_CYCLE_1)
	s_add_co_i32 s4, s4, s10
	v_dual_mov_b32 v2, 0 :: v_dual_and_b32 v5, 8, v2
	s_wait_alu 0xfffe
	s_ashr_i32 s4, s4, 9
	s_mov_b32 s10, 0
	s_wait_alu 0xfffe
	s_mul_i32 s4, ttmp7, s4
	s_wait_alu 0xfffe
	s_lshl_b32 s4, s4, 4
.LBB99_3:                               ; =>This Inner Loop Header: Depth=1
	v_add_nc_u32_e32 v6, v4, v3
	s_wait_alu 0xfffe
	v_add_nc_u32_e32 v8, s4, v3
	v_add_nc_u32_e32 v3, 16, v3
	s_wait_kmcnt 0x0
	v_mad_co_i64_i32 v[6:7], null, v6, 20, s[0:1]
	s_delay_alu instid0(VALU_DEP_3) | instskip(NEXT) | instid1(VALU_DEP_2)
	v_mad_co_i64_i32 v[8:9], null, v8, 36, s[2:3]
	v_add_co_u32 v10, vcc_lo, v6, v5
	s_wait_alu 0xfffd
	s_delay_alu instid0(VALU_DEP_3) | instskip(NEXT) | instid1(VALU_DEP_3)
	v_add_co_ci_u32_e64 v11, null, 0, v7, vcc_lo
	v_add_co_u32 v12, vcc_lo, v8, v5
	s_wait_alu 0xfffd
	s_delay_alu instid0(VALU_DEP_4)
	v_add_co_ci_u32_e64 v13, null, 0, v9, vcc_lo
	s_clause 0x1
	global_load_b32 v14, v[6:7], off
	global_load_b64 v[6:7], v[10:11], off offset:4
	s_clause 0x2
	global_load_b64 v[10:11], v[12:13], off offset:4
	global_load_b64 v[12:13], v[12:13], off offset:20
	global_load_b32 v8, v[8:9], off
	v_cmp_le_u32_e32 vcc_lo, s9, v3
	s_or_b32 s10, vcc_lo, s10
	s_wait_loadcnt 0x3
	v_lshrrev_b32_e32 v17, 4, v6
	v_bfe_u32 v15, v6, 24, 4
	v_and_b32_e32 v16, 0xf0f0f0f, v6
	s_wait_loadcnt 0x0
	v_pk_mul_f16 v8, v14, v8
	v_lshrrev_b16 v14, 8, v12
	v_lshrrev_b32_e32 v18, 28, v6
	v_bfe_u32 v19, v6, 16, 4
	v_and_b32_e32 v20, 15, v6
	v_bfe_u32 v23, v6, 20, 4
	v_bfe_u32 v6, v6, 4, 4
	v_ashrrev_i32_e32 v24, 24, v12
	v_bfe_i32 v25, v12, 16, 8
	v_bfe_i32 v12, v12, 0, 8
	v_and_b32_e32 v27, 0xf0f0f0f, v7
	v_lshrrev_b32_e32 v28, 4, v7
	v_lshrrev_b16 v17, 8, v17
	v_lshrrev_b16 v9, 8, v10
	;; [unrolled: 1-line block ×3, first 2 shown]
	v_mul_i32_i24_e32 v6, v6, v12
	v_mul_i32_i24_e32 v12, v23, v25
	;; [unrolled: 1-line block ×3, first 2 shown]
	v_lshrrev_b16 v23, 8, v27
	v_lshrrev_b16 v24, 8, v28
	v_and_b32_e32 v17, 15, v17
	v_bfe_i32 v21, v10, 16, 8
	v_bfe_i32 v22, v10, 0, 8
	v_ashrrev_i32_e32 v10, 24, v10
	v_bfe_u32 v26, v7, 24, 4
	v_lshrrev_b32_e32 v29, 28, v7
	v_ashrrev_i32_e32 v32, 24, v11
	v_bfe_i32 v34, v11, 8, 8
	v_ashrrev_i32_e32 v36, 24, v13
	v_bfe_i32 v9, v9, 0, 8
	v_bfe_i32 v14, v14, 0, 8
	v_and_b32_e32 v16, 0xffff, v16
	v_and_b32_e32 v23, 0xffff, v23
	v_and_b32_e32 v24, 15, v24
	v_and_b32_e32 v17, 0xffff, v17
	v_bfe_u32 v30, v7, 16, 4
	v_and_b32_e32 v31, 15, v7
	v_bfe_i32 v33, v11, 16, 8
	v_bfe_i32 v11, v11, 0, 8
	v_bfe_u32 v35, v7, 20, 4
	v_bfe_u32 v7, v7, 4, 4
	v_bfe_i32 v37, v13, 16, 8
	v_bfe_i32 v38, v13, 8, 8
	;; [unrolled: 1-line block ×3, first 2 shown]
	v_mul_i32_i24_e32 v26, v32, v26
	v_mul_i32_i24_e32 v27, v36, v29
	v_mad_i32_i24 v10, v15, v10, v18
	v_mul_i32_i24_e32 v9, v16, v9
	v_mul_i32_i24_e32 v15, v34, v23
	v_and_b32_e32 v16, 0xffff, v24
	v_mul_i32_i24_e32 v14, v17, v14
	v_mul_i32_i24_e32 v11, v11, v31
	;; [unrolled: 1-line block ×5, first 2 shown]
	v_mad_i32_i24 v6, v20, v22, v6
	v_mad_i32_i24 v12, v19, v21, v12
	v_add3_u32 v10, v10, v26, v27
	v_mul_i32_i24_e32 v16, v38, v16
	v_add3_u32 v9, v9, v14, v15
	v_lshrrev_b32_e32 v14, 16, v8
	v_add3_u32 v12, v12, v25, v13
	v_add3_u32 v6, v6, v11, v7
	s_delay_alu instid0(VALU_DEP_4) | instskip(NEXT) | instid1(VALU_DEP_4)
	v_add3_u32 v7, v9, v16, v10
	v_cvt_f32_f16_e32 v9, v14
	s_delay_alu instid0(VALU_DEP_2) | instskip(NEXT) | instid1(VALU_DEP_2)
	v_add3_u32 v6, v6, v12, v7
	v_mul_f32_e32 v7, 0.5, v9
	s_delay_alu instid0(VALU_DEP_2) | instskip(NEXT) | instid1(VALU_DEP_1)
	v_cvt_f32_i32_e32 v6, v6
	v_fma_mix_f32 v6, v6, v8, v7 op_sel_hi:[0,1,0]
	s_delay_alu instid0(VALU_DEP_1)
	v_add_f32_e32 v2, v2, v6
	s_and_not1_b32 exec_lo, exec_lo, s10
	s_cbranch_execnz .LBB99_3
; %bb.4:
	s_or_b32 exec_lo, exec_lo, s10
.LBB99_5:
	s_delay_alu instid0(SALU_CYCLE_1) | instskip(SKIP_1) | instid1(VALU_DEP_1)
	s_or_b32 exec_lo, exec_lo, s8
	v_mbcnt_lo_u32_b32 v3, -1, 0
	v_xor_b32_e32 v4, 16, v3
	v_xor_b32_e32 v5, 8, v3
	s_delay_alu instid0(VALU_DEP_2) | instskip(SKIP_2) | instid1(VALU_DEP_3)
	v_cmp_gt_i32_e32 vcc_lo, 32, v4
	s_wait_alu 0xfffd
	v_cndmask_b32_e32 v4, v3, v4, vcc_lo
	v_cmp_gt_i32_e32 vcc_lo, 32, v5
	s_wait_alu 0xfffd
	v_cndmask_b32_e32 v5, v3, v5, vcc_lo
	s_delay_alu instid0(VALU_DEP_1)
	v_lshlrev_b32_e32 v5, 2, v5
	v_lshlrev_b32_e32 v4, 2, v4
	ds_bpermute_b32 v4, v4, v2
	s_wait_dscnt 0x0
	v_add_f32_e32 v2, v2, v4
	ds_bpermute_b32 v4, v5, v2
	v_xor_b32_e32 v5, 4, v3
	s_delay_alu instid0(VALU_DEP_1) | instskip(SKIP_3) | instid1(VALU_DEP_1)
	v_cmp_gt_i32_e32 vcc_lo, 32, v5
	s_wait_alu 0xfffd
	v_cndmask_b32_e32 v5, v3, v5, vcc_lo
	s_wait_dscnt 0x0
	v_dual_add_f32 v2, v2, v4 :: v_dual_lshlrev_b32 v5, 2, v5
	ds_bpermute_b32 v4, v5, v2
	v_xor_b32_e32 v5, 2, v3
	s_delay_alu instid0(VALU_DEP_1) | instskip(SKIP_3) | instid1(VALU_DEP_1)
	v_cmp_gt_i32_e32 vcc_lo, 32, v5
	s_wait_dscnt 0x0
	s_wait_alu 0xfffd
	v_dual_cndmask_b32 v5, v3, v5 :: v_dual_add_f32 v2, v2, v4
	v_lshlrev_b32_e32 v5, 2, v5
	ds_bpermute_b32 v4, v5, v2
	v_xor_b32_e32 v5, 1, v3
	s_delay_alu instid0(VALU_DEP_1) | instskip(SKIP_4) | instid1(VALU_DEP_2)
	v_cmp_gt_i32_e32 vcc_lo, 32, v5
	s_wait_alu 0xfffd
	v_cndmask_b32_e32 v3, v3, v5, vcc_lo
	v_cmp_eq_u32_e32 vcc_lo, 0, v0
	s_wait_dscnt 0x0
	v_dual_add_f32 v2, v2, v4 :: v_dual_lshlrev_b32 v3, 2, v3
	ds_bpermute_b32 v3, v3, v2
	s_and_b32 exec_lo, exec_lo, vcc_lo
	s_cbranch_execz .LBB99_7
; %bb.6:
	s_wait_dscnt 0x0
	v_add_f32_e32 v2, v2, v3
	s_delay_alu instid0(VALU_DEP_1) | instskip(SKIP_3) | instid1(VALU_DEP_2)
	v_mad_co_u64_u32 v[0:1], null, s5, ttmp7, v[1:2]
	v_mov_b32_e32 v1, 0
	v_bfe_u32 v3, v2, 16, 1
	v_cmp_o_f32_e32 vcc_lo, v2, v2
	v_add3_u32 v3, v2, v3, 0x7fff
	s_delay_alu instid0(VALU_DEP_4) | instskip(NEXT) | instid1(VALU_DEP_2)
	v_lshlrev_b64_e32 v[0:1], 1, v[0:1]
	v_lshrrev_b32_e32 v3, 16, v3
	s_wait_alu 0xfffd
	s_delay_alu instid0(VALU_DEP_1) | instskip(SKIP_1) | instid1(VALU_DEP_3)
	v_cndmask_b32_e32 v2, 0x7fc0, v3, vcc_lo
	s_wait_kmcnt 0x0
	v_add_co_u32 v0, vcc_lo, s6, v0
	s_wait_alu 0xfffd
	v_add_co_ci_u32_e64 v1, null, s7, v1, vcc_lo
	global_store_b16 v[0:1], v2, off
.LBB99_7:
	s_endpgm
	.section	.rodata,"a",@progbits
	.p2align	6, 0x0
	.amdhsa_kernel _ZL13mul_mat_vec_qIN3c108BFloat16ELi32ELi4E10block_q4_1Li2EXadL_ZL17vec_dot_q4_1_q8_1PKvPK10block_q8_1RKiEEEvS4_S4_PT_iii
		.amdhsa_group_segment_fixed_size 0
		.amdhsa_private_segment_fixed_size 0
		.amdhsa_kernarg_size 296
		.amdhsa_user_sgpr_count 2
		.amdhsa_user_sgpr_dispatch_ptr 0
		.amdhsa_user_sgpr_queue_ptr 0
		.amdhsa_user_sgpr_kernarg_segment_ptr 1
		.amdhsa_user_sgpr_dispatch_id 0
		.amdhsa_user_sgpr_private_segment_size 0
		.amdhsa_wavefront_size32 1
		.amdhsa_uses_dynamic_stack 0
		.amdhsa_enable_private_segment 0
		.amdhsa_system_sgpr_workgroup_id_x 1
		.amdhsa_system_sgpr_workgroup_id_y 1
		.amdhsa_system_sgpr_workgroup_id_z 0
		.amdhsa_system_sgpr_workgroup_info 0
		.amdhsa_system_vgpr_workitem_id 1
		.amdhsa_next_free_vgpr 39
		.amdhsa_next_free_sgpr 11
		.amdhsa_reserve_vcc 1
		.amdhsa_float_round_mode_32 0
		.amdhsa_float_round_mode_16_64 0
		.amdhsa_float_denorm_mode_32 3
		.amdhsa_float_denorm_mode_16_64 3
		.amdhsa_fp16_overflow 0
		.amdhsa_workgroup_processor_mode 1
		.amdhsa_memory_ordered 1
		.amdhsa_forward_progress 1
		.amdhsa_inst_pref_size 10
		.amdhsa_round_robin_scheduling 0
		.amdhsa_exception_fp_ieee_invalid_op 0
		.amdhsa_exception_fp_denorm_src 0
		.amdhsa_exception_fp_ieee_div_zero 0
		.amdhsa_exception_fp_ieee_overflow 0
		.amdhsa_exception_fp_ieee_underflow 0
		.amdhsa_exception_fp_ieee_inexact 0
		.amdhsa_exception_int_div_zero 0
	.end_amdhsa_kernel
	.section	.text._ZL13mul_mat_vec_qIN3c108BFloat16ELi32ELi4E10block_q4_1Li2EXadL_ZL17vec_dot_q4_1_q8_1PKvPK10block_q8_1RKiEEEvS4_S4_PT_iii,"axG",@progbits,_ZL13mul_mat_vec_qIN3c108BFloat16ELi32ELi4E10block_q4_1Li2EXadL_ZL17vec_dot_q4_1_q8_1PKvPK10block_q8_1RKiEEEvS4_S4_PT_iii,comdat
.Lfunc_end99:
	.size	_ZL13mul_mat_vec_qIN3c108BFloat16ELi32ELi4E10block_q4_1Li2EXadL_ZL17vec_dot_q4_1_q8_1PKvPK10block_q8_1RKiEEEvS4_S4_PT_iii, .Lfunc_end99-_ZL13mul_mat_vec_qIN3c108BFloat16ELi32ELi4E10block_q4_1Li2EXadL_ZL17vec_dot_q4_1_q8_1PKvPK10block_q8_1RKiEEEvS4_S4_PT_iii
                                        ; -- End function
	.set _ZL13mul_mat_vec_qIN3c108BFloat16ELi32ELi4E10block_q4_1Li2EXadL_ZL17vec_dot_q4_1_q8_1PKvPK10block_q8_1RKiEEEvS4_S4_PT_iii.num_vgpr, 39
	.set _ZL13mul_mat_vec_qIN3c108BFloat16ELi32ELi4E10block_q4_1Li2EXadL_ZL17vec_dot_q4_1_q8_1PKvPK10block_q8_1RKiEEEvS4_S4_PT_iii.num_agpr, 0
	.set _ZL13mul_mat_vec_qIN3c108BFloat16ELi32ELi4E10block_q4_1Li2EXadL_ZL17vec_dot_q4_1_q8_1PKvPK10block_q8_1RKiEEEvS4_S4_PT_iii.numbered_sgpr, 11
	.set _ZL13mul_mat_vec_qIN3c108BFloat16ELi32ELi4E10block_q4_1Li2EXadL_ZL17vec_dot_q4_1_q8_1PKvPK10block_q8_1RKiEEEvS4_S4_PT_iii.num_named_barrier, 0
	.set _ZL13mul_mat_vec_qIN3c108BFloat16ELi32ELi4E10block_q4_1Li2EXadL_ZL17vec_dot_q4_1_q8_1PKvPK10block_q8_1RKiEEEvS4_S4_PT_iii.private_seg_size, 0
	.set _ZL13mul_mat_vec_qIN3c108BFloat16ELi32ELi4E10block_q4_1Li2EXadL_ZL17vec_dot_q4_1_q8_1PKvPK10block_q8_1RKiEEEvS4_S4_PT_iii.uses_vcc, 1
	.set _ZL13mul_mat_vec_qIN3c108BFloat16ELi32ELi4E10block_q4_1Li2EXadL_ZL17vec_dot_q4_1_q8_1PKvPK10block_q8_1RKiEEEvS4_S4_PT_iii.uses_flat_scratch, 0
	.set _ZL13mul_mat_vec_qIN3c108BFloat16ELi32ELi4E10block_q4_1Li2EXadL_ZL17vec_dot_q4_1_q8_1PKvPK10block_q8_1RKiEEEvS4_S4_PT_iii.has_dyn_sized_stack, 0
	.set _ZL13mul_mat_vec_qIN3c108BFloat16ELi32ELi4E10block_q4_1Li2EXadL_ZL17vec_dot_q4_1_q8_1PKvPK10block_q8_1RKiEEEvS4_S4_PT_iii.has_recursion, 0
	.set _ZL13mul_mat_vec_qIN3c108BFloat16ELi32ELi4E10block_q4_1Li2EXadL_ZL17vec_dot_q4_1_q8_1PKvPK10block_q8_1RKiEEEvS4_S4_PT_iii.has_indirect_call, 0
	.section	.AMDGPU.csdata,"",@progbits
; Kernel info:
; codeLenInByte = 1232
; TotalNumSgprs: 13
; NumVgprs: 39
; ScratchSize: 0
; MemoryBound: 0
; FloatMode: 240
; IeeeMode: 1
; LDSByteSize: 0 bytes/workgroup (compile time only)
; SGPRBlocks: 0
; VGPRBlocks: 4
; NumSGPRsForWavesPerEU: 13
; NumVGPRsForWavesPerEU: 39
; Occupancy: 16
; WaveLimiterHint : 0
; COMPUTE_PGM_RSRC2:SCRATCH_EN: 0
; COMPUTE_PGM_RSRC2:USER_SGPR: 2
; COMPUTE_PGM_RSRC2:TRAP_HANDLER: 0
; COMPUTE_PGM_RSRC2:TGID_X_EN: 1
; COMPUTE_PGM_RSRC2:TGID_Y_EN: 1
; COMPUTE_PGM_RSRC2:TGID_Z_EN: 0
; COMPUTE_PGM_RSRC2:TIDIG_COMP_CNT: 1
	.section	.text._ZL13mul_mat_vec_qIN3c108BFloat16ELi32ELi4E10block_q5_0Li2EXadL_ZL17vec_dot_q5_0_q8_1PKvPK10block_q8_1RKiEEEvS4_S4_PT_iii,"axG",@progbits,_ZL13mul_mat_vec_qIN3c108BFloat16ELi32ELi4E10block_q5_0Li2EXadL_ZL17vec_dot_q5_0_q8_1PKvPK10block_q8_1RKiEEEvS4_S4_PT_iii,comdat
	.globl	_ZL13mul_mat_vec_qIN3c108BFloat16ELi32ELi4E10block_q5_0Li2EXadL_ZL17vec_dot_q5_0_q8_1PKvPK10block_q8_1RKiEEEvS4_S4_PT_iii ; -- Begin function _ZL13mul_mat_vec_qIN3c108BFloat16ELi32ELi4E10block_q5_0Li2EXadL_ZL17vec_dot_q5_0_q8_1PKvPK10block_q8_1RKiEEEvS4_S4_PT_iii
	.p2align	8
	.type	_ZL13mul_mat_vec_qIN3c108BFloat16ELi32ELi4E10block_q5_0Li2EXadL_ZL17vec_dot_q5_0_q8_1PKvPK10block_q8_1RKiEEEvS4_S4_PT_iii,@function
_ZL13mul_mat_vec_qIN3c108BFloat16ELi32ELi4E10block_q5_0Li2EXadL_ZL17vec_dot_q5_0_q8_1PKvPK10block_q8_1RKiEEEvS4_S4_PT_iii: ; @_ZL13mul_mat_vec_qIN3c108BFloat16ELi32ELi4E10block_q5_0Li2EXadL_ZL17vec_dot_q5_0_q8_1PKvPK10block_q8_1RKiEEEvS4_S4_PT_iii
; %bb.0:
	s_clause 0x1
	s_load_u16 s2, s[0:1], 0x36
	s_load_b96 s[4:6], s[0:1], 0x18
	v_bfe_u32 v1, v0, 10, 10
	s_wait_kmcnt 0x0
	s_delay_alu instid0(VALU_DEP_1)
	v_mad_co_u64_u32 v[1:2], null, ttmp9, s2, v[1:2]
	s_cmp_lt_u32 ttmp7, s6
	s_cselect_b32 s2, -1, 0
	v_cmp_gt_u32_e32 vcc_lo, s5, v1
	s_wait_alu 0xfffe
	s_and_b32 s2, s2, vcc_lo
	s_wait_alu 0xfffe
	s_and_saveexec_b32 s3, s2
	s_cbranch_execz .LBB100_7
; %bb.1:
	s_load_b64 s[6:7], s[0:1], 0x10
	s_ashr_i32 s2, s4, 31
	v_bfe_u32 v2, v0, 1, 9
	s_wait_alu 0xfffe
	s_lshr_b32 s2, s2, 27
	v_dual_mov_b32 v3, 0 :: v_dual_and_b32 v0, 0x3ff, v0
	s_wait_alu 0xfffe
	s_add_co_i32 s2, s4, s2
	s_mov_b32 s8, exec_lo
	s_wait_alu 0xfffe
	s_ashr_i32 s9, s2, 5
	s_delay_alu instid0(SALU_CYCLE_1)
	v_cmpx_gt_u32_e64 s9, v2
	s_cbranch_execz .LBB100_5
; %bb.2:
	s_load_b128 s[0:3], s[0:1], 0x0
	v_lshlrev_b32_e32 v3, 3, v0
	s_addk_co_i32 s4, 0x1ff
	v_mul_lo_u32 v5, v1, s9
	s_wait_alu 0xfffe
	s_ashr_i32 s10, s4, 31
	s_delay_alu instid0(SALU_CYCLE_1) | instskip(SKIP_4) | instid1(VALU_DEP_1)
	s_lshr_b32 s10, s10, 23
	v_dual_mov_b32 v3, 0 :: v_dual_and_b32 v4, 8, v3
	s_add_co_i32 s4, s4, s10
	s_wait_alu 0xfffe
	s_ashr_i32 s4, s4, 9
	v_or_b32_e32 v6, 4, v4
	s_wait_alu 0xfffe
	s_mul_i32 s4, ttmp7, s4
	s_wait_alu 0xfffe
	s_lshl_b32 s10, s4, 4
	s_mov_b32 s4, 0
.LBB100_3:                              ; =>This Inner Loop Header: Depth=1
	v_add_nc_u32_e32 v7, v5, v2
	v_add_nc_u32_e32 v9, s10, v2
	;; [unrolled: 1-line block ×3, first 2 shown]
	s_wait_kmcnt 0x0
	s_delay_alu instid0(VALU_DEP_3) | instskip(NEXT) | instid1(VALU_DEP_3)
	v_mad_co_i64_i32 v[7:8], null, v7, 22, s[0:1]
	v_mad_co_i64_i32 v[9:10], null, v9, 36, s[2:3]
	s_delay_alu instid0(VALU_DEP_2) | instskip(SKIP_1) | instid1(VALU_DEP_3)
	v_add_co_u32 v11, vcc_lo, v7, v4
	s_wait_alu 0xfffd
	v_add_co_ci_u32_e64 v12, null, 0, v8, vcc_lo
	s_delay_alu instid0(VALU_DEP_3) | instskip(SKIP_1) | instid1(VALU_DEP_4)
	v_add_co_u32 v13, vcc_lo, v9, v4
	s_wait_alu 0xfffd
	v_add_co_ci_u32_e64 v14, null, 0, v10, vcc_lo
	s_clause 0x1
	global_load_b32 v17, v[7:8], off offset:2
	global_load_b64 v[11:12], v[11:12], off offset:6
	s_clause 0x2
	global_load_b64 v[15:16], v[13:14], off offset:4
	global_load_b64 v[13:14], v[13:14], off offset:20
	global_load_b32 v9, v[9:10], off
	global_load_u16 v7, v[7:8], off
	v_cmp_le_u32_e32 vcc_lo, s9, v2
	s_wait_alu 0xfffe
	s_or_b32 s4, vcc_lo, s4
	s_wait_loadcnt 0x5
	v_ashrrev_i32_e32 v8, v4, v17
	v_ashrrev_i32_e32 v10, v6, v17
	s_wait_loadcnt 0x4
	v_and_b32_e32 v19, 0xf0f0f0f, v11
	v_lshrrev_b32_e32 v11, 4, v11
	v_and_b32_e32 v31, 0xf0f0f0f, v12
	v_lshlrev_b32_e32 v20, 4, v8
	v_lshlrev_b32_e32 v21, 11, v8
	v_lshlrev_b32_e32 v23, 25, v8
	v_lshrrev_b32_e32 v26, 12, v8
	v_lshrrev_b32_e32 v27, 5, v8
	v_lshlrev_b32_e32 v28, 2, v8
	v_lshlrev_b32_e32 v32, 4, v10
	;; [unrolled: 1-line block ×4, first 2 shown]
	v_lshrrev_b32_e32 v39, 12, v10
	v_lshrrev_b32_e32 v40, 5, v10
	v_lshlrev_b32_e32 v41, 2, v10
	v_lshlrev_b32_e32 v22, 18, v8
	;; [unrolled: 1-line block ×4, first 2 shown]
	v_lshrrev_b32_e32 v12, 4, v12
	v_lshlrev_b32_e32 v10, 9, v10
	v_and_b32_e32 v20, 16, v20
	v_and_b32_e32 v21, 0x1000, v21
	v_and_or_b32 v23, 0x10000000, v23, v19
	v_and_b32_e32 v26, 16, v26
	v_and_b32_e32 v27, 0x1000, v27
	;; [unrolled: 1-line block ×14, first 2 shown]
	v_or3_b32 v19, v20, v19, v21
	v_lshrrev_b32_e32 v20, 24, v23
	v_or3_b32 v21, v27, v26, v28
	v_or3_b32 v23, v33, v32, v34
	;; [unrolled: 1-line block ×3, first 2 shown]
	s_wait_loadcnt 0x3
	v_lshrrev_b16 v17, 8, v15
	v_and_or_b32 v22, 0x100000, v22, v19
	v_lshrrev_b16 v19, 8, v19
	v_or3_b32 v8, v21, v8, v11
	v_or3_b32 v11, v23, v35, v31
	;; [unrolled: 1-line block ×3, first 2 shown]
	s_wait_loadcnt 0x2
	v_lshrrev_b16 v18, 8, v13
	v_ashrrev_i32_e32 v29, 24, v13
	v_bfe_i32 v30, v13, 16, 8
	v_bfe_i32 v13, v13, 0, 8
	v_ashrrev_i32_e32 v36, 24, v16
	v_bfe_i32 v17, v17, 0, 8
	v_bfe_u32 v12, v22, 16, 5
	v_and_b32_e32 v21, 31, v22
	v_and_b32_e32 v19, 0xffff, v19
	v_lshrrev_b32_e32 v22, 24, v8
	v_lshrrev_b16 v23, 8, v8
	v_bfe_u32 v26, v8, 16, 5
	v_and_b32_e32 v8, 31, v8
	v_lshrrev_b32_e32 v27, 24, v11
	v_lshrrev_b16 v33, 8, v10
	v_ashrrev_i32_e32 v24, 24, v15
	v_ashrrev_i32_e32 v42, 24, v14
	v_bfe_i32 v44, v14, 8, 8
	v_bfe_i32 v18, v18, 0, 8
	v_lshrrev_b16 v28, 8, v11
	v_lshrrev_b32_e32 v32, 24, v10
	v_mul_i32_i24_e32 v17, v19, v17
	v_and_b32_e32 v19, 0xffff, v23
	v_mul_i32_i24_e32 v8, v8, v13
	v_mul_i32_i24_e32 v13, v26, v30
	;; [unrolled: 1-line block ×4, first 2 shown]
	v_and_b32_e32 v27, 0xffff, v33
	v_bfe_i32 v25, v15, 16, 8
	v_bfe_i32 v15, v15, 0, 8
	;; [unrolled: 1-line block ×7, first 2 shown]
	v_bfe_u32 v31, v11, 16, 5
	v_and_b32_e32 v11, 31, v11
	v_bfe_u32 v34, v10, 16, 5
	v_and_b32_e32 v10, 31, v10
	v_and_b32_e32 v23, 0xffff, v28
	v_mul_i32_i24_e32 v28, v42, v32
	v_mul_i32_i24_e32 v18, v19, v18
	;; [unrolled: 1-line block ×3, first 2 shown]
	v_mad_i32_i24 v20, v20, v24, v22
	v_mul_i32_i24_e32 v11, v16, v11
	v_mul_i32_i24_e32 v16, v37, v31
	;; [unrolled: 1-line block ×5, first 2 shown]
	v_mad_i32_i24 v8, v21, v15, v8
	v_mad_i32_i24 v12, v12, v25, v13
	v_add3_u32 v13, v17, v18, v19
	v_add3_u32 v15, v20, v28, v26
	s_wait_loadcnt 0x1
	v_lshrrev_b32_e32 v17, 16, v9
	v_add3_u32 v8, v8, v10, v11
	v_add3_u32 v12, v12, v14, v16
	v_add3_u32 v10, v13, v22, v15
	s_delay_alu instid0(VALU_DEP_4) | instskip(NEXT) | instid1(VALU_DEP_2)
	v_cvt_f32_f16_e32 v11, v17
	v_add3_u32 v8, v8, v12, v10
	s_delay_alu instid0(VALU_DEP_2) | instskip(NEXT) | instid1(VALU_DEP_2)
	v_mul_f32_e32 v10, 0xc1000000, v11
	v_cvt_f32_i32_e32 v8, v8
	s_delay_alu instid0(VALU_DEP_1) | instskip(SKIP_1) | instid1(VALU_DEP_1)
	v_fma_mix_f32 v8, v9, v8, v10 op_sel_hi:[1,0,0]
	s_wait_loadcnt 0x0
	v_fma_mix_f32 v3, v8, v7, v3 op_sel_hi:[0,1,0]
	s_wait_alu 0xfffe
	s_and_not1_b32 exec_lo, exec_lo, s4
	s_cbranch_execnz .LBB100_3
; %bb.4:
	s_or_b32 exec_lo, exec_lo, s4
.LBB100_5:
	s_delay_alu instid0(SALU_CYCLE_1) | instskip(SKIP_1) | instid1(VALU_DEP_1)
	s_or_b32 exec_lo, exec_lo, s8
	v_mbcnt_lo_u32_b32 v2, -1, 0
	v_xor_b32_e32 v4, 16, v2
	v_xor_b32_e32 v5, 8, v2
	s_delay_alu instid0(VALU_DEP_2) | instskip(SKIP_2) | instid1(VALU_DEP_3)
	v_cmp_gt_i32_e32 vcc_lo, 32, v4
	s_wait_alu 0xfffd
	v_cndmask_b32_e32 v4, v2, v4, vcc_lo
	v_cmp_gt_i32_e32 vcc_lo, 32, v5
	s_wait_alu 0xfffd
	v_cndmask_b32_e32 v5, v2, v5, vcc_lo
	s_delay_alu instid0(VALU_DEP_1)
	v_lshlrev_b32_e32 v5, 2, v5
	v_lshlrev_b32_e32 v4, 2, v4
	ds_bpermute_b32 v4, v4, v3
	s_wait_dscnt 0x0
	v_add_f32_e32 v3, v3, v4
	ds_bpermute_b32 v4, v5, v3
	v_xor_b32_e32 v5, 4, v2
	s_delay_alu instid0(VALU_DEP_1) | instskip(SKIP_2) | instid1(VALU_DEP_1)
	v_cmp_gt_i32_e32 vcc_lo, 32, v5
	s_wait_alu 0xfffd
	v_cndmask_b32_e32 v5, v2, v5, vcc_lo
	v_lshlrev_b32_e32 v5, 2, v5
	s_wait_dscnt 0x0
	v_add_f32_e32 v3, v3, v4
	ds_bpermute_b32 v4, v5, v3
	v_xor_b32_e32 v5, 2, v2
	s_delay_alu instid0(VALU_DEP_1) | instskip(SKIP_2) | instid1(VALU_DEP_1)
	v_cmp_gt_i32_e32 vcc_lo, 32, v5
	s_wait_alu 0xfffd
	v_cndmask_b32_e32 v5, v2, v5, vcc_lo
	v_lshlrev_b32_e32 v5, 2, v5
	s_wait_dscnt 0x0
	v_add_f32_e32 v3, v3, v4
	ds_bpermute_b32 v4, v5, v3
	v_xor_b32_e32 v5, 1, v2
	s_delay_alu instid0(VALU_DEP_1) | instskip(SKIP_4) | instid1(VALU_DEP_2)
	v_cmp_gt_i32_e32 vcc_lo, 32, v5
	s_wait_alu 0xfffd
	v_cndmask_b32_e32 v5, v2, v5, vcc_lo
	v_cmp_eq_u32_e32 vcc_lo, 0, v0
	s_wait_dscnt 0x0
	v_dual_add_f32 v2, v3, v4 :: v_dual_lshlrev_b32 v3, 2, v5
	ds_bpermute_b32 v3, v3, v2
	s_and_b32 exec_lo, exec_lo, vcc_lo
	s_cbranch_execz .LBB100_7
; %bb.6:
	s_wait_dscnt 0x0
	v_add_f32_e32 v2, v2, v3
	s_delay_alu instid0(VALU_DEP_1) | instskip(SKIP_3) | instid1(VALU_DEP_2)
	v_mad_co_u64_u32 v[0:1], null, s5, ttmp7, v[1:2]
	v_mov_b32_e32 v1, 0
	v_bfe_u32 v3, v2, 16, 1
	v_cmp_o_f32_e32 vcc_lo, v2, v2
	v_add3_u32 v3, v2, v3, 0x7fff
	s_delay_alu instid0(VALU_DEP_4) | instskip(NEXT) | instid1(VALU_DEP_2)
	v_lshlrev_b64_e32 v[0:1], 1, v[0:1]
	v_lshrrev_b32_e32 v3, 16, v3
	s_wait_alu 0xfffd
	s_delay_alu instid0(VALU_DEP_1) | instskip(SKIP_1) | instid1(VALU_DEP_3)
	v_cndmask_b32_e32 v2, 0x7fc0, v3, vcc_lo
	s_wait_kmcnt 0x0
	v_add_co_u32 v0, vcc_lo, s6, v0
	s_wait_alu 0xfffd
	v_add_co_ci_u32_e64 v1, null, s7, v1, vcc_lo
	global_store_b16 v[0:1], v2, off
.LBB100_7:
	s_endpgm
	.section	.rodata,"a",@progbits
	.p2align	6, 0x0
	.amdhsa_kernel _ZL13mul_mat_vec_qIN3c108BFloat16ELi32ELi4E10block_q5_0Li2EXadL_ZL17vec_dot_q5_0_q8_1PKvPK10block_q8_1RKiEEEvS4_S4_PT_iii
		.amdhsa_group_segment_fixed_size 0
		.amdhsa_private_segment_fixed_size 0
		.amdhsa_kernarg_size 296
		.amdhsa_user_sgpr_count 2
		.amdhsa_user_sgpr_dispatch_ptr 0
		.amdhsa_user_sgpr_queue_ptr 0
		.amdhsa_user_sgpr_kernarg_segment_ptr 1
		.amdhsa_user_sgpr_dispatch_id 0
		.amdhsa_user_sgpr_private_segment_size 0
		.amdhsa_wavefront_size32 1
		.amdhsa_uses_dynamic_stack 0
		.amdhsa_enable_private_segment 0
		.amdhsa_system_sgpr_workgroup_id_x 1
		.amdhsa_system_sgpr_workgroup_id_y 1
		.amdhsa_system_sgpr_workgroup_id_z 0
		.amdhsa_system_sgpr_workgroup_info 0
		.amdhsa_system_vgpr_workitem_id 1
		.amdhsa_next_free_vgpr 45
		.amdhsa_next_free_sgpr 11
		.amdhsa_reserve_vcc 1
		.amdhsa_float_round_mode_32 0
		.amdhsa_float_round_mode_16_64 0
		.amdhsa_float_denorm_mode_32 3
		.amdhsa_float_denorm_mode_16_64 3
		.amdhsa_fp16_overflow 0
		.amdhsa_workgroup_processor_mode 1
		.amdhsa_memory_ordered 1
		.amdhsa_forward_progress 1
		.amdhsa_inst_pref_size 12
		.amdhsa_round_robin_scheduling 0
		.amdhsa_exception_fp_ieee_invalid_op 0
		.amdhsa_exception_fp_denorm_src 0
		.amdhsa_exception_fp_ieee_div_zero 0
		.amdhsa_exception_fp_ieee_overflow 0
		.amdhsa_exception_fp_ieee_underflow 0
		.amdhsa_exception_fp_ieee_inexact 0
		.amdhsa_exception_int_div_zero 0
	.end_amdhsa_kernel
	.section	.text._ZL13mul_mat_vec_qIN3c108BFloat16ELi32ELi4E10block_q5_0Li2EXadL_ZL17vec_dot_q5_0_q8_1PKvPK10block_q8_1RKiEEEvS4_S4_PT_iii,"axG",@progbits,_ZL13mul_mat_vec_qIN3c108BFloat16ELi32ELi4E10block_q5_0Li2EXadL_ZL17vec_dot_q5_0_q8_1PKvPK10block_q8_1RKiEEEvS4_S4_PT_iii,comdat
.Lfunc_end100:
	.size	_ZL13mul_mat_vec_qIN3c108BFloat16ELi32ELi4E10block_q5_0Li2EXadL_ZL17vec_dot_q5_0_q8_1PKvPK10block_q8_1RKiEEEvS4_S4_PT_iii, .Lfunc_end100-_ZL13mul_mat_vec_qIN3c108BFloat16ELi32ELi4E10block_q5_0Li2EXadL_ZL17vec_dot_q5_0_q8_1PKvPK10block_q8_1RKiEEEvS4_S4_PT_iii
                                        ; -- End function
	.set _ZL13mul_mat_vec_qIN3c108BFloat16ELi32ELi4E10block_q5_0Li2EXadL_ZL17vec_dot_q5_0_q8_1PKvPK10block_q8_1RKiEEEvS4_S4_PT_iii.num_vgpr, 45
	.set _ZL13mul_mat_vec_qIN3c108BFloat16ELi32ELi4E10block_q5_0Li2EXadL_ZL17vec_dot_q5_0_q8_1PKvPK10block_q8_1RKiEEEvS4_S4_PT_iii.num_agpr, 0
	.set _ZL13mul_mat_vec_qIN3c108BFloat16ELi32ELi4E10block_q5_0Li2EXadL_ZL17vec_dot_q5_0_q8_1PKvPK10block_q8_1RKiEEEvS4_S4_PT_iii.numbered_sgpr, 11
	.set _ZL13mul_mat_vec_qIN3c108BFloat16ELi32ELi4E10block_q5_0Li2EXadL_ZL17vec_dot_q5_0_q8_1PKvPK10block_q8_1RKiEEEvS4_S4_PT_iii.num_named_barrier, 0
	.set _ZL13mul_mat_vec_qIN3c108BFloat16ELi32ELi4E10block_q5_0Li2EXadL_ZL17vec_dot_q5_0_q8_1PKvPK10block_q8_1RKiEEEvS4_S4_PT_iii.private_seg_size, 0
	.set _ZL13mul_mat_vec_qIN3c108BFloat16ELi32ELi4E10block_q5_0Li2EXadL_ZL17vec_dot_q5_0_q8_1PKvPK10block_q8_1RKiEEEvS4_S4_PT_iii.uses_vcc, 1
	.set _ZL13mul_mat_vec_qIN3c108BFloat16ELi32ELi4E10block_q5_0Li2EXadL_ZL17vec_dot_q5_0_q8_1PKvPK10block_q8_1RKiEEEvS4_S4_PT_iii.uses_flat_scratch, 0
	.set _ZL13mul_mat_vec_qIN3c108BFloat16ELi32ELi4E10block_q5_0Li2EXadL_ZL17vec_dot_q5_0_q8_1PKvPK10block_q8_1RKiEEEvS4_S4_PT_iii.has_dyn_sized_stack, 0
	.set _ZL13mul_mat_vec_qIN3c108BFloat16ELi32ELi4E10block_q5_0Li2EXadL_ZL17vec_dot_q5_0_q8_1PKvPK10block_q8_1RKiEEEvS4_S4_PT_iii.has_recursion, 0
	.set _ZL13mul_mat_vec_qIN3c108BFloat16ELi32ELi4E10block_q5_0Li2EXadL_ZL17vec_dot_q5_0_q8_1PKvPK10block_q8_1RKiEEEvS4_S4_PT_iii.has_indirect_call, 0
	.section	.AMDGPU.csdata,"",@progbits
; Kernel info:
; codeLenInByte = 1504
; TotalNumSgprs: 13
; NumVgprs: 45
; ScratchSize: 0
; MemoryBound: 0
; FloatMode: 240
; IeeeMode: 1
; LDSByteSize: 0 bytes/workgroup (compile time only)
; SGPRBlocks: 0
; VGPRBlocks: 5
; NumSGPRsForWavesPerEU: 13
; NumVGPRsForWavesPerEU: 45
; Occupancy: 16
; WaveLimiterHint : 0
; COMPUTE_PGM_RSRC2:SCRATCH_EN: 0
; COMPUTE_PGM_RSRC2:USER_SGPR: 2
; COMPUTE_PGM_RSRC2:TRAP_HANDLER: 0
; COMPUTE_PGM_RSRC2:TGID_X_EN: 1
; COMPUTE_PGM_RSRC2:TGID_Y_EN: 1
; COMPUTE_PGM_RSRC2:TGID_Z_EN: 0
; COMPUTE_PGM_RSRC2:TIDIG_COMP_CNT: 1
	.section	.text._ZL13mul_mat_vec_qIN3c108BFloat16ELi32ELi4E10block_q5_1Li2EXadL_ZL17vec_dot_q5_1_q8_1PKvPK10block_q8_1RKiEEEvS4_S4_PT_iii,"axG",@progbits,_ZL13mul_mat_vec_qIN3c108BFloat16ELi32ELi4E10block_q5_1Li2EXadL_ZL17vec_dot_q5_1_q8_1PKvPK10block_q8_1RKiEEEvS4_S4_PT_iii,comdat
	.globl	_ZL13mul_mat_vec_qIN3c108BFloat16ELi32ELi4E10block_q5_1Li2EXadL_ZL17vec_dot_q5_1_q8_1PKvPK10block_q8_1RKiEEEvS4_S4_PT_iii ; -- Begin function _ZL13mul_mat_vec_qIN3c108BFloat16ELi32ELi4E10block_q5_1Li2EXadL_ZL17vec_dot_q5_1_q8_1PKvPK10block_q8_1RKiEEEvS4_S4_PT_iii
	.p2align	8
	.type	_ZL13mul_mat_vec_qIN3c108BFloat16ELi32ELi4E10block_q5_1Li2EXadL_ZL17vec_dot_q5_1_q8_1PKvPK10block_q8_1RKiEEEvS4_S4_PT_iii,@function
_ZL13mul_mat_vec_qIN3c108BFloat16ELi32ELi4E10block_q5_1Li2EXadL_ZL17vec_dot_q5_1_q8_1PKvPK10block_q8_1RKiEEEvS4_S4_PT_iii: ; @_ZL13mul_mat_vec_qIN3c108BFloat16ELi32ELi4E10block_q5_1Li2EXadL_ZL17vec_dot_q5_1_q8_1PKvPK10block_q8_1RKiEEEvS4_S4_PT_iii
; %bb.0:
	s_clause 0x1
	s_load_u16 s2, s[0:1], 0x36
	s_load_b96 s[4:6], s[0:1], 0x18
	v_bfe_u32 v1, v0, 10, 10
	s_wait_kmcnt 0x0
	s_delay_alu instid0(VALU_DEP_1)
	v_mad_co_u64_u32 v[1:2], null, ttmp9, s2, v[1:2]
	s_cmp_lt_u32 ttmp7, s6
	s_cselect_b32 s2, -1, 0
	v_cmp_gt_u32_e32 vcc_lo, s5, v1
	s_wait_alu 0xfffe
	s_and_b32 s2, s2, vcc_lo
	s_wait_alu 0xfffe
	s_and_saveexec_b32 s3, s2
	s_cbranch_execz .LBB101_7
; %bb.1:
	s_load_b64 s[6:7], s[0:1], 0x10
	s_ashr_i32 s2, s4, 31
	v_bfe_u32 v2, v0, 1, 9
	s_wait_alu 0xfffe
	s_lshr_b32 s2, s2, 27
	v_dual_mov_b32 v3, 0 :: v_dual_and_b32 v0, 0x3ff, v0
	s_wait_alu 0xfffe
	s_add_co_i32 s2, s4, s2
	s_mov_b32 s8, exec_lo
	s_wait_alu 0xfffe
	s_ashr_i32 s9, s2, 5
	s_delay_alu instid0(SALU_CYCLE_1)
	v_cmpx_gt_u32_e64 s9, v2
	s_cbranch_execz .LBB101_5
; %bb.2:
	s_load_b128 s[0:3], s[0:1], 0x0
	v_lshlrev_b32_e32 v3, 3, v0
	s_addk_co_i32 s4, 0x1ff
	v_mul_lo_u32 v5, v1, s9
	s_wait_alu 0xfffe
	s_ashr_i32 s10, s4, 31
	s_delay_alu instid0(SALU_CYCLE_1) | instskip(SKIP_4) | instid1(VALU_DEP_1)
	s_lshr_b32 s10, s10, 23
	v_dual_mov_b32 v3, 0 :: v_dual_and_b32 v4, 8, v3
	s_add_co_i32 s4, s4, s10
	s_wait_alu 0xfffe
	s_ashr_i32 s4, s4, 9
	v_or_b32_e32 v6, 4, v4
	s_wait_alu 0xfffe
	s_mul_i32 s4, ttmp7, s4
	s_wait_alu 0xfffe
	s_lshl_b32 s10, s4, 4
	s_mov_b32 s4, 0
.LBB101_3:                              ; =>This Inner Loop Header: Depth=1
	v_add_nc_u32_e32 v7, v5, v2
	v_add_nc_u32_e32 v9, s10, v2
	;; [unrolled: 1-line block ×3, first 2 shown]
	s_wait_kmcnt 0x0
	s_delay_alu instid0(VALU_DEP_3) | instskip(NEXT) | instid1(VALU_DEP_3)
	v_mad_co_i64_i32 v[7:8], null, v7, 24, s[0:1]
	v_mad_co_i64_i32 v[9:10], null, v9, 36, s[2:3]
	s_delay_alu instid0(VALU_DEP_2) | instskip(SKIP_1) | instid1(VALU_DEP_3)
	v_add_co_u32 v11, vcc_lo, v7, v4
	s_wait_alu 0xfffd
	v_add_co_ci_u32_e64 v12, null, 0, v8, vcc_lo
	s_delay_alu instid0(VALU_DEP_3) | instskip(SKIP_1) | instid1(VALU_DEP_4)
	v_add_co_u32 v13, vcc_lo, v9, v4
	s_wait_alu 0xfffd
	v_add_co_ci_u32_e64 v14, null, 0, v10, vcc_lo
	s_clause 0x1
	global_load_b64 v[7:8], v[7:8], off
	global_load_b64 v[11:12], v[11:12], off offset:8
	s_clause 0x2
	global_load_b64 v[15:16], v[13:14], off offset:4
	global_load_b64 v[13:14], v[13:14], off offset:20
	global_load_b32 v9, v[9:10], off
	v_cmp_le_u32_e32 vcc_lo, s9, v2
	s_wait_alu 0xfffe
	s_or_b32 s4, vcc_lo, s4
	s_wait_loadcnt 0x4
	v_ashrrev_i32_e32 v10, v4, v8
	v_ashrrev_i32_e32 v8, v6, v8
	s_wait_loadcnt 0x3
	v_and_b32_e32 v18, 0xf0f0f0f, v11
	v_lshrrev_b32_e32 v11, 4, v11
	v_and_b32_e32 v30, 0xf0f0f0f, v12
	v_lshlrev_b32_e32 v19, 4, v10
	v_lshlrev_b32_e32 v20, 11, v10
	v_lshlrev_b32_e32 v22, 25, v10
	v_lshrrev_b32_e32 v25, 12, v10
	v_lshrrev_b32_e32 v26, 5, v10
	v_lshlrev_b32_e32 v27, 2, v10
	v_lshlrev_b32_e32 v31, 4, v8
	;; [unrolled: 1-line block ×4, first 2 shown]
	v_lshrrev_b32_e32 v38, 12, v8
	v_lshrrev_b32_e32 v39, 5, v8
	v_lshlrev_b32_e32 v40, 2, v8
	v_lshlrev_b32_e32 v21, 18, v10
	;; [unrolled: 1-line block ×4, first 2 shown]
	v_lshrrev_b32_e32 v12, 4, v12
	v_lshlrev_b32_e32 v8, 9, v8
	v_and_b32_e32 v19, 16, v19
	v_and_b32_e32 v20, 0x1000, v20
	v_and_or_b32 v22, 0x10000000, v22, v18
	v_and_b32_e32 v25, 16, v25
	v_and_b32_e32 v26, 0x1000, v26
	;; [unrolled: 1-line block ×14, first 2 shown]
	v_or3_b32 v18, v19, v18, v20
	v_lshrrev_b32_e32 v19, 24, v22
	v_or3_b32 v20, v26, v25, v27
	v_or3_b32 v22, v32, v31, v33
	;; [unrolled: 1-line block ×3, first 2 shown]
	s_wait_loadcnt 0x0
	v_pk_mul_f16 v7, v7, v9
	v_lshrrev_b16 v9, 8, v15
	v_and_or_b32 v21, 0x100000, v21, v18
	v_lshrrev_b16 v18, 8, v18
	v_or3_b32 v10, v20, v10, v11
	v_or3_b32 v11, v22, v34, v30
	;; [unrolled: 1-line block ×3, first 2 shown]
	v_lshrrev_b16 v17, 8, v13
	v_ashrrev_i32_e32 v28, 24, v13
	v_bfe_i32 v29, v13, 16, 8
	v_bfe_i32 v13, v13, 0, 8
	v_ashrrev_i32_e32 v35, 24, v16
	v_bfe_i32 v9, v9, 0, 8
	v_bfe_u32 v12, v21, 16, 5
	v_and_b32_e32 v20, 31, v21
	v_and_b32_e32 v18, 0xffff, v18
	v_lshrrev_b32_e32 v21, 24, v10
	v_lshrrev_b16 v22, 8, v10
	v_bfe_u32 v25, v10, 16, 5
	v_and_b32_e32 v10, 31, v10
	v_lshrrev_b32_e32 v26, 24, v11
	v_lshrrev_b16 v32, 8, v8
	v_ashrrev_i32_e32 v23, 24, v15
	v_ashrrev_i32_e32 v41, 24, v14
	v_bfe_i32 v43, v14, 8, 8
	v_bfe_i32 v17, v17, 0, 8
	v_lshrrev_b16 v27, 8, v11
	v_lshrrev_b32_e32 v31, 24, v8
	v_mul_i32_i24_e32 v9, v18, v9
	v_and_b32_e32 v18, 0xffff, v22
	v_mul_i32_i24_e32 v10, v10, v13
	v_mul_i32_i24_e32 v13, v25, v29
	v_mul_i32_i24_e32 v21, v21, v28
	v_mul_i32_i24_e32 v25, v35, v26
	v_and_b32_e32 v26, 0xffff, v32
	v_bfe_i32 v24, v15, 16, 8
	v_bfe_i32 v15, v15, 0, 8
	;; [unrolled: 1-line block ×7, first 2 shown]
	v_bfe_u32 v30, v11, 16, 5
	v_and_b32_e32 v11, 31, v11
	v_bfe_u32 v33, v8, 16, 5
	v_and_b32_e32 v8, 31, v8
	v_and_b32_e32 v22, 0xffff, v27
	v_mul_i32_i24_e32 v27, v41, v31
	v_mul_i32_i24_e32 v17, v18, v17
	;; [unrolled: 1-line block ×3, first 2 shown]
	v_mad_i32_i24 v19, v19, v23, v21
	v_mul_i32_i24_e32 v11, v16, v11
	v_mul_i32_i24_e32 v16, v36, v30
	;; [unrolled: 1-line block ×5, first 2 shown]
	v_mad_i32_i24 v10, v20, v15, v10
	v_mad_i32_i24 v12, v12, v24, v13
	v_add3_u32 v9, v9, v17, v18
	v_add3_u32 v13, v19, v27, v25
	v_lshrrev_b32_e32 v15, 16, v7
	v_add3_u32 v8, v10, v8, v11
	v_add3_u32 v12, v12, v14, v16
	s_delay_alu instid0(VALU_DEP_4) | instskip(NEXT) | instid1(VALU_DEP_4)
	v_add3_u32 v9, v9, v21, v13
	v_cvt_f32_f16_e32 v10, v15
	s_delay_alu instid0(VALU_DEP_2) | instskip(NEXT) | instid1(VALU_DEP_2)
	v_add3_u32 v8, v8, v12, v9
	v_mul_f32_e32 v9, 0.5, v10
	s_delay_alu instid0(VALU_DEP_2) | instskip(NEXT) | instid1(VALU_DEP_1)
	v_cvt_f32_i32_e32 v8, v8
	v_fma_mix_f32 v7, v8, v7, v9 op_sel_hi:[0,1,0]
	s_delay_alu instid0(VALU_DEP_1)
	v_add_f32_e32 v3, v3, v7
	s_wait_alu 0xfffe
	s_and_not1_b32 exec_lo, exec_lo, s4
	s_cbranch_execnz .LBB101_3
; %bb.4:
	s_or_b32 exec_lo, exec_lo, s4
.LBB101_5:
	s_delay_alu instid0(SALU_CYCLE_1) | instskip(SKIP_1) | instid1(VALU_DEP_1)
	s_or_b32 exec_lo, exec_lo, s8
	v_mbcnt_lo_u32_b32 v2, -1, 0
	v_xor_b32_e32 v4, 16, v2
	v_xor_b32_e32 v5, 8, v2
	s_delay_alu instid0(VALU_DEP_2) | instskip(SKIP_2) | instid1(VALU_DEP_3)
	v_cmp_gt_i32_e32 vcc_lo, 32, v4
	s_wait_alu 0xfffd
	v_cndmask_b32_e32 v4, v2, v4, vcc_lo
	v_cmp_gt_i32_e32 vcc_lo, 32, v5
	s_wait_alu 0xfffd
	v_cndmask_b32_e32 v5, v2, v5, vcc_lo
	s_delay_alu instid0(VALU_DEP_1)
	v_lshlrev_b32_e32 v5, 2, v5
	v_lshlrev_b32_e32 v4, 2, v4
	ds_bpermute_b32 v4, v4, v3
	s_wait_dscnt 0x0
	v_add_f32_e32 v3, v3, v4
	ds_bpermute_b32 v4, v5, v3
	v_xor_b32_e32 v5, 4, v2
	s_delay_alu instid0(VALU_DEP_1) | instskip(SKIP_2) | instid1(VALU_DEP_1)
	v_cmp_gt_i32_e32 vcc_lo, 32, v5
	s_wait_alu 0xfffd
	v_cndmask_b32_e32 v5, v2, v5, vcc_lo
	v_lshlrev_b32_e32 v5, 2, v5
	s_wait_dscnt 0x0
	v_add_f32_e32 v3, v3, v4
	ds_bpermute_b32 v4, v5, v3
	v_xor_b32_e32 v5, 2, v2
	s_delay_alu instid0(VALU_DEP_1) | instskip(SKIP_2) | instid1(VALU_DEP_1)
	v_cmp_gt_i32_e32 vcc_lo, 32, v5
	s_wait_alu 0xfffd
	v_cndmask_b32_e32 v5, v2, v5, vcc_lo
	v_lshlrev_b32_e32 v5, 2, v5
	s_wait_dscnt 0x0
	v_add_f32_e32 v3, v3, v4
	ds_bpermute_b32 v4, v5, v3
	v_xor_b32_e32 v5, 1, v2
	s_delay_alu instid0(VALU_DEP_1) | instskip(SKIP_4) | instid1(VALU_DEP_2)
	v_cmp_gt_i32_e32 vcc_lo, 32, v5
	s_wait_alu 0xfffd
	v_cndmask_b32_e32 v5, v2, v5, vcc_lo
	v_cmp_eq_u32_e32 vcc_lo, 0, v0
	s_wait_dscnt 0x0
	v_dual_add_f32 v2, v3, v4 :: v_dual_lshlrev_b32 v3, 2, v5
	ds_bpermute_b32 v3, v3, v2
	s_and_b32 exec_lo, exec_lo, vcc_lo
	s_cbranch_execz .LBB101_7
; %bb.6:
	s_wait_dscnt 0x0
	v_add_f32_e32 v2, v2, v3
	s_delay_alu instid0(VALU_DEP_1) | instskip(SKIP_3) | instid1(VALU_DEP_2)
	v_mad_co_u64_u32 v[0:1], null, s5, ttmp7, v[1:2]
	v_mov_b32_e32 v1, 0
	v_bfe_u32 v3, v2, 16, 1
	v_cmp_o_f32_e32 vcc_lo, v2, v2
	v_add3_u32 v3, v2, v3, 0x7fff
	s_delay_alu instid0(VALU_DEP_4) | instskip(NEXT) | instid1(VALU_DEP_2)
	v_lshlrev_b64_e32 v[0:1], 1, v[0:1]
	v_lshrrev_b32_e32 v3, 16, v3
	s_wait_alu 0xfffd
	s_delay_alu instid0(VALU_DEP_1) | instskip(SKIP_1) | instid1(VALU_DEP_3)
	v_cndmask_b32_e32 v2, 0x7fc0, v3, vcc_lo
	s_wait_kmcnt 0x0
	v_add_co_u32 v0, vcc_lo, s6, v0
	s_wait_alu 0xfffd
	v_add_co_ci_u32_e64 v1, null, s7, v1, vcc_lo
	global_store_b16 v[0:1], v2, off
.LBB101_7:
	s_endpgm
	.section	.rodata,"a",@progbits
	.p2align	6, 0x0
	.amdhsa_kernel _ZL13mul_mat_vec_qIN3c108BFloat16ELi32ELi4E10block_q5_1Li2EXadL_ZL17vec_dot_q5_1_q8_1PKvPK10block_q8_1RKiEEEvS4_S4_PT_iii
		.amdhsa_group_segment_fixed_size 0
		.amdhsa_private_segment_fixed_size 0
		.amdhsa_kernarg_size 296
		.amdhsa_user_sgpr_count 2
		.amdhsa_user_sgpr_dispatch_ptr 0
		.amdhsa_user_sgpr_queue_ptr 0
		.amdhsa_user_sgpr_kernarg_segment_ptr 1
		.amdhsa_user_sgpr_dispatch_id 0
		.amdhsa_user_sgpr_private_segment_size 0
		.amdhsa_wavefront_size32 1
		.amdhsa_uses_dynamic_stack 0
		.amdhsa_enable_private_segment 0
		.amdhsa_system_sgpr_workgroup_id_x 1
		.amdhsa_system_sgpr_workgroup_id_y 1
		.amdhsa_system_sgpr_workgroup_id_z 0
		.amdhsa_system_sgpr_workgroup_info 0
		.amdhsa_system_vgpr_workitem_id 1
		.amdhsa_next_free_vgpr 44
		.amdhsa_next_free_sgpr 11
		.amdhsa_reserve_vcc 1
		.amdhsa_float_round_mode_32 0
		.amdhsa_float_round_mode_16_64 0
		.amdhsa_float_denorm_mode_32 3
		.amdhsa_float_denorm_mode_16_64 3
		.amdhsa_fp16_overflow 0
		.amdhsa_workgroup_processor_mode 1
		.amdhsa_memory_ordered 1
		.amdhsa_forward_progress 1
		.amdhsa_inst_pref_size 12
		.amdhsa_round_robin_scheduling 0
		.amdhsa_exception_fp_ieee_invalid_op 0
		.amdhsa_exception_fp_denorm_src 0
		.amdhsa_exception_fp_ieee_div_zero 0
		.amdhsa_exception_fp_ieee_overflow 0
		.amdhsa_exception_fp_ieee_underflow 0
		.amdhsa_exception_fp_ieee_inexact 0
		.amdhsa_exception_int_div_zero 0
	.end_amdhsa_kernel
	.section	.text._ZL13mul_mat_vec_qIN3c108BFloat16ELi32ELi4E10block_q5_1Li2EXadL_ZL17vec_dot_q5_1_q8_1PKvPK10block_q8_1RKiEEEvS4_S4_PT_iii,"axG",@progbits,_ZL13mul_mat_vec_qIN3c108BFloat16ELi32ELi4E10block_q5_1Li2EXadL_ZL17vec_dot_q5_1_q8_1PKvPK10block_q8_1RKiEEEvS4_S4_PT_iii,comdat
.Lfunc_end101:
	.size	_ZL13mul_mat_vec_qIN3c108BFloat16ELi32ELi4E10block_q5_1Li2EXadL_ZL17vec_dot_q5_1_q8_1PKvPK10block_q8_1RKiEEEvS4_S4_PT_iii, .Lfunc_end101-_ZL13mul_mat_vec_qIN3c108BFloat16ELi32ELi4E10block_q5_1Li2EXadL_ZL17vec_dot_q5_1_q8_1PKvPK10block_q8_1RKiEEEvS4_S4_PT_iii
                                        ; -- End function
	.set _ZL13mul_mat_vec_qIN3c108BFloat16ELi32ELi4E10block_q5_1Li2EXadL_ZL17vec_dot_q5_1_q8_1PKvPK10block_q8_1RKiEEEvS4_S4_PT_iii.num_vgpr, 44
	.set _ZL13mul_mat_vec_qIN3c108BFloat16ELi32ELi4E10block_q5_1Li2EXadL_ZL17vec_dot_q5_1_q8_1PKvPK10block_q8_1RKiEEEvS4_S4_PT_iii.num_agpr, 0
	.set _ZL13mul_mat_vec_qIN3c108BFloat16ELi32ELi4E10block_q5_1Li2EXadL_ZL17vec_dot_q5_1_q8_1PKvPK10block_q8_1RKiEEEvS4_S4_PT_iii.numbered_sgpr, 11
	.set _ZL13mul_mat_vec_qIN3c108BFloat16ELi32ELi4E10block_q5_1Li2EXadL_ZL17vec_dot_q5_1_q8_1PKvPK10block_q8_1RKiEEEvS4_S4_PT_iii.num_named_barrier, 0
	.set _ZL13mul_mat_vec_qIN3c108BFloat16ELi32ELi4E10block_q5_1Li2EXadL_ZL17vec_dot_q5_1_q8_1PKvPK10block_q8_1RKiEEEvS4_S4_PT_iii.private_seg_size, 0
	.set _ZL13mul_mat_vec_qIN3c108BFloat16ELi32ELi4E10block_q5_1Li2EXadL_ZL17vec_dot_q5_1_q8_1PKvPK10block_q8_1RKiEEEvS4_S4_PT_iii.uses_vcc, 1
	.set _ZL13mul_mat_vec_qIN3c108BFloat16ELi32ELi4E10block_q5_1Li2EXadL_ZL17vec_dot_q5_1_q8_1PKvPK10block_q8_1RKiEEEvS4_S4_PT_iii.uses_flat_scratch, 0
	.set _ZL13mul_mat_vec_qIN3c108BFloat16ELi32ELi4E10block_q5_1Li2EXadL_ZL17vec_dot_q5_1_q8_1PKvPK10block_q8_1RKiEEEvS4_S4_PT_iii.has_dyn_sized_stack, 0
	.set _ZL13mul_mat_vec_qIN3c108BFloat16ELi32ELi4E10block_q5_1Li2EXadL_ZL17vec_dot_q5_1_q8_1PKvPK10block_q8_1RKiEEEvS4_S4_PT_iii.has_recursion, 0
	.set _ZL13mul_mat_vec_qIN3c108BFloat16ELi32ELi4E10block_q5_1Li2EXadL_ZL17vec_dot_q5_1_q8_1PKvPK10block_q8_1RKiEEEvS4_S4_PT_iii.has_indirect_call, 0
	.section	.AMDGPU.csdata,"",@progbits
; Kernel info:
; codeLenInByte = 1484
; TotalNumSgprs: 13
; NumVgprs: 44
; ScratchSize: 0
; MemoryBound: 0
; FloatMode: 240
; IeeeMode: 1
; LDSByteSize: 0 bytes/workgroup (compile time only)
; SGPRBlocks: 0
; VGPRBlocks: 5
; NumSGPRsForWavesPerEU: 13
; NumVGPRsForWavesPerEU: 44
; Occupancy: 16
; WaveLimiterHint : 0
; COMPUTE_PGM_RSRC2:SCRATCH_EN: 0
; COMPUTE_PGM_RSRC2:USER_SGPR: 2
; COMPUTE_PGM_RSRC2:TRAP_HANDLER: 0
; COMPUTE_PGM_RSRC2:TGID_X_EN: 1
; COMPUTE_PGM_RSRC2:TGID_Y_EN: 1
; COMPUTE_PGM_RSRC2:TGID_Z_EN: 0
; COMPUTE_PGM_RSRC2:TIDIG_COMP_CNT: 1
	.section	.text._ZL13mul_mat_vec_qIN3c108BFloat16ELi32ELi8E10block_q8_0Li2EXadL_ZL17vec_dot_q8_0_q8_1PKvPK10block_q8_1RKiEEEvS4_S4_PT_iii,"axG",@progbits,_ZL13mul_mat_vec_qIN3c108BFloat16ELi32ELi8E10block_q8_0Li2EXadL_ZL17vec_dot_q8_0_q8_1PKvPK10block_q8_1RKiEEEvS4_S4_PT_iii,comdat
	.globl	_ZL13mul_mat_vec_qIN3c108BFloat16ELi32ELi8E10block_q8_0Li2EXadL_ZL17vec_dot_q8_0_q8_1PKvPK10block_q8_1RKiEEEvS4_S4_PT_iii ; -- Begin function _ZL13mul_mat_vec_qIN3c108BFloat16ELi32ELi8E10block_q8_0Li2EXadL_ZL17vec_dot_q8_0_q8_1PKvPK10block_q8_1RKiEEEvS4_S4_PT_iii
	.p2align	8
	.type	_ZL13mul_mat_vec_qIN3c108BFloat16ELi32ELi8E10block_q8_0Li2EXadL_ZL17vec_dot_q8_0_q8_1PKvPK10block_q8_1RKiEEEvS4_S4_PT_iii,@function
_ZL13mul_mat_vec_qIN3c108BFloat16ELi32ELi8E10block_q8_0Li2EXadL_ZL17vec_dot_q8_0_q8_1PKvPK10block_q8_1RKiEEEvS4_S4_PT_iii: ; @_ZL13mul_mat_vec_qIN3c108BFloat16ELi32ELi8E10block_q8_0Li2EXadL_ZL17vec_dot_q8_0_q8_1PKvPK10block_q8_1RKiEEEvS4_S4_PT_iii
; %bb.0:
	s_clause 0x1
	s_load_u16 s2, s[0:1], 0x36
	s_load_b96 s[4:6], s[0:1], 0x18
	v_bfe_u32 v1, v0, 10, 10
	s_wait_kmcnt 0x0
	s_delay_alu instid0(VALU_DEP_1)
	v_mad_co_u64_u32 v[1:2], null, ttmp9, s2, v[1:2]
	s_cmp_lt_u32 ttmp7, s6
	s_cselect_b32 s2, -1, 0
	v_cmp_gt_u32_e32 vcc_lo, s5, v1
	s_wait_alu 0xfffe
	s_and_b32 s2, s2, vcc_lo
	s_wait_alu 0xfffe
	s_and_saveexec_b32 s3, s2
	s_cbranch_execz .LBB102_7
; %bb.1:
	s_load_b64 s[6:7], s[0:1], 0x10
	s_ashr_i32 s2, s4, 31
	v_bfe_u32 v3, v0, 2, 8
	s_wait_alu 0xfffe
	s_lshr_b32 s2, s2, 27
	v_and_b32_e32 v0, 0x3ff, v0
	v_mov_b32_e32 v2, 0
	s_wait_alu 0xfffe
	s_add_co_i32 s2, s4, s2
	s_mov_b32 s8, exec_lo
	s_wait_alu 0xfffe
	s_ashr_i32 s9, s2, 5
	s_delay_alu instid0(SALU_CYCLE_1)
	v_cmpx_gt_u32_e64 s9, v3
	s_cbranch_execz .LBB102_5
; %bb.2:
	s_load_b128 s[0:3], s[0:1], 0x0
	s_addk_co_i32 s4, 0x1ff
	v_lshlrev_b32_e32 v2, 3, v0
	s_wait_alu 0xfffe
	s_ashr_i32 s10, s4, 31
	v_mul_lo_u32 v4, v1, s9
	s_lshr_b32 s10, s10, 23
	s_delay_alu instid0(SALU_CYCLE_1)
	s_add_co_i32 s4, s4, s10
	v_dual_mov_b32 v2, 0 :: v_dual_and_b32 v5, 24, v2
	s_wait_alu 0xfffe
	s_ashr_i32 s4, s4, 9
	s_mov_b32 s10, 0
	s_wait_alu 0xfffe
	s_mul_i32 s4, ttmp7, s4
	s_wait_alu 0xfffe
	s_lshl_b32 s4, s4, 4
.LBB102_3:                              ; =>This Inner Loop Header: Depth=1
	s_wait_alu 0xfffe
	v_add_nc_u32_e32 v6, s4, v3
	v_add_nc_u32_e32 v8, v4, v3
	s_wait_kmcnt 0x0
	s_delay_alu instid0(VALU_DEP_2) | instskip(NEXT) | instid1(VALU_DEP_2)
	v_mad_co_i64_i32 v[6:7], null, v6, 36, s[2:3]
	v_mad_co_i64_i32 v[8:9], null, v8, 34, s[0:1]
	s_delay_alu instid0(VALU_DEP_2) | instskip(SKIP_1) | instid1(VALU_DEP_3)
	v_add_co_u32 v10, vcc_lo, v6, v5
	s_wait_alu 0xfffd
	v_add_co_ci_u32_e64 v11, null, 0, v7, vcc_lo
	s_delay_alu instid0(VALU_DEP_3) | instskip(SKIP_1) | instid1(VALU_DEP_4)
	v_add_co_u32 v12, vcc_lo, v8, v5
	s_wait_alu 0xfffd
	v_add_co_ci_u32_e64 v13, null, 0, v9, vcc_lo
	global_load_b64 v[10:11], v[10:11], off offset:4
	s_clause 0x2
	global_load_b32 v14, v[12:13], off offset:2
	global_load_b32 v12, v[12:13], off offset:6
	global_load_u16 v8, v[8:9], off
	global_load_b32 v6, v[6:7], off
	s_wait_loadcnt 0x4
	v_lshrrev_b16 v7, 8, v10
	s_wait_loadcnt 0x3
	v_lshrrev_b16 v9, 8, v14
	v_bfe_i32 v13, v14, 0, 8
	v_ashrrev_i32_e32 v15, 24, v14
	v_bfe_i32 v14, v14, 16, 8
	v_bfe_i32 v16, v10, 0, 8
	v_ashrrev_i32_e32 v17, 24, v10
	v_bfe_i32 v10, v10, 16, 8
	s_wait_loadcnt 0x2
	v_bfe_i32 v18, v12, 0, 8
	v_bfe_i32 v20, v12, 8, 8
	;; [unrolled: 1-line block ×4, first 2 shown]
	v_ashrrev_i32_e32 v12, 24, v12
	v_ashrrev_i32_e32 v23, 24, v11
	v_bfe_i32 v9, v9, 0, 8
	v_bfe_i32 v7, v7, 0, 8
	v_mul_i32_i24_e32 v10, v10, v14
	v_mul_i32_i24_e32 v14, v17, v15
	v_bfe_i32 v19, v11, 0, 8
	v_bfe_i32 v11, v11, 16, 8
	v_mul_i32_i24_e32 v15, v21, v20
	v_mul_i32_i24_e32 v12, v23, v12
	v_mad_i32_i24 v10, v16, v13, v10
	v_mad_i32_i24 v7, v7, v9, v14
	v_mul_i32_i24_e32 v9, v11, v22
	v_mad_i32_i24 v11, v19, v18, v15
	s_wait_loadcnt 0x1
	v_cvt_f32_f16_e32 v8, v8
	s_wait_loadcnt 0x0
	v_cvt_f32_f16_e32 v6, v6
	v_add3_u32 v7, v10, v7, v12
	s_delay_alu instid0(VALU_DEP_2) | instskip(NEXT) | instid1(VALU_DEP_2)
	v_dual_mul_f32 v6, v8, v6 :: v_dual_add_nc_u32 v3, 8, v3
	v_add3_u32 v7, v7, v11, v9
	s_delay_alu instid0(VALU_DEP_2) | instskip(NEXT) | instid1(VALU_DEP_2)
	v_cmp_le_u32_e32 vcc_lo, s9, v3
	v_cvt_f32_i32_e32 v7, v7
	s_or_b32 s10, vcc_lo, s10
	s_delay_alu instid0(VALU_DEP_1)
	v_fmac_f32_e32 v2, v6, v7
	s_and_not1_b32 exec_lo, exec_lo, s10
	s_cbranch_execnz .LBB102_3
; %bb.4:
	s_or_b32 exec_lo, exec_lo, s10
.LBB102_5:
	s_delay_alu instid0(SALU_CYCLE_1) | instskip(SKIP_1) | instid1(VALU_DEP_1)
	s_or_b32 exec_lo, exec_lo, s8
	v_mbcnt_lo_u32_b32 v3, -1, 0
	v_xor_b32_e32 v4, 16, v3
	v_xor_b32_e32 v5, 8, v3
	s_delay_alu instid0(VALU_DEP_2) | instskip(SKIP_2) | instid1(VALU_DEP_3)
	v_cmp_gt_i32_e32 vcc_lo, 32, v4
	s_wait_alu 0xfffd
	v_cndmask_b32_e32 v4, v3, v4, vcc_lo
	v_cmp_gt_i32_e32 vcc_lo, 32, v5
	s_wait_alu 0xfffd
	v_cndmask_b32_e32 v5, v3, v5, vcc_lo
	s_delay_alu instid0(VALU_DEP_1)
	v_lshlrev_b32_e32 v5, 2, v5
	v_lshlrev_b32_e32 v4, 2, v4
	ds_bpermute_b32 v4, v4, v2
	s_wait_dscnt 0x0
	v_add_f32_e32 v2, v2, v4
	ds_bpermute_b32 v4, v5, v2
	v_xor_b32_e32 v5, 4, v3
	s_delay_alu instid0(VALU_DEP_1) | instskip(SKIP_3) | instid1(VALU_DEP_1)
	v_cmp_gt_i32_e32 vcc_lo, 32, v5
	s_wait_alu 0xfffd
	v_cndmask_b32_e32 v5, v3, v5, vcc_lo
	s_wait_dscnt 0x0
	v_dual_add_f32 v2, v2, v4 :: v_dual_lshlrev_b32 v5, 2, v5
	ds_bpermute_b32 v4, v5, v2
	v_xor_b32_e32 v5, 2, v3
	s_delay_alu instid0(VALU_DEP_1) | instskip(SKIP_3) | instid1(VALU_DEP_1)
	v_cmp_gt_i32_e32 vcc_lo, 32, v5
	s_wait_dscnt 0x0
	s_wait_alu 0xfffd
	v_dual_cndmask_b32 v5, v3, v5 :: v_dual_add_f32 v2, v2, v4
	v_lshlrev_b32_e32 v5, 2, v5
	ds_bpermute_b32 v4, v5, v2
	v_xor_b32_e32 v5, 1, v3
	s_delay_alu instid0(VALU_DEP_1) | instskip(SKIP_4) | instid1(VALU_DEP_2)
	v_cmp_gt_i32_e32 vcc_lo, 32, v5
	s_wait_alu 0xfffd
	v_cndmask_b32_e32 v3, v3, v5, vcc_lo
	v_cmp_eq_u32_e32 vcc_lo, 0, v0
	s_wait_dscnt 0x0
	v_dual_add_f32 v2, v2, v4 :: v_dual_lshlrev_b32 v3, 2, v3
	ds_bpermute_b32 v3, v3, v2
	s_and_b32 exec_lo, exec_lo, vcc_lo
	s_cbranch_execz .LBB102_7
; %bb.6:
	s_wait_dscnt 0x0
	v_add_f32_e32 v2, v2, v3
	s_delay_alu instid0(VALU_DEP_1) | instskip(SKIP_3) | instid1(VALU_DEP_2)
	v_mad_co_u64_u32 v[0:1], null, s5, ttmp7, v[1:2]
	v_mov_b32_e32 v1, 0
	v_bfe_u32 v3, v2, 16, 1
	v_cmp_o_f32_e32 vcc_lo, v2, v2
	v_add3_u32 v3, v2, v3, 0x7fff
	s_delay_alu instid0(VALU_DEP_4) | instskip(NEXT) | instid1(VALU_DEP_2)
	v_lshlrev_b64_e32 v[0:1], 1, v[0:1]
	v_lshrrev_b32_e32 v3, 16, v3
	s_wait_alu 0xfffd
	s_delay_alu instid0(VALU_DEP_1) | instskip(SKIP_1) | instid1(VALU_DEP_3)
	v_cndmask_b32_e32 v2, 0x7fc0, v3, vcc_lo
	s_wait_kmcnt 0x0
	v_add_co_u32 v0, vcc_lo, s6, v0
	s_wait_alu 0xfffd
	v_add_co_ci_u32_e64 v1, null, s7, v1, vcc_lo
	global_store_b16 v[0:1], v2, off
.LBB102_7:
	s_endpgm
	.section	.rodata,"a",@progbits
	.p2align	6, 0x0
	.amdhsa_kernel _ZL13mul_mat_vec_qIN3c108BFloat16ELi32ELi8E10block_q8_0Li2EXadL_ZL17vec_dot_q8_0_q8_1PKvPK10block_q8_1RKiEEEvS4_S4_PT_iii
		.amdhsa_group_segment_fixed_size 0
		.amdhsa_private_segment_fixed_size 0
		.amdhsa_kernarg_size 296
		.amdhsa_user_sgpr_count 2
		.amdhsa_user_sgpr_dispatch_ptr 0
		.amdhsa_user_sgpr_queue_ptr 0
		.amdhsa_user_sgpr_kernarg_segment_ptr 1
		.amdhsa_user_sgpr_dispatch_id 0
		.amdhsa_user_sgpr_private_segment_size 0
		.amdhsa_wavefront_size32 1
		.amdhsa_uses_dynamic_stack 0
		.amdhsa_enable_private_segment 0
		.amdhsa_system_sgpr_workgroup_id_x 1
		.amdhsa_system_sgpr_workgroup_id_y 1
		.amdhsa_system_sgpr_workgroup_id_z 0
		.amdhsa_system_sgpr_workgroup_info 0
		.amdhsa_system_vgpr_workitem_id 1
		.amdhsa_next_free_vgpr 24
		.amdhsa_next_free_sgpr 11
		.amdhsa_reserve_vcc 1
		.amdhsa_float_round_mode_32 0
		.amdhsa_float_round_mode_16_64 0
		.amdhsa_float_denorm_mode_32 3
		.amdhsa_float_denorm_mode_16_64 3
		.amdhsa_fp16_overflow 0
		.amdhsa_workgroup_processor_mode 1
		.amdhsa_memory_ordered 1
		.amdhsa_forward_progress 1
		.amdhsa_inst_pref_size 8
		.amdhsa_round_robin_scheduling 0
		.amdhsa_exception_fp_ieee_invalid_op 0
		.amdhsa_exception_fp_denorm_src 0
		.amdhsa_exception_fp_ieee_div_zero 0
		.amdhsa_exception_fp_ieee_overflow 0
		.amdhsa_exception_fp_ieee_underflow 0
		.amdhsa_exception_fp_ieee_inexact 0
		.amdhsa_exception_int_div_zero 0
	.end_amdhsa_kernel
	.section	.text._ZL13mul_mat_vec_qIN3c108BFloat16ELi32ELi8E10block_q8_0Li2EXadL_ZL17vec_dot_q8_0_q8_1PKvPK10block_q8_1RKiEEEvS4_S4_PT_iii,"axG",@progbits,_ZL13mul_mat_vec_qIN3c108BFloat16ELi32ELi8E10block_q8_0Li2EXadL_ZL17vec_dot_q8_0_q8_1PKvPK10block_q8_1RKiEEEvS4_S4_PT_iii,comdat
.Lfunc_end102:
	.size	_ZL13mul_mat_vec_qIN3c108BFloat16ELi32ELi8E10block_q8_0Li2EXadL_ZL17vec_dot_q8_0_q8_1PKvPK10block_q8_1RKiEEEvS4_S4_PT_iii, .Lfunc_end102-_ZL13mul_mat_vec_qIN3c108BFloat16ELi32ELi8E10block_q8_0Li2EXadL_ZL17vec_dot_q8_0_q8_1PKvPK10block_q8_1RKiEEEvS4_S4_PT_iii
                                        ; -- End function
	.set _ZL13mul_mat_vec_qIN3c108BFloat16ELi32ELi8E10block_q8_0Li2EXadL_ZL17vec_dot_q8_0_q8_1PKvPK10block_q8_1RKiEEEvS4_S4_PT_iii.num_vgpr, 24
	.set _ZL13mul_mat_vec_qIN3c108BFloat16ELi32ELi8E10block_q8_0Li2EXadL_ZL17vec_dot_q8_0_q8_1PKvPK10block_q8_1RKiEEEvS4_S4_PT_iii.num_agpr, 0
	.set _ZL13mul_mat_vec_qIN3c108BFloat16ELi32ELi8E10block_q8_0Li2EXadL_ZL17vec_dot_q8_0_q8_1PKvPK10block_q8_1RKiEEEvS4_S4_PT_iii.numbered_sgpr, 11
	.set _ZL13mul_mat_vec_qIN3c108BFloat16ELi32ELi8E10block_q8_0Li2EXadL_ZL17vec_dot_q8_0_q8_1PKvPK10block_q8_1RKiEEEvS4_S4_PT_iii.num_named_barrier, 0
	.set _ZL13mul_mat_vec_qIN3c108BFloat16ELi32ELi8E10block_q8_0Li2EXadL_ZL17vec_dot_q8_0_q8_1PKvPK10block_q8_1RKiEEEvS4_S4_PT_iii.private_seg_size, 0
	.set _ZL13mul_mat_vec_qIN3c108BFloat16ELi32ELi8E10block_q8_0Li2EXadL_ZL17vec_dot_q8_0_q8_1PKvPK10block_q8_1RKiEEEvS4_S4_PT_iii.uses_vcc, 1
	.set _ZL13mul_mat_vec_qIN3c108BFloat16ELi32ELi8E10block_q8_0Li2EXadL_ZL17vec_dot_q8_0_q8_1PKvPK10block_q8_1RKiEEEvS4_S4_PT_iii.uses_flat_scratch, 0
	.set _ZL13mul_mat_vec_qIN3c108BFloat16ELi32ELi8E10block_q8_0Li2EXadL_ZL17vec_dot_q8_0_q8_1PKvPK10block_q8_1RKiEEEvS4_S4_PT_iii.has_dyn_sized_stack, 0
	.set _ZL13mul_mat_vec_qIN3c108BFloat16ELi32ELi8E10block_q8_0Li2EXadL_ZL17vec_dot_q8_0_q8_1PKvPK10block_q8_1RKiEEEvS4_S4_PT_iii.has_recursion, 0
	.set _ZL13mul_mat_vec_qIN3c108BFloat16ELi32ELi8E10block_q8_0Li2EXadL_ZL17vec_dot_q8_0_q8_1PKvPK10block_q8_1RKiEEEvS4_S4_PT_iii.has_indirect_call, 0
	.section	.AMDGPU.csdata,"",@progbits
; Kernel info:
; codeLenInByte = 980
; TotalNumSgprs: 13
; NumVgprs: 24
; ScratchSize: 0
; MemoryBound: 0
; FloatMode: 240
; IeeeMode: 1
; LDSByteSize: 0 bytes/workgroup (compile time only)
; SGPRBlocks: 0
; VGPRBlocks: 2
; NumSGPRsForWavesPerEU: 13
; NumVGPRsForWavesPerEU: 24
; Occupancy: 16
; WaveLimiterHint : 0
; COMPUTE_PGM_RSRC2:SCRATCH_EN: 0
; COMPUTE_PGM_RSRC2:USER_SGPR: 2
; COMPUTE_PGM_RSRC2:TRAP_HANDLER: 0
; COMPUTE_PGM_RSRC2:TGID_X_EN: 1
; COMPUTE_PGM_RSRC2:TGID_Y_EN: 1
; COMPUTE_PGM_RSRC2:TGID_Z_EN: 0
; COMPUTE_PGM_RSRC2:TIDIG_COMP_CNT: 1
	.section	.text._ZL13mul_mat_vec_qIN3c108BFloat16ELi256ELi16E10block_q2_KLi1EXadL_ZL17vec_dot_q2_K_q8_1PKvPK10block_q8_1RKiEEEvS4_S4_PT_iii,"axG",@progbits,_ZL13mul_mat_vec_qIN3c108BFloat16ELi256ELi16E10block_q2_KLi1EXadL_ZL17vec_dot_q2_K_q8_1PKvPK10block_q8_1RKiEEEvS4_S4_PT_iii,comdat
	.globl	_ZL13mul_mat_vec_qIN3c108BFloat16ELi256ELi16E10block_q2_KLi1EXadL_ZL17vec_dot_q2_K_q8_1PKvPK10block_q8_1RKiEEEvS4_S4_PT_iii ; -- Begin function _ZL13mul_mat_vec_qIN3c108BFloat16ELi256ELi16E10block_q2_KLi1EXadL_ZL17vec_dot_q2_K_q8_1PKvPK10block_q8_1RKiEEEvS4_S4_PT_iii
	.p2align	8
	.type	_ZL13mul_mat_vec_qIN3c108BFloat16ELi256ELi16E10block_q2_KLi1EXadL_ZL17vec_dot_q2_K_q8_1PKvPK10block_q8_1RKiEEEvS4_S4_PT_iii,@function
_ZL13mul_mat_vec_qIN3c108BFloat16ELi256ELi16E10block_q2_KLi1EXadL_ZL17vec_dot_q2_K_q8_1PKvPK10block_q8_1RKiEEEvS4_S4_PT_iii: ; @_ZL13mul_mat_vec_qIN3c108BFloat16ELi256ELi16E10block_q2_KLi1EXadL_ZL17vec_dot_q2_K_q8_1PKvPK10block_q8_1RKiEEEvS4_S4_PT_iii
; %bb.0:
	s_clause 0x1
	s_load_u16 s2, s[0:1], 0x36
	s_load_b96 s[4:6], s[0:1], 0x18
	v_bfe_u32 v1, v0, 10, 10
	s_wait_kmcnt 0x0
	s_delay_alu instid0(VALU_DEP_1)
	v_mad_co_u64_u32 v[1:2], null, ttmp9, s2, v[1:2]
	s_cmp_lt_u32 ttmp7, s6
	s_cselect_b32 s2, -1, 0
	v_cmp_gt_u32_e32 vcc_lo, s5, v1
	s_wait_alu 0xfffe
	s_and_b32 s2, s2, vcc_lo
	s_wait_alu 0xfffe
	s_and_saveexec_b32 s3, s2
	s_cbranch_execz .LBB103_7
; %bb.1:
	s_load_b64 s[6:7], s[0:1], 0x10
	s_ashr_i32 s2, s4, 31
	v_bfe_u32 v8, v0, 4, 6
	s_wait_alu 0xfffe
	s_lshr_b32 s2, s2, 24
	v_dual_mov_b32 v3, 0 :: v_dual_and_b32 v0, 0x3ff, v0
	s_wait_alu 0xfffe
	s_add_co_i32 s2, s4, s2
	s_mov_b32 s8, exec_lo
	s_wait_alu 0xfffe
	s_ashr_i32 s9, s2, 8
	s_delay_alu instid0(SALU_CYCLE_1)
	v_cmpx_gt_u32_e64 s9, v8
	s_cbranch_execz .LBB103_5
; %bb.2:
	v_and_b32_e32 v3, 15, v0
	s_load_b128 s[0:3], s[0:1], 0x0
	v_lshrrev_b32_e32 v4, 1, v0
	s_addk_co_i32 s4, 0x1ff
	v_lshlrev_b32_e32 v12, 3, v8
	v_sub_co_u32 v2, vcc_lo, v3, 8
	s_wait_alu 0xfffe
	s_ashr_i32 s10, s4, 31
	v_lshlrev_b32_e32 v10, 2, v3
	s_lshr_b32 s10, s10, 23
	v_cndmask_b32_e32 v2, v2, v3, vcc_lo
	v_and_b32_e32 v4, 4, v4
	s_add_co_i32 s4, s4, s10
	v_mul_lo_u32 v9, v1, s9
	s_wait_alu 0xfffe
	s_ashr_i32 s4, s4, 9
	v_sub_nc_u32_e32 v5, v3, v2
	v_mov_b32_e32 v3, 0
	v_cmp_lt_u32_e32 vcc_lo, 3, v2
	s_wait_alu 0xfffe
	s_mul_i32 s4, ttmp7, s4
	s_wait_alu 0xfffe
	v_lshl_add_u32 v12, s4, 4, v12
	v_lshlrev_b64_e32 v[6:7], 2, v[2:3]
	s_wait_alu 0xfffd
	v_add_co_ci_u32_e64 v11, null, 0, v5, vcc_lo
	s_wait_kmcnt 0x0
	v_mad_co_u64_u32 v[4:5], null, v4, 36, s[2:3]
	s_mov_b32 s2, 0
	v_ashrrev_i32_e32 v2, 31, v11
.LBB103_3:                              ; =>This Inner Loop Header: Depth=1
	v_add_nc_u32_e32 v15, v9, v8
	v_mad_co_i64_i32 v[13:14], null, v12, 36, v[4:5]
	v_add_nc_u32_e32 v8, 2, v8
	v_add_nc_u32_e32 v12, 16, v12
	s_delay_alu instid0(VALU_DEP_4) | instskip(NEXT) | instid1(VALU_DEP_4)
	v_mad_co_i64_i32 v[15:16], null, 0x54, v15, s[0:1]
	v_add_co_u32 v17, vcc_lo, v13, v6
	s_wait_alu 0xfffd
	v_add_co_ci_u32_e64 v18, null, v14, v7, vcc_lo
	s_clause 0x6
	global_load_b32 v21, v[13:14], off
	global_load_b32 v22, v[13:14], off offset:36
	global_load_b32 v23, v[13:14], off offset:72
	;; [unrolled: 1-line block ×6, first 2 shown]
	v_add_co_u32 v17, vcc_lo, v15, v10
	s_wait_alu 0xfffd
	v_add_co_ci_u32_e64 v18, null, 0, v16, vcc_lo
	v_add_co_u32 v19, vcc_lo, v15, v11
	s_wait_alu 0xfffd
	v_add_co_ci_u32_e64 v20, null, v16, v2, vcc_lo
	s_clause 0x5
	global_load_b32 v17, v[17:18], off offset:16
	global_load_u8 v18, v[19:20], off
	global_load_u8 v28, v[19:20], off offset:2
	global_load_u8 v29, v[19:20], off offset:4
	;; [unrolled: 1-line block ×3, first 2 shown]
	global_load_b32 v15, v[15:16], off offset:80
	global_load_b32 v13, v[13:14], off offset:108
	v_cmp_le_u32_e32 vcc_lo, s9, v8
	s_wait_alu 0xfffe
	s_or_b32 s2, vcc_lo, s2
	s_wait_loadcnt 0xa
	v_lshrrev_b16 v14, 8, v24
	v_ashrrev_i32_e32 v16, 24, v24
	v_bfe_i32 v20, v24, 16, 8
	v_bfe_i32 v24, v24, 0, 8
	s_wait_loadcnt 0x9
	v_bfe_i32 v30, v25, 0, 8
	s_wait_loadcnt 0x8
	v_lshlrev_b32_e32 v36, 16, v26
	v_lshlrev_b32_e32 v38, 8, v26
	;; [unrolled: 1-line block ×3, first 2 shown]
	s_wait_loadcnt 0x6
	v_and_b32_e32 v45, 3, v17
	s_wait_loadcnt 0x5
	v_and_b32_e32 v49, 15, v18
	v_lshrrev_b32_e32 v18, 4, v18
	v_bfe_u32 v50, v17, 2, 2
	s_wait_loadcnt 0x4
	v_and_b32_e32 v54, 15, v28
	v_lshrrev_b32_e32 v28, 4, v28
	v_bfe_i32 v32, v25, 8, 8
	v_mul_lo_u32 v18, 0x1010101, v18
	v_lshlrev_b32_e32 v33, 8, v25
	v_bfe_i32 v34, v25, 16, 8
	v_ashrrev_i32_e32 v25, 24, v25
	v_bfe_i32 v44, v27, 16, 8
	v_bfe_u32 v46, v17, 8, 2
	v_bfe_i32 v14, v14, 0, 8
	v_bfe_u32 v51, v17, 10, 2
	v_bfe_u32 v52, v17, 18, 2
	;; [unrolled: 1-line block ×3, first 2 shown]
	v_perm_b32 v36, v38, v36, 0xc0c0703
	v_bfe_u32 v38, v17, 22, 2
	v_mul_i32_i24_e32 v45, v24, v45
	v_mul_i32_i24_e32 v50, v30, v50
	s_wait_loadcnt 0x3
	v_and_b32_e32 v58, 15, v29
	v_lshrrev_b32_e32 v29, 4, v29
	v_mul_lo_u32 v28, 0x1010101, v28
	v_bfe_i32 v35, v26, 0, 8
	v_bfe_i32 v37, v26, 8, 8
	;; [unrolled: 1-line block ×3, first 2 shown]
	v_ashrrev_i32_e32 v26, 24, v26
	v_bfe_u32 v48, v17, 24, 2
	v_bfe_u32 v57, v17, 28, 2
	v_mul_i32_i24_e32 v34, v34, v52
	v_mul_i32_i24_e32 v52, v25, v53
	;; [unrolled: 1-line block ×3, first 2 shown]
	v_mad_i32_i24 v44, v14, v46, v45
	v_mad_i32_i24 v32, v32, v51, v50
	v_lshrrev_b32_e32 v45, 24, v18
	v_lshrrev_b16 v46, 8, v18
	v_bfe_u32 v47, v17, 16, 2
	s_wait_loadcnt 0x2
	v_and_b32_e32 v61, 15, v19
	v_lshrrev_b32_e32 v19, 4, v19
	v_mul_lo_u32 v29, 0x1010101, v29
	v_perm_b32 v31, v33, v31, 0xc0c0703
	v_bfe_u32 v33, v17, 4, 2
	v_bfe_u32 v55, v17, 12, 2
	v_mul_i32_i24_e32 v48, v16, v48
	v_mul_i32_i24_e32 v53, v26, v57
	v_bfe_i32 v50, v18, 16, 8
	v_bfe_i32 v18, v18, 0, 8
	;; [unrolled: 1-line block ×3, first 2 shown]
	v_add3_u32 v32, v32, v34, v52
	v_bfe_i32 v34, v46, 0, 8
	v_mul_i32_i24_e32 v16, v45, v16
	v_bfe_u32 v56, v17, 20, 2
	v_mul_i32_i24_e32 v47, v20, v47
	v_mul_lo_u32 v19, 0x1010101, v19
	v_bfe_i32 v40, v27, 0, 8
	v_lshlrev_b32_e32 v41, 16, v27
	v_bfe_i32 v42, v27, 8, 8
	v_lshlrev_b32_e32 v43, 8, v27
	v_ashrrev_i32_e32 v27, 24, v27
	v_bfe_u32 v59, v17, 6, 2
	v_bfe_u32 v60, v17, 14, 2
	v_lshrrev_b32_e32 v17, 30, v17
	v_mul_i32_i24_e32 v37, v37, v55
	v_mad_i32_i24 v33, v35, v33, v53
	v_lshrrev_b32_e32 v53, 24, v28
	v_perm_b32 v28, v28, v28, 0xc0c0201
	v_bfe_i32 v55, v29, 0, 8
	v_mul_i32_i24_e32 v18, v18, v24
	v_mul_i32_i24_e32 v20, v50, v20
	;; [unrolled: 1-line block ×3, first 2 shown]
	v_mad_i32_i24 v14, v34, v14, v16
	v_mul_i32_i24_e32 v39, v39, v56
	v_add3_u32 v44, v44, v47, v48
	v_mul_i32_i24_e32 v17, v27, v17
	v_lshrrev_b32_e32 v56, 24, v29
	v_perm_b32 v29, v29, v29, 0xc0c0201
	v_bfe_i32 v57, v19, 0, 8
	v_mul_i32_i24_e32 v30, v35, v55
	v_dot4_i32_iu8 v24, v31, v28, v24 neg_lo:[1,1,0]
	v_add3_u32 v14, v18, v20, v14
	v_add3_u32 v33, v33, v37, v39
	v_mul_lo_u32 v37, v49, v44
	v_perm_b32 v41, v43, v41, 0xc0c0703
	v_mad_i32_i24 v17, v40, v59, v17
	v_lshrrev_b32_e32 v59, 24, v19
	v_perm_b32 v19, v19, v19, 0xc0c0201
	v_mul_i32_i24_e32 v35, v40, v57
	v_dot4_i32_iu8 v28, v36, v29, v30 neg_lo:[1,1,0]
	v_mad_i32_i24 v20, v25, v53, v24
	v_cvt_f32_i32_e32 v14, v14
	v_mul_i32_i24_e32 v42, v42, v60
	v_mul_lo_u32 v32, v54, v32
	v_dot4_i32_iu8 v18, v41, v19, v35 neg_lo:[1,1,0]
	v_cvt_f32_i32_e32 v19, v37
	v_mad_i32_i24 v25, v26, v56, v28
	v_cvt_f32_i32_e32 v20, v20
	v_fma_mix_f32 v14, v21, v14, 0 op_sel_hi:[1,0,0]
	v_add3_u32 v17, v17, v42, v38
	v_mul_lo_u32 v16, v58, v33
	v_cvt_f32_i32_e32 v24, v32
	v_mad_i32_i24 v18, v27, v59, v18
	v_fma_mix_f32 v19, v21, v19, 0 op_sel_hi:[1,0,0]
	v_cvt_f32_i32_e32 v21, v25
	v_fma_mix_f32 v14, v22, v20, v14 op_sel_hi:[1,0,0]
	v_mul_lo_u32 v17, v61, v17
	s_wait_loadcnt 0x1
	v_lshrrev_b32_e32 v43, 16, v15
	v_cvt_f32_i32_e32 v16, v16
	v_cvt_f32_i32_e32 v18, v18
	v_fma_mix_f32 v19, v22, v24, v19 op_sel_hi:[1,0,0]
	v_fma_mix_f32 v14, v23, v21, v14 op_sel_hi:[1,0,0]
	v_cvt_f32_f16_e32 v20, v43
	v_cvt_f32_i32_e32 v17, v17
	s_delay_alu instid0(VALU_DEP_4) | instskip(SKIP_2) | instid1(VALU_DEP_2)
	v_fma_mix_f32 v16, v23, v16, v19 op_sel_hi:[1,0,0]
	s_wait_loadcnt 0x0
	v_fma_mix_f32 v14, v13, v18, v14 op_sel_hi:[1,0,0]
	v_fma_mix_f32 v13, v13, v17, v16 op_sel_hi:[1,0,0]
	s_delay_alu instid0(VALU_DEP_2) | instskip(NEXT) | instid1(VALU_DEP_1)
	v_mul_f32_e32 v14, v14, v20
	v_fma_mix_f32 v13, v13, v15, -v14 op_sel_hi:[0,1,0]
	s_delay_alu instid0(VALU_DEP_1)
	v_add_f32_e32 v3, v3, v13
	s_wait_alu 0xfffe
	s_and_not1_b32 exec_lo, exec_lo, s2
	s_cbranch_execnz .LBB103_3
; %bb.4:
	s_or_b32 exec_lo, exec_lo, s2
.LBB103_5:
	s_delay_alu instid0(SALU_CYCLE_1) | instskip(SKIP_1) | instid1(VALU_DEP_1)
	s_or_b32 exec_lo, exec_lo, s8
	v_mbcnt_lo_u32_b32 v2, -1, 0
	v_xor_b32_e32 v4, 16, v2
	v_xor_b32_e32 v5, 8, v2
	s_delay_alu instid0(VALU_DEP_2) | instskip(SKIP_2) | instid1(VALU_DEP_3)
	v_cmp_gt_i32_e32 vcc_lo, 32, v4
	s_wait_alu 0xfffd
	v_cndmask_b32_e32 v4, v2, v4, vcc_lo
	v_cmp_gt_i32_e32 vcc_lo, 32, v5
	s_wait_alu 0xfffd
	v_cndmask_b32_e32 v5, v2, v5, vcc_lo
	s_delay_alu instid0(VALU_DEP_1)
	v_lshlrev_b32_e32 v5, 2, v5
	v_lshlrev_b32_e32 v4, 2, v4
	ds_bpermute_b32 v4, v4, v3
	s_wait_dscnt 0x0
	v_add_f32_e32 v3, v3, v4
	ds_bpermute_b32 v4, v5, v3
	v_xor_b32_e32 v5, 4, v2
	s_delay_alu instid0(VALU_DEP_1) | instskip(SKIP_2) | instid1(VALU_DEP_1)
	v_cmp_gt_i32_e32 vcc_lo, 32, v5
	s_wait_alu 0xfffd
	v_cndmask_b32_e32 v5, v2, v5, vcc_lo
	v_lshlrev_b32_e32 v5, 2, v5
	s_wait_dscnt 0x0
	v_add_f32_e32 v3, v3, v4
	ds_bpermute_b32 v4, v5, v3
	v_xor_b32_e32 v5, 2, v2
	s_delay_alu instid0(VALU_DEP_1) | instskip(SKIP_2) | instid1(VALU_DEP_1)
	v_cmp_gt_i32_e32 vcc_lo, 32, v5
	s_wait_alu 0xfffd
	v_cndmask_b32_e32 v5, v2, v5, vcc_lo
	v_lshlrev_b32_e32 v5, 2, v5
	s_wait_dscnt 0x0
	v_add_f32_e32 v3, v3, v4
	ds_bpermute_b32 v4, v5, v3
	v_xor_b32_e32 v5, 1, v2
	s_delay_alu instid0(VALU_DEP_1) | instskip(SKIP_4) | instid1(VALU_DEP_2)
	v_cmp_gt_i32_e32 vcc_lo, 32, v5
	s_wait_alu 0xfffd
	v_cndmask_b32_e32 v5, v2, v5, vcc_lo
	v_cmp_eq_u32_e32 vcc_lo, 0, v0
	s_wait_dscnt 0x0
	v_dual_add_f32 v2, v3, v4 :: v_dual_lshlrev_b32 v3, 2, v5
	ds_bpermute_b32 v3, v3, v2
	s_and_b32 exec_lo, exec_lo, vcc_lo
	s_cbranch_execz .LBB103_7
; %bb.6:
	s_wait_dscnt 0x0
	v_add_f32_e32 v2, v2, v3
	s_delay_alu instid0(VALU_DEP_1) | instskip(SKIP_3) | instid1(VALU_DEP_2)
	v_mad_co_u64_u32 v[0:1], null, s5, ttmp7, v[1:2]
	v_mov_b32_e32 v1, 0
	v_bfe_u32 v3, v2, 16, 1
	v_cmp_o_f32_e32 vcc_lo, v2, v2
	v_add3_u32 v3, v2, v3, 0x7fff
	s_delay_alu instid0(VALU_DEP_4) | instskip(NEXT) | instid1(VALU_DEP_2)
	v_lshlrev_b64_e32 v[0:1], 1, v[0:1]
	v_lshrrev_b32_e32 v3, 16, v3
	s_wait_alu 0xfffd
	s_delay_alu instid0(VALU_DEP_1) | instskip(SKIP_1) | instid1(VALU_DEP_3)
	v_cndmask_b32_e32 v2, 0x7fc0, v3, vcc_lo
	s_wait_kmcnt 0x0
	v_add_co_u32 v0, vcc_lo, s6, v0
	s_wait_alu 0xfffd
	v_add_co_ci_u32_e64 v1, null, s7, v1, vcc_lo
	global_store_b16 v[0:1], v2, off
.LBB103_7:
	s_endpgm
	.section	.rodata,"a",@progbits
	.p2align	6, 0x0
	.amdhsa_kernel _ZL13mul_mat_vec_qIN3c108BFloat16ELi256ELi16E10block_q2_KLi1EXadL_ZL17vec_dot_q2_K_q8_1PKvPK10block_q8_1RKiEEEvS4_S4_PT_iii
		.amdhsa_group_segment_fixed_size 0
		.amdhsa_private_segment_fixed_size 0
		.amdhsa_kernarg_size 296
		.amdhsa_user_sgpr_count 2
		.amdhsa_user_sgpr_dispatch_ptr 0
		.amdhsa_user_sgpr_queue_ptr 0
		.amdhsa_user_sgpr_kernarg_segment_ptr 1
		.amdhsa_user_sgpr_dispatch_id 0
		.amdhsa_user_sgpr_private_segment_size 0
		.amdhsa_wavefront_size32 1
		.amdhsa_uses_dynamic_stack 0
		.amdhsa_enable_private_segment 0
		.amdhsa_system_sgpr_workgroup_id_x 1
		.amdhsa_system_sgpr_workgroup_id_y 1
		.amdhsa_system_sgpr_workgroup_id_z 0
		.amdhsa_system_sgpr_workgroup_info 0
		.amdhsa_system_vgpr_workitem_id 1
		.amdhsa_next_free_vgpr 62
		.amdhsa_next_free_sgpr 11
		.amdhsa_reserve_vcc 1
		.amdhsa_float_round_mode_32 0
		.amdhsa_float_round_mode_16_64 0
		.amdhsa_float_denorm_mode_32 3
		.amdhsa_float_denorm_mode_16_64 3
		.amdhsa_fp16_overflow 0
		.amdhsa_workgroup_processor_mode 1
		.amdhsa_memory_ordered 1
		.amdhsa_forward_progress 1
		.amdhsa_inst_pref_size 15
		.amdhsa_round_robin_scheduling 0
		.amdhsa_exception_fp_ieee_invalid_op 0
		.amdhsa_exception_fp_denorm_src 0
		.amdhsa_exception_fp_ieee_div_zero 0
		.amdhsa_exception_fp_ieee_overflow 0
		.amdhsa_exception_fp_ieee_underflow 0
		.amdhsa_exception_fp_ieee_inexact 0
		.amdhsa_exception_int_div_zero 0
	.end_amdhsa_kernel
	.section	.text._ZL13mul_mat_vec_qIN3c108BFloat16ELi256ELi16E10block_q2_KLi1EXadL_ZL17vec_dot_q2_K_q8_1PKvPK10block_q8_1RKiEEEvS4_S4_PT_iii,"axG",@progbits,_ZL13mul_mat_vec_qIN3c108BFloat16ELi256ELi16E10block_q2_KLi1EXadL_ZL17vec_dot_q2_K_q8_1PKvPK10block_q8_1RKiEEEvS4_S4_PT_iii,comdat
.Lfunc_end103:
	.size	_ZL13mul_mat_vec_qIN3c108BFloat16ELi256ELi16E10block_q2_KLi1EXadL_ZL17vec_dot_q2_K_q8_1PKvPK10block_q8_1RKiEEEvS4_S4_PT_iii, .Lfunc_end103-_ZL13mul_mat_vec_qIN3c108BFloat16ELi256ELi16E10block_q2_KLi1EXadL_ZL17vec_dot_q2_K_q8_1PKvPK10block_q8_1RKiEEEvS4_S4_PT_iii
                                        ; -- End function
	.set _ZL13mul_mat_vec_qIN3c108BFloat16ELi256ELi16E10block_q2_KLi1EXadL_ZL17vec_dot_q2_K_q8_1PKvPK10block_q8_1RKiEEEvS4_S4_PT_iii.num_vgpr, 62
	.set _ZL13mul_mat_vec_qIN3c108BFloat16ELi256ELi16E10block_q2_KLi1EXadL_ZL17vec_dot_q2_K_q8_1PKvPK10block_q8_1RKiEEEvS4_S4_PT_iii.num_agpr, 0
	.set _ZL13mul_mat_vec_qIN3c108BFloat16ELi256ELi16E10block_q2_KLi1EXadL_ZL17vec_dot_q2_K_q8_1PKvPK10block_q8_1RKiEEEvS4_S4_PT_iii.numbered_sgpr, 11
	.set _ZL13mul_mat_vec_qIN3c108BFloat16ELi256ELi16E10block_q2_KLi1EXadL_ZL17vec_dot_q2_K_q8_1PKvPK10block_q8_1RKiEEEvS4_S4_PT_iii.num_named_barrier, 0
	.set _ZL13mul_mat_vec_qIN3c108BFloat16ELi256ELi16E10block_q2_KLi1EXadL_ZL17vec_dot_q2_K_q8_1PKvPK10block_q8_1RKiEEEvS4_S4_PT_iii.private_seg_size, 0
	.set _ZL13mul_mat_vec_qIN3c108BFloat16ELi256ELi16E10block_q2_KLi1EXadL_ZL17vec_dot_q2_K_q8_1PKvPK10block_q8_1RKiEEEvS4_S4_PT_iii.uses_vcc, 1
	.set _ZL13mul_mat_vec_qIN3c108BFloat16ELi256ELi16E10block_q2_KLi1EXadL_ZL17vec_dot_q2_K_q8_1PKvPK10block_q8_1RKiEEEvS4_S4_PT_iii.uses_flat_scratch, 0
	.set _ZL13mul_mat_vec_qIN3c108BFloat16ELi256ELi16E10block_q2_KLi1EXadL_ZL17vec_dot_q2_K_q8_1PKvPK10block_q8_1RKiEEEvS4_S4_PT_iii.has_dyn_sized_stack, 0
	.set _ZL13mul_mat_vec_qIN3c108BFloat16ELi256ELi16E10block_q2_KLi1EXadL_ZL17vec_dot_q2_K_q8_1PKvPK10block_q8_1RKiEEEvS4_S4_PT_iii.has_recursion, 0
	.set _ZL13mul_mat_vec_qIN3c108BFloat16ELi256ELi16E10block_q2_KLi1EXadL_ZL17vec_dot_q2_K_q8_1PKvPK10block_q8_1RKiEEEvS4_S4_PT_iii.has_indirect_call, 0
	.section	.AMDGPU.csdata,"",@progbits
; Kernel info:
; codeLenInByte = 1824
; TotalNumSgprs: 13
; NumVgprs: 62
; ScratchSize: 0
; MemoryBound: 0
; FloatMode: 240
; IeeeMode: 1
; LDSByteSize: 0 bytes/workgroup (compile time only)
; SGPRBlocks: 0
; VGPRBlocks: 7
; NumSGPRsForWavesPerEU: 13
; NumVGPRsForWavesPerEU: 62
; Occupancy: 16
; WaveLimiterHint : 0
; COMPUTE_PGM_RSRC2:SCRATCH_EN: 0
; COMPUTE_PGM_RSRC2:USER_SGPR: 2
; COMPUTE_PGM_RSRC2:TRAP_HANDLER: 0
; COMPUTE_PGM_RSRC2:TGID_X_EN: 1
; COMPUTE_PGM_RSRC2:TGID_Y_EN: 1
; COMPUTE_PGM_RSRC2:TGID_Z_EN: 0
; COMPUTE_PGM_RSRC2:TIDIG_COMP_CNT: 1
	.section	.text._ZL13mul_mat_vec_qIN3c108BFloat16ELi256ELi16E10block_q3_KLi1EXadL_ZL17vec_dot_q3_K_q8_1PKvPK10block_q8_1RKiEEEvS4_S4_PT_iii,"axG",@progbits,_ZL13mul_mat_vec_qIN3c108BFloat16ELi256ELi16E10block_q3_KLi1EXadL_ZL17vec_dot_q3_K_q8_1PKvPK10block_q8_1RKiEEEvS4_S4_PT_iii,comdat
	.globl	_ZL13mul_mat_vec_qIN3c108BFloat16ELi256ELi16E10block_q3_KLi1EXadL_ZL17vec_dot_q3_K_q8_1PKvPK10block_q8_1RKiEEEvS4_S4_PT_iii ; -- Begin function _ZL13mul_mat_vec_qIN3c108BFloat16ELi256ELi16E10block_q3_KLi1EXadL_ZL17vec_dot_q3_K_q8_1PKvPK10block_q8_1RKiEEEvS4_S4_PT_iii
	.p2align	8
	.type	_ZL13mul_mat_vec_qIN3c108BFloat16ELi256ELi16E10block_q3_KLi1EXadL_ZL17vec_dot_q3_K_q8_1PKvPK10block_q8_1RKiEEEvS4_S4_PT_iii,@function
_ZL13mul_mat_vec_qIN3c108BFloat16ELi256ELi16E10block_q3_KLi1EXadL_ZL17vec_dot_q3_K_q8_1PKvPK10block_q8_1RKiEEEvS4_S4_PT_iii: ; @_ZL13mul_mat_vec_qIN3c108BFloat16ELi256ELi16E10block_q3_KLi1EXadL_ZL17vec_dot_q3_K_q8_1PKvPK10block_q8_1RKiEEEvS4_S4_PT_iii
; %bb.0:
	s_clause 0x1
	s_load_u16 s2, s[0:1], 0x36
	s_load_b96 s[4:6], s[0:1], 0x18
	v_bfe_u32 v1, v0, 10, 10
	s_wait_kmcnt 0x0
	s_delay_alu instid0(VALU_DEP_1)
	v_mad_co_u64_u32 v[1:2], null, ttmp9, s2, v[1:2]
	s_cmp_lt_u32 ttmp7, s6
	s_cselect_b32 s2, -1, 0
	v_cmp_gt_u32_e32 vcc_lo, s5, v1
	s_wait_alu 0xfffe
	s_and_b32 s2, s2, vcc_lo
	s_wait_alu 0xfffe
	s_and_saveexec_b32 s3, s2
	s_cbranch_execz .LBB104_7
; %bb.1:
	s_load_b64 s[6:7], s[0:1], 0x10
	s_ashr_i32 s2, s4, 31
	v_bfe_u32 v8, v0, 4, 6
	s_wait_alu 0xfffe
	s_lshr_b32 s2, s2, 24
	v_dual_mov_b32 v3, 0 :: v_dual_and_b32 v0, 0x3ff, v0
	s_wait_alu 0xfffe
	s_add_co_i32 s2, s4, s2
	s_mov_b32 s8, exec_lo
	s_wait_alu 0xfffe
	s_ashr_i32 s9, s2, 8
	s_delay_alu instid0(SALU_CYCLE_1)
	v_cmpx_gt_u32_e64 s9, v8
	s_cbranch_execz .LBB104_5
; %bb.2:
	v_and_b32_e32 v4, 15, v0
	v_lshrrev_b32_e32 v5, 1, v0
	s_load_b128 s[0:3], s[0:1], 0x0
	s_addk_co_i32 s4, 0x1ff
	v_lshlrev_b32_e32 v35, 3, v8
	v_sub_co_u32 v2, vcc_lo, v4, 8
	v_and_b32_e32 v10, 4, v5
	s_wait_alu 0xfffe
	s_ashr_i32 s10, s4, 31
	v_mul_lo_u32 v9, v1, s9
	v_cndmask_b32_e32 v2, v2, v4, vcc_lo
	s_lshr_b32 s10, s10, 23
	s_delay_alu instid0(SALU_CYCLE_1)
	s_add_co_i32 s4, s4, s10
	s_wait_alu 0xfffe
	s_ashr_i32 s4, s4, 9
	v_sub_nc_u32_e32 v3, v4, v2
	v_cmp_lt_u32_e32 vcc_lo, 3, v2
	s_wait_alu 0xfffe
	s_mul_i32 s4, ttmp7, s4
	s_wait_alu 0xfffe
	v_lshl_add_u32 v35, s4, 4, v35
	s_wait_alu 0xfffd
	v_add_co_ci_u32_e64 v20, null, 0, v3, vcc_lo
	v_mov_b32_e32 v3, 0
	v_lshlrev_b32_e32 v11, 2, v4
	s_delay_alu instid0(VALU_DEP_3) | instskip(SKIP_3) | instid1(VALU_DEP_4)
	v_bfe_i32 v6, v20, 0, 8
	v_add_nc_u16 v21, v20, 2
	v_add_nc_u16 v26, v20, 4
	;; [unrolled: 1-line block ×3, first 2 shown]
	v_lshrrev_b16 v4, 7, v6
	s_delay_alu instid0(VALU_DEP_4) | instskip(NEXT) | instid1(VALU_DEP_4)
	v_bfe_i32 v5, v21, 0, 8
	v_bfe_i32 v6, v26, 0, 8
	s_delay_alu instid0(VALU_DEP_4) | instskip(NEXT) | instid1(VALU_DEP_4)
	v_bfe_i32 v27, v28, 0, 8
	v_and_b32_e32 v7, 0xff, v4
	s_delay_alu instid0(VALU_DEP_4) | instskip(NEXT) | instid1(VALU_DEP_2)
	v_lshrrev_b16 v12, 7, v5
	v_lshrrev_b16 v13, 5, v7
	;; [unrolled: 1-line block ×3, first 2 shown]
	s_delay_alu instid0(VALU_DEP_3) | instskip(NEXT) | instid1(VALU_DEP_3)
	v_and_b32_e32 v12, 0xff, v12
	v_add_nc_u16 v13, v20, v13
	s_delay_alu instid0(VALU_DEP_1)
	v_bfe_i32 v15, v13, 0, 8
	v_and_b32_e32 v13, 0xf8, v13
	v_lshlrev_b64_e32 v[4:5], 2, v[2:3]
	v_lshrrev_b16 v2, 7, v6
	s_wait_kmcnt 0x0
	v_mad_co_u64_u32 v[6:7], null, v10, 36, s[2:3]
	v_sub_nc_u16 v13, v20, v13
	s_mov_b32 s2, 0
	v_and_b32_e32 v22, 0xff, v2
	v_add_nc_u16 v2, v20, v14
	v_lshrrev_b16 v14, 5, v12
	v_lshrrev_b16 v12, 6, v12
	s_delay_alu instid0(VALU_DEP_4) | instskip(NEXT) | instid1(VALU_DEP_4)
	v_lshrrev_b16 v24, 5, v22
	v_bfe_i32 v16, v2, 0, 8
	v_and_b32_e32 v2, 0xfc, v2
	s_delay_alu instid0(VALU_DEP_4)
	v_add_nc_u16 v23, v21, v12
	v_add_nc_u16 v14, v21, v14
	;; [unrolled: 1-line block ×3, first 2 shown]
	v_lshrrev_b16 v12, 3, v15
	v_ashrrev_i16 v15, 2, v16
	v_bfe_i32 v19, v23, 0, 8
	v_sub_nc_u16 v16, v20, v2
	v_bfe_i32 v17, v14, 0, 8
	v_and_b32_e32 v14, 0xf8, v14
	v_and_b32_e32 v20, 0xfc, v23
	v_ashrrev_i16 v25, 2, v19
	v_lshrrev_b16 v22, 6, v22
	v_and_b32_e32 v18, 0xff, v12
	v_bfe_i32 v12, v16, 0, 8
	v_lshrrev_b16 v16, 3, v17
	v_bfe_i32 v23, v25, 0, 16
	v_bfe_i32 v25, v24, 0, 8
	v_sub_nc_u16 v17, v21, v14
	v_sub_nc_u16 v21, v21, v20
	v_and_b32_e32 v24, 0xf8, v24
	v_lshlrev_b32_e32 v20, 1, v23
	v_lshrrev_b16 v23, 3, v25
	v_add_nc_u16 v25, v26, v22
	v_lshrrev_b16 v22, 7, v27
	v_sub_nc_u16 v24, v26, v24
	v_bfe_i32 v2, v13, 0, 8
	v_bfe_i32 v15, v15, 0, 16
	;; [unrolled: 1-line block ×3, first 2 shown]
	v_and_b32_e32 v29, 0xff, v22
	v_and_b32_e32 v31, 0xfc, v25
	v_lshlrev_b32_e32 v13, 2, v18
	v_and_b32_e32 v18, 0xff, v16
	v_lshrrev_b16 v27, 2, v27
	v_lshrrev_b16 v30, 5, v29
	;; [unrolled: 1-line block ×3, first 2 shown]
	v_sub_nc_u16 v31, v26, v31
	v_bfe_i32 v16, v17, 0, 8
	v_and_b32_e32 v27, 0xff, v27
	v_add_nc_u16 v30, v28, v30
	v_add_nc_u16 v29, v28, v29
	v_bfe_i32 v21, v21, 0, 8
	v_and_b32_e32 v23, 0xff, v23
	v_lshlrev_b32_e32 v26, 1, v27
	v_bfe_i32 v32, v30, 0, 8
	v_and_b32_e32 v30, 0xf8, v30
	v_bfe_i32 v33, v29, 0, 8
	v_and_b32_e32 v29, 0xfc, v29
	v_bfe_i32 v27, v31, 0, 8
	v_lshrrev_b16 v31, 3, v32
	v_sub_nc_u16 v30, v28, v30
	v_lshrrev_b16 v32, 2, v33
	v_sub_nc_u16 v33, v28, v29
	v_bfe_i32 v24, v24, 0, 8
	v_and_b32_e32 v31, 0xff, v31
	v_bfe_i32 v29, v30, 0, 8
	v_and_b32_e32 v34, 0xff, v32
	v_bfe_i32 v30, v33, 0, 8
	v_ashrrev_i32_e32 v14, 31, v2
	v_lshlrev_b32_e32 v15, 1, v15
	v_ashrrev_i32_e32 v17, 31, v12
	v_lshlrev_b32_e32 v18, 2, v18
	v_ashrrev_i32_e32 v19, 31, v16
	v_ashrrev_i32_e32 v22, 31, v21
	v_lshlrev_b32_e32 v23, 2, v23
	v_ashrrev_i32_e32 v25, 31, v24
	;; [unrolled: 3-line block ×3, first 2 shown]
	v_lshlrev_b32_e32 v33, 1, v34
	v_ashrrev_i32_e32 v34, 31, v30
.LBB104_3:                              ; =>This Inner Loop Header: Depth=1
	v_add_nc_u32_e32 v38, v9, v8
	v_mad_co_i64_i32 v[36:37], null, v35, 36, v[6:7]
	v_add_nc_u32_e32 v8, 2, v8
	v_add_nc_u32_e32 v35, 16, v35
	s_delay_alu instid0(VALU_DEP_4) | instskip(NEXT) | instid1(VALU_DEP_4)
	v_mad_co_i64_i32 v[38:39], null, 0x6e, v38, s[0:1]
	v_add_co_u32 v40, vcc_lo, v36, v4
	s_wait_alu 0xfffd
	v_add_co_ci_u32_e64 v41, null, v37, v5, vcc_lo
	s_delay_alu instid0(VALU_DEP_3) | instskip(SKIP_1) | instid1(VALU_DEP_4)
	v_add_co_u32 v42, vcc_lo, v38, v11
	s_wait_alu 0xfffd
	v_add_co_ci_u32_e64 v43, null, 0, v39, vcc_lo
	v_add_co_u32 v44, vcc_lo, v38, v4
	s_wait_alu 0xfffd
	v_add_co_ci_u32_e64 v45, null, v39, v5, vcc_lo
	s_clause 0x3
	global_load_b32 v60, v[40:41], off offset:4
	global_load_b32 v61, v[40:41], off offset:40
	;; [unrolled: 1-line block ×4, first 2 shown]
	v_add_co_u32 v40, vcc_lo, v38, v2
	s_wait_alu 0xfffd
	v_add_co_ci_u32_e64 v41, null, v39, v14, vcc_lo
	v_add_co_u32 v46, vcc_lo, v38, v12
	s_wait_alu 0xfffd
	v_add_co_ci_u32_e64 v47, null, v39, v17, vcc_lo
	;; [unrolled: 3-line block ×8, first 2 shown]
	s_clause 0xa
	global_load_u16 v38, v[38:39], off offset:108
	global_load_b32 v39, v[44:45], off
	global_load_u8 v40, v[40:41], off offset:96
	global_load_u8 v41, v[46:47], off offset:104
	global_load_b32 v42, v[42:43], off offset:32
	global_load_u8 v43, v[48:49], off offset:96
	global_load_u8 v44, v[50:51], off offset:104
	global_load_u8 v45, v[52:53], off offset:96
	global_load_u8 v46, v[54:55], off offset:104
	global_load_u8 v47, v[56:57], off offset:96
	global_load_u8 v48, v[58:59], off offset:104
	s_clause 0x3
	global_load_b32 v49, v[36:37], off
	global_load_b32 v50, v[36:37], off offset:36
	global_load_b32 v51, v[36:37], off offset:72
	;; [unrolled: 1-line block ×3, first 2 shown]
	v_cmp_le_u32_e32 vcc_lo, s9, v8
	s_wait_alu 0xfffe
	s_or_b32 s2, vcc_lo, s2
	s_wait_loadcnt 0x12
	v_lshrrev_b16 v37, 8, v60
	s_wait_loadcnt 0x11
	v_lshlrev_b32_e32 v57, 8, v61
	v_ashrrev_i32_e32 v52, 24, v60
	v_bfe_i32 v53, v60, 16, 8
	v_bfe_i32 v54, v60, 0, 8
	;; [unrolled: 1-line block ×4, first 2 shown]
	s_wait_loadcnt 0x10
	v_lshlrev_b32_e32 v59, 16, v62
	v_lshlrev_b32_e32 v60, 8, v62
	v_perm_b32 v57, v61, v57, 0xc0c0703
	s_wait_loadcnt 0xf
	v_lshlrev_b32_e32 v65, 16, v63
	v_lshlrev_b32_e32 v66, 8, v63
	v_bfe_i32 v37, v37, 0, 8
	v_perm_b32 v59, v60, v59, 0xc0c0703
	v_bfe_i32 v58, v62, 0, 8
	v_ashrrev_i32_e32 v62, 24, v62
	v_perm_b32 v65, v66, v65, 0xc0c0703
	v_bfe_i32 v64, v63, 0, 8
	v_ashrrev_i32_e32 v63, 24, v63
	s_wait_loadcnt 0xd
	v_ashrrev_i32_e32 v39, v10, v39
	s_wait_loadcnt 0xc
	v_bfe_u32 v40, v40, v13, 4
	s_wait_loadcnt 0xb
	v_lshrrev_b32_e32 v41, v15, v41
	s_wait_loadcnt 0xa
	v_lshrrev_b32_e32 v69, 2, v42
	v_lshrrev_b32_e32 v61, 4, v42
	v_not_b32_e32 v39, v39
	s_wait_loadcnt 0x8
	v_lshrrev_b32_e32 v44, v20, v44
	v_lshlrev_b32_e32 v41, 4, v41
	s_wait_loadcnt 0x6
	v_lshrrev_b32_e32 v46, v26, v46
	v_and_b32_e32 v67, 0x3030303, v42
	v_lshlrev_b32_e32 v74, 1, v39
	v_bfe_u32 v68, v42, 24, 2
	v_and_or_b32 v40, v41, 48, v40
	v_lshlrev_b32_e32 v41, 2, v39
	v_bfe_u32 v43, v43, v18, 4
	v_bfe_u32 v45, v45, v23, 4
	s_wait_loadcnt 0x4
	v_lshrrev_b32_e32 v48, v33, v48
	v_lshrrev_b32_e32 v60, 6, v42
	v_and_b32_e32 v41, 0x4040404, v41
	v_lshlrev_b32_e32 v44, 4, v44
	v_and_b32_e32 v71, 0x3030303, v69
	v_lshlrev_b32_e32 v46, 4, v46
	v_bfe_u32 v72, v61, 24, 2
	v_and_b32_e32 v61, 0x3030303, v61
	v_and_b32_e32 v76, 0x4040404, v39
	v_lshrrev_b32_e32 v39, 1, v39
	v_and_b32_e32 v74, 0x4040404, v74
	v_lshrrev_b32_e32 v81, 24, v41
	v_bfe_u32 v47, v47, v31, 4
	v_lshrrev_b16 v66, 8, v67
	v_lshrrev_b32_e32 v70, 16, v67
	v_bfe_u32 v69, v69, 24, 2
	v_lshlrev_b32_e32 v48, 4, v48
	v_and_b32_e32 v60, 0x3030303, v60
	v_and_or_b32 v43, v44, 48, v43
	v_lshrrev_b16 v44, 8, v71
	v_lshrrev_b32_e32 v73, 16, v71
	v_and_or_b32 v45, v46, 48, v45
	v_lshrrev_b32_e32 v46, 16, v61
	v_lshrrev_b16 v75, 8, v61
	v_lshrrev_b32_e32 v78, 24, v76
	v_lshrrev_b32_e32 v79, 16, v76
	v_lshrrev_b16 v80, 8, v76
	v_sub_nc_u16 v61, v61, v76
	v_and_b32_e32 v39, 0x4040404, v39
	v_lshrrev_b16 v76, 8, v41
	v_lshrrev_b32_e32 v82, 16, v41
	v_sub_nc_u16 v41, v67, v41
	v_lshrrev_b16 v67, 8, v74
	v_lshrrev_b32_e32 v83, 16, v74
	v_lshrrev_b32_e32 v84, 24, v74
	v_sub_nc_u16 v68, v68, v81
	v_lshrrev_b32_e32 v42, 30, v42
	v_and_or_b32 v47, v48, 48, v47
	v_lshrrev_b32_e32 v48, 16, v60
	v_lshrrev_b16 v77, 8, v60
	v_sub_nc_u16 v71, v71, v74
	v_sub_nc_u16 v74, v75, v80
	;; [unrolled: 1-line block ×4, first 2 shown]
	v_lshrrev_b32_e32 v75, 24, v39
	v_lshrrev_b32_e32 v78, 16, v39
	v_lshrrev_b16 v79, 8, v39
	v_sub_nc_u16 v39, v60, v39
	v_sub_nc_u16 v60, v70, v82
	;; [unrolled: 1-line block ×3, first 2 shown]
	v_bfe_i32 v41, v41, 0, 8
	v_sub_nc_u16 v69, v69, v84
	v_sub_nc_u16 v70, v73, v83
	;; [unrolled: 1-line block ×3, first 2 shown]
	v_bfe_i32 v68, v68, 0, 16
	v_bfe_i32 v67, v71, 0, 8
	v_lshlrev_b16 v72, 8, v72
	v_sub_nc_u16 v42, v42, v75
	v_bfe_i32 v66, v66, 0, 16
	v_bfe_i32 v60, v60, 0, 8
	v_mul_i32_i24_e32 v41, v41, v54
	v_lshlrev_b16 v54, 8, v69
	v_and_b32_e32 v69, 0xff, v70
	v_lshlrev_b16 v44, 8, v44
	v_mul_i32_i24_e32 v52, v68, v52
	v_mul_i32_i24_e32 v55, v55, v67
	v_bfe_i32 v67, v72, 8, 8
	v_lshlrev_b16 v42, 8, v42
	v_mul_i32_i24_e32 v53, v60, v53
	v_bfe_i32 v44, v44, 8, 8
	v_or_b32_e32 v54, v69, v54
	v_mad_i32_i24 v37, v66, v37, v52
	v_subrev_nc_u32_e32 v40, 32, v40
	v_bfe_i32 v61, v61, 0, 8
	v_lshlrev_b16 v71, 8, v74
	v_sub_nc_u16 v73, v77, v79
	v_mul_i32_i24_e32 v52, v62, v67
	v_bfe_i32 v42, v42, 8, 8
	v_mad_i32_i24 v44, v56, v44, v55
	v_perm_b32 v54, v54, v70, 0xc0c0500
	v_add3_u32 v37, v41, v53, v37
	v_subrev_nc_u32_e32 v43, 32, v43
	v_sub_nc_u16 v48, v48, v78
	v_bfe_i32 v39, v39, 0, 8
	v_perm_b32 v46, v46, v71, 0xc0c0401
	v_lshlrev_b16 v41, 8, v73
	v_mad_i32_i24 v52, v58, v61, v52
	v_mul_i32_i24_e32 v42, v63, v42
	v_dot4_i32_iu8 v44, v57, v54, v44 neg_lo:[1,1,0]
	v_mul_lo_u32 v37, v40, v37
	v_subrev_nc_u32_e32 v45, 32, v45
	v_perm_b32 v40, v48, v41, 0xc0c0401
	v_dot4_i32_iu8 v41, v59, v46, v52 neg_lo:[1,1,0]
	v_mad_i32_i24 v39, v64, v39, v42
	v_mul_lo_u32 v42, v43, v44
	v_subrev_nc_u32_e32 v43, 32, v47
	v_cvt_f32_i32_e32 v37, v37
	v_mul_lo_u32 v41, v45, v41
	v_dot4_i32_iu8 v39, v65, v40, v39 neg_lo:[1,1,0]
	v_cvt_f32_i32_e32 v40, v42
	s_wait_loadcnt 0x3
	v_fma_mix_f32 v37, v49, v37, 0 op_sel_hi:[1,0,0]
	s_delay_alu instid0(VALU_DEP_3) | instskip(SKIP_2) | instid1(VALU_DEP_3)
	v_mul_lo_u32 v39, v43, v39
	v_cvt_f32_i32_e32 v41, v41
	s_wait_loadcnt 0x2
	v_fma_mix_f32 v37, v50, v40, v37 op_sel_hi:[1,0,0]
	s_delay_alu instid0(VALU_DEP_3) | instskip(SKIP_1) | instid1(VALU_DEP_2)
	v_cvt_f32_i32_e32 v39, v39
	s_wait_loadcnt 0x1
	v_fma_mix_f32 v37, v51, v41, v37 op_sel_hi:[1,0,0]
	s_wait_loadcnt 0x0
	s_delay_alu instid0(VALU_DEP_1) | instskip(NEXT) | instid1(VALU_DEP_1)
	v_fma_mix_f32 v36, v36, v39, v37 op_sel_hi:[1,0,0]
	v_fma_mix_f32 v3, v36, v38, v3 op_sel_hi:[0,1,0]
	s_wait_alu 0xfffe
	s_and_not1_b32 exec_lo, exec_lo, s2
	s_cbranch_execnz .LBB104_3
; %bb.4:
	s_or_b32 exec_lo, exec_lo, s2
.LBB104_5:
	s_delay_alu instid0(SALU_CYCLE_1) | instskip(SKIP_1) | instid1(VALU_DEP_1)
	s_or_b32 exec_lo, exec_lo, s8
	v_mbcnt_lo_u32_b32 v2, -1, 0
	v_xor_b32_e32 v4, 16, v2
	v_xor_b32_e32 v5, 8, v2
	s_delay_alu instid0(VALU_DEP_2) | instskip(SKIP_2) | instid1(VALU_DEP_3)
	v_cmp_gt_i32_e32 vcc_lo, 32, v4
	s_wait_alu 0xfffd
	v_cndmask_b32_e32 v4, v2, v4, vcc_lo
	v_cmp_gt_i32_e32 vcc_lo, 32, v5
	s_wait_alu 0xfffd
	v_cndmask_b32_e32 v5, v2, v5, vcc_lo
	s_delay_alu instid0(VALU_DEP_1)
	v_lshlrev_b32_e32 v5, 2, v5
	v_lshlrev_b32_e32 v4, 2, v4
	ds_bpermute_b32 v4, v4, v3
	s_wait_dscnt 0x0
	v_add_f32_e32 v3, v3, v4
	ds_bpermute_b32 v4, v5, v3
	v_xor_b32_e32 v5, 4, v2
	s_delay_alu instid0(VALU_DEP_1) | instskip(SKIP_2) | instid1(VALU_DEP_1)
	v_cmp_gt_i32_e32 vcc_lo, 32, v5
	s_wait_alu 0xfffd
	v_cndmask_b32_e32 v5, v2, v5, vcc_lo
	v_lshlrev_b32_e32 v5, 2, v5
	s_wait_dscnt 0x0
	v_add_f32_e32 v3, v3, v4
	ds_bpermute_b32 v4, v5, v3
	v_xor_b32_e32 v5, 2, v2
	s_delay_alu instid0(VALU_DEP_1) | instskip(SKIP_2) | instid1(VALU_DEP_1)
	v_cmp_gt_i32_e32 vcc_lo, 32, v5
	s_wait_alu 0xfffd
	v_cndmask_b32_e32 v5, v2, v5, vcc_lo
	v_lshlrev_b32_e32 v5, 2, v5
	s_wait_dscnt 0x0
	v_add_f32_e32 v3, v3, v4
	ds_bpermute_b32 v4, v5, v3
	v_xor_b32_e32 v5, 1, v2
	s_delay_alu instid0(VALU_DEP_1) | instskip(SKIP_4) | instid1(VALU_DEP_2)
	v_cmp_gt_i32_e32 vcc_lo, 32, v5
	s_wait_alu 0xfffd
	v_cndmask_b32_e32 v5, v2, v5, vcc_lo
	v_cmp_eq_u32_e32 vcc_lo, 0, v0
	s_wait_dscnt 0x0
	v_dual_add_f32 v2, v3, v4 :: v_dual_lshlrev_b32 v3, 2, v5
	ds_bpermute_b32 v3, v3, v2
	s_and_b32 exec_lo, exec_lo, vcc_lo
	s_cbranch_execz .LBB104_7
; %bb.6:
	s_wait_dscnt 0x0
	v_add_f32_e32 v2, v2, v3
	s_delay_alu instid0(VALU_DEP_1) | instskip(SKIP_3) | instid1(VALU_DEP_2)
	v_mad_co_u64_u32 v[0:1], null, s5, ttmp7, v[1:2]
	v_mov_b32_e32 v1, 0
	v_bfe_u32 v3, v2, 16, 1
	v_cmp_o_f32_e32 vcc_lo, v2, v2
	v_add3_u32 v3, v2, v3, 0x7fff
	s_delay_alu instid0(VALU_DEP_4) | instskip(NEXT) | instid1(VALU_DEP_2)
	v_lshlrev_b64_e32 v[0:1], 1, v[0:1]
	v_lshrrev_b32_e32 v3, 16, v3
	s_wait_alu 0xfffd
	s_delay_alu instid0(VALU_DEP_1) | instskip(SKIP_1) | instid1(VALU_DEP_3)
	v_cndmask_b32_e32 v2, 0x7fc0, v3, vcc_lo
	s_wait_kmcnt 0x0
	v_add_co_u32 v0, vcc_lo, s6, v0
	s_wait_alu 0xfffd
	v_add_co_ci_u32_e64 v1, null, s7, v1, vcc_lo
	global_store_b16 v[0:1], v2, off
.LBB104_7:
	s_endpgm
	.section	.rodata,"a",@progbits
	.p2align	6, 0x0
	.amdhsa_kernel _ZL13mul_mat_vec_qIN3c108BFloat16ELi256ELi16E10block_q3_KLi1EXadL_ZL17vec_dot_q3_K_q8_1PKvPK10block_q8_1RKiEEEvS4_S4_PT_iii
		.amdhsa_group_segment_fixed_size 0
		.amdhsa_private_segment_fixed_size 0
		.amdhsa_kernarg_size 296
		.amdhsa_user_sgpr_count 2
		.amdhsa_user_sgpr_dispatch_ptr 0
		.amdhsa_user_sgpr_queue_ptr 0
		.amdhsa_user_sgpr_kernarg_segment_ptr 1
		.amdhsa_user_sgpr_dispatch_id 0
		.amdhsa_user_sgpr_private_segment_size 0
		.amdhsa_wavefront_size32 1
		.amdhsa_uses_dynamic_stack 0
		.amdhsa_enable_private_segment 0
		.amdhsa_system_sgpr_workgroup_id_x 1
		.amdhsa_system_sgpr_workgroup_id_y 1
		.amdhsa_system_sgpr_workgroup_id_z 0
		.amdhsa_system_sgpr_workgroup_info 0
		.amdhsa_system_vgpr_workitem_id 1
		.amdhsa_next_free_vgpr 85
		.amdhsa_next_free_sgpr 11
		.amdhsa_reserve_vcc 1
		.amdhsa_float_round_mode_32 0
		.amdhsa_float_round_mode_16_64 0
		.amdhsa_float_denorm_mode_32 3
		.amdhsa_float_denorm_mode_16_64 3
		.amdhsa_fp16_overflow 0
		.amdhsa_workgroup_processor_mode 1
		.amdhsa_memory_ordered 1
		.amdhsa_forward_progress 1
		.amdhsa_inst_pref_size 23
		.amdhsa_round_robin_scheduling 0
		.amdhsa_exception_fp_ieee_invalid_op 0
		.amdhsa_exception_fp_denorm_src 0
		.amdhsa_exception_fp_ieee_div_zero 0
		.amdhsa_exception_fp_ieee_overflow 0
		.amdhsa_exception_fp_ieee_underflow 0
		.amdhsa_exception_fp_ieee_inexact 0
		.amdhsa_exception_int_div_zero 0
	.end_amdhsa_kernel
	.section	.text._ZL13mul_mat_vec_qIN3c108BFloat16ELi256ELi16E10block_q3_KLi1EXadL_ZL17vec_dot_q3_K_q8_1PKvPK10block_q8_1RKiEEEvS4_S4_PT_iii,"axG",@progbits,_ZL13mul_mat_vec_qIN3c108BFloat16ELi256ELi16E10block_q3_KLi1EXadL_ZL17vec_dot_q3_K_q8_1PKvPK10block_q8_1RKiEEEvS4_S4_PT_iii,comdat
.Lfunc_end104:
	.size	_ZL13mul_mat_vec_qIN3c108BFloat16ELi256ELi16E10block_q3_KLi1EXadL_ZL17vec_dot_q3_K_q8_1PKvPK10block_q8_1RKiEEEvS4_S4_PT_iii, .Lfunc_end104-_ZL13mul_mat_vec_qIN3c108BFloat16ELi256ELi16E10block_q3_KLi1EXadL_ZL17vec_dot_q3_K_q8_1PKvPK10block_q8_1RKiEEEvS4_S4_PT_iii
                                        ; -- End function
	.set _ZL13mul_mat_vec_qIN3c108BFloat16ELi256ELi16E10block_q3_KLi1EXadL_ZL17vec_dot_q3_K_q8_1PKvPK10block_q8_1RKiEEEvS4_S4_PT_iii.num_vgpr, 85
	.set _ZL13mul_mat_vec_qIN3c108BFloat16ELi256ELi16E10block_q3_KLi1EXadL_ZL17vec_dot_q3_K_q8_1PKvPK10block_q8_1RKiEEEvS4_S4_PT_iii.num_agpr, 0
	.set _ZL13mul_mat_vec_qIN3c108BFloat16ELi256ELi16E10block_q3_KLi1EXadL_ZL17vec_dot_q3_K_q8_1PKvPK10block_q8_1RKiEEEvS4_S4_PT_iii.numbered_sgpr, 11
	.set _ZL13mul_mat_vec_qIN3c108BFloat16ELi256ELi16E10block_q3_KLi1EXadL_ZL17vec_dot_q3_K_q8_1PKvPK10block_q8_1RKiEEEvS4_S4_PT_iii.num_named_barrier, 0
	.set _ZL13mul_mat_vec_qIN3c108BFloat16ELi256ELi16E10block_q3_KLi1EXadL_ZL17vec_dot_q3_K_q8_1PKvPK10block_q8_1RKiEEEvS4_S4_PT_iii.private_seg_size, 0
	.set _ZL13mul_mat_vec_qIN3c108BFloat16ELi256ELi16E10block_q3_KLi1EXadL_ZL17vec_dot_q3_K_q8_1PKvPK10block_q8_1RKiEEEvS4_S4_PT_iii.uses_vcc, 1
	.set _ZL13mul_mat_vec_qIN3c108BFloat16ELi256ELi16E10block_q3_KLi1EXadL_ZL17vec_dot_q3_K_q8_1PKvPK10block_q8_1RKiEEEvS4_S4_PT_iii.uses_flat_scratch, 0
	.set _ZL13mul_mat_vec_qIN3c108BFloat16ELi256ELi16E10block_q3_KLi1EXadL_ZL17vec_dot_q3_K_q8_1PKvPK10block_q8_1RKiEEEvS4_S4_PT_iii.has_dyn_sized_stack, 0
	.set _ZL13mul_mat_vec_qIN3c108BFloat16ELi256ELi16E10block_q3_KLi1EXadL_ZL17vec_dot_q3_K_q8_1PKvPK10block_q8_1RKiEEEvS4_S4_PT_iii.has_recursion, 0
	.set _ZL13mul_mat_vec_qIN3c108BFloat16ELi256ELi16E10block_q3_KLi1EXadL_ZL17vec_dot_q3_K_q8_1PKvPK10block_q8_1RKiEEEvS4_S4_PT_iii.has_indirect_call, 0
	.section	.AMDGPU.csdata,"",@progbits
; Kernel info:
; codeLenInByte = 2920
; TotalNumSgprs: 13
; NumVgprs: 85
; ScratchSize: 0
; MemoryBound: 0
; FloatMode: 240
; IeeeMode: 1
; LDSByteSize: 0 bytes/workgroup (compile time only)
; SGPRBlocks: 0
; VGPRBlocks: 10
; NumSGPRsForWavesPerEU: 13
; NumVGPRsForWavesPerEU: 85
; Occupancy: 16
; WaveLimiterHint : 0
; COMPUTE_PGM_RSRC2:SCRATCH_EN: 0
; COMPUTE_PGM_RSRC2:USER_SGPR: 2
; COMPUTE_PGM_RSRC2:TRAP_HANDLER: 0
; COMPUTE_PGM_RSRC2:TGID_X_EN: 1
; COMPUTE_PGM_RSRC2:TGID_Y_EN: 1
; COMPUTE_PGM_RSRC2:TGID_Z_EN: 0
; COMPUTE_PGM_RSRC2:TIDIG_COMP_CNT: 1
	.section	.text._ZL13mul_mat_vec_qIN3c108BFloat16ELi256ELi32E10block_q4_KLi2EXadL_ZL17vec_dot_q4_K_q8_1PKvPK10block_q8_1RKiEEEvS4_S4_PT_iii,"axG",@progbits,_ZL13mul_mat_vec_qIN3c108BFloat16ELi256ELi32E10block_q4_KLi2EXadL_ZL17vec_dot_q4_K_q8_1PKvPK10block_q8_1RKiEEEvS4_S4_PT_iii,comdat
	.globl	_ZL13mul_mat_vec_qIN3c108BFloat16ELi256ELi32E10block_q4_KLi2EXadL_ZL17vec_dot_q4_K_q8_1PKvPK10block_q8_1RKiEEEvS4_S4_PT_iii ; -- Begin function _ZL13mul_mat_vec_qIN3c108BFloat16ELi256ELi32E10block_q4_KLi2EXadL_ZL17vec_dot_q4_K_q8_1PKvPK10block_q8_1RKiEEEvS4_S4_PT_iii
	.p2align	8
	.type	_ZL13mul_mat_vec_qIN3c108BFloat16ELi256ELi32E10block_q4_KLi2EXadL_ZL17vec_dot_q4_K_q8_1PKvPK10block_q8_1RKiEEEvS4_S4_PT_iii,@function
_ZL13mul_mat_vec_qIN3c108BFloat16ELi256ELi32E10block_q4_KLi2EXadL_ZL17vec_dot_q4_K_q8_1PKvPK10block_q8_1RKiEEEvS4_S4_PT_iii: ; @_ZL13mul_mat_vec_qIN3c108BFloat16ELi256ELi32E10block_q4_KLi2EXadL_ZL17vec_dot_q4_K_q8_1PKvPK10block_q8_1RKiEEEvS4_S4_PT_iii
; %bb.0:
	s_clause 0x1
	s_load_u16 s2, s[0:1], 0x36
	s_load_b96 s[8:10], s[0:1], 0x18
	v_bfe_u32 v1, v0, 10, 10
	s_wait_kmcnt 0x0
	s_delay_alu instid0(VALU_DEP_1)
	v_mad_co_u64_u32 v[1:2], null, ttmp9, s2, v[1:2]
	s_cmp_lt_u32 ttmp7, s10
	s_cselect_b32 s2, -1, 0
	v_cmp_gt_u32_e32 vcc_lo, s9, v1
	s_wait_alu 0xfffe
	s_and_b32 s2, s2, vcc_lo
	s_wait_alu 0xfffe
	s_and_saveexec_b32 s3, s2
	s_cbranch_execz .LBB105_11
; %bb.1:
	s_load_b64 s[2:3], s[0:1], 0x10
	s_ashr_i32 s4, s8, 31
	v_bfe_u32 v8, v0, 4, 6
	s_lshr_b32 s4, s4, 24
	v_dual_mov_b32 v9, 0 :: v_dual_and_b32 v0, 0x3ff, v0
	s_add_co_i32 s4, s8, s4
	s_mov_b32 s10, exec_lo
	s_ashr_i32 s11, s4, 8
	s_delay_alu instid0(SALU_CYCLE_1)
	v_cmpx_gt_u32_e64 s11, v8
	s_cbranch_execz .LBB105_9
; %bb.2:
	s_load_b128 s[4:7], s[0:1], 0x0
	v_dual_mov_b32 v9, 0 :: v_dual_lshlrev_b32 v2, 1, v0
	s_addk_co_i32 s8, 0x1ff
	v_and_b32_e32 v5, 3, v0
	s_wait_alu 0xfffe
	s_ashr_i32 s0, s8, 31
	v_bfe_u32 v4, v2, 3, 2
	s_wait_alu 0xfffe
	s_lshr_b32 s0, s0, 23
	v_and_b32_e32 v2, 30, v2
	s_wait_alu 0xfffe
	s_add_co_i32 s8, s8, s0
	v_lshlrev_b32_e32 v6, 3, v8
	v_lshlrev_b32_e32 v3, 1, v4
	s_wait_alu 0xfffe
	s_ashr_i32 s0, s8, 9
	v_mul_lo_u32 v10, v1, s11
	v_cmp_lt_u32_e32 vcc_lo, 15, v2
	s_wait_alu 0xfffe
	s_mul_i32 s0, ttmp7, s0
	v_lshlrev_b32_e32 v11, 5, v4
	v_lshlrev_b32_e32 v12, 2, v5
	s_wait_alu 0xfffe
	v_lshl_add_u32 v13, s0, 4, v6
	v_lshlrev_b32_e32 v14, 1, v4
	s_wait_kmcnt 0x0
	v_mad_co_u64_u32 v[2:3], null, v3, 36, s[6:7]
	v_lshlrev_b32_e32 v15, 2, v5
	s_mov_b32 s1, 0
	s_branch .LBB105_4
.LBB105_3:                              ;   in Loop: Header=BB105_4 Depth=1
	s_wait_alu 0xfffe
	s_or_b32 exec_lo, exec_lo, s0
	v_mad_co_i64_i32 v[6:7], null, v13, 36, v[2:3]
	s_wait_loadcnt 0x1
	v_and_b32_e32 v25, 0xf0f0f0f, v17
	s_wait_loadcnt 0x0
	v_and_b32_e32 v27, 0xf0f0f0f, v16
	v_lshrrev_b32_e32 v34, 4, v16
	v_bfe_u32 v28, v16, 24, 4
	v_bfe_u32 v36, v17, 4, 4
	v_lshrrev_b16 v25, 8, v25
	v_add_co_u32 v20, s0, v6, v15
	s_wait_alu 0xf1ff
	v_add_co_ci_u32_e64 v21, null, 0, v7, s0
	v_lshrrev_b16 v34, 8, v34
	v_lshrrev_b16 v27, 8, v27
	v_and_b32_e32 v25, 0xffff, v25
	s_clause 0x3
	global_load_b32 v22, v[20:21], off offset:4
	global_load_b32 v23, v[20:21], off offset:20
	;; [unrolled: 1-line block ×4, first 2 shown]
	global_load_b32 v4, v[4:5], off
	s_clause 0x1
	global_load_b32 v5, v[6:7], off
	global_load_b32 v6, v[6:7], off offset:36
	v_bfe_u32 v26, v17, 24, 4
	v_and_b32_e32 v31, 15, v16
	v_bfe_u32 v32, v16, 16, 4
	v_lshrrev_b32_e32 v35, 28, v16
	v_bfe_u32 v38, v16, 4, 4
	v_bfe_u32 v16, v16, 20, 4
	v_and_b32_e32 v34, 15, v34
	v_and_b32_e32 v27, 0xffff, v27
	v_lshrrev_b16 v7, 8, v19
	v_and_b32_e32 v29, 15, v17
	v_bfe_u32 v30, v17, 16, 4
	v_and_b32_e32 v19, 0xff, v19
	v_bfe_u32 v37, v17, 12, 4
	v_and_b32_e32 v34, 0xffff, v34
	v_lshrrev_b16 v21, 8, v18
	v_and_b32_e32 v18, 0xff, v18
	v_bfe_u32 v33, v17, 20, 4
	v_lshrrev_b32_e32 v17, 28, v17
	v_and_b32_e32 v19, 0xffff, v19
	v_and_b32_e32 v7, 0xffff, v7
	;; [unrolled: 1-line block ×4, first 2 shown]
	v_add_nc_u32_e32 v8, 2, v8
	v_add_nc_u32_e32 v13, 16, v13
	s_delay_alu instid0(VALU_DEP_2)
	v_cmp_le_u32_e64 s0, s11, v8
	s_or_b32 s1, s0, s1
	s_wait_loadcnt 0x6
	v_lshrrev_b16 v39, 8, v22
	v_bfe_i32 v43, v22, 0, 8
	s_wait_loadcnt 0x5
	v_lshrrev_b16 v40, 8, v23
	v_ashrrev_i32_e32 v42, 24, v22
	v_bfe_i32 v22, v22, 16, 8
	v_bfe_i32 v39, v39, 0, 8
	v_ashrrev_i32_e32 v44, 24, v23
	s_wait_loadcnt 0x3
	v_bfe_i32 v46, v20, 0, 8
	v_bfe_i32 v47, v20, 8, 8
	;; [unrolled: 1-line block ×3, first 2 shown]
	v_ashrrev_i32_e32 v20, 24, v20
	v_add_nc_u32_e32 v51, v39, v43
	v_lshrrev_b16 v41, 8, v24
	v_bfe_i32 v45, v23, 16, 8
	v_bfe_i32 v23, v23, 0, 8
	;; [unrolled: 1-line block ×3, first 2 shown]
	v_ashrrev_i32_e32 v50, 24, v24
	v_bfe_i32 v24, v24, 16, 8
	v_bfe_i32 v40, v40, 0, 8
	v_mul_i32_i24_e32 v28, v44, v28
	v_mul_i32_i24_e32 v36, v46, v36
	v_add_nc_u32_e32 v46, v46, v20
	v_mul_i32_i24_e32 v25, v39, v25
	v_add3_u32 v39, v51, v22, v42
	v_mul_i32_i24_e32 v31, v23, v31
	v_mul_i32_i24_e32 v32, v45, v32
	v_bfe_i32 v41, v41, 0, 8
	v_mul_i32_i24_e32 v16, v24, v16
	v_mul_i32_i24_e32 v35, v50, v35
	;; [unrolled: 1-line block ×3, first 2 shown]
	v_mad_i32_i24 v26, v42, v26, v28
	v_add3_u32 v28, v46, v47, v48
	v_add3_u32 v23, v39, v40, v23
	v_mul_i32_i24_e32 v37, v47, v37
	v_mad_i32_i24 v22, v22, v30, v32
	v_mad_i32_i24 v29, v43, v29, v31
	;; [unrolled: 1-line block ×4, first 2 shown]
	v_add3_u32 v25, v25, v27, v26
	v_add3_u32 v26, v28, v41, v49
	;; [unrolled: 1-line block ×3, first 2 shown]
	v_mul_i32_i24_e32 v33, v48, v33
	v_mad_i32_i24 v17, v20, v17, v37
	v_add3_u32 v16, v16, v30, v36
	v_add3_u32 v20, v29, v22, v25
	;; [unrolled: 1-line block ×3, first 2 shown]
	v_mul_lo_u32 v19, v23, v19
	s_delay_alu instid0(VALU_DEP_4) | instskip(NEXT) | instid1(VALU_DEP_4)
	v_add3_u32 v16, v16, v17, v33
	v_mul_lo_u32 v17, v20, v18
	s_delay_alu instid0(VALU_DEP_4) | instskip(NEXT) | instid1(VALU_DEP_3)
	v_mul_lo_u32 v7, v22, v7
	v_mul_lo_u32 v16, v16, v21
	v_cvt_f32_i32_e32 v18, v19
	s_wait_loadcnt 0x2
	v_lshrrev_b32_e32 v19, 16, v4
	v_cvt_f32_i32_e32 v17, v17
	v_cvt_f32_i32_e32 v7, v7
	s_wait_loadcnt 0x1
	v_fma_mix_f32 v18, v5, v18, 0 op_sel_hi:[1,0,0]
	v_cvt_f32_f16_e32 v19, v19
	v_cvt_f32_i32_e32 v16, v16
	v_fma_mix_f32 v5, v5, v17, 0 op_sel_hi:[1,0,0]
	s_wait_loadcnt 0x0
	v_fma_mix_f32 v7, v6, v7, v18 op_sel_hi:[1,0,0]
	s_delay_alu instid0(VALU_DEP_2) | instskip(NEXT) | instid1(VALU_DEP_2)
	v_fma_mix_f32 v5, v6, v16, v5 op_sel_hi:[1,0,0]
	v_mul_f32_e32 v6, v7, v19
	s_delay_alu instid0(VALU_DEP_1) | instskip(NEXT) | instid1(VALU_DEP_1)
	v_fma_mix_f32 v4, v5, v4, -v6 op_sel_hi:[0,1,0]
	v_add_f32_e32 v9, v9, v4
	s_wait_alu 0xfffe
	s_and_not1_b32 exec_lo, exec_lo, s1
	s_cbranch_execz .LBB105_8
.LBB105_4:                              ; =>This Inner Loop Header: Depth=1
	v_add_nc_u32_e32 v4, v10, v8
                                        ; implicit-def: $vgpr18
                                        ; implicit-def: $vgpr19
	s_delay_alu instid0(VALU_DEP_1) | instskip(NEXT) | instid1(VALU_DEP_1)
	v_mad_co_i64_i32 v[4:5], null, 0x90, v4, s[4:5]
	v_add_co_u32 v6, s0, v4, v11
	s_wait_alu 0xf1ff
	s_delay_alu instid0(VALU_DEP_2) | instskip(NEXT) | instid1(VALU_DEP_2)
	v_add_co_ci_u32_e64 v7, null, 0, v5, s0
	v_add_co_u32 v6, s0, v6, v12
	s_wait_alu 0xf1ff
	s_delay_alu instid0(VALU_DEP_2)
	v_add_co_ci_u32_e64 v7, null, 0, v7, s0
	s_clause 0x1
	global_load_b32 v17, v[6:7], off offset:16
	global_load_b32 v16, v[6:7], off offset:32
	v_add_co_u32 v6, s0, v4, v14
	s_wait_alu 0xf1ff
	v_add_co_ci_u32_e64 v7, null, 0, v5, s0
	s_and_saveexec_b32 s0, vcc_lo
	s_wait_alu 0xfffe
	s_xor_b32 s0, exec_lo, s0
	s_cbranch_execz .LBB105_6
; %bb.5:                                ;   in Loop: Header=BB105_4 Depth=1
	s_clause 0x2
	global_load_u16 v18, v[6:7], off
	global_load_u16 v19, v[6:7], off offset:8
	global_load_u16 v6, v[6:7], off offset:4
	s_wait_loadcnt 0x2
	v_lshrrev_b16 v7, 2, v18
	s_wait_loadcnt 0x1
	v_lshrrev_b16 v18, 4, v19
	;; [unrolled: 2-line block ×3, first 2 shown]
	v_and_b32_e32 v19, 0xf0f, v19
	v_and_b32_e32 v7, 0x3030, v7
	;; [unrolled: 1-line block ×3, first 2 shown]
	s_delay_alu instid0(VALU_DEP_4) | instskip(NEXT) | instid1(VALU_DEP_3)
	v_and_b32_e32 v6, 0x3030, v6
	v_or_b32_e32 v18, v7, v19
	s_delay_alu instid0(VALU_DEP_2)
	v_or_b32_e32 v19, v6, v20
                                        ; implicit-def: $vgpr6_vgpr7
.LBB105_6:                              ;   in Loop: Header=BB105_4 Depth=1
	s_wait_alu 0xfffe
	s_and_not1_saveexec_b32 s0, s0
	s_cbranch_execz .LBB105_3
; %bb.7:                                ;   in Loop: Header=BB105_4 Depth=1
	s_clause 0x1
	global_load_u16 v18, v[6:7], off offset:4
	global_load_u16 v6, v[6:7], off offset:8
	s_wait_loadcnt 0x1
	v_and_b32_e32 v18, 0x3f3f, v18
	s_wait_loadcnt 0x0
	v_and_b32_e32 v19, 0x3f3f, v6
	s_branch .LBB105_3
.LBB105_8:
	s_or_b32 exec_lo, exec_lo, s1
.LBB105_9:
	s_delay_alu instid0(SALU_CYCLE_1) | instskip(SKIP_1) | instid1(VALU_DEP_1)
	s_or_b32 exec_lo, exec_lo, s10
	v_mbcnt_lo_u32_b32 v2, -1, 0
	v_xor_b32_e32 v3, 16, v2
	v_xor_b32_e32 v4, 8, v2
	;; [unrolled: 1-line block ×3, first 2 shown]
	s_delay_alu instid0(VALU_DEP_3) | instskip(SKIP_1) | instid1(VALU_DEP_4)
	v_cmp_gt_i32_e32 vcc_lo, 32, v3
	v_cndmask_b32_e32 v3, v2, v3, vcc_lo
	v_cmp_gt_i32_e32 vcc_lo, 32, v4
	s_wait_alu 0xfffd
	v_cndmask_b32_e32 v4, v2, v4, vcc_lo
	v_cmp_gt_i32_e32 vcc_lo, 32, v5
	s_delay_alu instid0(VALU_DEP_2)
	v_lshlrev_b32_e32 v4, 2, v4
	v_lshlrev_b32_e32 v3, 2, v3
	s_wait_alu 0xfffd
	v_cndmask_b32_e32 v5, v2, v5, vcc_lo
	ds_bpermute_b32 v3, v3, v9
	v_lshlrev_b32_e32 v5, 2, v5
	s_wait_dscnt 0x0
	v_add_f32_e32 v3, v9, v3
	ds_bpermute_b32 v4, v4, v3
	s_wait_dscnt 0x0
	v_add_f32_e32 v3, v3, v4
	ds_bpermute_b32 v4, v5, v3
	v_xor_b32_e32 v5, 2, v2
	s_delay_alu instid0(VALU_DEP_1) | instskip(SKIP_2) | instid1(VALU_DEP_1)
	v_cmp_gt_i32_e32 vcc_lo, 32, v5
	s_wait_alu 0xfffd
	v_cndmask_b32_e32 v5, v2, v5, vcc_lo
	v_lshlrev_b32_e32 v5, 2, v5
	s_wait_dscnt 0x0
	v_add_f32_e32 v3, v3, v4
	ds_bpermute_b32 v4, v5, v3
	v_xor_b32_e32 v5, 1, v2
	s_delay_alu instid0(VALU_DEP_1) | instskip(SKIP_4) | instid1(VALU_DEP_2)
	v_cmp_gt_i32_e32 vcc_lo, 32, v5
	s_wait_alu 0xfffd
	v_cndmask_b32_e32 v5, v2, v5, vcc_lo
	v_cmp_eq_u32_e32 vcc_lo, 0, v0
	s_wait_dscnt 0x0
	v_dual_add_f32 v2, v3, v4 :: v_dual_lshlrev_b32 v3, 2, v5
	ds_bpermute_b32 v3, v3, v2
	s_and_b32 exec_lo, exec_lo, vcc_lo
	s_cbranch_execz .LBB105_11
; %bb.10:
	s_wait_dscnt 0x0
	v_add_f32_e32 v2, v2, v3
	s_delay_alu instid0(VALU_DEP_1) | instskip(SKIP_3) | instid1(VALU_DEP_2)
	v_mad_co_u64_u32 v[0:1], null, s9, ttmp7, v[1:2]
	v_mov_b32_e32 v1, 0
	v_bfe_u32 v3, v2, 16, 1
	v_cmp_o_f32_e32 vcc_lo, v2, v2
	v_add3_u32 v3, v2, v3, 0x7fff
	s_delay_alu instid0(VALU_DEP_4) | instskip(NEXT) | instid1(VALU_DEP_2)
	v_lshlrev_b64_e32 v[0:1], 1, v[0:1]
	v_lshrrev_b32_e32 v3, 16, v3
	s_wait_alu 0xfffd
	s_delay_alu instid0(VALU_DEP_1) | instskip(SKIP_1) | instid1(VALU_DEP_3)
	v_cndmask_b32_e32 v2, 0x7fc0, v3, vcc_lo
	s_wait_kmcnt 0x0
	v_add_co_u32 v0, vcc_lo, s2, v0
	s_wait_alu 0xfffd
	v_add_co_ci_u32_e64 v1, null, s3, v1, vcc_lo
	global_store_b16 v[0:1], v2, off
.LBB105_11:
	s_endpgm
	.section	.rodata,"a",@progbits
	.p2align	6, 0x0
	.amdhsa_kernel _ZL13mul_mat_vec_qIN3c108BFloat16ELi256ELi32E10block_q4_KLi2EXadL_ZL17vec_dot_q4_K_q8_1PKvPK10block_q8_1RKiEEEvS4_S4_PT_iii
		.amdhsa_group_segment_fixed_size 0
		.amdhsa_private_segment_fixed_size 0
		.amdhsa_kernarg_size 296
		.amdhsa_user_sgpr_count 2
		.amdhsa_user_sgpr_dispatch_ptr 0
		.amdhsa_user_sgpr_queue_ptr 0
		.amdhsa_user_sgpr_kernarg_segment_ptr 1
		.amdhsa_user_sgpr_dispatch_id 0
		.amdhsa_user_sgpr_private_segment_size 0
		.amdhsa_wavefront_size32 1
		.amdhsa_uses_dynamic_stack 0
		.amdhsa_enable_private_segment 0
		.amdhsa_system_sgpr_workgroup_id_x 1
		.amdhsa_system_sgpr_workgroup_id_y 1
		.amdhsa_system_sgpr_workgroup_id_z 0
		.amdhsa_system_sgpr_workgroup_info 0
		.amdhsa_system_vgpr_workitem_id 1
		.amdhsa_next_free_vgpr 52
		.amdhsa_next_free_sgpr 12
		.amdhsa_reserve_vcc 1
		.amdhsa_float_round_mode_32 0
		.amdhsa_float_round_mode_16_64 0
		.amdhsa_float_denorm_mode_32 3
		.amdhsa_float_denorm_mode_16_64 3
		.amdhsa_fp16_overflow 0
		.amdhsa_workgroup_processor_mode 1
		.amdhsa_memory_ordered 1
		.amdhsa_forward_progress 1
		.amdhsa_inst_pref_size 14
		.amdhsa_round_robin_scheduling 0
		.amdhsa_exception_fp_ieee_invalid_op 0
		.amdhsa_exception_fp_denorm_src 0
		.amdhsa_exception_fp_ieee_div_zero 0
		.amdhsa_exception_fp_ieee_overflow 0
		.amdhsa_exception_fp_ieee_underflow 0
		.amdhsa_exception_fp_ieee_inexact 0
		.amdhsa_exception_int_div_zero 0
	.end_amdhsa_kernel
	.section	.text._ZL13mul_mat_vec_qIN3c108BFloat16ELi256ELi32E10block_q4_KLi2EXadL_ZL17vec_dot_q4_K_q8_1PKvPK10block_q8_1RKiEEEvS4_S4_PT_iii,"axG",@progbits,_ZL13mul_mat_vec_qIN3c108BFloat16ELi256ELi32E10block_q4_KLi2EXadL_ZL17vec_dot_q4_K_q8_1PKvPK10block_q8_1RKiEEEvS4_S4_PT_iii,comdat
.Lfunc_end105:
	.size	_ZL13mul_mat_vec_qIN3c108BFloat16ELi256ELi32E10block_q4_KLi2EXadL_ZL17vec_dot_q4_K_q8_1PKvPK10block_q8_1RKiEEEvS4_S4_PT_iii, .Lfunc_end105-_ZL13mul_mat_vec_qIN3c108BFloat16ELi256ELi32E10block_q4_KLi2EXadL_ZL17vec_dot_q4_K_q8_1PKvPK10block_q8_1RKiEEEvS4_S4_PT_iii
                                        ; -- End function
	.set _ZL13mul_mat_vec_qIN3c108BFloat16ELi256ELi32E10block_q4_KLi2EXadL_ZL17vec_dot_q4_K_q8_1PKvPK10block_q8_1RKiEEEvS4_S4_PT_iii.num_vgpr, 52
	.set _ZL13mul_mat_vec_qIN3c108BFloat16ELi256ELi32E10block_q4_KLi2EXadL_ZL17vec_dot_q4_K_q8_1PKvPK10block_q8_1RKiEEEvS4_S4_PT_iii.num_agpr, 0
	.set _ZL13mul_mat_vec_qIN3c108BFloat16ELi256ELi32E10block_q4_KLi2EXadL_ZL17vec_dot_q4_K_q8_1PKvPK10block_q8_1RKiEEEvS4_S4_PT_iii.numbered_sgpr, 12
	.set _ZL13mul_mat_vec_qIN3c108BFloat16ELi256ELi32E10block_q4_KLi2EXadL_ZL17vec_dot_q4_K_q8_1PKvPK10block_q8_1RKiEEEvS4_S4_PT_iii.num_named_barrier, 0
	.set _ZL13mul_mat_vec_qIN3c108BFloat16ELi256ELi32E10block_q4_KLi2EXadL_ZL17vec_dot_q4_K_q8_1PKvPK10block_q8_1RKiEEEvS4_S4_PT_iii.private_seg_size, 0
	.set _ZL13mul_mat_vec_qIN3c108BFloat16ELi256ELi32E10block_q4_KLi2EXadL_ZL17vec_dot_q4_K_q8_1PKvPK10block_q8_1RKiEEEvS4_S4_PT_iii.uses_vcc, 1
	.set _ZL13mul_mat_vec_qIN3c108BFloat16ELi256ELi32E10block_q4_KLi2EXadL_ZL17vec_dot_q4_K_q8_1PKvPK10block_q8_1RKiEEEvS4_S4_PT_iii.uses_flat_scratch, 0
	.set _ZL13mul_mat_vec_qIN3c108BFloat16ELi256ELi32E10block_q4_KLi2EXadL_ZL17vec_dot_q4_K_q8_1PKvPK10block_q8_1RKiEEEvS4_S4_PT_iii.has_dyn_sized_stack, 0
	.set _ZL13mul_mat_vec_qIN3c108BFloat16ELi256ELi32E10block_q4_KLi2EXadL_ZL17vec_dot_q4_K_q8_1PKvPK10block_q8_1RKiEEEvS4_S4_PT_iii.has_recursion, 0
	.set _ZL13mul_mat_vec_qIN3c108BFloat16ELi256ELi32E10block_q4_KLi2EXadL_ZL17vec_dot_q4_K_q8_1PKvPK10block_q8_1RKiEEEvS4_S4_PT_iii.has_indirect_call, 0
	.section	.AMDGPU.csdata,"",@progbits
; Kernel info:
; codeLenInByte = 1792
; TotalNumSgprs: 14
; NumVgprs: 52
; ScratchSize: 0
; MemoryBound: 0
; FloatMode: 240
; IeeeMode: 1
; LDSByteSize: 0 bytes/workgroup (compile time only)
; SGPRBlocks: 0
; VGPRBlocks: 6
; NumSGPRsForWavesPerEU: 14
; NumVGPRsForWavesPerEU: 52
; Occupancy: 16
; WaveLimiterHint : 0
; COMPUTE_PGM_RSRC2:SCRATCH_EN: 0
; COMPUTE_PGM_RSRC2:USER_SGPR: 2
; COMPUTE_PGM_RSRC2:TRAP_HANDLER: 0
; COMPUTE_PGM_RSRC2:TGID_X_EN: 1
; COMPUTE_PGM_RSRC2:TGID_Y_EN: 1
; COMPUTE_PGM_RSRC2:TGID_Z_EN: 0
; COMPUTE_PGM_RSRC2:TIDIG_COMP_CNT: 1
	.section	.text._ZL13mul_mat_vec_qIN3c108BFloat16ELi256ELi32E10block_q5_KLi2EXadL_ZL17vec_dot_q5_K_q8_1PKvPK10block_q8_1RKiEEEvS4_S4_PT_iii,"axG",@progbits,_ZL13mul_mat_vec_qIN3c108BFloat16ELi256ELi32E10block_q5_KLi2EXadL_ZL17vec_dot_q5_K_q8_1PKvPK10block_q8_1RKiEEEvS4_S4_PT_iii,comdat
	.globl	_ZL13mul_mat_vec_qIN3c108BFloat16ELi256ELi32E10block_q5_KLi2EXadL_ZL17vec_dot_q5_K_q8_1PKvPK10block_q8_1RKiEEEvS4_S4_PT_iii ; -- Begin function _ZL13mul_mat_vec_qIN3c108BFloat16ELi256ELi32E10block_q5_KLi2EXadL_ZL17vec_dot_q5_K_q8_1PKvPK10block_q8_1RKiEEEvS4_S4_PT_iii
	.p2align	8
	.type	_ZL13mul_mat_vec_qIN3c108BFloat16ELi256ELi32E10block_q5_KLi2EXadL_ZL17vec_dot_q5_K_q8_1PKvPK10block_q8_1RKiEEEvS4_S4_PT_iii,@function
_ZL13mul_mat_vec_qIN3c108BFloat16ELi256ELi32E10block_q5_KLi2EXadL_ZL17vec_dot_q5_K_q8_1PKvPK10block_q8_1RKiEEEvS4_S4_PT_iii: ; @_ZL13mul_mat_vec_qIN3c108BFloat16ELi256ELi32E10block_q5_KLi2EXadL_ZL17vec_dot_q5_K_q8_1PKvPK10block_q8_1RKiEEEvS4_S4_PT_iii
; %bb.0:
	s_clause 0x1
	s_load_u16 s2, s[0:1], 0x36
	s_load_b96 s[8:10], s[0:1], 0x18
	v_bfe_u32 v1, v0, 10, 10
	s_wait_kmcnt 0x0
	s_delay_alu instid0(VALU_DEP_1)
	v_mad_co_u64_u32 v[1:2], null, ttmp9, s2, v[1:2]
	s_cmp_lt_u32 ttmp7, s10
	s_cselect_b32 s2, -1, 0
	v_cmp_gt_u32_e32 vcc_lo, s9, v1
	s_wait_alu 0xfffe
	s_and_b32 s2, s2, vcc_lo
	s_wait_alu 0xfffe
	s_and_saveexec_b32 s3, s2
	s_cbranch_execz .LBB106_11
; %bb.1:
	s_load_b64 s[2:3], s[0:1], 0x10
	s_ashr_i32 s4, s8, 31
	v_bfe_u32 v8, v0, 4, 6
	s_lshr_b32 s4, s4, 24
	v_dual_mov_b32 v9, 0 :: v_dual_and_b32 v0, 0x3ff, v0
	s_add_co_i32 s4, s8, s4
	s_mov_b32 s10, exec_lo
	s_ashr_i32 s11, s4, 8
	s_delay_alu instid0(SALU_CYCLE_1)
	v_cmpx_gt_u32_e64 s11, v8
	s_cbranch_execz .LBB106_9
; %bb.2:
	s_load_b128 s[4:7], s[0:1], 0x0
	v_dual_mov_b32 v9, 0 :: v_dual_lshlrev_b32 v2, 1, v0
	s_addk_co_i32 s8, 0x1ff
	v_and_b32_e32 v5, 3, v0
	s_wait_alu 0xfffe
	s_ashr_i32 s0, s8, 31
	v_bfe_u32 v4, v2, 3, 2
	s_wait_alu 0xfffe
	s_lshr_b32 s0, s0, 23
	v_and_b32_e32 v2, 30, v2
	s_wait_alu 0xfffe
	s_add_co_i32 s8, s8, s0
	v_lshlrev_b32_e32 v6, 3, v8
	v_lshlrev_b32_e32 v12, 1, v4
	s_wait_alu 0xfffe
	s_ashr_i32 s0, s8, 9
	v_mul_lo_u32 v10, v1, s11
	v_cmp_lt_u32_e32 vcc_lo, 15, v2
	s_wait_alu 0xfffe
	s_mul_i32 s0, ttmp7, s0
	v_lshlrev_b32_e32 v11, 5, v4
	v_lshlrev_b32_e32 v13, 2, v5
	s_wait_alu 0xfffe
	v_lshl_add_u32 v14, s0, 4, v6
	v_lshlrev_b32_e32 v15, 1, v4
	s_wait_kmcnt 0x0
	v_mad_co_u64_u32 v[2:3], null, v12, 36, s[6:7]
	v_lshlrev_b32_e32 v16, 2, v5
	s_mov_b32 s1, 0
	s_branch .LBB106_4
.LBB106_3:                              ;   in Loop: Header=BB106_4 Depth=1
	s_wait_alu 0xfffe
	s_or_b32 exec_lo, exec_lo, s0
	v_mad_co_i64_i32 v[6:7], null, v14, 36, v[2:3]
	s_wait_loadcnt 0x0
	v_ashrrev_i32_e32 v22, v12, v22
	v_ashrrev_i32_e32 v21, v12, v21
	v_and_b32_e32 v29, 0xf0f0f0f, v17
	v_and_b32_e32 v28, 0xf0f0f0f, v18
	v_lshrrev_b32_e32 v18, 4, v18
	v_lshlrev_b32_e32 v31, 4, v22
	v_add_co_u32 v23, s0, v6, v16
	s_wait_alu 0xf1ff
	v_add_co_ci_u32_e64 v24, null, 0, v7, s0
	v_lshrrev_b32_e32 v17, 4, v17
	v_lshlrev_b32_e32 v30, 4, v21
	v_and_or_b32 v29, 0x10101010, v31, v29
	s_clause 0x3
	global_load_b32 v25, v[23:24], off offset:4
	global_load_b32 v26, v[23:24], off offset:20
	;; [unrolled: 1-line block ×4, first 2 shown]
	global_load_b32 v4, v[4:5], off
	s_clause 0x1
	global_load_b32 v5, v[6:7], off
	global_load_b32 v6, v[6:7], off offset:36
	v_and_b32_e32 v18, 0xf0f0f0f, v18
	v_and_b32_e32 v17, 0xf0f0f0f, v17
	v_lshlrev_b32_e32 v21, 3, v21
	v_lshlrev_b32_e32 v22, 3, v22
	v_and_or_b32 v28, 0x10101010, v30, v28
	v_bfe_u32 v32, v29, 16, 5
	v_lshrrev_b32_e32 v30, 24, v29
	v_and_or_b32 v18, 0x10101010, v21, v18
	v_and_or_b32 v17, 0x10101010, v22, v17
	v_lshrrev_b32_e32 v21, 24, v28
	v_lshrrev_b16 v22, 8, v28
	v_lshrrev_b16 v31, 8, v29
	v_and_b32_e32 v33, 31, v28
	v_bfe_u32 v28, v28, 16, 5
	v_and_b32_e32 v29, 31, v29
	v_lshrrev_b16 v35, 8, v18
	v_lshrrev_b32_e32 v36, 24, v17
	v_lshrrev_b16 v37, 8, v17
	v_and_b32_e32 v31, 0xffff, v31
	v_and_b32_e32 v22, 0xffff, v22
	v_lshrrev_b16 v7, 8, v20
	v_and_b32_e32 v20, 0xff, v20
	v_lshrrev_b32_e32 v34, 24, v18
	v_bfe_u32 v38, v17, 16, 5
	v_and_b32_e32 v17, 31, v17
	v_and_b32_e32 v37, 0xffff, v37
	;; [unrolled: 1-line block ×3, first 2 shown]
	v_lshrrev_b16 v24, 8, v19
	v_and_b32_e32 v19, 0xff, v19
	v_and_b32_e32 v20, 0xffff, v20
	;; [unrolled: 1-line block ×3, first 2 shown]
	v_bfe_u32 v18, v18, 16, 5
	v_and_b32_e32 v7, 0xffff, v7
	v_and_b32_e32 v19, 0xffff, v19
	v_add_nc_u32_e32 v8, 2, v8
	v_add_nc_u32_e32 v14, 16, v14
	s_delay_alu instid0(VALU_DEP_2)
	v_cmp_le_u32_e64 s0, s11, v8
	s_or_b32 s1, s0, s1
	s_wait_loadcnt 0x6
	v_lshrrev_b16 v40, 8, v25
	s_wait_loadcnt 0x5
	v_bfe_i32 v44, v26, 16, 8
	s_wait_loadcnt 0x4
	v_lshrrev_b16 v42, 8, v27
	v_bfe_i32 v46, v25, 0, 8
	v_lshrrev_b16 v41, 8, v26
	v_bfe_i32 v40, v40, 0, 8
	v_ashrrev_i32_e32 v43, 24, v26
	v_ashrrev_i32_e32 v45, 24, v25
	v_bfe_i32 v25, v25, 16, 8
	v_bfe_i32 v51, v27, 0, 8
	v_mul_i32_i24_e32 v32, v44, v32
	v_bfe_i32 v42, v42, 0, 8
	v_add_nc_u32_e32 v52, v46, v40
	v_bfe_i32 v26, v26, 0, 8
	s_wait_loadcnt 0x3
	v_ashrrev_i32_e32 v47, 24, v23
	v_ashrrev_i32_e32 v50, 24, v27
	v_bfe_i32 v27, v27, 16, 8
	v_bfe_i32 v41, v41, 0, 8
	v_mul_i32_i24_e32 v30, v43, v30
	v_mad_i32_i24 v28, v25, v28, v32
	v_add_nc_u32_e32 v32, v51, v42
	v_add3_u32 v25, v52, v25, v45
	v_bfe_i32 v48, v23, 16, 8
	v_bfe_i32 v49, v23, 8, 8
	;; [unrolled: 1-line block ×3, first 2 shown]
	v_mul_i32_i24_e32 v29, v26, v29
	v_mul_i32_i24_e32 v36, v47, v36
	;; [unrolled: 1-line block ×4, first 2 shown]
	v_mad_i32_i24 v21, v45, v21, v30
	v_add3_u32 v32, v32, v27, v50
	v_add3_u32 v25, v25, v26, v41
	v_mul_i32_i24_e32 v17, v23, v17
	v_mul_i32_i24_e32 v37, v49, v37
	;; [unrolled: 1-line block ×3, first 2 shown]
	v_mad_i32_i24 v29, v46, v33, v29
	v_mul_i32_i24_e32 v30, v42, v35
	v_mad_i32_i24 v26, v50, v34, v36
	v_add3_u32 v21, v22, v31, v21
	v_add3_u32 v22, v32, v47, v23
	;; [unrolled: 1-line block ×3, first 2 shown]
	v_mad_i32_i24 v18, v27, v18, v38
	v_mad_i32_i24 v17, v51, v39, v17
	v_add3_u32 v25, v30, v37, v26
	v_add3_u32 v21, v29, v28, v21
	;; [unrolled: 1-line block ×3, first 2 shown]
	v_mul_lo_u32 v20, v23, v20
	v_and_b32_e32 v23, 0xffff, v24
	v_add3_u32 v17, v17, v18, v25
	v_mul_lo_u32 v18, v21, v19
	v_mul_lo_u32 v7, v22, v7
	s_delay_alu instid0(VALU_DEP_3)
	v_mul_lo_u32 v17, v17, v23
	v_cvt_f32_i32_e32 v19, v20
	s_wait_loadcnt 0x2
	v_lshrrev_b32_e32 v20, 16, v4
	v_cvt_f32_i32_e32 v18, v18
	v_cvt_f32_i32_e32 v7, v7
	s_wait_loadcnt 0x1
	v_fma_mix_f32 v19, v5, v19, 0 op_sel_hi:[1,0,0]
	v_cvt_f32_f16_e32 v20, v20
	v_cvt_f32_i32_e32 v17, v17
	v_fma_mix_f32 v5, v5, v18, 0 op_sel_hi:[1,0,0]
	s_wait_loadcnt 0x0
	v_fma_mix_f32 v7, v6, v7, v19 op_sel_hi:[1,0,0]
	s_delay_alu instid0(VALU_DEP_2) | instskip(NEXT) | instid1(VALU_DEP_2)
	v_fma_mix_f32 v5, v6, v17, v5 op_sel_hi:[1,0,0]
	v_mul_f32_e32 v6, v7, v20
	s_delay_alu instid0(VALU_DEP_1) | instskip(NEXT) | instid1(VALU_DEP_1)
	v_fma_mix_f32 v4, v5, v4, -v6 op_sel_hi:[0,1,0]
	v_add_f32_e32 v9, v9, v4
	s_wait_alu 0xfffe
	s_and_not1_b32 exec_lo, exec_lo, s1
	s_cbranch_execz .LBB106_8
.LBB106_4:                              ; =>This Inner Loop Header: Depth=1
	v_add_nc_u32_e32 v4, v10, v8
	s_delay_alu instid0(VALU_DEP_1) | instskip(NEXT) | instid1(VALU_DEP_1)
	v_mad_co_i64_i32 v[4:5], null, 0xb0, v4, s[4:5]
	v_add_co_u32 v6, s0, v4, v11
	s_wait_alu 0xf1ff
	s_delay_alu instid0(VALU_DEP_2) | instskip(NEXT) | instid1(VALU_DEP_2)
	v_add_co_ci_u32_e64 v7, null, 0, v5, s0
	v_add_co_u32 v6, s0, v6, v13
	s_wait_alu 0xf1ff
	s_delay_alu instid0(VALU_DEP_2)
	v_add_co_ci_u32_e64 v7, null, 0, v7, s0
	v_add_co_u32 v19, s0, v4, v13
	s_wait_alu 0xf1ff
	v_add_co_ci_u32_e64 v20, null, 0, v5, s0
	s_clause 0x3
	global_load_b32 v18, v[6:7], off offset:48
	global_load_b32 v17, v[6:7], off offset:64
	;; [unrolled: 1-line block ×4, first 2 shown]
	v_add_co_u32 v6, s0, v4, v15
	s_wait_alu 0xf1ff
	v_add_co_ci_u32_e64 v7, null, 0, v5, s0
                                        ; implicit-def: $vgpr19
                                        ; implicit-def: $vgpr20
	s_and_saveexec_b32 s0, vcc_lo
	s_wait_alu 0xfffe
	s_xor_b32 s0, exec_lo, s0
	s_cbranch_execz .LBB106_6
; %bb.5:                                ;   in Loop: Header=BB106_4 Depth=1
	s_clause 0x2
	global_load_u16 v19, v[6:7], off
	global_load_u16 v20, v[6:7], off offset:8
	global_load_u16 v6, v[6:7], off offset:4
	s_wait_loadcnt 0x2
	v_lshrrev_b16 v7, 2, v19
	s_wait_loadcnt 0x1
	v_lshrrev_b16 v19, 4, v20
	;; [unrolled: 2-line block ×3, first 2 shown]
	v_and_b32_e32 v20, 0xf0f, v20
	v_and_b32_e32 v7, 0x3030, v7
	;; [unrolled: 1-line block ×3, first 2 shown]
	s_delay_alu instid0(VALU_DEP_4) | instskip(NEXT) | instid1(VALU_DEP_3)
	v_and_b32_e32 v6, 0x3030, v6
	v_or_b32_e32 v19, v7, v20
	s_delay_alu instid0(VALU_DEP_2)
	v_or_b32_e32 v20, v6, v23
                                        ; implicit-def: $vgpr6_vgpr7
.LBB106_6:                              ;   in Loop: Header=BB106_4 Depth=1
	s_wait_alu 0xfffe
	s_and_not1_saveexec_b32 s0, s0
	s_cbranch_execz .LBB106_3
; %bb.7:                                ;   in Loop: Header=BB106_4 Depth=1
	s_clause 0x1
	global_load_u16 v19, v[6:7], off offset:4
	global_load_u16 v6, v[6:7], off offset:8
	s_wait_loadcnt 0x1
	v_and_b32_e32 v19, 0x3f3f, v19
	s_wait_loadcnt 0x0
	v_and_b32_e32 v20, 0x3f3f, v6
	s_branch .LBB106_3
.LBB106_8:
	s_or_b32 exec_lo, exec_lo, s1
.LBB106_9:
	s_delay_alu instid0(SALU_CYCLE_1) | instskip(SKIP_1) | instid1(VALU_DEP_1)
	s_or_b32 exec_lo, exec_lo, s10
	v_mbcnt_lo_u32_b32 v2, -1, 0
	v_xor_b32_e32 v3, 16, v2
	v_xor_b32_e32 v4, 8, v2
	v_xor_b32_e32 v5, 4, v2
	s_delay_alu instid0(VALU_DEP_3) | instskip(SKIP_1) | instid1(VALU_DEP_4)
	v_cmp_gt_i32_e32 vcc_lo, 32, v3
	v_cndmask_b32_e32 v3, v2, v3, vcc_lo
	v_cmp_gt_i32_e32 vcc_lo, 32, v4
	s_wait_alu 0xfffd
	v_cndmask_b32_e32 v4, v2, v4, vcc_lo
	v_cmp_gt_i32_e32 vcc_lo, 32, v5
	s_delay_alu instid0(VALU_DEP_2)
	v_lshlrev_b32_e32 v4, 2, v4
	v_lshlrev_b32_e32 v3, 2, v3
	s_wait_alu 0xfffd
	v_cndmask_b32_e32 v5, v2, v5, vcc_lo
	ds_bpermute_b32 v3, v3, v9
	v_lshlrev_b32_e32 v5, 2, v5
	s_wait_dscnt 0x0
	v_add_f32_e32 v3, v9, v3
	ds_bpermute_b32 v4, v4, v3
	s_wait_dscnt 0x0
	v_add_f32_e32 v3, v3, v4
	ds_bpermute_b32 v4, v5, v3
	v_xor_b32_e32 v5, 2, v2
	s_delay_alu instid0(VALU_DEP_1) | instskip(SKIP_2) | instid1(VALU_DEP_1)
	v_cmp_gt_i32_e32 vcc_lo, 32, v5
	s_wait_alu 0xfffd
	v_cndmask_b32_e32 v5, v2, v5, vcc_lo
	v_lshlrev_b32_e32 v5, 2, v5
	s_wait_dscnt 0x0
	v_add_f32_e32 v3, v3, v4
	ds_bpermute_b32 v4, v5, v3
	v_xor_b32_e32 v5, 1, v2
	s_delay_alu instid0(VALU_DEP_1) | instskip(SKIP_4) | instid1(VALU_DEP_2)
	v_cmp_gt_i32_e32 vcc_lo, 32, v5
	s_wait_alu 0xfffd
	v_cndmask_b32_e32 v5, v2, v5, vcc_lo
	v_cmp_eq_u32_e32 vcc_lo, 0, v0
	s_wait_dscnt 0x0
	v_dual_add_f32 v2, v3, v4 :: v_dual_lshlrev_b32 v3, 2, v5
	ds_bpermute_b32 v3, v3, v2
	s_and_b32 exec_lo, exec_lo, vcc_lo
	s_cbranch_execz .LBB106_11
; %bb.10:
	s_wait_dscnt 0x0
	v_add_f32_e32 v2, v2, v3
	s_delay_alu instid0(VALU_DEP_1) | instskip(SKIP_3) | instid1(VALU_DEP_2)
	v_mad_co_u64_u32 v[0:1], null, s9, ttmp7, v[1:2]
	v_mov_b32_e32 v1, 0
	v_bfe_u32 v3, v2, 16, 1
	v_cmp_o_f32_e32 vcc_lo, v2, v2
	v_add3_u32 v3, v2, v3, 0x7fff
	s_delay_alu instid0(VALU_DEP_4) | instskip(NEXT) | instid1(VALU_DEP_2)
	v_lshlrev_b64_e32 v[0:1], 1, v[0:1]
	v_lshrrev_b32_e32 v3, 16, v3
	s_wait_alu 0xfffd
	s_delay_alu instid0(VALU_DEP_1) | instskip(SKIP_1) | instid1(VALU_DEP_3)
	v_cndmask_b32_e32 v2, 0x7fc0, v3, vcc_lo
	s_wait_kmcnt 0x0
	v_add_co_u32 v0, vcc_lo, s2, v0
	s_wait_alu 0xfffd
	v_add_co_ci_u32_e64 v1, null, s3, v1, vcc_lo
	global_store_b16 v[0:1], v2, off
.LBB106_11:
	s_endpgm
	.section	.rodata,"a",@progbits
	.p2align	6, 0x0
	.amdhsa_kernel _ZL13mul_mat_vec_qIN3c108BFloat16ELi256ELi32E10block_q5_KLi2EXadL_ZL17vec_dot_q5_K_q8_1PKvPK10block_q8_1RKiEEEvS4_S4_PT_iii
		.amdhsa_group_segment_fixed_size 0
		.amdhsa_private_segment_fixed_size 0
		.amdhsa_kernarg_size 296
		.amdhsa_user_sgpr_count 2
		.amdhsa_user_sgpr_dispatch_ptr 0
		.amdhsa_user_sgpr_queue_ptr 0
		.amdhsa_user_sgpr_kernarg_segment_ptr 1
		.amdhsa_user_sgpr_dispatch_id 0
		.amdhsa_user_sgpr_private_segment_size 0
		.amdhsa_wavefront_size32 1
		.amdhsa_uses_dynamic_stack 0
		.amdhsa_enable_private_segment 0
		.amdhsa_system_sgpr_workgroup_id_x 1
		.amdhsa_system_sgpr_workgroup_id_y 1
		.amdhsa_system_sgpr_workgroup_id_z 0
		.amdhsa_system_sgpr_workgroup_info 0
		.amdhsa_system_vgpr_workitem_id 1
		.amdhsa_next_free_vgpr 53
		.amdhsa_next_free_sgpr 12
		.amdhsa_reserve_vcc 1
		.amdhsa_float_round_mode_32 0
		.amdhsa_float_round_mode_16_64 0
		.amdhsa_float_denorm_mode_32 3
		.amdhsa_float_denorm_mode_16_64 3
		.amdhsa_fp16_overflow 0
		.amdhsa_workgroup_processor_mode 1
		.amdhsa_memory_ordered 1
		.amdhsa_forward_progress 1
		.amdhsa_inst_pref_size 15
		.amdhsa_round_robin_scheduling 0
		.amdhsa_exception_fp_ieee_invalid_op 0
		.amdhsa_exception_fp_denorm_src 0
		.amdhsa_exception_fp_ieee_div_zero 0
		.amdhsa_exception_fp_ieee_overflow 0
		.amdhsa_exception_fp_ieee_underflow 0
		.amdhsa_exception_fp_ieee_inexact 0
		.amdhsa_exception_int_div_zero 0
	.end_amdhsa_kernel
	.section	.text._ZL13mul_mat_vec_qIN3c108BFloat16ELi256ELi32E10block_q5_KLi2EXadL_ZL17vec_dot_q5_K_q8_1PKvPK10block_q8_1RKiEEEvS4_S4_PT_iii,"axG",@progbits,_ZL13mul_mat_vec_qIN3c108BFloat16ELi256ELi32E10block_q5_KLi2EXadL_ZL17vec_dot_q5_K_q8_1PKvPK10block_q8_1RKiEEEvS4_S4_PT_iii,comdat
.Lfunc_end106:
	.size	_ZL13mul_mat_vec_qIN3c108BFloat16ELi256ELi32E10block_q5_KLi2EXadL_ZL17vec_dot_q5_K_q8_1PKvPK10block_q8_1RKiEEEvS4_S4_PT_iii, .Lfunc_end106-_ZL13mul_mat_vec_qIN3c108BFloat16ELi256ELi32E10block_q5_KLi2EXadL_ZL17vec_dot_q5_K_q8_1PKvPK10block_q8_1RKiEEEvS4_S4_PT_iii
                                        ; -- End function
	.set _ZL13mul_mat_vec_qIN3c108BFloat16ELi256ELi32E10block_q5_KLi2EXadL_ZL17vec_dot_q5_K_q8_1PKvPK10block_q8_1RKiEEEvS4_S4_PT_iii.num_vgpr, 53
	.set _ZL13mul_mat_vec_qIN3c108BFloat16ELi256ELi32E10block_q5_KLi2EXadL_ZL17vec_dot_q5_K_q8_1PKvPK10block_q8_1RKiEEEvS4_S4_PT_iii.num_agpr, 0
	.set _ZL13mul_mat_vec_qIN3c108BFloat16ELi256ELi32E10block_q5_KLi2EXadL_ZL17vec_dot_q5_K_q8_1PKvPK10block_q8_1RKiEEEvS4_S4_PT_iii.numbered_sgpr, 12
	.set _ZL13mul_mat_vec_qIN3c108BFloat16ELi256ELi32E10block_q5_KLi2EXadL_ZL17vec_dot_q5_K_q8_1PKvPK10block_q8_1RKiEEEvS4_S4_PT_iii.num_named_barrier, 0
	.set _ZL13mul_mat_vec_qIN3c108BFloat16ELi256ELi32E10block_q5_KLi2EXadL_ZL17vec_dot_q5_K_q8_1PKvPK10block_q8_1RKiEEEvS4_S4_PT_iii.private_seg_size, 0
	.set _ZL13mul_mat_vec_qIN3c108BFloat16ELi256ELi32E10block_q5_KLi2EXadL_ZL17vec_dot_q5_K_q8_1PKvPK10block_q8_1RKiEEEvS4_S4_PT_iii.uses_vcc, 1
	.set _ZL13mul_mat_vec_qIN3c108BFloat16ELi256ELi32E10block_q5_KLi2EXadL_ZL17vec_dot_q5_K_q8_1PKvPK10block_q8_1RKiEEEvS4_S4_PT_iii.uses_flat_scratch, 0
	.set _ZL13mul_mat_vec_qIN3c108BFloat16ELi256ELi32E10block_q5_KLi2EXadL_ZL17vec_dot_q5_K_q8_1PKvPK10block_q8_1RKiEEEvS4_S4_PT_iii.has_dyn_sized_stack, 0
	.set _ZL13mul_mat_vec_qIN3c108BFloat16ELi256ELi32E10block_q5_KLi2EXadL_ZL17vec_dot_q5_K_q8_1PKvPK10block_q8_1RKiEEEvS4_S4_PT_iii.has_recursion, 0
	.set _ZL13mul_mat_vec_qIN3c108BFloat16ELi256ELi32E10block_q5_KLi2EXadL_ZL17vec_dot_q5_K_q8_1PKvPK10block_q8_1RKiEEEvS4_S4_PT_iii.has_indirect_call, 0
	.section	.AMDGPU.csdata,"",@progbits
; Kernel info:
; codeLenInByte = 1912
; TotalNumSgprs: 14
; NumVgprs: 53
; ScratchSize: 0
; MemoryBound: 0
; FloatMode: 240
; IeeeMode: 1
; LDSByteSize: 0 bytes/workgroup (compile time only)
; SGPRBlocks: 0
; VGPRBlocks: 6
; NumSGPRsForWavesPerEU: 14
; NumVGPRsForWavesPerEU: 53
; Occupancy: 16
; WaveLimiterHint : 0
; COMPUTE_PGM_RSRC2:SCRATCH_EN: 0
; COMPUTE_PGM_RSRC2:USER_SGPR: 2
; COMPUTE_PGM_RSRC2:TRAP_HANDLER: 0
; COMPUTE_PGM_RSRC2:TGID_X_EN: 1
; COMPUTE_PGM_RSRC2:TGID_Y_EN: 1
; COMPUTE_PGM_RSRC2:TGID_Z_EN: 0
; COMPUTE_PGM_RSRC2:TIDIG_COMP_CNT: 1
	.section	.text._ZL13mul_mat_vec_qIN3c108BFloat16ELi256ELi32E10block_q6_KLi1EXadL_ZL17vec_dot_q6_K_q8_1PKvPK10block_q8_1RKiEEEvS4_S4_PT_iii,"axG",@progbits,_ZL13mul_mat_vec_qIN3c108BFloat16ELi256ELi32E10block_q6_KLi1EXadL_ZL17vec_dot_q6_K_q8_1PKvPK10block_q8_1RKiEEEvS4_S4_PT_iii,comdat
	.globl	_ZL13mul_mat_vec_qIN3c108BFloat16ELi256ELi32E10block_q6_KLi1EXadL_ZL17vec_dot_q6_K_q8_1PKvPK10block_q8_1RKiEEEvS4_S4_PT_iii ; -- Begin function _ZL13mul_mat_vec_qIN3c108BFloat16ELi256ELi32E10block_q6_KLi1EXadL_ZL17vec_dot_q6_K_q8_1PKvPK10block_q8_1RKiEEEvS4_S4_PT_iii
	.p2align	8
	.type	_ZL13mul_mat_vec_qIN3c108BFloat16ELi256ELi32E10block_q6_KLi1EXadL_ZL17vec_dot_q6_K_q8_1PKvPK10block_q8_1RKiEEEvS4_S4_PT_iii,@function
_ZL13mul_mat_vec_qIN3c108BFloat16ELi256ELi32E10block_q6_KLi1EXadL_ZL17vec_dot_q6_K_q8_1PKvPK10block_q8_1RKiEEEvS4_S4_PT_iii: ; @_ZL13mul_mat_vec_qIN3c108BFloat16ELi256ELi32E10block_q6_KLi1EXadL_ZL17vec_dot_q6_K_q8_1PKvPK10block_q8_1RKiEEEvS4_S4_PT_iii
; %bb.0:
	s_clause 0x1
	s_load_u16 s2, s[0:1], 0x36
	s_load_b96 s[4:6], s[0:1], 0x18
	v_bfe_u32 v1, v0, 10, 10
	s_wait_kmcnt 0x0
	s_delay_alu instid0(VALU_DEP_1)
	v_mad_co_u64_u32 v[1:2], null, ttmp9, s2, v[1:2]
	s_cmp_lt_u32 ttmp7, s6
	s_cselect_b32 s2, -1, 0
	v_cmp_gt_u32_e32 vcc_lo, s5, v1
	s_wait_alu 0xfffe
	s_and_b32 s2, s2, vcc_lo
	s_wait_alu 0xfffe
	s_and_saveexec_b32 s3, s2
	s_cbranch_execz .LBB107_7
; %bb.1:
	s_load_b64 s[6:7], s[0:1], 0x10
	s_ashr_i32 s2, s4, 31
	v_bfe_u32 v4, v0, 5, 5
	s_wait_alu 0xfffe
	s_lshr_b32 s2, s2, 24
	v_dual_mov_b32 v5, 0 :: v_dual_and_b32 v0, 0x3ff, v0
	s_wait_alu 0xfffe
	s_add_co_i32 s2, s4, s2
	s_mov_b32 s8, exec_lo
	s_wait_alu 0xfffe
	s_ashr_i32 s9, s2, 8
	s_delay_alu instid0(SALU_CYCLE_1)
	v_cmpx_gt_u32_e64 s9, v4
	s_cbranch_execz .LBB107_5
; %bb.2:
	v_dual_mov_b32 v5, 0 :: v_dual_and_b32 v2, 31, v0
	s_load_b128 s[0:3], s[0:1], 0x0
	s_addk_co_i32 s4, 0x1ff
	v_lshlrev_b32_e32 v14, 3, v4
	s_delay_alu instid0(VALU_DEP_2)
	v_add_nc_u32_e32 v3, 0xf0, v2
	v_cmp_gt_u32_e32 vcc_lo, 16, v2
	v_and_b32_e32 v9, 7, v0
	v_lshlrev_b32_e32 v7, 2, v2
	s_wait_alu 0xfffe
	s_ashr_i32 s10, s4, 31
	v_mul_lo_u32 v6, v1, s9
	v_cndmask_b32_e32 v10, v3, v2, vcc_lo
	v_cmp_lt_u32_e32 vcc_lo, 15, v2
	s_lshr_b32 s10, s10, 23
	s_delay_alu instid0(SALU_CYCLE_1) | instskip(NEXT) | instid1(VALU_DEP_2)
	s_add_co_i32 s4, s4, s10
	v_and_b32_e32 v12, 0xf8, v10
	s_wait_alu 0xfffd
	v_cndmask_b32_e64 v3, 0, 4, vcc_lo
	v_cndmask_b32_e64 v11, 0, 8, vcc_lo
	v_bfe_u32 v13, v10, 2, 6
	s_wait_alu 0xfffe
	s_ashr_i32 s4, s4, 9
	v_cmp_ne_u32_e32 vcc_lo, 0, v12
	s_wait_kmcnt 0x0
	v_mad_co_u64_u32 v[2:3], null, v3, 36, s[2:3]
	v_or_b32_e32 v8, v11, v9
	s_wait_alu 0xfffe
	s_mul_i32 s4, ttmp7, s4
	s_wait_alu 0xfffd
	v_cndmask_b32_e64 v12, 0, 1, vcc_lo
	v_lshlrev_b32_e32 v9, 2, v9
	v_cndmask_b32_e64 v10, 0, 2, vcc_lo
	v_lshlrev_b32_e32 v8, 2, v8
	v_add_nc_u32_e32 v11, v13, v11
	v_mad_co_u64_u32 v[2:3], null, v12, 36, v[2:3]
	s_wait_alu 0xfffe
	v_lshl_add_u32 v12, s4, 4, v14
	s_mov_b32 s2, 0
.LBB107_3:                              ; =>This Inner Loop Header: Depth=1
	v_add_nc_u32_e32 v15, v6, v4
	s_delay_alu instid0(VALU_DEP_2) | instskip(SKIP_2) | instid1(VALU_DEP_4)
	v_mad_co_i64_i32 v[13:14], null, v12, 36, v[2:3]
	v_add_nc_u32_e32 v4, 1, v4
	v_add_nc_u32_e32 v12, 8, v12
	v_mad_co_i64_i32 v[15:16], null, 0xd2, v15, s[0:1]
	s_delay_alu instid0(VALU_DEP_4) | instskip(SKIP_2) | instid1(VALU_DEP_3)
	v_add_co_u32 v17, vcc_lo, v13, v9
	s_wait_alu 0xfffd
	v_add_co_ci_u32_e64 v18, null, 0, v14, vcc_lo
	v_add_co_u32 v19, vcc_lo, v15, v7
	s_wait_alu 0xfffd
	s_delay_alu instid0(VALU_DEP_4)
	v_add_co_ci_u32_e64 v20, null, 0, v16, vcc_lo
	v_add_co_u32 v21, vcc_lo, v15, v8
	s_wait_alu 0xfffd
	v_add_co_ci_u32_e64 v22, null, 0, v16, vcc_lo
	global_load_b32 v23, v[17:18], off offset:4
	s_clause 0x1
	global_load_b32 v19, v[19:20], off
	global_load_b32 v20, v[21:22], off offset:128
	global_load_b32 v21, v[17:18], off offset:76
	v_add_co_u32 v17, vcc_lo, v15, v11
	s_wait_alu 0xfffd
	v_add_co_ci_u32_e64 v18, null, 0, v16, vcc_lo
	s_clause 0x1
	global_load_i8 v22, v[17:18], off offset:192
	global_load_i8 v17, v[17:18], off offset:196
	s_clause 0x1
	global_load_b32 v18, v[13:14], off
	global_load_b32 v13, v[13:14], off offset:72
	global_load_u16 v14, v[15:16], off offset:208
	v_cmp_le_u32_e32 vcc_lo, s9, v4
	s_wait_alu 0xfffe
	s_or_b32 s2, vcc_lo, s2
	s_wait_loadcnt 0x8
	v_lshrrev_b16 v15, 8, v23
	s_wait_loadcnt 0x7
	v_and_b32_e32 v28, 0xf0f0f0f, v19
	s_wait_loadcnt 0x6
	v_ashrrev_i32_e32 v20, v10, v20
	v_lshrrev_b32_e32 v19, 4, v19
	v_ashrrev_i32_e32 v16, 24, v23
	v_bfe_i32 v24, v23, 16, 8
	v_bfe_i32 v23, v23, 0, 8
	v_lshlrev_b32_e32 v29, 4, v20
	v_and_b32_e32 v19, 0xf0f0f0f, v19
	s_wait_loadcnt 0x5
	v_bfe_i32 v25, v21, 0, 8
	v_bfe_i32 v15, v15, 0, 8
	;; [unrolled: 1-line block ×3, first 2 shown]
	v_and_or_b32 v28, 0x30303030, v29, v28
	v_and_or_b32 v19, 0x30303030, v20, v19
	v_bfe_i32 v27, v21, 16, 8
	v_ashrrev_i32_e32 v21, 24, v21
	s_delay_alu instid0(VALU_DEP_4) | instskip(NEXT) | instid1(VALU_DEP_4)
	v_lshrrev_b32_e32 v20, 16, v28
	v_lshrrev_b32_e32 v30, 16, v19
	v_and_b32_e32 v31, 0x3f00, v19
	v_lshlrev_b16 v19, 8, v19
	v_lshlrev_b16 v29, 8, v28
	;; [unrolled: 1-line block ×3, first 2 shown]
	v_and_b32_e32 v20, 0x3f00, v20
	v_and_b32_e32 v33, 0x3f00, v30
	v_lshlrev_b16 v30, 8, v30
	v_add_nc_u16 v19, 0xe000, v19
	v_and_b32_e32 v28, 0x3f00, v28
	v_add_nc_u16 v29, 0xe000, v29
	v_add_nc_u16 v20, 0xe000, v20
	;; [unrolled: 1-line block ×3, first 2 shown]
	v_lshrrev_b16 v19, 8, v19
	v_add_nc_u16 v28, 0xe000, v28
	v_ashrrev_i16 v29, 8, v29
	v_add_nc_u16 v32, 0xe000, v32
	v_ashrrev_i16 v20, 8, v20
	v_lshrrev_b16 v30, 8, v30
	v_or_b32_e32 v19, v31, v19
	v_ashrrev_i16 v28, 8, v28
	v_ashrrev_i16 v32, 8, v32
	v_bfe_i32 v29, v29, 0, 16
	v_bfe_i32 v20, v20, 0, 16
	v_or_b32_e32 v30, v33, v30
	v_add_nc_u16 v19, 0xe000, v19
	v_bfe_i32 v28, v28, 0, 16
	v_bfe_i32 v31, v32, 0, 16
	v_mul_i32_i24_e32 v23, v29, v23
	v_mul_i32_i24_e32 v16, v20, v16
	v_add_nc_u16 v20, 0xe000, v30
	v_bfe_i32 v29, v19, 0, 8
	v_mul_i32_i24_e32 v24, v31, v24
	v_bfe_i32 v19, v19, 8, 8
	v_mad_i32_i24 v15, v28, v15, v16
	v_bfe_i32 v16, v20, 0, 8
	v_bfe_i32 v20, v20, 8, 8
	v_mul_i32_i24_e32 v25, v25, v29
	s_delay_alu instid0(VALU_DEP_4) | instskip(NEXT) | instid1(VALU_DEP_4)
	v_add3_u32 v15, v23, v24, v15
	v_mul_i32_i24_e32 v16, v27, v16
	s_delay_alu instid0(VALU_DEP_4) | instskip(NEXT) | instid1(VALU_DEP_4)
	v_mul_i32_i24_e32 v20, v21, v20
	v_mad_i32_i24 v19, v26, v19, v25
	s_wait_loadcnt 0x4
	v_mul_lo_u32 v15, v15, v22
	s_delay_alu instid0(VALU_DEP_2) | instskip(SKIP_1) | instid1(VALU_DEP_1)
	v_add3_u32 v16, v19, v16, v20
	s_wait_loadcnt 0x3
	v_mul_lo_u32 v16, v16, v17
	s_delay_alu instid0(VALU_DEP_3) | instskip(SKIP_1) | instid1(VALU_DEP_1)
	v_cvt_f32_i32_e32 v15, v15
	s_wait_loadcnt 0x2
	v_fma_mix_f32 v15, v18, v15, 0 op_sel_hi:[1,0,0]
	s_delay_alu instid0(VALU_DEP_3) | instskip(SKIP_1) | instid1(VALU_DEP_1)
	v_cvt_f32_i32_e32 v16, v16
	s_wait_loadcnt 0x1
	v_fma_mix_f32 v13, v13, v16, v15 op_sel_hi:[1,0,0]
	s_wait_loadcnt 0x0
	s_delay_alu instid0(VALU_DEP_1)
	v_fma_mix_f32 v5, v13, v14, v5 op_sel_hi:[0,1,0]
	s_wait_alu 0xfffe
	s_and_not1_b32 exec_lo, exec_lo, s2
	s_cbranch_execnz .LBB107_3
; %bb.4:
	s_or_b32 exec_lo, exec_lo, s2
.LBB107_5:
	s_delay_alu instid0(SALU_CYCLE_1) | instskip(SKIP_1) | instid1(VALU_DEP_1)
	s_or_b32 exec_lo, exec_lo, s8
	v_mbcnt_lo_u32_b32 v2, -1, 0
	v_xor_b32_e32 v3, 16, v2
	v_xor_b32_e32 v4, 8, v2
	s_delay_alu instid0(VALU_DEP_2) | instskip(SKIP_2) | instid1(VALU_DEP_3)
	v_cmp_gt_i32_e32 vcc_lo, 32, v3
	s_wait_alu 0xfffd
	v_cndmask_b32_e32 v3, v2, v3, vcc_lo
	v_cmp_gt_i32_e32 vcc_lo, 32, v4
	s_wait_alu 0xfffd
	v_cndmask_b32_e32 v4, v2, v4, vcc_lo
	s_delay_alu instid0(VALU_DEP_1)
	v_lshlrev_b32_e32 v4, 2, v4
	v_lshlrev_b32_e32 v3, 2, v3
	ds_bpermute_b32 v3, v3, v5
	s_wait_dscnt 0x0
	v_add_f32_e32 v3, v5, v3
	v_xor_b32_e32 v5, 4, v2
	ds_bpermute_b32 v4, v4, v3
	v_cmp_gt_i32_e32 vcc_lo, 32, v5
	s_wait_alu 0xfffd
	v_cndmask_b32_e32 v5, v2, v5, vcc_lo
	s_delay_alu instid0(VALU_DEP_1) | instskip(SKIP_4) | instid1(VALU_DEP_1)
	v_lshlrev_b32_e32 v5, 2, v5
	s_wait_dscnt 0x0
	v_add_f32_e32 v3, v3, v4
	ds_bpermute_b32 v4, v5, v3
	v_xor_b32_e32 v5, 2, v2
	v_cmp_gt_i32_e32 vcc_lo, 32, v5
	s_wait_alu 0xfffd
	v_cndmask_b32_e32 v5, v2, v5, vcc_lo
	s_delay_alu instid0(VALU_DEP_1) | instskip(SKIP_4) | instid1(VALU_DEP_1)
	v_lshlrev_b32_e32 v5, 2, v5
	s_wait_dscnt 0x0
	v_add_f32_e32 v3, v3, v4
	ds_bpermute_b32 v4, v5, v3
	v_xor_b32_e32 v5, 1, v2
	v_cmp_gt_i32_e32 vcc_lo, 32, v5
	s_wait_alu 0xfffd
	v_cndmask_b32_e32 v5, v2, v5, vcc_lo
	v_cmp_eq_u32_e32 vcc_lo, 0, v0
	s_wait_dscnt 0x0
	s_delay_alu instid0(VALU_DEP_2)
	v_dual_add_f32 v2, v3, v4 :: v_dual_lshlrev_b32 v3, 2, v5
	ds_bpermute_b32 v3, v3, v2
	s_and_b32 exec_lo, exec_lo, vcc_lo
	s_cbranch_execz .LBB107_7
; %bb.6:
	s_wait_dscnt 0x0
	v_add_f32_e32 v2, v2, v3
	s_delay_alu instid0(VALU_DEP_1) | instskip(SKIP_3) | instid1(VALU_DEP_2)
	v_mad_co_u64_u32 v[0:1], null, s5, ttmp7, v[1:2]
	v_mov_b32_e32 v1, 0
	v_bfe_u32 v3, v2, 16, 1
	v_cmp_o_f32_e32 vcc_lo, v2, v2
	v_add3_u32 v3, v2, v3, 0x7fff
	s_delay_alu instid0(VALU_DEP_4) | instskip(NEXT) | instid1(VALU_DEP_2)
	v_lshlrev_b64_e32 v[0:1], 1, v[0:1]
	v_lshrrev_b32_e32 v3, 16, v3
	s_wait_alu 0xfffd
	s_delay_alu instid0(VALU_DEP_1) | instskip(SKIP_1) | instid1(VALU_DEP_3)
	v_cndmask_b32_e32 v2, 0x7fc0, v3, vcc_lo
	s_wait_kmcnt 0x0
	v_add_co_u32 v0, vcc_lo, s6, v0
	s_wait_alu 0xfffd
	v_add_co_ci_u32_e64 v1, null, s7, v1, vcc_lo
	global_store_b16 v[0:1], v2, off
.LBB107_7:
	s_endpgm
	.section	.rodata,"a",@progbits
	.p2align	6, 0x0
	.amdhsa_kernel _ZL13mul_mat_vec_qIN3c108BFloat16ELi256ELi32E10block_q6_KLi1EXadL_ZL17vec_dot_q6_K_q8_1PKvPK10block_q8_1RKiEEEvS4_S4_PT_iii
		.amdhsa_group_segment_fixed_size 0
		.amdhsa_private_segment_fixed_size 0
		.amdhsa_kernarg_size 296
		.amdhsa_user_sgpr_count 2
		.amdhsa_user_sgpr_dispatch_ptr 0
		.amdhsa_user_sgpr_queue_ptr 0
		.amdhsa_user_sgpr_kernarg_segment_ptr 1
		.amdhsa_user_sgpr_dispatch_id 0
		.amdhsa_user_sgpr_private_segment_size 0
		.amdhsa_wavefront_size32 1
		.amdhsa_uses_dynamic_stack 0
		.amdhsa_enable_private_segment 0
		.amdhsa_system_sgpr_workgroup_id_x 1
		.amdhsa_system_sgpr_workgroup_id_y 1
		.amdhsa_system_sgpr_workgroup_id_z 0
		.amdhsa_system_sgpr_workgroup_info 0
		.amdhsa_system_vgpr_workitem_id 1
		.amdhsa_next_free_vgpr 34
		.amdhsa_next_free_sgpr 11
		.amdhsa_reserve_vcc 1
		.amdhsa_float_round_mode_32 0
		.amdhsa_float_round_mode_16_64 0
		.amdhsa_float_denorm_mode_32 3
		.amdhsa_float_denorm_mode_16_64 3
		.amdhsa_fp16_overflow 0
		.amdhsa_workgroup_processor_mode 1
		.amdhsa_memory_ordered 1
		.amdhsa_forward_progress 1
		.amdhsa_inst_pref_size 13
		.amdhsa_round_robin_scheduling 0
		.amdhsa_exception_fp_ieee_invalid_op 0
		.amdhsa_exception_fp_denorm_src 0
		.amdhsa_exception_fp_ieee_div_zero 0
		.amdhsa_exception_fp_ieee_overflow 0
		.amdhsa_exception_fp_ieee_underflow 0
		.amdhsa_exception_fp_ieee_inexact 0
		.amdhsa_exception_int_div_zero 0
	.end_amdhsa_kernel
	.section	.text._ZL13mul_mat_vec_qIN3c108BFloat16ELi256ELi32E10block_q6_KLi1EXadL_ZL17vec_dot_q6_K_q8_1PKvPK10block_q8_1RKiEEEvS4_S4_PT_iii,"axG",@progbits,_ZL13mul_mat_vec_qIN3c108BFloat16ELi256ELi32E10block_q6_KLi1EXadL_ZL17vec_dot_q6_K_q8_1PKvPK10block_q8_1RKiEEEvS4_S4_PT_iii,comdat
.Lfunc_end107:
	.size	_ZL13mul_mat_vec_qIN3c108BFloat16ELi256ELi32E10block_q6_KLi1EXadL_ZL17vec_dot_q6_K_q8_1PKvPK10block_q8_1RKiEEEvS4_S4_PT_iii, .Lfunc_end107-_ZL13mul_mat_vec_qIN3c108BFloat16ELi256ELi32E10block_q6_KLi1EXadL_ZL17vec_dot_q6_K_q8_1PKvPK10block_q8_1RKiEEEvS4_S4_PT_iii
                                        ; -- End function
	.set _ZL13mul_mat_vec_qIN3c108BFloat16ELi256ELi32E10block_q6_KLi1EXadL_ZL17vec_dot_q6_K_q8_1PKvPK10block_q8_1RKiEEEvS4_S4_PT_iii.num_vgpr, 34
	.set _ZL13mul_mat_vec_qIN3c108BFloat16ELi256ELi32E10block_q6_KLi1EXadL_ZL17vec_dot_q6_K_q8_1PKvPK10block_q8_1RKiEEEvS4_S4_PT_iii.num_agpr, 0
	.set _ZL13mul_mat_vec_qIN3c108BFloat16ELi256ELi32E10block_q6_KLi1EXadL_ZL17vec_dot_q6_K_q8_1PKvPK10block_q8_1RKiEEEvS4_S4_PT_iii.numbered_sgpr, 11
	.set _ZL13mul_mat_vec_qIN3c108BFloat16ELi256ELi32E10block_q6_KLi1EXadL_ZL17vec_dot_q6_K_q8_1PKvPK10block_q8_1RKiEEEvS4_S4_PT_iii.num_named_barrier, 0
	.set _ZL13mul_mat_vec_qIN3c108BFloat16ELi256ELi32E10block_q6_KLi1EXadL_ZL17vec_dot_q6_K_q8_1PKvPK10block_q8_1RKiEEEvS4_S4_PT_iii.private_seg_size, 0
	.set _ZL13mul_mat_vec_qIN3c108BFloat16ELi256ELi32E10block_q6_KLi1EXadL_ZL17vec_dot_q6_K_q8_1PKvPK10block_q8_1RKiEEEvS4_S4_PT_iii.uses_vcc, 1
	.set _ZL13mul_mat_vec_qIN3c108BFloat16ELi256ELi32E10block_q6_KLi1EXadL_ZL17vec_dot_q6_K_q8_1PKvPK10block_q8_1RKiEEEvS4_S4_PT_iii.uses_flat_scratch, 0
	.set _ZL13mul_mat_vec_qIN3c108BFloat16ELi256ELi32E10block_q6_KLi1EXadL_ZL17vec_dot_q6_K_q8_1PKvPK10block_q8_1RKiEEEvS4_S4_PT_iii.has_dyn_sized_stack, 0
	.set _ZL13mul_mat_vec_qIN3c108BFloat16ELi256ELi32E10block_q6_KLi1EXadL_ZL17vec_dot_q6_K_q8_1PKvPK10block_q8_1RKiEEEvS4_S4_PT_iii.has_recursion, 0
	.set _ZL13mul_mat_vec_qIN3c108BFloat16ELi256ELi32E10block_q6_KLi1EXadL_ZL17vec_dot_q6_K_q8_1PKvPK10block_q8_1RKiEEEvS4_S4_PT_iii.has_indirect_call, 0
	.section	.AMDGPU.csdata,"",@progbits
; Kernel info:
; codeLenInByte = 1544
; TotalNumSgprs: 13
; NumVgprs: 34
; ScratchSize: 0
; MemoryBound: 0
; FloatMode: 240
; IeeeMode: 1
; LDSByteSize: 0 bytes/workgroup (compile time only)
; SGPRBlocks: 0
; VGPRBlocks: 4
; NumSGPRsForWavesPerEU: 13
; NumVGPRsForWavesPerEU: 34
; Occupancy: 16
; WaveLimiterHint : 0
; COMPUTE_PGM_RSRC2:SCRATCH_EN: 0
; COMPUTE_PGM_RSRC2:USER_SGPR: 2
; COMPUTE_PGM_RSRC2:TRAP_HANDLER: 0
; COMPUTE_PGM_RSRC2:TGID_X_EN: 1
; COMPUTE_PGM_RSRC2:TGID_Y_EN: 1
; COMPUTE_PGM_RSRC2:TGID_Z_EN: 0
; COMPUTE_PGM_RSRC2:TIDIG_COMP_CNT: 1
	.section	.text._ZL13mul_mat_vec_qIN3c108BFloat16ELi256ELi8E13block_iq2_xxsLi1EXadL_ZL20vec_dot_iq2_xxs_q8_1PKvPK10block_q8_1RKiEEEvS4_S4_PT_iii,"axG",@progbits,_ZL13mul_mat_vec_qIN3c108BFloat16ELi256ELi8E13block_iq2_xxsLi1EXadL_ZL20vec_dot_iq2_xxs_q8_1PKvPK10block_q8_1RKiEEEvS4_S4_PT_iii,comdat
	.globl	_ZL13mul_mat_vec_qIN3c108BFloat16ELi256ELi8E13block_iq2_xxsLi1EXadL_ZL20vec_dot_iq2_xxs_q8_1PKvPK10block_q8_1RKiEEEvS4_S4_PT_iii ; -- Begin function _ZL13mul_mat_vec_qIN3c108BFloat16ELi256ELi8E13block_iq2_xxsLi1EXadL_ZL20vec_dot_iq2_xxs_q8_1PKvPK10block_q8_1RKiEEEvS4_S4_PT_iii
	.p2align	8
	.type	_ZL13mul_mat_vec_qIN3c108BFloat16ELi256ELi8E13block_iq2_xxsLi1EXadL_ZL20vec_dot_iq2_xxs_q8_1PKvPK10block_q8_1RKiEEEvS4_S4_PT_iii,@function
_ZL13mul_mat_vec_qIN3c108BFloat16ELi256ELi8E13block_iq2_xxsLi1EXadL_ZL20vec_dot_iq2_xxs_q8_1PKvPK10block_q8_1RKiEEEvS4_S4_PT_iii: ; @_ZL13mul_mat_vec_qIN3c108BFloat16ELi256ELi8E13block_iq2_xxsLi1EXadL_ZL20vec_dot_iq2_xxs_q8_1PKvPK10block_q8_1RKiEEEvS4_S4_PT_iii
; %bb.0:
	s_clause 0x1
	s_load_u16 s2, s[0:1], 0x36
	s_load_b96 s[16:18], s[0:1], 0x18
	v_bfe_u32 v1, v0, 10, 10
	s_wait_kmcnt 0x0
	s_delay_alu instid0(VALU_DEP_1)
	v_mad_co_u64_u32 v[1:2], null, ttmp9, s2, v[1:2]
	s_cmp_lt_u32 ttmp7, s18
	s_cselect_b32 s2, -1, 0
	v_cmp_gt_u32_e32 vcc_lo, s17, v1
	s_wait_alu 0xfffe
	s_and_b32 s2, s2, vcc_lo
	s_wait_alu 0xfffe
	s_and_saveexec_b32 s3, s2
	s_cbranch_execz .LBB108_7
; %bb.1:
	s_load_b64 s[18:19], s[0:1], 0x10
	s_ashr_i32 s2, s16, 31
	v_bfe_u32 v4, v0, 3, 7
	s_wait_alu 0xfffe
	s_lshr_b32 s2, s2, 24
	v_dual_mov_b32 v5, 0 :: v_dual_and_b32 v0, 0x3ff, v0
	s_wait_alu 0xfffe
	s_add_co_i32 s2, s16, s2
	s_mov_b32 s11, exec_lo
	s_wait_alu 0xfffe
	s_ashr_i32 s20, s2, 8
	s_delay_alu instid0(SALU_CYCLE_1)
	v_cmpx_gt_u32_e64 s20, v4
	s_cbranch_execz .LBB108_5
; %bb.2:
	s_load_b128 s[12:15], s[0:1], 0x0
	s_add_co_i32 s0, s16, 0x1ff
	v_dual_mov_b32 v5, 0 :: v_dual_and_b32 v2, 7, v0
	s_wait_alu 0xfffe
	s_ashr_i32 s1, s0, 31
	v_lshlrev_b32_e32 v7, 3, v4
	s_wait_alu 0xfffe
	s_lshr_b32 s1, s1, 23
	v_lshlrev_b32_e32 v8, 2, v2
	s_wait_alu 0xfffe
	s_add_co_i32 s0, s0, s1
	v_mul_lo_u32 v6, v1, s20
	s_wait_alu 0xfffe
	s_ashr_i32 s0, s0, 9
	s_wait_alu 0xfffe
	s_mul_i32 s0, ttmp7, s0
	v_lshlrev_b32_e32 v8, 1, v8
	s_wait_alu 0xfffe
	v_lshl_add_u32 v7, s0, 4, v7
	s_wait_kmcnt 0x0
	v_mad_co_u64_u32 v[2:3], null, v2, 36, s[14:15]
	s_mov_b32 s14, 0
.LBB108_3:                              ; =>This Inner Loop Header: Depth=1
	v_add_nc_u32_e32 v9, v6, v4
	v_mad_co_i64_i32 v[19:20], null, v7, 36, v[2:3]
	s_getpc_b64 s[0:1]
	s_wait_alu 0xfffe
	s_sext_i32_i16 s1, s1
	s_add_co_u32 s0, s0, _ZL11iq2xxs_grid@rel32@lo+12
	s_wait_alu 0xfffe
	s_add_co_ci_u32 s1, s1, _ZL11iq2xxs_grid@rel32@hi+24
	s_getpc_b64 s[2:3]
	s_wait_alu 0xfffe
	s_sext_i32_i16 s3, s3
	s_add_co_u32 s2, s2, _ZL12ksigns_iq2xs@rel32@lo+12
	s_wait_alu 0xfffe
	s_add_co_ci_u32 s3, s3, _ZL12ksigns_iq2xs@rel32@hi+24
	v_mad_co_i64_i32 v[17:18], null, 0x42, v9, s[12:13]
	v_add_nc_u32_e32 v4, 4, v4
	v_add_nc_u32_e32 v7, 32, v7
	s_delay_alu instid0(VALU_DEP_3) | instskip(SKIP_1) | instid1(VALU_DEP_4)
	v_add_co_u32 v9, vcc_lo, v17, v8
	s_wait_alu 0xfffd
	v_add_co_ci_u32_e64 v10, null, 0, v18, vcc_lo
	s_clause 0x1
	global_load_b32 v21, v[9:10], off offset:2
	global_load_b32 v27, v[9:10], off offset:6
	s_clause 0x1
	global_load_b128 v[9:12], v[19:20], off offset:4
	global_load_b128 v[13:16], v[19:20], off offset:20
	global_load_u16 v28, v[17:18], off
	s_wait_loadcnt 0x2
	v_bfe_i32 v39, v10, 0, 8
	v_and_b32_e32 v29, 0x7f, v27
	v_bfe_u32 v30, v27, 7, 7
	v_bfe_u32 v31, v27, 14, 7
	;; [unrolled: 1-line block ×3, first 2 shown]
	v_lshrrev_b32_e32 v27, 28, v27
	s_clause 0x2
	global_load_i8 v33, v29, s[2:3]
	global_load_i8 v34, v30, s[2:3]
	;; [unrolled: 1-line block ×3, first 2 shown]
	v_lshrrev_b32_e32 v22, 13, v21
	v_cvt_f32_ubyte0_e32 v27, v27
	v_and_b32_e32 v17, 0xff, v21
	v_lshrrev_b32_e32 v18, 5, v21
	s_wait_loadcnt 0x3
	v_cvt_f32_f16_e32 v28, v28
	v_dual_add_f32 v27, 0.5, v27 :: v_dual_and_b32 v24, 0x7f8, v22
	v_lshrrev_b32_e32 v21, 21, v21
	v_lshlrev_b32_e32 v17, 3, v17
	v_bfe_i32 v37, v9, 8, 8
	v_bfe_i32 v59, v16, 16, 8
	v_mul_f32_e32 v27, v27, v28
	v_and_b32_e32 v25, 0x7f8, v21
	v_bfe_i32 v38, v9, 16, 8
	v_bfe_i32 v50, v13, 16, 8
	;; [unrolled: 1-line block ×15, first 2 shown]
	v_ashrrev_i32_e32 v10, 24, v10
	v_bfe_i32 v42, v11, 0, 8
	v_bfe_i32 v43, v11, 8, 8
	;; [unrolled: 1-line block ×3, first 2 shown]
	v_ashrrev_i32_e32 v11, 24, v11
	v_bfe_i32 v45, v12, 0, 8
	v_bfe_i32 v46, v12, 8, 8
	v_ashrrev_i32_e32 v12, 24, v12
	v_ashrrev_i32_e32 v13, 24, v13
	;; [unrolled: 1-line block ×5, first 2 shown]
	s_wait_loadcnt 0x2
	v_and_b32_e32 v28, 1, v33
	v_and_b32_e32 v23, 0x7f8, v18
	;; [unrolled: 1-line block ×3, first 2 shown]
	global_load_i8 v36, v32, s[2:3]
	s_clause 0x3
	global_load_b64 v[17:18], v17, s[0:1]
	global_load_b64 v[21:22], v23, s[0:1]
	global_load_b64 v[23:24], v24, s[0:1]
	global_load_b64 v[25:26], v25, s[0:1]
	global_load_u16 v19, v[19:20], off
	v_bfe_i32 v20, v9, 0, 8
	v_ashrrev_i32_e32 v9, 24, v9
	v_and_b32_e32 v62, 8, v33
	v_cmp_eq_u16_e64 s10, 0, v28
	v_and_b32_e32 v63, 16, v33
	v_and_b32_e32 v64, 32, v33
	s_wait_loadcnt 0x7
	v_and_b32_e32 v65, 1, v34
	v_cmp_eq_u16_e64 s0, 0, v62
	v_cmp_gt_i16_e64 s2, 0, v33
	v_and_b32_e32 v67, 4, v34
	v_cmp_eq_u16_e64 s1, 0, v64
	v_and_b32_e32 v68, 8, v34
	v_and_b32_e32 v93, 16, v34
	v_cmp_gt_i16_e64 s6, 0, v34
	s_delay_alu instid0(VALU_DEP_3)
	v_cmp_eq_u16_e64 s4, 0, v68
	s_wait_loadcnt 0x4
	v_and_b32_e32 v73, 0xff, v18
	v_and_b32_e32 v71, 0xff, v17
	v_bfe_u32 v72, v17, 8, 8
	s_wait_loadcnt 0x1
	v_lshrrev_b32_e32 v88, 24, v26
	v_and_b32_e32 v91, 0xff, v26
	v_bfe_u32 v92, v26, 8, 8
	v_bfe_u32 v26, v26, 16, 8
	v_mul_i32_i24_e32 v39, v73, v39
	v_lshrrev_b32_e32 v69, 24, v17
	v_bfe_u32 v17, v17, 16, 8
	v_lshrrev_b32_e32 v81, 24, v23
	v_and_b32_e32 v83, 0xff, v23
	v_bfe_u32 v84, v23, 8, 8
	v_bfe_u32 v23, v23, 16, 8
	v_bfe_u32 v86, v24, 8, 8
	v_lshrrev_b32_e32 v87, 24, v25
	v_and_b32_e32 v89, 0xff, v25
	v_bfe_u32 v90, v25, 8, 8
	v_bfe_u32 v25, v25, 16, 8
	v_mul_i32_i24_e32 v20, v71, v20
	v_mul_i32_i24_e32 v37, v72, v37
	;; [unrolled: 1-line block ×3, first 2 shown]
	v_sub_nc_u32_e32 v59, 0, v39
	v_and_b32_e32 v60, 2, v33
	v_bfe_u32 v74, v18, 8, 8
	v_lshrrev_b32_e32 v76, 24, v22
	v_and_b32_e32 v79, 0xff, v22
	v_bfe_u32 v80, v22, 8, 8
	v_bfe_u32 v22, v22, 16, 8
	v_lshrrev_b32_e32 v82, 24, v24
	v_and_b32_e32 v85, 0xff, v24
	v_bfe_u32 v24, v24, 16, 8
	v_mul_i32_i24_e32 v17, v17, v38
	v_mul_i32_i24_e32 v9, v69, v9
	;; [unrolled: 1-line block ×6, first 2 shown]
	v_sub_nc_u32_e32 v55, 0, v20
	v_sub_nc_u32_e32 v56, 0, v37
	v_cmp_eq_u16_e32 vcc_lo, 0, v60
	v_lshrrev_b32_e32 v70, 24, v18
	v_bfe_u32 v18, v18, 16, 8
	v_mul_i32_i24_e32 v40, v74, v40
	v_mul_i32_i24_e32 v22, v22, v47
	;; [unrolled: 1-line block ×9, first 2 shown]
	v_sub_nc_u32_e32 v57, 0, v17
	v_sub_nc_u32_e32 v58, 0, v9
	s_wait_alu 0xf1ff
	v_cndmask_b32_e64 v20, v55, v20, s10
	s_wait_alu 0xfffd
	v_cndmask_b32_e32 v28, v56, v37, vcc_lo
	v_cmp_eq_u16_e32 vcc_lo, 0, v61
	v_and_b32_e32 v66, 2, v34
	v_and_b32_e32 v77, 0xff, v21
	v_bfe_u32 v78, v21, 8, 8
	v_mul_i32_i24_e32 v18, v18, v41
	v_mul_i32_i24_e32 v10, v70, v10
	v_sub_nc_u32_e32 v60, 0, v40
	s_wait_alu 0xfffd
	v_cndmask_b32_e32 v17, v57, v17, vcc_lo
	v_cndmask_b32_e64 v9, v58, v9, s0
	v_add_nc_u32_e32 v20, v28, v20
	v_cmp_eq_u16_e32 vcc_lo, 0, v63
	v_lshrrev_b32_e32 v75, 24, v21
	v_bfe_u32 v21, v21, 16, 8
	v_mul_i32_i24_e32 v42, v77, v42
	v_mul_i32_i24_e32 v43, v78, v43
	v_sub_nc_u32_e32 v62, 0, v18
	v_sub_nc_u32_e32 v64, 0, v10
	s_wait_alu 0xfffd
	v_cndmask_b32_e32 v39, v59, v39, vcc_lo
	v_cndmask_b32_e64 v40, v60, v40, s1
	v_add3_u32 v9, v20, v17, v9
	v_cmp_gt_u32_e64 s0, 64, v29
	v_mul_i32_i24_e32 v21, v21, v44
	v_mul_i32_i24_e32 v11, v75, v11
	;; [unrolled: 1-line block ×3, first 2 shown]
	v_sub_nc_u32_e32 v33, 0, v42
	v_sub_nc_u32_e32 v76, 0, v43
	v_cmp_eq_u16_e64 s3, 0, v66
	s_wait_alu 0xf1ff
	v_cndmask_b32_e64 v17, v62, v18, s0
	v_cndmask_b32_e64 v10, v10, v64, s2
	v_add3_u32 v9, v9, v39, v40
	v_cmp_eq_u16_e64 s0, 0, v65
	v_and_b32_e32 v71, 32, v34
	v_mul_i32_i24_e32 v45, v79, v45
	v_mul_i32_i24_e32 v46, v80, v46
	v_sub_nc_u32_e32 v66, 0, v21
	v_sub_nc_u32_e32 v80, 0, v11
	s_wait_alu 0xf1ff
	v_cndmask_b32_e64 v20, v33, v42, s0
	s_wait_alu 0xfffe
	v_cndmask_b32_e64 v29, v76, v43, s3
	v_add3_u32 v9, v9, v17, v10
	v_cmp_eq_u16_e64 s0, 0, v67
	v_mul_i32_i24_e32 v13, v81, v13
	v_sub_nc_u32_e32 v68, 0, v45
	v_sub_nc_u32_e32 v81, 0, v46
	v_cmp_eq_u16_e64 s5, 0, v71
	s_wait_alu 0xf1ff
	v_cndmask_b32_e64 v17, v66, v21, s0
	v_cndmask_b32_e64 v11, v80, v11, s4
	v_add3_u32 v9, v9, v20, v29
	v_cmp_eq_u16_e64 s1, 0, v93
	v_and_b32_e32 v72, 1, v35
	v_and_b32_e32 v38, 2, v35
	v_mul_i32_i24_e32 v14, v82, v14
	v_sub_nc_u32_e32 v71, 0, v22
	v_sub_nc_u32_e32 v82, 0, v12
	s_wait_alu 0xf1ff
	v_cndmask_b32_e64 v20, v68, v45, s1
	v_cndmask_b32_e64 v21, v81, v46, s5
	v_add3_u32 v9, v9, v17, v11
	v_cmp_gt_u32_e64 s1, 64, v30
	v_and_b32_e32 v69, 4, v35
	v_and_b32_e32 v73, 8, v35
	v_sub_nc_u32_e32 v34, 0, v47
	v_sub_nc_u32_e32 v83, 0, v48
	v_cmp_eq_u16_e64 s7, 0, v38
	s_wait_alu 0xf1ff
	v_cndmask_b32_e64 v17, v71, v22, s1
	v_cndmask_b32_e64 v12, v12, v82, s6
	v_add3_u32 v9, v9, v20, v21
	v_cmp_eq_u16_e64 s1, 0, v72
	v_and_b32_e32 v74, 16, v35
	v_and_b32_e32 v41, 32, v35
	v_sub_nc_u32_e32 v38, 0, v23
	v_sub_nc_u32_e32 v84, 0, v13
	v_cmp_eq_u16_e64 s8, 0, v73
	s_wait_alu 0xf1ff
	v_cndmask_b32_e64 v21, v34, v47, s1
	v_cndmask_b32_e64 v22, v83, v48, s7
	v_add3_u32 v9, v9, v17, v12
	v_cmp_eq_u16_e64 s2, 0, v69
	v_sub_nc_u32_e32 v73, 0, v49
	v_sub_nc_u32_e32 v85, 0, v50
	v_cmp_eq_u16_e64 s9, 0, v41
	v_cndmask_b32_e64 v13, v84, v13, s8
	s_wait_alu 0xf1ff
	v_cndmask_b32_e64 v12, v38, v23, s2
	v_add3_u32 v9, v9, v21, v22
	v_cmp_eq_u16_e64 s2, 0, v74
	v_and_b32_e32 v70, 1, v36
	v_and_b32_e32 v77, 2, v36
	v_sub_nc_u32_e32 v37, 0, v24
	v_sub_nc_u32_e32 v28, 0, v14
	v_cmp_gt_i16_e32 vcc_lo, 0, v35
	s_wait_alu 0xf1ff
	v_cndmask_b32_e64 v21, v73, v49, s2
	v_cndmask_b32_e64 v22, v85, v50, s9
	v_add3_u32 v9, v9, v12, v13
	v_cmp_gt_u32_e64 s2, 64, v31
	v_and_b32_e32 v78, 4, v36
	v_and_b32_e32 v44, 8, v36
	v_mul_i32_i24_e32 v15, v87, v15
	v_sub_nc_u32_e32 v18, 0, v51
	v_sub_nc_u32_e32 v10, 0, v52
	v_cmp_eq_u16_e64 s0, 0, v77
	s_wait_alu 0xf1ff
	v_cndmask_b32_e64 v13, v37, v24, s2
	s_wait_alu 0xfffd
	v_cndmask_b32_e32 v14, v14, v28, vcc_lo
	v_add3_u32 v9, v9, v21, v22
	v_cmp_eq_u16_e64 s2, 0, v70
	v_and_b32_e32 v75, 16, v36
	v_and_b32_e32 v79, 32, v36
	v_sub_nc_u32_e32 v11, 0, v25
	v_sub_nc_u32_e32 v20, 0, v15
	v_cmp_eq_u16_e64 s1, 0, v44
	s_wait_alu 0xf1ff
	v_cndmask_b32_e64 v18, v18, v51, s2
	v_cndmask_b32_e64 v10, v10, v52, s0
	v_add3_u32 v9, v9, v13, v14
	v_cmp_eq_u16_e64 s0, 0, v78
	v_mul_i32_i24_e32 v16, v88, v16
	v_sub_nc_u32_e32 v17, 0, v53
	v_sub_nc_u32_e32 v12, 0, v54
	v_cmp_eq_u16_e32 vcc_lo, 0, v79
	s_wait_alu 0xf1ff
	v_cndmask_b32_e64 v11, v11, v25, s0
	v_cndmask_b32_e64 v14, v20, v15, s1
	v_add3_u32 v9, v9, v18, v10
	v_cmp_eq_u16_e64 s0, 0, v75
	v_sub_nc_u32_e32 v13, 0, v26
	v_sub_nc_u32_e32 v10, 0, v16
	s_wait_alu 0xfffd
	v_cndmask_b32_e32 v12, v12, v54, vcc_lo
	v_add3_u32 v9, v9, v11, v14
	s_wait_alu 0xf1ff
	v_cndmask_b32_e64 v15, v17, v53, s0
	v_cmp_gt_i16_e32 vcc_lo, 0, v36
	v_cmp_gt_u32_e64 s0, 64, v32
	s_wait_loadcnt 0x0
	v_cvt_f32_f16_e32 v19, v19
	v_add3_u32 v9, v9, v15, v12
	s_wait_alu 0xfffd
	v_cndmask_b32_e32 v10, v16, v10, vcc_lo
	s_wait_alu 0xf1ff
	v_cndmask_b32_e64 v11, v13, v26, s0
	v_mul_f32_e32 v12, v27, v19
	v_cmp_le_u32_e32 vcc_lo, s20, v4
	s_delay_alu instid0(VALU_DEP_3) | instskip(NEXT) | instid1(VALU_DEP_3)
	v_add3_u32 v9, v9, v11, v10
	v_mul_f32_e32 v10, 0x3e800000, v12
	s_or_b32 s14, vcc_lo, s14
	s_delay_alu instid0(VALU_DEP_2) | instskip(NEXT) | instid1(VALU_DEP_1)
	v_cvt_f32_i32_e32 v9, v9
	v_fmac_f32_e32 v5, v10, v9
	s_wait_alu 0xfffe
	s_and_not1_b32 exec_lo, exec_lo, s14
	s_cbranch_execnz .LBB108_3
; %bb.4:
	s_or_b32 exec_lo, exec_lo, s14
.LBB108_5:
	s_delay_alu instid0(SALU_CYCLE_1) | instskip(SKIP_1) | instid1(VALU_DEP_1)
	s_or_b32 exec_lo, exec_lo, s11
	v_mbcnt_lo_u32_b32 v2, -1, 0
	v_xor_b32_e32 v3, 16, v2
	v_xor_b32_e32 v4, 8, v2
	s_delay_alu instid0(VALU_DEP_2) | instskip(SKIP_2) | instid1(VALU_DEP_3)
	v_cmp_gt_i32_e32 vcc_lo, 32, v3
	s_wait_alu 0xfffd
	v_cndmask_b32_e32 v3, v2, v3, vcc_lo
	v_cmp_gt_i32_e32 vcc_lo, 32, v4
	s_wait_alu 0xfffd
	v_cndmask_b32_e32 v4, v2, v4, vcc_lo
	s_delay_alu instid0(VALU_DEP_1)
	v_lshlrev_b32_e32 v4, 2, v4
	v_lshlrev_b32_e32 v3, 2, v3
	ds_bpermute_b32 v3, v3, v5
	s_wait_dscnt 0x0
	v_add_f32_e32 v3, v5, v3
	v_xor_b32_e32 v5, 4, v2
	ds_bpermute_b32 v4, v4, v3
	v_cmp_gt_i32_e32 vcc_lo, 32, v5
	s_wait_alu 0xfffd
	v_cndmask_b32_e32 v5, v2, v5, vcc_lo
	s_delay_alu instid0(VALU_DEP_1) | instskip(SKIP_4) | instid1(VALU_DEP_1)
	v_lshlrev_b32_e32 v5, 2, v5
	s_wait_dscnt 0x0
	v_add_f32_e32 v3, v3, v4
	ds_bpermute_b32 v4, v5, v3
	v_xor_b32_e32 v5, 2, v2
	v_cmp_gt_i32_e32 vcc_lo, 32, v5
	s_wait_alu 0xfffd
	v_cndmask_b32_e32 v5, v2, v5, vcc_lo
	s_delay_alu instid0(VALU_DEP_1) | instskip(SKIP_4) | instid1(VALU_DEP_1)
	v_lshlrev_b32_e32 v5, 2, v5
	s_wait_dscnt 0x0
	v_add_f32_e32 v3, v3, v4
	ds_bpermute_b32 v4, v5, v3
	v_xor_b32_e32 v5, 1, v2
	v_cmp_gt_i32_e32 vcc_lo, 32, v5
	s_wait_alu 0xfffd
	v_cndmask_b32_e32 v5, v2, v5, vcc_lo
	v_cmp_eq_u32_e32 vcc_lo, 0, v0
	s_wait_dscnt 0x0
	s_delay_alu instid0(VALU_DEP_2)
	v_dual_add_f32 v2, v3, v4 :: v_dual_lshlrev_b32 v3, 2, v5
	ds_bpermute_b32 v3, v3, v2
	s_and_b32 exec_lo, exec_lo, vcc_lo
	s_cbranch_execz .LBB108_7
; %bb.6:
	s_wait_dscnt 0x0
	v_add_f32_e32 v2, v2, v3
	s_delay_alu instid0(VALU_DEP_1) | instskip(SKIP_3) | instid1(VALU_DEP_2)
	v_mad_co_u64_u32 v[0:1], null, s17, ttmp7, v[1:2]
	v_mov_b32_e32 v1, 0
	v_bfe_u32 v3, v2, 16, 1
	v_cmp_o_f32_e32 vcc_lo, v2, v2
	v_add3_u32 v3, v2, v3, 0x7fff
	s_delay_alu instid0(VALU_DEP_4) | instskip(NEXT) | instid1(VALU_DEP_2)
	v_lshlrev_b64_e32 v[0:1], 1, v[0:1]
	v_lshrrev_b32_e32 v3, 16, v3
	s_wait_alu 0xfffd
	s_delay_alu instid0(VALU_DEP_1) | instskip(SKIP_1) | instid1(VALU_DEP_3)
	v_cndmask_b32_e32 v2, 0x7fc0, v3, vcc_lo
	s_wait_kmcnt 0x0
	v_add_co_u32 v0, vcc_lo, s18, v0
	s_wait_alu 0xfffd
	v_add_co_ci_u32_e64 v1, null, s19, v1, vcc_lo
	global_store_b16 v[0:1], v2, off
.LBB108_7:
	s_endpgm
	.section	.rodata,"a",@progbits
	.p2align	6, 0x0
	.amdhsa_kernel _ZL13mul_mat_vec_qIN3c108BFloat16ELi256ELi8E13block_iq2_xxsLi1EXadL_ZL20vec_dot_iq2_xxs_q8_1PKvPK10block_q8_1RKiEEEvS4_S4_PT_iii
		.amdhsa_group_segment_fixed_size 0
		.amdhsa_private_segment_fixed_size 0
		.amdhsa_kernarg_size 296
		.amdhsa_user_sgpr_count 2
		.amdhsa_user_sgpr_dispatch_ptr 0
		.amdhsa_user_sgpr_queue_ptr 0
		.amdhsa_user_sgpr_kernarg_segment_ptr 1
		.amdhsa_user_sgpr_dispatch_id 0
		.amdhsa_user_sgpr_private_segment_size 0
		.amdhsa_wavefront_size32 1
		.amdhsa_uses_dynamic_stack 0
		.amdhsa_enable_private_segment 0
		.amdhsa_system_sgpr_workgroup_id_x 1
		.amdhsa_system_sgpr_workgroup_id_y 1
		.amdhsa_system_sgpr_workgroup_id_z 0
		.amdhsa_system_sgpr_workgroup_info 0
		.amdhsa_system_vgpr_workitem_id 1
		.amdhsa_next_free_vgpr 94
		.amdhsa_next_free_sgpr 21
		.amdhsa_reserve_vcc 1
		.amdhsa_float_round_mode_32 0
		.amdhsa_float_round_mode_16_64 0
		.amdhsa_float_denorm_mode_32 3
		.amdhsa_float_denorm_mode_16_64 3
		.amdhsa_fp16_overflow 0
		.amdhsa_workgroup_processor_mode 1
		.amdhsa_memory_ordered 1
		.amdhsa_forward_progress 1
		.amdhsa_inst_pref_size 21
		.amdhsa_round_robin_scheduling 0
		.amdhsa_exception_fp_ieee_invalid_op 0
		.amdhsa_exception_fp_denorm_src 0
		.amdhsa_exception_fp_ieee_div_zero 0
		.amdhsa_exception_fp_ieee_overflow 0
		.amdhsa_exception_fp_ieee_underflow 0
		.amdhsa_exception_fp_ieee_inexact 0
		.amdhsa_exception_int_div_zero 0
	.end_amdhsa_kernel
	.section	.text._ZL13mul_mat_vec_qIN3c108BFloat16ELi256ELi8E13block_iq2_xxsLi1EXadL_ZL20vec_dot_iq2_xxs_q8_1PKvPK10block_q8_1RKiEEEvS4_S4_PT_iii,"axG",@progbits,_ZL13mul_mat_vec_qIN3c108BFloat16ELi256ELi8E13block_iq2_xxsLi1EXadL_ZL20vec_dot_iq2_xxs_q8_1PKvPK10block_q8_1RKiEEEvS4_S4_PT_iii,comdat
.Lfunc_end108:
	.size	_ZL13mul_mat_vec_qIN3c108BFloat16ELi256ELi8E13block_iq2_xxsLi1EXadL_ZL20vec_dot_iq2_xxs_q8_1PKvPK10block_q8_1RKiEEEvS4_S4_PT_iii, .Lfunc_end108-_ZL13mul_mat_vec_qIN3c108BFloat16ELi256ELi8E13block_iq2_xxsLi1EXadL_ZL20vec_dot_iq2_xxs_q8_1PKvPK10block_q8_1RKiEEEvS4_S4_PT_iii
                                        ; -- End function
	.set _ZL13mul_mat_vec_qIN3c108BFloat16ELi256ELi8E13block_iq2_xxsLi1EXadL_ZL20vec_dot_iq2_xxs_q8_1PKvPK10block_q8_1RKiEEEvS4_S4_PT_iii.num_vgpr, 94
	.set _ZL13mul_mat_vec_qIN3c108BFloat16ELi256ELi8E13block_iq2_xxsLi1EXadL_ZL20vec_dot_iq2_xxs_q8_1PKvPK10block_q8_1RKiEEEvS4_S4_PT_iii.num_agpr, 0
	.set _ZL13mul_mat_vec_qIN3c108BFloat16ELi256ELi8E13block_iq2_xxsLi1EXadL_ZL20vec_dot_iq2_xxs_q8_1PKvPK10block_q8_1RKiEEEvS4_S4_PT_iii.numbered_sgpr, 21
	.set _ZL13mul_mat_vec_qIN3c108BFloat16ELi256ELi8E13block_iq2_xxsLi1EXadL_ZL20vec_dot_iq2_xxs_q8_1PKvPK10block_q8_1RKiEEEvS4_S4_PT_iii.num_named_barrier, 0
	.set _ZL13mul_mat_vec_qIN3c108BFloat16ELi256ELi8E13block_iq2_xxsLi1EXadL_ZL20vec_dot_iq2_xxs_q8_1PKvPK10block_q8_1RKiEEEvS4_S4_PT_iii.private_seg_size, 0
	.set _ZL13mul_mat_vec_qIN3c108BFloat16ELi256ELi8E13block_iq2_xxsLi1EXadL_ZL20vec_dot_iq2_xxs_q8_1PKvPK10block_q8_1RKiEEEvS4_S4_PT_iii.uses_vcc, 1
	.set _ZL13mul_mat_vec_qIN3c108BFloat16ELi256ELi8E13block_iq2_xxsLi1EXadL_ZL20vec_dot_iq2_xxs_q8_1PKvPK10block_q8_1RKiEEEvS4_S4_PT_iii.uses_flat_scratch, 0
	.set _ZL13mul_mat_vec_qIN3c108BFloat16ELi256ELi8E13block_iq2_xxsLi1EXadL_ZL20vec_dot_iq2_xxs_q8_1PKvPK10block_q8_1RKiEEEvS4_S4_PT_iii.has_dyn_sized_stack, 0
	.set _ZL13mul_mat_vec_qIN3c108BFloat16ELi256ELi8E13block_iq2_xxsLi1EXadL_ZL20vec_dot_iq2_xxs_q8_1PKvPK10block_q8_1RKiEEEvS4_S4_PT_iii.has_recursion, 0
	.set _ZL13mul_mat_vec_qIN3c108BFloat16ELi256ELi8E13block_iq2_xxsLi1EXadL_ZL20vec_dot_iq2_xxs_q8_1PKvPK10block_q8_1RKiEEEvS4_S4_PT_iii.has_indirect_call, 0
	.section	.AMDGPU.csdata,"",@progbits
; Kernel info:
; codeLenInByte = 2564
; TotalNumSgprs: 23
; NumVgprs: 94
; ScratchSize: 0
; MemoryBound: 0
; FloatMode: 240
; IeeeMode: 1
; LDSByteSize: 0 bytes/workgroup (compile time only)
; SGPRBlocks: 0
; VGPRBlocks: 11
; NumSGPRsForWavesPerEU: 23
; NumVGPRsForWavesPerEU: 94
; Occupancy: 16
; WaveLimiterHint : 0
; COMPUTE_PGM_RSRC2:SCRATCH_EN: 0
; COMPUTE_PGM_RSRC2:USER_SGPR: 2
; COMPUTE_PGM_RSRC2:TRAP_HANDLER: 0
; COMPUTE_PGM_RSRC2:TGID_X_EN: 1
; COMPUTE_PGM_RSRC2:TGID_Y_EN: 1
; COMPUTE_PGM_RSRC2:TGID_Z_EN: 0
; COMPUTE_PGM_RSRC2:TIDIG_COMP_CNT: 1
	.section	.text._ZL13mul_mat_vec_qIN3c108BFloat16ELi256ELi8E12block_iq2_xsLi1EXadL_ZL19vec_dot_iq2_xs_q8_1PKvPK10block_q8_1RKiEEEvS4_S4_PT_iii,"axG",@progbits,_ZL13mul_mat_vec_qIN3c108BFloat16ELi256ELi8E12block_iq2_xsLi1EXadL_ZL19vec_dot_iq2_xs_q8_1PKvPK10block_q8_1RKiEEEvS4_S4_PT_iii,comdat
	.globl	_ZL13mul_mat_vec_qIN3c108BFloat16ELi256ELi8E12block_iq2_xsLi1EXadL_ZL19vec_dot_iq2_xs_q8_1PKvPK10block_q8_1RKiEEEvS4_S4_PT_iii ; -- Begin function _ZL13mul_mat_vec_qIN3c108BFloat16ELi256ELi8E12block_iq2_xsLi1EXadL_ZL19vec_dot_iq2_xs_q8_1PKvPK10block_q8_1RKiEEEvS4_S4_PT_iii
	.p2align	8
	.type	_ZL13mul_mat_vec_qIN3c108BFloat16ELi256ELi8E12block_iq2_xsLi1EXadL_ZL19vec_dot_iq2_xs_q8_1PKvPK10block_q8_1RKiEEEvS4_S4_PT_iii,@function
_ZL13mul_mat_vec_qIN3c108BFloat16ELi256ELi8E12block_iq2_xsLi1EXadL_ZL19vec_dot_iq2_xs_q8_1PKvPK10block_q8_1RKiEEEvS4_S4_PT_iii: ; @_ZL13mul_mat_vec_qIN3c108BFloat16ELi256ELi8E12block_iq2_xsLi1EXadL_ZL19vec_dot_iq2_xs_q8_1PKvPK10block_q8_1RKiEEEvS4_S4_PT_iii
; %bb.0:
	s_clause 0x1
	s_load_u16 s2, s[0:1], 0x36
	s_load_b96 s[40:42], s[0:1], 0x18
	v_bfe_u32 v1, v0, 10, 10
	s_wait_kmcnt 0x0
	s_delay_alu instid0(VALU_DEP_1)
	v_mad_co_u64_u32 v[1:2], null, ttmp9, s2, v[1:2]
	s_cmp_lt_u32 ttmp7, s42
	s_cselect_b32 s2, -1, 0
	v_cmp_gt_u32_e32 vcc_lo, s41, v1
	s_wait_alu 0xfffe
	s_and_b32 s2, s2, vcc_lo
	s_wait_alu 0xfffe
	s_and_saveexec_b32 s3, s2
	s_cbranch_execz .LBB109_7
; %bb.1:
	s_load_b64 s[30:31], s[0:1], 0x10
	s_ashr_i32 s2, s40, 31
	v_bfe_u32 v6, v0, 3, 7
	s_wait_alu 0xfffe
	s_lshr_b32 s2, s2, 24
	v_dual_mov_b32 v7, 0 :: v_dual_and_b32 v0, 0x3ff, v0
	s_wait_alu 0xfffe
	s_add_co_i32 s2, s40, s2
	s_mov_b32 s33, exec_lo
	s_wait_alu 0xfffe
	s_ashr_i32 s34, s2, 8
	s_delay_alu instid0(SALU_CYCLE_1)
	v_cmpx_gt_u32_e64 s34, v6
	s_cbranch_execz .LBB109_5
; %bb.2:
	s_load_b128 s[36:39], s[0:1], 0x0
	s_add_co_i32 s0, s40, 0x1ff
	v_dual_mov_b32 v7, 0 :: v_dual_and_b32 v8, 7, v0
	s_wait_alu 0xfffe
	s_ashr_i32 s1, s0, 31
	v_lshlrev_b32_e32 v4, 3, v6
	s_wait_alu 0xfffe
	s_lshr_b32 s1, s1, 23
	v_lshlrev_b32_e32 v5, 2, v8
	s_wait_alu 0xfffe
	s_add_co_i32 s0, s0, s1
	v_mul_lo_u32 v9, v1, s34
	s_wait_alu 0xfffe
	s_ashr_i32 s0, s0, 9
	s_mov_b32 s35, 0
	s_wait_alu 0xfffe
	s_mul_i32 s0, ttmp7, s0
	v_lshlrev_b32_e32 v11, 1, v5
	s_wait_alu 0xfffe
	v_lshl_add_u32 v10, s0, 4, v4
	s_wait_kmcnt 0x0
	v_mad_co_u64_u32 v[2:3], null, v8, 36, s[38:39]
.LBB109_3:                              ; =>This Inner Loop Header: Depth=1
	v_add_nc_u32_e32 v4, v9, v6
	s_delay_alu instid0(VALU_DEP_2)
	v_mad_co_i64_i32 v[22:23], null, v10, 36, v[2:3]
	s_getpc_b64 s[0:1]
	s_wait_alu 0xfffe
	s_sext_i32_i16 s1, s1
	s_add_co_u32 s0, s0, _ZL10iq2xs_grid@rel32@lo+12
	s_wait_alu 0xfffe
	s_add_co_ci_u32 s1, s1, _ZL10iq2xs_grid@rel32@hi+24
	s_getpc_b64 s[2:3]
	s_wait_alu 0xfffe
	s_sext_i32_i16 s3, s3
	s_add_co_u32 s2, s2, _ZL12ksigns_iq2xs@rel32@lo+12
	s_wait_alu 0xfffe
	s_add_co_ci_u32 s3, s3, _ZL12ksigns_iq2xs@rel32@hi+24
	v_mad_co_i64_i32 v[20:21], null, 0x4a, v4, s[36:37]
	v_add_nc_u32_e32 v6, 4, v6
	v_add_nc_u32_e32 v10, 32, v10
	s_delay_alu instid0(VALU_DEP_3) | instskip(SKIP_1) | instid1(VALU_DEP_4)
	v_add_co_u32 v4, vcc_lo, v20, v11
	s_wait_alu 0xfffd
	v_add_co_ci_u32_e64 v5, null, 0, v21, vcc_lo
	v_add_co_u32 v24, vcc_lo, v20, v8
	s_wait_alu 0xfffd
	v_add_co_ci_u32_e64 v25, null, 0, v21, vcc_lo
	global_load_b64 v[4:5], v[4:5], off offset:2
	s_clause 0x1
	global_load_b128 v[12:15], v[22:23], off offset:4
	global_load_b128 v[16:19], v[22:23], off offset:20
	s_clause 0x1
	global_load_u8 v30, v[24:25], off offset:66
	global_load_u16 v31, v[20:21], off
	s_wait_loadcnt 0x3
	v_bfe_i32 v36, v12, 8, 8
	v_and_b32_e32 v20, 0x1ff, v4
	v_lshrrev_b32_e32 v24, 13, v4
	v_and_b32_e32 v26, 0x1ff, v5
	v_lshrrev_b32_e32 v28, 13, v5
	v_bfe_u32 v21, v4, 9, 7
	v_lshrrev_b32_e32 v25, 25, v4
	v_bfe_u32 v27, v5, 9, 7
	v_lshrrev_b32_e32 v29, 25, v5
	v_lshlrev_b32_e32 v20, 3, v20
	v_and_b32_e32 v24, 0xff8, v24
	v_lshlrev_b32_e32 v26, 3, v26
	v_and_b32_e32 v28, 0xff8, v28
	s_clause 0x3
	global_load_i8 v32, v21, s[2:3]
	global_load_i8 v33, v25, s[2:3]
	;; [unrolled: 1-line block ×4, first 2 shown]
	s_clause 0x3
	global_load_b64 v[20:21], v20, s[0:1]
	global_load_b64 v[24:25], v24, s[0:1]
	;; [unrolled: 1-line block ×4, first 2 shown]
	global_load_u16 v22, v[22:23], off
	v_bfe_i32 v38, v13, 0, 8
	v_bfe_i32 v39, v13, 8, 8
	s_wait_loadcnt 0xb
	v_bfe_i32 v47, v16, 0, 8
	v_bfe_i32 v48, v16, 8, 8
	s_wait_loadcnt 0xa
	v_lshrrev_b16 v59, 4, v30
	v_bfe_i32 v23, v12, 0, 8
	v_bfe_i32 v37, v12, 16, 8
	v_ashrrev_i32_e32 v12, 24, v12
	v_bfe_i32 v40, v13, 16, 8
	v_ashrrev_i32_e32 v13, 24, v13
	;; [unrolled: 2-line block ×3, first 2 shown]
	v_bfe_i32 v50, v17, 0, 8
	v_bfe_i32 v51, v17, 8, 8
	;; [unrolled: 1-line block ×4, first 2 shown]
	v_cvt_f32_ubyte0_e32 v59, v59
	v_bfe_i32 v41, v14, 0, 8
	v_bfe_i32 v42, v14, 8, 8
	;; [unrolled: 1-line block ×3, first 2 shown]
	v_ashrrev_i32_e32 v14, 24, v14
	v_bfe_i32 v44, v15, 0, 8
	v_bfe_i32 v45, v15, 8, 8
	;; [unrolled: 1-line block ×3, first 2 shown]
	v_ashrrev_i32_e32 v15, 24, v15
	v_bfe_i32 v55, v18, 16, 8
	v_bfe_i32 v52, v17, 16, 8
	v_ashrrev_i32_e32 v17, 24, v17
	v_bfe_i32 v54, v18, 8, 8
	v_bfe_i32 v57, v19, 8, 8
	;; [unrolled: 1-line block ×3, first 2 shown]
	v_lshrrev_b32_e32 v60, 16, v4
	v_cmp_gt_i16_e64 s4, 0, v4
	v_ashrrev_i32_e32 v18, 24, v18
	v_lshrrev_b32_e32 v61, 16, v5
	v_cmp_gt_i16_e64 s19, 0, v5
	v_ashrrev_i32_e32 v19, 24, v19
	v_and_b32_e32 v30, 15, v30
	s_delay_alu instid0(VALU_DEP_4)
	v_cmp_gt_i16_e64 s27, 0, v61
	s_wait_loadcnt 0x5
	v_cmp_gt_i16_e64 s28, 0, v35
	s_wait_loadcnt 0x4
	v_bfe_u32 v72, v20, 8, 8
	v_and_b32_e32 v73, 0xff, v21
	v_bfe_u32 v74, v21, 8, 8
	s_wait_loadcnt 0x2
	v_and_b32_e32 v83, 0xff, v26
	v_bfe_u32 v84, v26, 8, 8
	v_and_b32_e32 v63, 2, v32
	v_and_b32_e32 v64, 4, v32
	;; [unrolled: 1-line block ×4, first 2 shown]
	v_lshrrev_b32_e32 v69, 24, v20
	v_lshrrev_b32_e32 v70, 24, v21
	v_and_b32_e32 v71, 0xff, v20
	v_bfe_u32 v20, v20, 16, 8
	v_bfe_u32 v21, v21, 16, 8
	v_lshrrev_b32_e32 v81, 24, v26
	v_bfe_u32 v26, v26, 16, 8
	v_and_b32_e32 v85, 0xff, v27
	v_bfe_u32 v86, v27, 8, 8
	s_wait_loadcnt 0x1
	v_and_b32_e32 v89, 0xff, v28
	v_and_b32_e32 v91, 0xff, v29
	v_mul_i32_i24_e32 v36, v72, v36
	v_mul_i32_i24_e32 v38, v73, v38
	v_and_b32_e32 v73, 1, v34
	v_mul_i32_i24_e32 v39, v74, v39
	v_and_b32_e32 v74, 2, v34
	v_mul_i32_i24_e32 v47, v83, v47
	v_mul_i32_i24_e32 v48, v84, v48
	v_and_b32_e32 v62, 1, v32
	v_and_b32_e32 v68, 1, v33
	v_lshrrev_b32_e32 v75, 24, v24
	v_lshrrev_b32_e32 v76, 24, v25
	v_and_b32_e32 v77, 0xff, v24
	v_bfe_u32 v78, v24, 8, 8
	v_bfe_u32 v24, v24, 16, 8
	v_and_b32_e32 v79, 0xff, v25
	v_bfe_u32 v80, v25, 8, 8
	v_bfe_u32 v25, v25, 16, 8
	v_lshrrev_b32_e32 v87, 24, v28
	v_bfe_u32 v90, v28, 8, 8
	v_bfe_u32 v28, v28, 16, 8
	v_and_b32_e32 v93, 2, v33
	v_mul_i32_i24_e32 v23, v71, v23
	v_and_b32_e32 v71, 4, v33
	v_and_b32_e32 v72, 8, v33
	v_mul_i32_i24_e32 v20, v20, v37
	v_and_b32_e32 v37, 16, v33
	v_mul_i32_i24_e32 v12, v69, v12
	;; [unrolled: 2-line block ×5, first 2 shown]
	v_mul_i32_i24_e32 v16, v81, v16
	v_mul_i32_i24_e32 v49, v85, v50
	v_mul_i32_i24_e32 v50, v86, v51
	v_mul_i32_i24_e32 v51, v89, v53
	v_mul_i32_i24_e32 v53, v91, v56
	v_sub_nc_u32_e32 v56, 0, v36
	v_cmp_eq_u16_e32 vcc_lo, 0, v63
	v_cmp_eq_u16_e64 s0, 0, v64
	v_sub_nc_u32_e32 v63, 0, v38
	v_cmp_eq_u16_e64 s2, 0, v66
	v_sub_nc_u32_e32 v64, 0, v39
	v_cmp_eq_u16_e64 s3, 0, v67
	v_cmp_gt_i16_e64 s12, 0, v33
	v_sub_nc_u32_e32 v33, 0, v47
	v_cmp_eq_u16_e64 s13, 0, v73
	v_sub_nc_u32_e32 v73, 0, v48
	v_cmp_eq_u16_e64 s14, 0, v74
	s_wait_loadcnt 0x0
	v_cvt_f32_f16_e32 v22, v22
	v_and_b32_e32 v65, 8, v32
	v_lshrrev_b32_e32 v82, 24, v27
	v_bfe_u32 v27, v27, 16, 8
	v_lshrrev_b32_e32 v88, 24, v29
	v_bfe_u32 v92, v29, 8, 8
	v_bfe_u32 v29, v29, 16, 8
	v_mul_i32_i24_e32 v41, v77, v41
	v_and_b32_e32 v77, 16, v34
	v_mul_i32_i24_e32 v42, v78, v42
	v_and_b32_e32 v78, 32, v34
	;; [unrolled: 2-line block ×8, first 2 shown]
	v_mul_i32_i24_e32 v28, v28, v55
	v_sub_nc_u32_e32 v55, 0, v23
	v_sub_nc_u32_e32 v4, 0, v13
	v_cmp_gt_i16_e64 s5, 0, v32
	v_sub_nc_u32_e32 v74, 0, v26
	v_cmp_eq_u16_e64 s15, 0, v40
	v_sub_nc_u32_e32 v40, 0, v16
	v_cmp_eq_u16_e64 s16, 0, v70
	v_cmp_eq_u16_e64 s29, 0, v62
	s_wait_alu 0xfffd
	v_cndmask_b32_e32 v35, v56, v36, vcc_lo
	s_wait_alu 0xf1ff
	v_cndmask_b32_e64 v36, v63, v38, s2
	s_wait_alu 0xfffe
	v_cndmask_b32_e64 v38, v64, v39, s3
	v_cndmask_b32_e64 v33, v33, v47, s13
	;; [unrolled: 1-line block ×3, first 2 shown]
	v_mul_i32_i24_e32 v27, v27, v52
	v_mul_i32_i24_e32 v17, v82, v17
	;; [unrolled: 1-line block ×5, first 2 shown]
	v_sub_nc_u32_e32 v57, 0, v20
	v_sub_nc_u32_e32 v58, 0, v12
	v_cmp_eq_u16_e64 s1, 0, v65
	v_sub_nc_u32_e32 v70, 0, v49
	v_cmp_eq_u16_e64 s17, 0, v77
	;; [unrolled: 2-line block ×3, first 2 shown]
	v_cndmask_b32_e64 v23, v55, v23, s29
	v_cndmask_b32_e64 v4, v13, v4, s5
	;; [unrolled: 1-line block ×4, first 2 shown]
	v_add_nc_u32_e32 v26, v39, v33
	v_sub_nc_u32_e32 v78, 0, v27
	v_sub_nc_u32_e32 v5, 0, v17
	v_cmp_gt_i16_e64 s20, 0, v34
	v_cndmask_b32_e64 v20, v57, v20, s0
	s_wait_alu 0xf1ff
	v_cndmask_b32_e64 v12, v58, v12, s1
	v_cndmask_b32_e64 v33, v70, v49, s17
	;; [unrolled: 1-line block ×3, first 2 shown]
	v_add_nc_u32_e32 v23, v35, v23
	v_add3_u32 v13, v26, v13, v16
	v_mul_i32_i24_e32 v18, v87, v18
	v_sub_nc_u32_e32 v65, 0, v21
	v_sub_nc_u32_e32 v34, 0, v51
	v_cmp_eq_u16_e64 s21, 0, v43
	v_sub_nc_u32_e32 v43, 0, v52
	v_cmp_eq_u16_e64 s22, 0, v75
	v_cndmask_b32_e64 v26, v27, v78, s19
	v_cndmask_b32_e64 v5, v17, v5, s20
	v_add3_u32 v12, v23, v20, v12
	v_add3_u32 v13, v13, v33, v39
	v_sub_nc_u32_e32 v32, 0, v41
	v_cmp_eq_u16_e64 s6, 0, v68
	v_sub_nc_u32_e32 v66, 0, v42
	v_cmp_eq_u16_e64 s7, 0, v93
	;; [unrolled: 2-line block ×5, first 2 shown]
	v_cndmask_b32_e64 v21, v21, v65, s4
	s_wait_alu 0xf1ff
	v_cndmask_b32_e64 v20, v34, v51, s21
	v_cndmask_b32_e64 v23, v43, v52, s22
	v_add3_u32 v12, v12, v36, v38
	v_add3_u32 v5, v13, v26, v5
	v_mul_i32_i24_e32 v19, v88, v19
	v_sub_nc_u32_e32 v67, 0, v24
	v_cmp_eq_u16_e64 s8, 0, v71
	v_sub_nc_u32_e32 v80, 0, v53
	v_cmp_eq_u16_e64 s25, 0, v46
	;; [unrolled: 2-line block ×3, first 2 shown]
	v_cndmask_b32_e64 v32, v32, v41, s6
	v_cndmask_b32_e64 v16, v66, v42, s7
	;; [unrolled: 1-line block ×5, first 2 shown]
	v_add3_u32 v4, v12, v21, v4
	v_add3_u32 v5, v5, v20, v23
	v_sub_nc_u32_e32 v71, 0, v44
	v_cmp_eq_u16_e64 s10, 0, v37
	v_sub_nc_u32_e32 v37, 0, v45
	v_cmp_eq_u16_e64 s11, 0, v69
	v_sub_nc_u32_e32 v76, 0, v29
	v_sub_nc_u32_e32 v61, 0, v19
	s_wait_alu 0xf1ff
	v_cndmask_b32_e64 v17, v67, v24, s8
	v_cndmask_b32_e64 v20, v80, v53, s25
	;; [unrolled: 1-line block ×3, first 2 shown]
	v_add3_u32 v4, v4, v32, v16
	v_add3_u32 v5, v5, v14, v18
	v_sub_nc_u32_e32 v69, 0, v25
	v_sub_nc_u32_e32 v72, 0, v15
	v_cndmask_b32_e64 v12, v71, v44, s10
	v_cndmask_b32_e64 v14, v37, v45, s11
	;; [unrolled: 1-line block ×4, first 2 shown]
	v_add3_u32 v4, v4, v17, v13
	v_add3_u32 v5, v5, v20, v21
	v_cmp_gt_i16_e32 vcc_lo, 0, v60
	v_cndmask_b32_e64 v15, v15, v72, s12
	s_delay_alu instid0(VALU_DEP_4) | instskip(NEXT) | instid1(VALU_DEP_4)
	v_add3_u32 v4, v4, v12, v14
	v_add3_u32 v5, v5, v16, v18
	s_wait_alu 0xfffd
	v_cndmask_b32_e32 v13, v25, v69, vcc_lo
	v_cvt_f32_f16_e32 v12, v31
	v_cvt_f32_ubyte0_e32 v14, v30
	v_add_f32_e32 v16, 0.5, v59
	v_cvt_f32_i32_e32 v5, v5
	v_add3_u32 v4, v4, v13, v15
	v_mul_f32_e32 v12, v12, v22
	v_add_f32_e32 v13, 0.5, v14
	v_cmp_le_u32_e32 vcc_lo, s34, v6
	v_mul_f32_e32 v5, v16, v5
	v_cvt_f32_i32_e32 v4, v4
	v_mul_f32_e32 v12, 0x3e800000, v12
	s_or_b32 s35, vcc_lo, s35
	s_delay_alu instid0(VALU_DEP_2) | instskip(NEXT) | instid1(VALU_DEP_1)
	v_fmac_f32_e32 v5, v13, v4
	v_fmac_f32_e32 v7, v12, v5
	s_wait_alu 0xfffe
	s_and_not1_b32 exec_lo, exec_lo, s35
	s_cbranch_execnz .LBB109_3
; %bb.4:
	s_or_b32 exec_lo, exec_lo, s35
.LBB109_5:
	s_delay_alu instid0(SALU_CYCLE_1) | instskip(SKIP_1) | instid1(VALU_DEP_1)
	s_or_b32 exec_lo, exec_lo, s33
	v_mbcnt_lo_u32_b32 v2, -1, 0
	v_xor_b32_e32 v3, 16, v2
	v_xor_b32_e32 v4, 8, v2
	;; [unrolled: 1-line block ×3, first 2 shown]
	s_delay_alu instid0(VALU_DEP_3)
	v_cmp_gt_i32_e32 vcc_lo, 32, v3
	s_wait_alu 0xfffd
	v_cndmask_b32_e32 v3, v2, v3, vcc_lo
	v_cmp_gt_i32_e32 vcc_lo, 32, v4
	s_wait_alu 0xfffd
	v_cndmask_b32_e32 v4, v2, v4, vcc_lo
	v_cmp_gt_i32_e32 vcc_lo, 32, v5
	s_delay_alu instid0(VALU_DEP_2)
	v_lshlrev_b32_e32 v4, 2, v4
	v_lshlrev_b32_e32 v3, 2, v3
	s_wait_alu 0xfffd
	v_cndmask_b32_e32 v5, v2, v5, vcc_lo
	ds_bpermute_b32 v3, v3, v7
	v_lshlrev_b32_e32 v5, 2, v5
	s_wait_dscnt 0x0
	v_add_f32_e32 v3, v7, v3
	ds_bpermute_b32 v4, v4, v3
	s_wait_dscnt 0x0
	v_add_f32_e32 v3, v3, v4
	ds_bpermute_b32 v4, v5, v3
	v_xor_b32_e32 v5, 2, v2
	s_delay_alu instid0(VALU_DEP_1) | instskip(SKIP_2) | instid1(VALU_DEP_1)
	v_cmp_gt_i32_e32 vcc_lo, 32, v5
	s_wait_alu 0xfffd
	v_cndmask_b32_e32 v5, v2, v5, vcc_lo
	v_lshlrev_b32_e32 v5, 2, v5
	s_wait_dscnt 0x0
	v_add_f32_e32 v3, v3, v4
	ds_bpermute_b32 v4, v5, v3
	v_xor_b32_e32 v5, 1, v2
	s_delay_alu instid0(VALU_DEP_1) | instskip(SKIP_4) | instid1(VALU_DEP_2)
	v_cmp_gt_i32_e32 vcc_lo, 32, v5
	s_wait_alu 0xfffd
	v_cndmask_b32_e32 v5, v2, v5, vcc_lo
	v_cmp_eq_u32_e32 vcc_lo, 0, v0
	s_wait_dscnt 0x0
	v_dual_add_f32 v2, v3, v4 :: v_dual_lshlrev_b32 v3, 2, v5
	ds_bpermute_b32 v3, v3, v2
	s_and_b32 exec_lo, exec_lo, vcc_lo
	s_cbranch_execz .LBB109_7
; %bb.6:
	s_wait_dscnt 0x0
	v_add_f32_e32 v2, v2, v3
	s_delay_alu instid0(VALU_DEP_1) | instskip(SKIP_3) | instid1(VALU_DEP_2)
	v_mad_co_u64_u32 v[0:1], null, s41, ttmp7, v[1:2]
	v_mov_b32_e32 v1, 0
	v_bfe_u32 v3, v2, 16, 1
	v_cmp_o_f32_e32 vcc_lo, v2, v2
	v_add3_u32 v3, v2, v3, 0x7fff
	s_delay_alu instid0(VALU_DEP_4) | instskip(NEXT) | instid1(VALU_DEP_2)
	v_lshlrev_b64_e32 v[0:1], 1, v[0:1]
	v_lshrrev_b32_e32 v3, 16, v3
	s_wait_alu 0xfffd
	s_delay_alu instid0(VALU_DEP_1) | instskip(SKIP_1) | instid1(VALU_DEP_3)
	v_cndmask_b32_e32 v2, 0x7fc0, v3, vcc_lo
	s_wait_kmcnt 0x0
	v_add_co_u32 v0, vcc_lo, s30, v0
	s_wait_alu 0xfffd
	v_add_co_ci_u32_e64 v1, null, s31, v1, vcc_lo
	global_store_b16 v[0:1], v2, off
.LBB109_7:
	s_endpgm
	.section	.rodata,"a",@progbits
	.p2align	6, 0x0
	.amdhsa_kernel _ZL13mul_mat_vec_qIN3c108BFloat16ELi256ELi8E12block_iq2_xsLi1EXadL_ZL19vec_dot_iq2_xs_q8_1PKvPK10block_q8_1RKiEEEvS4_S4_PT_iii
		.amdhsa_group_segment_fixed_size 0
		.amdhsa_private_segment_fixed_size 0
		.amdhsa_kernarg_size 296
		.amdhsa_user_sgpr_count 2
		.amdhsa_user_sgpr_dispatch_ptr 0
		.amdhsa_user_sgpr_queue_ptr 0
		.amdhsa_user_sgpr_kernarg_segment_ptr 1
		.amdhsa_user_sgpr_dispatch_id 0
		.amdhsa_user_sgpr_private_segment_size 0
		.amdhsa_wavefront_size32 1
		.amdhsa_uses_dynamic_stack 0
		.amdhsa_enable_private_segment 0
		.amdhsa_system_sgpr_workgroup_id_x 1
		.amdhsa_system_sgpr_workgroup_id_y 1
		.amdhsa_system_sgpr_workgroup_id_z 0
		.amdhsa_system_sgpr_workgroup_info 0
		.amdhsa_system_vgpr_workitem_id 1
		.amdhsa_next_free_vgpr 94
		.amdhsa_next_free_sgpr 43
		.amdhsa_reserve_vcc 1
		.amdhsa_float_round_mode_32 0
		.amdhsa_float_round_mode_16_64 0
		.amdhsa_float_denorm_mode_32 3
		.amdhsa_float_denorm_mode_16_64 3
		.amdhsa_fp16_overflow 0
		.amdhsa_workgroup_processor_mode 1
		.amdhsa_memory_ordered 1
		.amdhsa_forward_progress 1
		.amdhsa_inst_pref_size 21
		.amdhsa_round_robin_scheduling 0
		.amdhsa_exception_fp_ieee_invalid_op 0
		.amdhsa_exception_fp_denorm_src 0
		.amdhsa_exception_fp_ieee_div_zero 0
		.amdhsa_exception_fp_ieee_overflow 0
		.amdhsa_exception_fp_ieee_underflow 0
		.amdhsa_exception_fp_ieee_inexact 0
		.amdhsa_exception_int_div_zero 0
	.end_amdhsa_kernel
	.section	.text._ZL13mul_mat_vec_qIN3c108BFloat16ELi256ELi8E12block_iq2_xsLi1EXadL_ZL19vec_dot_iq2_xs_q8_1PKvPK10block_q8_1RKiEEEvS4_S4_PT_iii,"axG",@progbits,_ZL13mul_mat_vec_qIN3c108BFloat16ELi256ELi8E12block_iq2_xsLi1EXadL_ZL19vec_dot_iq2_xs_q8_1PKvPK10block_q8_1RKiEEEvS4_S4_PT_iii,comdat
.Lfunc_end109:
	.size	_ZL13mul_mat_vec_qIN3c108BFloat16ELi256ELi8E12block_iq2_xsLi1EXadL_ZL19vec_dot_iq2_xs_q8_1PKvPK10block_q8_1RKiEEEvS4_S4_PT_iii, .Lfunc_end109-_ZL13mul_mat_vec_qIN3c108BFloat16ELi256ELi8E12block_iq2_xsLi1EXadL_ZL19vec_dot_iq2_xs_q8_1PKvPK10block_q8_1RKiEEEvS4_S4_PT_iii
                                        ; -- End function
	.set _ZL13mul_mat_vec_qIN3c108BFloat16ELi256ELi8E12block_iq2_xsLi1EXadL_ZL19vec_dot_iq2_xs_q8_1PKvPK10block_q8_1RKiEEEvS4_S4_PT_iii.num_vgpr, 94
	.set _ZL13mul_mat_vec_qIN3c108BFloat16ELi256ELi8E12block_iq2_xsLi1EXadL_ZL19vec_dot_iq2_xs_q8_1PKvPK10block_q8_1RKiEEEvS4_S4_PT_iii.num_agpr, 0
	.set _ZL13mul_mat_vec_qIN3c108BFloat16ELi256ELi8E12block_iq2_xsLi1EXadL_ZL19vec_dot_iq2_xs_q8_1PKvPK10block_q8_1RKiEEEvS4_S4_PT_iii.numbered_sgpr, 43
	.set _ZL13mul_mat_vec_qIN3c108BFloat16ELi256ELi8E12block_iq2_xsLi1EXadL_ZL19vec_dot_iq2_xs_q8_1PKvPK10block_q8_1RKiEEEvS4_S4_PT_iii.num_named_barrier, 0
	.set _ZL13mul_mat_vec_qIN3c108BFloat16ELi256ELi8E12block_iq2_xsLi1EXadL_ZL19vec_dot_iq2_xs_q8_1PKvPK10block_q8_1RKiEEEvS4_S4_PT_iii.private_seg_size, 0
	.set _ZL13mul_mat_vec_qIN3c108BFloat16ELi256ELi8E12block_iq2_xsLi1EXadL_ZL19vec_dot_iq2_xs_q8_1PKvPK10block_q8_1RKiEEEvS4_S4_PT_iii.uses_vcc, 1
	.set _ZL13mul_mat_vec_qIN3c108BFloat16ELi256ELi8E12block_iq2_xsLi1EXadL_ZL19vec_dot_iq2_xs_q8_1PKvPK10block_q8_1RKiEEEvS4_S4_PT_iii.uses_flat_scratch, 0
	.set _ZL13mul_mat_vec_qIN3c108BFloat16ELi256ELi8E12block_iq2_xsLi1EXadL_ZL19vec_dot_iq2_xs_q8_1PKvPK10block_q8_1RKiEEEvS4_S4_PT_iii.has_dyn_sized_stack, 0
	.set _ZL13mul_mat_vec_qIN3c108BFloat16ELi256ELi8E12block_iq2_xsLi1EXadL_ZL19vec_dot_iq2_xs_q8_1PKvPK10block_q8_1RKiEEEvS4_S4_PT_iii.has_recursion, 0
	.set _ZL13mul_mat_vec_qIN3c108BFloat16ELi256ELi8E12block_iq2_xsLi1EXadL_ZL19vec_dot_iq2_xs_q8_1PKvPK10block_q8_1RKiEEEvS4_S4_PT_iii.has_indirect_call, 0
	.section	.AMDGPU.csdata,"",@progbits
; Kernel info:
; codeLenInByte = 2584
; TotalNumSgprs: 45
; NumVgprs: 94
; ScratchSize: 0
; MemoryBound: 0
; FloatMode: 240
; IeeeMode: 1
; LDSByteSize: 0 bytes/workgroup (compile time only)
; SGPRBlocks: 0
; VGPRBlocks: 11
; NumSGPRsForWavesPerEU: 45
; NumVGPRsForWavesPerEU: 94
; Occupancy: 16
; WaveLimiterHint : 0
; COMPUTE_PGM_RSRC2:SCRATCH_EN: 0
; COMPUTE_PGM_RSRC2:USER_SGPR: 2
; COMPUTE_PGM_RSRC2:TRAP_HANDLER: 0
; COMPUTE_PGM_RSRC2:TGID_X_EN: 1
; COMPUTE_PGM_RSRC2:TGID_Y_EN: 1
; COMPUTE_PGM_RSRC2:TGID_Z_EN: 0
; COMPUTE_PGM_RSRC2:TIDIG_COMP_CNT: 1
	.section	.text._ZL13mul_mat_vec_qIN3c108BFloat16ELi256ELi8E13block_iq3_xxsLi1EXadL_ZL20vec_dot_iq3_xxs_q8_1PKvPK10block_q8_1RKiEEEvS4_S4_PT_iii,"axG",@progbits,_ZL13mul_mat_vec_qIN3c108BFloat16ELi256ELi8E13block_iq3_xxsLi1EXadL_ZL20vec_dot_iq3_xxs_q8_1PKvPK10block_q8_1RKiEEEvS4_S4_PT_iii,comdat
	.globl	_ZL13mul_mat_vec_qIN3c108BFloat16ELi256ELi8E13block_iq3_xxsLi1EXadL_ZL20vec_dot_iq3_xxs_q8_1PKvPK10block_q8_1RKiEEEvS4_S4_PT_iii ; -- Begin function _ZL13mul_mat_vec_qIN3c108BFloat16ELi256ELi8E13block_iq3_xxsLi1EXadL_ZL20vec_dot_iq3_xxs_q8_1PKvPK10block_q8_1RKiEEEvS4_S4_PT_iii
	.p2align	8
	.type	_ZL13mul_mat_vec_qIN3c108BFloat16ELi256ELi8E13block_iq3_xxsLi1EXadL_ZL20vec_dot_iq3_xxs_q8_1PKvPK10block_q8_1RKiEEEvS4_S4_PT_iii,@function
_ZL13mul_mat_vec_qIN3c108BFloat16ELi256ELi8E13block_iq3_xxsLi1EXadL_ZL20vec_dot_iq3_xxs_q8_1PKvPK10block_q8_1RKiEEEvS4_S4_PT_iii: ; @_ZL13mul_mat_vec_qIN3c108BFloat16ELi256ELi8E13block_iq3_xxsLi1EXadL_ZL20vec_dot_iq3_xxs_q8_1PKvPK10block_q8_1RKiEEEvS4_S4_PT_iii
; %bb.0:
	s_clause 0x1
	s_load_u16 s2, s[0:1], 0x36
	s_load_b96 s[4:6], s[0:1], 0x18
	v_bfe_u32 v1, v0, 10, 10
	s_wait_kmcnt 0x0
	s_delay_alu instid0(VALU_DEP_1)
	v_mad_co_u64_u32 v[1:2], null, ttmp9, s2, v[1:2]
	s_cmp_lt_u32 ttmp7, s6
	s_cselect_b32 s2, -1, 0
	v_cmp_gt_u32_e32 vcc_lo, s5, v1
	s_wait_alu 0xfffe
	s_and_b32 s2, s2, vcc_lo
	s_wait_alu 0xfffe
	s_and_saveexec_b32 s3, s2
	s_cbranch_execz .LBB110_9
; %bb.1:
	s_load_b64 s[6:7], s[0:1], 0x10
	s_ashr_i32 s2, s4, 31
	v_bfe_u32 v14, v0, 3, 7
	s_wait_alu 0xfffe
	s_lshr_b32 s2, s2, 24
	v_dual_mov_b32 v15, 0 :: v_dual_and_b32 v0, 0x3ff, v0
	s_wait_alu 0xfffe
	s_add_co_i32 s2, s4, s2
	s_mov_b32 s8, exec_lo
	s_wait_alu 0xfffe
	s_ashr_i32 s9, s2, 8
	s_delay_alu instid0(SALU_CYCLE_1)
	v_cmpx_gt_u32_e64 s9, v14
	s_cbranch_execz .LBB110_7
; %bb.2:
	s_load_b128 s[0:3], s[0:1], 0x0
	v_dual_mov_b32 v15, 0 :: v_dual_and_b32 v2, 7, v0
	s_addk_co_i32 s4, 0x1ff
	v_mul_lo_u32 v16, v1, s9
	s_wait_alu 0xfffe
	s_ashr_i32 s10, s4, 31
	v_lshlrev_b32_e32 v4, 3, v2
	s_lshr_b32 s10, s10, 23
	v_lshlrev_b32_e32 v8, 1, v2
	s_add_co_i32 s4, s4, s10
	s_mov_b32 s10, 0
	s_wait_alu 0xfffe
	s_ashr_i32 s4, s4, 9
	v_add_nc_u32_e32 v17, v14, v16
	s_wait_alu 0xfffe
	s_mul_i32 s4, ttmp7, s4
	v_lshlrev_b32_e32 v19, 1, v8
	s_wait_alu 0xfffe
	s_lshl_b32 s4, s4, 4
	s_getpc_b64 s[12:13]
	s_sext_i32_i16 s13, s13
	s_add_co_u32 s12, s12, _ZL11iq3xxs_grid@rel32@lo+8
	s_add_co_ci_u32 s13, s13, _ZL11iq3xxs_grid@rel32@hi+16
	s_wait_alu 0xfffe
	v_lshl_add_u32 v18, v14, 3, s4
	s_wait_kmcnt 0x0
	v_mad_co_u64_u32 v[2:3], null, v2, 36, s[2:3]
	v_add_co_u32 v4, s2, s0, v4
	s_wait_alu 0xf1ff
	v_add_co_ci_u32_e64 v5, null, s1, 0, s2
	s_delay_alu instid0(VALU_DEP_2) | instskip(NEXT) | instid1(VALU_DEP_1)
	v_add_co_u32 v4, vcc_lo, v4, 2
	v_add_co_ci_u32_e64 v5, null, 0, v5, vcc_lo
	v_add_co_u32 v6, vcc_lo, v2, 4
	s_wait_alu 0xfffd
	v_add_co_ci_u32_e64 v7, null, 0, v3, vcc_lo
.LBB110_3:                              ; =>This Loop Header: Depth=1
                                        ;     Child Loop BB110_4 Depth 2
	v_add_nc_u32_e32 v8, v14, v16
	v_mad_co_i64_i32 v[12:13], null, 0x62, v17, v[4:5]
	v_mov_b32_e32 v20, 0
	s_mov_b64 s[2:3], 0
	s_delay_alu instid0(VALU_DEP_3) | instskip(NEXT) | instid1(VALU_DEP_1)
	v_mad_co_i64_i32 v[8:9], null, 0x62, v8, s[0:1]
	v_add_co_u32 v10, vcc_lo, v8, v19
	s_wait_alu 0xfffd
	s_delay_alu instid0(VALU_DEP_2)
	v_add_co_ci_u32_e64 v11, null, 0, v9, vcc_lo
	global_load_b32 v21, v[10:11], off offset:66
	v_mad_co_i64_i32 v[10:11], null, v18, 36, v[6:7]
.LBB110_4:                              ;   Parent Loop BB110_3 Depth=1
                                        ; =>  This Inner Loop Header: Depth=2
	global_load_u16 v26, v[12:13], off
	s_wait_loadcnt 0x1
	v_and_b32_e32 v24, 0x7f, v21
	s_wait_alu 0xfffe
	v_add_co_u32 v22, vcc_lo, v10, s2
	s_getpc_b64 s[14:15]
	s_sext_i32_i16 s15, s15
	s_add_co_u32 s14, s14, _ZL8ksigns64@rel32@lo+8
	s_add_co_ci_u32 s15, s15, _ZL8ksigns64@rel32@hi+16
	s_wait_alu 0xfffd
	v_add_co_ci_u32_e64 v23, null, s3, v11, vcc_lo
	v_lshlrev_b32_e32 v24, 3, v24
	v_add_co_u32 v12, vcc_lo, v12, 2
	v_lshrrev_b32_e32 v21, 7, v21
	s_wait_alu 0xfffd
	v_add_co_ci_u32_e64 v13, null, 0, v13, vcc_lo
	global_load_b64 v[24:25], v24, s[14:15]
	s_add_nc_u64 s[2:3], s[2:3], 8
	s_wait_alu 0xfffe
	s_cmp_lg_u32 s2, 32
	s_wait_loadcnt 0x1
	v_lshrrev_b16 v27, 8, v26
	v_and_b32_e32 v26, 0xff, v26
	s_delay_alu instid0(VALU_DEP_2) | instskip(NEXT) | instid1(VALU_DEP_2)
	v_and_b32_e32 v27, 0xffff, v27
	v_lshlrev_b32_e32 v26, 2, v26
	s_delay_alu instid0(VALU_DEP_2)
	v_lshlrev_b32_e32 v27, 2, v27
	s_clause 0x1
	global_load_b32 v26, v26, s[12:13]
	global_load_b32 v27, v27, s[12:13]
	global_load_b64 v[22:23], v[22:23], off
	s_wait_loadcnt 0x3
	v_and_b32_e32 v35, 0xff0000, v24
	v_and_b32_e32 v34, 0xff000000, v24
	;; [unrolled: 1-line block ×6, first 2 shown]
	s_wait_loadcnt 0x2
	v_xor_b32_e32 v26, v24, v26
	s_wait_loadcnt 0x1
	v_xor_b32_e32 v27, v25, v27
	s_wait_loadcnt 0x0
	v_lshrrev_b16 v28, 8, v22
	v_lshrrev_b16 v29, 8, v23
	v_ashrrev_i32_e32 v32, 24, v23
	v_sub_nc_u32_e32 v35, v26, v35
	v_sub_nc_u32_e32 v24, v26, v24
	;; [unrolled: 1-line block ×6, first 2 shown]
	v_perm_b32 v24, v35, v24, 0xc060c00
	v_sub_nc_u32_e32 v35, v27, v38
	v_sub_nc_u32_e32 v27, v27, v37
	v_bfe_i32 v33, v23, 16, 8
	v_lshrrev_b16 v26, 8, v26
	v_ashrrev_i32_e32 v30, 24, v22
	v_perm_b32 v25, v35, v25, 0xc060c00
	v_lshrrev_b16 v35, 8, v36
	v_ashrrev_i32_e32 v27, 24, v27
	v_bfe_i32 v31, v22, 16, 8
	v_bfe_i32 v22, v22, 0, 8
	;; [unrolled: 1-line block ×6, first 2 shown]
	v_ashrrev_i32_e32 v34, 24, v34
	v_bfe_i32 v36, v24, 0, 8
	v_bfe_i32 v24, v24, 16, 8
	;; [unrolled: 1-line block ×5, first 2 shown]
	v_mul_i32_i24_e32 v27, v27, v32
	v_mul_i32_i24_e32 v32, v37, v33
	;; [unrolled: 1-line block ×6, first 2 shown]
	v_mad_i32_i24 v27, v34, v30, v27
	v_mad_i32_i24 v24, v24, v31, v32
	s_delay_alu instid0(VALU_DEP_2) | instskip(NEXT) | instid1(VALU_DEP_2)
	v_add3_u32 v25, v26, v25, v27
	v_add3_u32 v22, v22, v23, v24
	s_delay_alu instid0(VALU_DEP_1)
	v_add3_u32 v20, v22, v25, v20
	s_cbranch_scc1 .LBB110_4
; %bb.5:                                ;   in Loop: Header=BB110_3 Depth=1
	v_lshl_add_u32 v10, v14, 3, s4
	v_add_nc_u32_e32 v14, 4, v14
	v_add_nc_u32_e32 v18, 32, v18
	;; [unrolled: 1-line block ×3, first 2 shown]
	s_delay_alu instid0(VALU_DEP_4) | instskip(SKIP_4) | instid1(VALU_DEP_2)
	v_mad_co_i64_i32 v[10:11], null, v10, 36, v[2:3]
	global_load_u16 v8, v[8:9], off
	global_load_b32 v9, v[10:11], off
	v_cvt_f32_u32_e32 v10, v21
	v_cmp_le_u32_e32 vcc_lo, s9, v14
	v_add_f32_e32 v10, 0.5, v10
	s_or_b32 s10, vcc_lo, s10
	s_wait_loadcnt 0x1
	v_cvt_f32_f16_e32 v8, v8
	s_wait_loadcnt 0x0
	v_cvt_f32_f16_e32 v9, v9
	s_delay_alu instid0(VALU_DEP_2) | instskip(NEXT) | instid1(VALU_DEP_1)
	v_mul_f32_e32 v8, v10, v8
	v_mul_f32_e32 v8, v8, v9
	v_cvt_f32_i32_e32 v9, v20
	s_delay_alu instid0(VALU_DEP_2) | instskip(NEXT) | instid1(VALU_DEP_1)
	v_mul_f32_e32 v8, 0.5, v8
	v_fmac_f32_e32 v15, v8, v9
	s_and_not1_b32 exec_lo, exec_lo, s10
	s_cbranch_execnz .LBB110_3
; %bb.6:
	s_or_b32 exec_lo, exec_lo, s10
.LBB110_7:
	s_delay_alu instid0(SALU_CYCLE_1) | instskip(SKIP_1) | instid1(VALU_DEP_1)
	s_or_b32 exec_lo, exec_lo, s8
	v_mbcnt_lo_u32_b32 v2, -1, 0
	v_xor_b32_e32 v3, 16, v2
	v_xor_b32_e32 v4, 8, v2
	v_xor_b32_e32 v5, 4, v2
	s_delay_alu instid0(VALU_DEP_3)
	v_cmp_gt_i32_e32 vcc_lo, 32, v3
	s_wait_alu 0xfffd
	v_cndmask_b32_e32 v3, v2, v3, vcc_lo
	v_cmp_gt_i32_e32 vcc_lo, 32, v4
	s_wait_alu 0xfffd
	v_cndmask_b32_e32 v4, v2, v4, vcc_lo
	v_cmp_gt_i32_e32 vcc_lo, 32, v5
	s_delay_alu instid0(VALU_DEP_2)
	v_lshlrev_b32_e32 v4, 2, v4
	v_lshlrev_b32_e32 v3, 2, v3
	s_wait_alu 0xfffd
	v_cndmask_b32_e32 v5, v2, v5, vcc_lo
	ds_bpermute_b32 v3, v3, v15
	v_lshlrev_b32_e32 v5, 2, v5
	s_wait_dscnt 0x0
	v_add_f32_e32 v3, v15, v3
	ds_bpermute_b32 v4, v4, v3
	s_wait_dscnt 0x0
	v_add_f32_e32 v3, v3, v4
	ds_bpermute_b32 v4, v5, v3
	v_xor_b32_e32 v5, 2, v2
	s_delay_alu instid0(VALU_DEP_1) | instskip(SKIP_2) | instid1(VALU_DEP_1)
	v_cmp_gt_i32_e32 vcc_lo, 32, v5
	s_wait_alu 0xfffd
	v_cndmask_b32_e32 v5, v2, v5, vcc_lo
	v_lshlrev_b32_e32 v5, 2, v5
	s_wait_dscnt 0x0
	v_add_f32_e32 v3, v3, v4
	ds_bpermute_b32 v4, v5, v3
	v_xor_b32_e32 v5, 1, v2
	s_delay_alu instid0(VALU_DEP_1) | instskip(SKIP_4) | instid1(VALU_DEP_2)
	v_cmp_gt_i32_e32 vcc_lo, 32, v5
	s_wait_alu 0xfffd
	v_cndmask_b32_e32 v5, v2, v5, vcc_lo
	v_cmp_eq_u32_e32 vcc_lo, 0, v0
	s_wait_dscnt 0x0
	v_dual_add_f32 v2, v3, v4 :: v_dual_lshlrev_b32 v3, 2, v5
	ds_bpermute_b32 v3, v3, v2
	s_and_b32 exec_lo, exec_lo, vcc_lo
	s_cbranch_execz .LBB110_9
; %bb.8:
	s_wait_dscnt 0x0
	v_add_f32_e32 v2, v2, v3
	s_delay_alu instid0(VALU_DEP_1) | instskip(SKIP_3) | instid1(VALU_DEP_2)
	v_mad_co_u64_u32 v[0:1], null, s5, ttmp7, v[1:2]
	v_mov_b32_e32 v1, 0
	v_bfe_u32 v3, v2, 16, 1
	v_cmp_o_f32_e32 vcc_lo, v2, v2
	v_add3_u32 v3, v2, v3, 0x7fff
	s_delay_alu instid0(VALU_DEP_4) | instskip(NEXT) | instid1(VALU_DEP_2)
	v_lshlrev_b64_e32 v[0:1], 1, v[0:1]
	v_lshrrev_b32_e32 v3, 16, v3
	s_wait_alu 0xfffd
	s_delay_alu instid0(VALU_DEP_1) | instskip(SKIP_1) | instid1(VALU_DEP_3)
	v_cndmask_b32_e32 v2, 0x7fc0, v3, vcc_lo
	s_wait_kmcnt 0x0
	v_add_co_u32 v0, vcc_lo, s6, v0
	s_wait_alu 0xfffd
	v_add_co_ci_u32_e64 v1, null, s7, v1, vcc_lo
	global_store_b16 v[0:1], v2, off
.LBB110_9:
	s_endpgm
	.section	.rodata,"a",@progbits
	.p2align	6, 0x0
	.amdhsa_kernel _ZL13mul_mat_vec_qIN3c108BFloat16ELi256ELi8E13block_iq3_xxsLi1EXadL_ZL20vec_dot_iq3_xxs_q8_1PKvPK10block_q8_1RKiEEEvS4_S4_PT_iii
		.amdhsa_group_segment_fixed_size 0
		.amdhsa_private_segment_fixed_size 0
		.amdhsa_kernarg_size 296
		.amdhsa_user_sgpr_count 2
		.amdhsa_user_sgpr_dispatch_ptr 0
		.amdhsa_user_sgpr_queue_ptr 0
		.amdhsa_user_sgpr_kernarg_segment_ptr 1
		.amdhsa_user_sgpr_dispatch_id 0
		.amdhsa_user_sgpr_private_segment_size 0
		.amdhsa_wavefront_size32 1
		.amdhsa_uses_dynamic_stack 0
		.amdhsa_enable_private_segment 0
		.amdhsa_system_sgpr_workgroup_id_x 1
		.amdhsa_system_sgpr_workgroup_id_y 1
		.amdhsa_system_sgpr_workgroup_id_z 0
		.amdhsa_system_sgpr_workgroup_info 0
		.amdhsa_system_vgpr_workitem_id 1
		.amdhsa_next_free_vgpr 40
		.amdhsa_next_free_sgpr 16
		.amdhsa_reserve_vcc 1
		.amdhsa_float_round_mode_32 0
		.amdhsa_float_round_mode_16_64 0
		.amdhsa_float_denorm_mode_32 3
		.amdhsa_float_denorm_mode_16_64 3
		.amdhsa_fp16_overflow 0
		.amdhsa_workgroup_processor_mode 1
		.amdhsa_memory_ordered 1
		.amdhsa_forward_progress 1
		.amdhsa_inst_pref_size 12
		.amdhsa_round_robin_scheduling 0
		.amdhsa_exception_fp_ieee_invalid_op 0
		.amdhsa_exception_fp_denorm_src 0
		.amdhsa_exception_fp_ieee_div_zero 0
		.amdhsa_exception_fp_ieee_overflow 0
		.amdhsa_exception_fp_ieee_underflow 0
		.amdhsa_exception_fp_ieee_inexact 0
		.amdhsa_exception_int_div_zero 0
	.end_amdhsa_kernel
	.section	.text._ZL13mul_mat_vec_qIN3c108BFloat16ELi256ELi8E13block_iq3_xxsLi1EXadL_ZL20vec_dot_iq3_xxs_q8_1PKvPK10block_q8_1RKiEEEvS4_S4_PT_iii,"axG",@progbits,_ZL13mul_mat_vec_qIN3c108BFloat16ELi256ELi8E13block_iq3_xxsLi1EXadL_ZL20vec_dot_iq3_xxs_q8_1PKvPK10block_q8_1RKiEEEvS4_S4_PT_iii,comdat
.Lfunc_end110:
	.size	_ZL13mul_mat_vec_qIN3c108BFloat16ELi256ELi8E13block_iq3_xxsLi1EXadL_ZL20vec_dot_iq3_xxs_q8_1PKvPK10block_q8_1RKiEEEvS4_S4_PT_iii, .Lfunc_end110-_ZL13mul_mat_vec_qIN3c108BFloat16ELi256ELi8E13block_iq3_xxsLi1EXadL_ZL20vec_dot_iq3_xxs_q8_1PKvPK10block_q8_1RKiEEEvS4_S4_PT_iii
                                        ; -- End function
	.set _ZL13mul_mat_vec_qIN3c108BFloat16ELi256ELi8E13block_iq3_xxsLi1EXadL_ZL20vec_dot_iq3_xxs_q8_1PKvPK10block_q8_1RKiEEEvS4_S4_PT_iii.num_vgpr, 40
	.set _ZL13mul_mat_vec_qIN3c108BFloat16ELi256ELi8E13block_iq3_xxsLi1EXadL_ZL20vec_dot_iq3_xxs_q8_1PKvPK10block_q8_1RKiEEEvS4_S4_PT_iii.num_agpr, 0
	.set _ZL13mul_mat_vec_qIN3c108BFloat16ELi256ELi8E13block_iq3_xxsLi1EXadL_ZL20vec_dot_iq3_xxs_q8_1PKvPK10block_q8_1RKiEEEvS4_S4_PT_iii.numbered_sgpr, 16
	.set _ZL13mul_mat_vec_qIN3c108BFloat16ELi256ELi8E13block_iq3_xxsLi1EXadL_ZL20vec_dot_iq3_xxs_q8_1PKvPK10block_q8_1RKiEEEvS4_S4_PT_iii.num_named_barrier, 0
	.set _ZL13mul_mat_vec_qIN3c108BFloat16ELi256ELi8E13block_iq3_xxsLi1EXadL_ZL20vec_dot_iq3_xxs_q8_1PKvPK10block_q8_1RKiEEEvS4_S4_PT_iii.private_seg_size, 0
	.set _ZL13mul_mat_vec_qIN3c108BFloat16ELi256ELi8E13block_iq3_xxsLi1EXadL_ZL20vec_dot_iq3_xxs_q8_1PKvPK10block_q8_1RKiEEEvS4_S4_PT_iii.uses_vcc, 1
	.set _ZL13mul_mat_vec_qIN3c108BFloat16ELi256ELi8E13block_iq3_xxsLi1EXadL_ZL20vec_dot_iq3_xxs_q8_1PKvPK10block_q8_1RKiEEEvS4_S4_PT_iii.uses_flat_scratch, 0
	.set _ZL13mul_mat_vec_qIN3c108BFloat16ELi256ELi8E13block_iq3_xxsLi1EXadL_ZL20vec_dot_iq3_xxs_q8_1PKvPK10block_q8_1RKiEEEvS4_S4_PT_iii.has_dyn_sized_stack, 0
	.set _ZL13mul_mat_vec_qIN3c108BFloat16ELi256ELi8E13block_iq3_xxsLi1EXadL_ZL20vec_dot_iq3_xxs_q8_1PKvPK10block_q8_1RKiEEEvS4_S4_PT_iii.has_recursion, 0
	.set _ZL13mul_mat_vec_qIN3c108BFloat16ELi256ELi8E13block_iq3_xxsLi1EXadL_ZL20vec_dot_iq3_xxs_q8_1PKvPK10block_q8_1RKiEEEvS4_S4_PT_iii.has_indirect_call, 0
	.section	.AMDGPU.csdata,"",@progbits
; Kernel info:
; codeLenInByte = 1448
; TotalNumSgprs: 18
; NumVgprs: 40
; ScratchSize: 0
; MemoryBound: 0
; FloatMode: 240
; IeeeMode: 1
; LDSByteSize: 0 bytes/workgroup (compile time only)
; SGPRBlocks: 0
; VGPRBlocks: 4
; NumSGPRsForWavesPerEU: 18
; NumVGPRsForWavesPerEU: 40
; Occupancy: 16
; WaveLimiterHint : 0
; COMPUTE_PGM_RSRC2:SCRATCH_EN: 0
; COMPUTE_PGM_RSRC2:USER_SGPR: 2
; COMPUTE_PGM_RSRC2:TRAP_HANDLER: 0
; COMPUTE_PGM_RSRC2:TGID_X_EN: 1
; COMPUTE_PGM_RSRC2:TGID_Y_EN: 1
; COMPUTE_PGM_RSRC2:TGID_Z_EN: 0
; COMPUTE_PGM_RSRC2:TIDIG_COMP_CNT: 1
	.section	.text._ZL13mul_mat_vec_qIN3c108BFloat16ELi256ELi8E11block_iq1_sLi1EXadL_ZL18vec_dot_iq1_s_q8_1PKvPK10block_q8_1RKiEEEvS4_S4_PT_iii,"axG",@progbits,_ZL13mul_mat_vec_qIN3c108BFloat16ELi256ELi8E11block_iq1_sLi1EXadL_ZL18vec_dot_iq1_s_q8_1PKvPK10block_q8_1RKiEEEvS4_S4_PT_iii,comdat
	.globl	_ZL13mul_mat_vec_qIN3c108BFloat16ELi256ELi8E11block_iq1_sLi1EXadL_ZL18vec_dot_iq1_s_q8_1PKvPK10block_q8_1RKiEEEvS4_S4_PT_iii ; -- Begin function _ZL13mul_mat_vec_qIN3c108BFloat16ELi256ELi8E11block_iq1_sLi1EXadL_ZL18vec_dot_iq1_s_q8_1PKvPK10block_q8_1RKiEEEvS4_S4_PT_iii
	.p2align	8
	.type	_ZL13mul_mat_vec_qIN3c108BFloat16ELi256ELi8E11block_iq1_sLi1EXadL_ZL18vec_dot_iq1_s_q8_1PKvPK10block_q8_1RKiEEEvS4_S4_PT_iii,@function
_ZL13mul_mat_vec_qIN3c108BFloat16ELi256ELi8E11block_iq1_sLi1EXadL_ZL18vec_dot_iq1_s_q8_1PKvPK10block_q8_1RKiEEEvS4_S4_PT_iii: ; @_ZL13mul_mat_vec_qIN3c108BFloat16ELi256ELi8E11block_iq1_sLi1EXadL_ZL18vec_dot_iq1_s_q8_1PKvPK10block_q8_1RKiEEEvS4_S4_PT_iii
; %bb.0:
	s_clause 0x1
	s_load_u16 s2, s[0:1], 0x36
	s_load_b96 s[4:6], s[0:1], 0x18
	v_bfe_u32 v1, v0, 10, 10
	s_wait_kmcnt 0x0
	s_delay_alu instid0(VALU_DEP_1)
	v_mad_co_u64_u32 v[1:2], null, ttmp9, s2, v[1:2]
	s_cmp_lt_u32 ttmp7, s6
	s_cselect_b32 s2, -1, 0
	v_cmp_gt_u32_e32 vcc_lo, s5, v1
	s_wait_alu 0xfffe
	s_and_b32 s2, s2, vcc_lo
	s_wait_alu 0xfffe
	s_and_saveexec_b32 s3, s2
	s_cbranch_execz .LBB111_7
; %bb.1:
	s_load_b64 s[6:7], s[0:1], 0x10
	s_ashr_i32 s2, s4, 31
	v_bfe_u32 v4, v0, 3, 7
	s_wait_alu 0xfffe
	s_lshr_b32 s2, s2, 24
	v_dual_mov_b32 v5, 0 :: v_dual_and_b32 v0, 0x3ff, v0
	s_wait_alu 0xfffe
	s_add_co_i32 s2, s4, s2
	s_mov_b32 s8, exec_lo
	s_wait_alu 0xfffe
	s_ashr_i32 s9, s2, 8
	s_delay_alu instid0(SALU_CYCLE_1)
	v_cmpx_gt_u32_e64 s9, v4
	s_cbranch_execz .LBB111_5
; %bb.2:
	s_load_b128 s[0:3], s[0:1], 0x0
	s_addk_co_i32 s4, 0x1ff
	v_and_b32_e32 v9, 7, v0
	s_wait_alu 0xfffe
	s_ashr_i32 s10, s4, 31
	v_lshlrev_b32_e32 v7, 3, v4
	s_lshr_b32 s10, s10, 23
	v_mul_lo_u32 v6, v1, s9
	s_add_co_i32 s4, s4, s10
	v_dual_mov_b32 v5, 0 :: v_dual_lshlrev_b32 v8, 1, v9
	s_wait_alu 0xfffe
	s_ashr_i32 s4, s4, 9
	s_mov_b32 s10, 0xb7000000
	s_wait_alu 0xfffe
	s_mul_i32 s4, ttmp7, s4
	v_lshlrev_b32_e32 v8, 1, v8
	s_wait_alu 0xfffe
	v_lshl_add_u32 v7, s4, 4, v7
	s_mov_b32 s4, 0
	s_wait_kmcnt 0x0
	v_mad_co_u64_u32 v[2:3], null, v9, 36, s[2:3]
	v_lshlrev_b32_e32 v9, 1, v9
.LBB111_3:                              ; =>This Inner Loop Header: Depth=1
	v_add_nc_u32_e32 v10, v6, v4
	s_delay_alu instid0(VALU_DEP_3)
	v_mad_co_i64_i32 v[20:21], null, v7, 36, v[2:3]
	s_getpc_b64 s[2:3]
	s_wait_alu 0xfffe
	s_sext_i32_i16 s3, s3
	s_add_co_u32 s2, s2, _ZL13iq1s_grid_gpu@rel32@lo+12
	s_wait_alu 0xfffe
	s_add_co_ci_u32 s3, s3, _ZL13iq1s_grid_gpu@rel32@hi+24
	v_add_nc_u32_e32 v4, 4, v4
	v_mad_co_i64_i32 v[18:19], null, v10, 50, s[0:1]
	v_add_nc_u32_e32 v7, 32, v7
	s_delay_alu instid0(VALU_DEP_2) | instskip(SKIP_1) | instid1(VALU_DEP_3)
	v_add_co_u32 v10, vcc_lo, v18, v8
	s_wait_alu 0xfffd
	v_add_co_ci_u32_e64 v11, null, 0, v19, vcc_lo
	v_add_co_u32 v12, vcc_lo, v18, v9
	s_wait_alu 0xfffd
	v_add_co_ci_u32_e64 v13, null, 0, v19, vcc_lo
	s_clause 0x1
	global_load_b32 v22, v[10:11], off offset:2
	global_load_u16 v23, v[12:13], off offset:34
	s_clause 0x1
	global_load_b128 v[10:13], v[20:21], off offset:4
	global_load_b128 v[14:17], v[20:21], off offset:20
	global_load_u16 v18, v[18:19], off
	v_cmp_le_u32_e32 vcc_lo, s9, v4
	s_or_b32 s4, vcc_lo, s4
	s_wait_loadcnt 0x2
	v_ashrrev_i32_e32 v31, 24, v11
	v_and_b32_e32 v24, 0xff, v22
	v_lshlrev_b32_e32 v25, 8, v23
	v_bfe_u32 v26, v22, 8, 8
	v_lshlrev_b32_e32 v27, 5, v23
	v_lshrrev_b32_e32 v19, 24, v22
	v_bfe_u32 v22, v22, 16, 8
	v_lshlrev_b32_e32 v28, 2, v23
	v_lshrrev_b32_e32 v29, 1, v23
	v_and_or_b32 v24, 0x700, v25, v24
	v_and_or_b32 v25, 0x700, v27, v26
	v_lshrrev_b16 v26, 8, v11
	v_and_or_b32 v22, 0x700, v28, v22
	v_and_or_b32 v19, 0x700, v29, v19
	v_lshlrev_b32_e32 v24, 3, v24
	v_lshlrev_b32_e32 v25, 3, v25
	v_bfe_i32 v32, v11, 16, 8
	v_lshlrev_b32_e32 v22, 3, v22
	v_lshlrev_b32_e32 v19, 3, v19
	s_clause 0x3
	global_load_b32 v24, v24, s[2:3]
	global_load_b32 v25, v25, s[2:3]
	global_load_b32 v22, v22, s[2:3]
	global_load_b32 v19, v19, s[2:3]
	global_load_b32 v20, v[20:21], off
	v_bfe_i32 v11, v11, 0, 8
	s_wait_loadcnt 0x6
	v_lshrrev_b16 v40, 8, v17
	v_ashrrev_i32_e32 v47, 24, v17
	v_bfe_i32 v48, v17, 16, 8
	v_bfe_i32 v17, v17, 0, 8
	v_lshrrev_b16 v21, 8, v10
	v_lshrrev_b16 v27, 8, v12
	;; [unrolled: 1-line block ×3, first 2 shown]
	v_bfe_i32 v29, v10, 16, 8
	v_ashrrev_i32_e32 v35, 24, v13
	v_bfe_i32 v36, v13, 16, 8
	v_bfe_i32 v13, v13, 0, 8
	;; [unrolled: 1-line block ×3, first 2 shown]
	v_ashrrev_i32_e32 v10, 24, v10
	v_ashrrev_i32_e32 v33, 24, v12
	v_lshrrev_b16 v37, 8, v14
	v_lshrrev_b16 v38, 8, v15
	v_ashrrev_i32_e32 v43, 24, v15
	v_bfe_i32 v44, v15, 16, 8
	v_bfe_i32 v15, v15, 0, 8
	;; [unrolled: 1-line block ×7, first 2 shown]
	v_lshrrev_b16 v39, 8, v16
	v_ashrrev_i32_e32 v41, 24, v14
	v_bfe_i32 v28, v28, 0, 8
	v_bfe_i32 v37, v37, 0, 8
	;; [unrolled: 1-line block ×4, first 2 shown]
	v_ashrrev_i32_e32 v45, 24, v16
	v_bfe_i32 v38, v38, 0, 8
	v_bfe_i32 v39, v39, 0, 8
	;; [unrolled: 1-line block ×5, first 2 shown]
	s_wait_loadcnt 0x4
	v_lshrrev_b32_e32 v51, 4, v24
	v_bfe_u32 v49, v24, 24, 4
	v_and_b32_e32 v50, 0xf0f0f0f, v24
	v_lshrrev_b32_e32 v52, 28, v24
	v_bfe_u32 v53, v24, 16, 4
	v_and_b32_e32 v54, 15, v24
	v_bfe_u32 v55, v24, 20, 4
	v_bfe_u32 v24, v24, 4, 4
	s_wait_loadcnt 0x3
	v_and_b32_e32 v57, 0xf0f0f0f, v25
	v_lshrrev_b32_e32 v58, 4, v25
	s_wait_loadcnt 0x1
	v_bfe_u32 v70, v19, 24, 4
	v_and_b32_e32 v71, 0xf0f0f0f, v19
	v_lshrrev_b32_e32 v72, 4, v19
	v_lshrrev_b32_e32 v73, 28, v19
	v_bfe_u32 v74, v19, 16, 4
	v_and_b32_e32 v75, 15, v19
	v_bfe_u32 v76, v19, 20, 4
	v_bfe_u32 v19, v19, 4, 4
	v_lshrrev_b16 v51, 8, v51
	v_bfe_u32 v56, v25, 24, 4
	v_lshrrev_b32_e32 v59, 28, v25
	v_bfe_u32 v60, v25, 16, 4
	v_and_b32_e32 v61, 15, v25
	v_bfe_u32 v62, v25, 20, 4
	v_bfe_u32 v25, v25, 4, 4
	v_and_b32_e32 v64, 0xf0f0f0f, v22
	v_lshrrev_b32_e32 v65, 4, v22
	v_lshrrev_b16 v50, 8, v50
	v_mul_i32_i24_e32 v11, v24, v11
	v_mul_i32_i24_e32 v24, v55, v32
	;; [unrolled: 1-line block ×3, first 2 shown]
	v_lshrrev_b16 v32, 8, v57
	v_lshrrev_b16 v52, 8, v58
	v_mul_i32_i24_e32 v17, v19, v17
	v_mul_i32_i24_e32 v19, v76, v48
	v_and_b32_e32 v48, 15, v51
	v_bfe_u32 v63, v22, 24, 4
	v_lshrrev_b32_e32 v66, 28, v22
	v_bfe_u32 v67, v22, 16, 4
	v_and_b32_e32 v68, 15, v22
	v_bfe_u32 v69, v22, 20, 4
	v_bfe_u32 v22, v22, 4, 4
	v_mul_i32_i24_e32 v13, v25, v13
	v_mul_i32_i24_e32 v25, v62, v36
	v_lshrrev_b16 v36, 8, v64
	v_lshrrev_b16 v55, 8, v65
	v_and_b32_e32 v50, 0xffff, v50
	v_and_b32_e32 v51, 15, v52
	;; [unrolled: 1-line block ×3, first 2 shown]
	v_mad_i32_i24 v24, v53, v29, v24
	v_and_b32_e32 v29, 0xffff, v48
	v_mul_i32_i24_e32 v33, v33, v56
	v_mul_i32_i24_e32 v35, v59, v35
	;; [unrolled: 1-line block ×4, first 2 shown]
	v_lshrrev_b16 v44, 8, v71
	v_lshrrev_b16 v56, 8, v72
	v_and_b32_e32 v52, 15, v55
	v_and_b32_e32 v36, 0xffff, v36
	v_mad_i32_i24 v10, v49, v10, v31
	v_mad_i32_i24 v11, v54, v30, v11
	v_mul_i32_i24_e32 v21, v50, v21
	v_mul_i32_i24_e32 v27, v27, v32
	v_and_b32_e32 v30, 0xffff, v51
	v_mul_i32_i24_e32 v26, v29, v26
	v_mul_i32_i24_e32 v12, v12, v61
	;; [unrolled: 1-line block ×5, first 2 shown]
	v_and_b32_e32 v55, 15, v56
	v_and_b32_e32 v44, 0xffff, v44
	v_mul_i32_i24_e32 v31, v37, v36
	v_and_b32_e32 v32, 0xffff, v52
	v_add3_u32 v10, v10, v33, v35
	v_mul_i32_i24_e32 v28, v30, v28
	v_add3_u32 v21, v21, v26, v27
	v_mul_i32_i24_e32 v14, v14, v68
	v_mul_i32_i24_e32 v42, v42, v67
	;; [unrolled: 1-line block ×5, first 2 shown]
	v_and_b32_e32 v36, 0xffff, v55
	v_add3_u32 v24, v24, v34, v25
	v_add3_u32 v11, v11, v12, v13
	v_mul_i32_i24_e32 v12, v32, v38
	v_add3_u32 v10, v10, v41, v43
	v_add3_u32 v13, v21, v28, v31
	v_mul_i32_i24_e32 v16, v16, v75
	v_mul_i32_i24_e32 v46, v46, v74
	;; [unrolled: 1-line block ×3, first 2 shown]
	v_add3_u32 v11, v11, v14, v15
	v_add3_u32 v14, v24, v42, v22
	;; [unrolled: 1-line block ×4, first 2 shown]
	s_delay_alu instid0(VALU_DEP_4) | instskip(NEXT) | instid1(VALU_DEP_4)
	v_add3_u32 v11, v11, v16, v17
	v_add3_u32 v13, v14, v46, v19
	v_and_b32_e32 v14, 0x8000, v23
	s_delay_alu instid0(VALU_DEP_4) | instskip(SKIP_1) | instid1(VALU_DEP_2)
	v_add3_u32 v10, v12, v21, v10
	v_lshrrev_b32_e32 v12, 11, v23
	v_add3_u32 v10, v11, v13, v10
	s_wait_loadcnt 0x0
	v_cvt_f32_f16_e32 v11, v20
	s_delay_alu instid0(VALU_DEP_3) | instskip(SKIP_3) | instid1(VALU_DEP_4)
	v_and_or_b32 v12, v12, 14, 1
	v_cvt_f32_u32_e32 v13, v14
	v_cvt_f32_f16_e32 v14, v18
	v_cvt_f32_i32_e32 v10, v10
	v_cvt_f32_ubyte0_e32 v12, v12
	s_delay_alu instid0(VALU_DEP_2) | instskip(NEXT) | instid1(VALU_DEP_2)
	v_dual_fmaak_f32 v13, s10, v13, 0xbf600000 :: v_dual_mul_f32 v10, v11, v10
	v_mul_f32_e32 v11, v12, v14
	s_delay_alu instid0(VALU_DEP_2) | instskip(NEXT) | instid1(VALU_DEP_1)
	v_fma_mix_f32 v10, v13, v20, v10 op_sel:[0,1,0] op_sel_hi:[0,1,0]
	v_fmac_f32_e32 v5, v11, v10
	s_wait_alu 0xfffe
	s_and_not1_b32 exec_lo, exec_lo, s4
	s_cbranch_execnz .LBB111_3
; %bb.4:
	s_or_b32 exec_lo, exec_lo, s4
.LBB111_5:
	s_delay_alu instid0(SALU_CYCLE_1) | instskip(SKIP_1) | instid1(VALU_DEP_1)
	s_or_b32 exec_lo, exec_lo, s8
	v_mbcnt_lo_u32_b32 v2, -1, 0
	v_xor_b32_e32 v3, 16, v2
	v_xor_b32_e32 v4, 8, v2
	s_delay_alu instid0(VALU_DEP_2) | instskip(SKIP_2) | instid1(VALU_DEP_3)
	v_cmp_gt_i32_e32 vcc_lo, 32, v3
	s_wait_alu 0xfffd
	v_cndmask_b32_e32 v3, v2, v3, vcc_lo
	v_cmp_gt_i32_e32 vcc_lo, 32, v4
	s_wait_alu 0xfffd
	v_cndmask_b32_e32 v4, v2, v4, vcc_lo
	s_delay_alu instid0(VALU_DEP_1)
	v_lshlrev_b32_e32 v4, 2, v4
	v_lshlrev_b32_e32 v3, 2, v3
	ds_bpermute_b32 v3, v3, v5
	s_wait_dscnt 0x0
	v_add_f32_e32 v3, v5, v3
	v_xor_b32_e32 v5, 4, v2
	ds_bpermute_b32 v4, v4, v3
	v_cmp_gt_i32_e32 vcc_lo, 32, v5
	s_wait_alu 0xfffd
	v_cndmask_b32_e32 v5, v2, v5, vcc_lo
	s_delay_alu instid0(VALU_DEP_1) | instskip(SKIP_4) | instid1(VALU_DEP_1)
	v_lshlrev_b32_e32 v5, 2, v5
	s_wait_dscnt 0x0
	v_add_f32_e32 v3, v3, v4
	ds_bpermute_b32 v4, v5, v3
	v_xor_b32_e32 v5, 2, v2
	v_cmp_gt_i32_e32 vcc_lo, 32, v5
	s_wait_alu 0xfffd
	v_cndmask_b32_e32 v5, v2, v5, vcc_lo
	s_delay_alu instid0(VALU_DEP_1) | instskip(SKIP_4) | instid1(VALU_DEP_1)
	v_lshlrev_b32_e32 v5, 2, v5
	s_wait_dscnt 0x0
	v_add_f32_e32 v3, v3, v4
	ds_bpermute_b32 v4, v5, v3
	v_xor_b32_e32 v5, 1, v2
	v_cmp_gt_i32_e32 vcc_lo, 32, v5
	s_wait_alu 0xfffd
	v_cndmask_b32_e32 v5, v2, v5, vcc_lo
	v_cmp_eq_u32_e32 vcc_lo, 0, v0
	s_wait_dscnt 0x0
	s_delay_alu instid0(VALU_DEP_2)
	v_dual_add_f32 v2, v3, v4 :: v_dual_lshlrev_b32 v3, 2, v5
	ds_bpermute_b32 v3, v3, v2
	s_and_b32 exec_lo, exec_lo, vcc_lo
	s_cbranch_execz .LBB111_7
; %bb.6:
	s_wait_dscnt 0x0
	v_add_f32_e32 v2, v2, v3
	s_delay_alu instid0(VALU_DEP_1) | instskip(SKIP_3) | instid1(VALU_DEP_2)
	v_mad_co_u64_u32 v[0:1], null, s5, ttmp7, v[1:2]
	v_mov_b32_e32 v1, 0
	v_bfe_u32 v3, v2, 16, 1
	v_cmp_o_f32_e32 vcc_lo, v2, v2
	v_add3_u32 v3, v2, v3, 0x7fff
	s_delay_alu instid0(VALU_DEP_4) | instskip(NEXT) | instid1(VALU_DEP_2)
	v_lshlrev_b64_e32 v[0:1], 1, v[0:1]
	v_lshrrev_b32_e32 v3, 16, v3
	s_wait_alu 0xfffd
	s_delay_alu instid0(VALU_DEP_1) | instskip(SKIP_1) | instid1(VALU_DEP_3)
	v_cndmask_b32_e32 v2, 0x7fc0, v3, vcc_lo
	s_wait_kmcnt 0x0
	v_add_co_u32 v0, vcc_lo, s6, v0
	s_wait_alu 0xfffd
	v_add_co_ci_u32_e64 v1, null, s7, v1, vcc_lo
	global_store_b16 v[0:1], v2, off
.LBB111_7:
	s_endpgm
	.section	.rodata,"a",@progbits
	.p2align	6, 0x0
	.amdhsa_kernel _ZL13mul_mat_vec_qIN3c108BFloat16ELi256ELi8E11block_iq1_sLi1EXadL_ZL18vec_dot_iq1_s_q8_1PKvPK10block_q8_1RKiEEEvS4_S4_PT_iii
		.amdhsa_group_segment_fixed_size 0
		.amdhsa_private_segment_fixed_size 0
		.amdhsa_kernarg_size 296
		.amdhsa_user_sgpr_count 2
		.amdhsa_user_sgpr_dispatch_ptr 0
		.amdhsa_user_sgpr_queue_ptr 0
		.amdhsa_user_sgpr_kernarg_segment_ptr 1
		.amdhsa_user_sgpr_dispatch_id 0
		.amdhsa_user_sgpr_private_segment_size 0
		.amdhsa_wavefront_size32 1
		.amdhsa_uses_dynamic_stack 0
		.amdhsa_enable_private_segment 0
		.amdhsa_system_sgpr_workgroup_id_x 1
		.amdhsa_system_sgpr_workgroup_id_y 1
		.amdhsa_system_sgpr_workgroup_id_z 0
		.amdhsa_system_sgpr_workgroup_info 0
		.amdhsa_system_vgpr_workitem_id 1
		.amdhsa_next_free_vgpr 77
		.amdhsa_next_free_sgpr 11
		.amdhsa_reserve_vcc 1
		.amdhsa_float_round_mode_32 0
		.amdhsa_float_round_mode_16_64 0
		.amdhsa_float_denorm_mode_32 3
		.amdhsa_float_denorm_mode_16_64 3
		.amdhsa_fp16_overflow 0
		.amdhsa_workgroup_processor_mode 1
		.amdhsa_memory_ordered 1
		.amdhsa_forward_progress 1
		.amdhsa_inst_pref_size 16
		.amdhsa_round_robin_scheduling 0
		.amdhsa_exception_fp_ieee_invalid_op 0
		.amdhsa_exception_fp_denorm_src 0
		.amdhsa_exception_fp_ieee_div_zero 0
		.amdhsa_exception_fp_ieee_overflow 0
		.amdhsa_exception_fp_ieee_underflow 0
		.amdhsa_exception_fp_ieee_inexact 0
		.amdhsa_exception_int_div_zero 0
	.end_amdhsa_kernel
	.section	.text._ZL13mul_mat_vec_qIN3c108BFloat16ELi256ELi8E11block_iq1_sLi1EXadL_ZL18vec_dot_iq1_s_q8_1PKvPK10block_q8_1RKiEEEvS4_S4_PT_iii,"axG",@progbits,_ZL13mul_mat_vec_qIN3c108BFloat16ELi256ELi8E11block_iq1_sLi1EXadL_ZL18vec_dot_iq1_s_q8_1PKvPK10block_q8_1RKiEEEvS4_S4_PT_iii,comdat
.Lfunc_end111:
	.size	_ZL13mul_mat_vec_qIN3c108BFloat16ELi256ELi8E11block_iq1_sLi1EXadL_ZL18vec_dot_iq1_s_q8_1PKvPK10block_q8_1RKiEEEvS4_S4_PT_iii, .Lfunc_end111-_ZL13mul_mat_vec_qIN3c108BFloat16ELi256ELi8E11block_iq1_sLi1EXadL_ZL18vec_dot_iq1_s_q8_1PKvPK10block_q8_1RKiEEEvS4_S4_PT_iii
                                        ; -- End function
	.set _ZL13mul_mat_vec_qIN3c108BFloat16ELi256ELi8E11block_iq1_sLi1EXadL_ZL18vec_dot_iq1_s_q8_1PKvPK10block_q8_1RKiEEEvS4_S4_PT_iii.num_vgpr, 77
	.set _ZL13mul_mat_vec_qIN3c108BFloat16ELi256ELi8E11block_iq1_sLi1EXadL_ZL18vec_dot_iq1_s_q8_1PKvPK10block_q8_1RKiEEEvS4_S4_PT_iii.num_agpr, 0
	.set _ZL13mul_mat_vec_qIN3c108BFloat16ELi256ELi8E11block_iq1_sLi1EXadL_ZL18vec_dot_iq1_s_q8_1PKvPK10block_q8_1RKiEEEvS4_S4_PT_iii.numbered_sgpr, 11
	.set _ZL13mul_mat_vec_qIN3c108BFloat16ELi256ELi8E11block_iq1_sLi1EXadL_ZL18vec_dot_iq1_s_q8_1PKvPK10block_q8_1RKiEEEvS4_S4_PT_iii.num_named_barrier, 0
	.set _ZL13mul_mat_vec_qIN3c108BFloat16ELi256ELi8E11block_iq1_sLi1EXadL_ZL18vec_dot_iq1_s_q8_1PKvPK10block_q8_1RKiEEEvS4_S4_PT_iii.private_seg_size, 0
	.set _ZL13mul_mat_vec_qIN3c108BFloat16ELi256ELi8E11block_iq1_sLi1EXadL_ZL18vec_dot_iq1_s_q8_1PKvPK10block_q8_1RKiEEEvS4_S4_PT_iii.uses_vcc, 1
	.set _ZL13mul_mat_vec_qIN3c108BFloat16ELi256ELi8E11block_iq1_sLi1EXadL_ZL18vec_dot_iq1_s_q8_1PKvPK10block_q8_1RKiEEEvS4_S4_PT_iii.uses_flat_scratch, 0
	.set _ZL13mul_mat_vec_qIN3c108BFloat16ELi256ELi8E11block_iq1_sLi1EXadL_ZL18vec_dot_iq1_s_q8_1PKvPK10block_q8_1RKiEEEvS4_S4_PT_iii.has_dyn_sized_stack, 0
	.set _ZL13mul_mat_vec_qIN3c108BFloat16ELi256ELi8E11block_iq1_sLi1EXadL_ZL18vec_dot_iq1_s_q8_1PKvPK10block_q8_1RKiEEEvS4_S4_PT_iii.has_recursion, 0
	.set _ZL13mul_mat_vec_qIN3c108BFloat16ELi256ELi8E11block_iq1_sLi1EXadL_ZL18vec_dot_iq1_s_q8_1PKvPK10block_q8_1RKiEEEvS4_S4_PT_iii.has_indirect_call, 0
	.section	.AMDGPU.csdata,"",@progbits
; Kernel info:
; codeLenInByte = 1976
; TotalNumSgprs: 13
; NumVgprs: 77
; ScratchSize: 0
; MemoryBound: 0
; FloatMode: 240
; IeeeMode: 1
; LDSByteSize: 0 bytes/workgroup (compile time only)
; SGPRBlocks: 0
; VGPRBlocks: 9
; NumSGPRsForWavesPerEU: 13
; NumVGPRsForWavesPerEU: 77
; Occupancy: 16
; WaveLimiterHint : 0
; COMPUTE_PGM_RSRC2:SCRATCH_EN: 0
; COMPUTE_PGM_RSRC2:USER_SGPR: 2
; COMPUTE_PGM_RSRC2:TRAP_HANDLER: 0
; COMPUTE_PGM_RSRC2:TGID_X_EN: 1
; COMPUTE_PGM_RSRC2:TGID_Y_EN: 1
; COMPUTE_PGM_RSRC2:TGID_Z_EN: 0
; COMPUTE_PGM_RSRC2:TIDIG_COMP_CNT: 1
	.section	.text._ZL13mul_mat_vec_qIN3c108BFloat16ELi32ELi4E12block_iq4_nlLi2EXadL_ZL19vec_dot_iq4_nl_q8_1PKvPK10block_q8_1RKiEEEvS4_S4_PT_iii,"axG",@progbits,_ZL13mul_mat_vec_qIN3c108BFloat16ELi32ELi4E12block_iq4_nlLi2EXadL_ZL19vec_dot_iq4_nl_q8_1PKvPK10block_q8_1RKiEEEvS4_S4_PT_iii,comdat
	.globl	_ZL13mul_mat_vec_qIN3c108BFloat16ELi32ELi4E12block_iq4_nlLi2EXadL_ZL19vec_dot_iq4_nl_q8_1PKvPK10block_q8_1RKiEEEvS4_S4_PT_iii ; -- Begin function _ZL13mul_mat_vec_qIN3c108BFloat16ELi32ELi4E12block_iq4_nlLi2EXadL_ZL19vec_dot_iq4_nl_q8_1PKvPK10block_q8_1RKiEEEvS4_S4_PT_iii
	.p2align	8
	.type	_ZL13mul_mat_vec_qIN3c108BFloat16ELi32ELi4E12block_iq4_nlLi2EXadL_ZL19vec_dot_iq4_nl_q8_1PKvPK10block_q8_1RKiEEEvS4_S4_PT_iii,@function
_ZL13mul_mat_vec_qIN3c108BFloat16ELi32ELi4E12block_iq4_nlLi2EXadL_ZL19vec_dot_iq4_nl_q8_1PKvPK10block_q8_1RKiEEEvS4_S4_PT_iii: ; @_ZL13mul_mat_vec_qIN3c108BFloat16ELi32ELi4E12block_iq4_nlLi2EXadL_ZL19vec_dot_iq4_nl_q8_1PKvPK10block_q8_1RKiEEEvS4_S4_PT_iii
; %bb.0:
	s_clause 0x1
	s_load_u16 s2, s[0:1], 0x36
	s_load_b96 s[4:6], s[0:1], 0x18
	v_bfe_u32 v1, v0, 10, 10
	s_wait_kmcnt 0x0
	s_delay_alu instid0(VALU_DEP_1)
	v_mad_co_u64_u32 v[1:2], null, ttmp9, s2, v[1:2]
	s_cmp_lt_u32 ttmp7, s6
	s_cselect_b32 s2, -1, 0
	v_cmp_gt_u32_e32 vcc_lo, s5, v1
	s_wait_alu 0xfffe
	s_and_b32 s2, s2, vcc_lo
	s_wait_alu 0xfffe
	s_and_saveexec_b32 s3, s2
	s_cbranch_execz .LBB112_7
; %bb.1:
	s_load_b64 s[6:7], s[0:1], 0x10
	s_ashr_i32 s2, s4, 31
	v_bfe_u32 v2, v0, 1, 9
	s_wait_alu 0xfffe
	s_lshr_b32 s2, s2, 27
	v_dual_mov_b32 v3, 0 :: v_dual_and_b32 v0, 0x3ff, v0
	s_wait_alu 0xfffe
	s_add_co_i32 s2, s4, s2
	s_mov_b32 s8, exec_lo
	s_wait_alu 0xfffe
	s_ashr_i32 s9, s2, 5
	s_delay_alu instid0(SALU_CYCLE_1)
	v_cmpx_gt_u32_e64 s9, v2
	s_cbranch_execz .LBB112_5
; %bb.2:
	v_lshlrev_b32_e32 v3, 1, v0
	s_load_b128 s[0:3], s[0:1], 0x0
	s_addk_co_i32 s4, 0x1ff
	v_mul_lo_u32 v4, v1, s9
	s_wait_alu 0xfffe
	s_ashr_i32 s10, s4, 31
	v_dual_mov_b32 v3, 0 :: v_dual_and_b32 v6, 2, v3
	s_lshr_b32 s10, s10, 23
	s_delay_alu instid0(SALU_CYCLE_1) | instskip(NEXT) | instid1(VALU_DEP_1)
	s_add_co_i32 s4, s4, s10
	v_lshlrev_b32_e32 v5, 1, v6
	s_wait_alu 0xfffe
	s_ashr_i32 s4, s4, 9
	v_lshlrev_b32_e32 v6, 2, v6
	s_wait_alu 0xfffe
	s_mul_i32 s4, ttmp7, s4
	s_wait_alu 0xfffe
	s_lshl_b32 s10, s4, 4
	v_lshlrev_b32_e32 v5, 1, v5
	s_mov_b32 s4, 0
	s_getpc_b64 s[12:13]
	s_sext_i32_i16 s13, s13
	s_add_co_u32 s12, s12, _ZL13kvalues_iq4nl@rel32@lo+8
	s_add_co_ci_u32 s13, s13, _ZL13kvalues_iq4nl@rel32@hi+16
.LBB112_3:                              ; =>This Inner Loop Header: Depth=1
	v_add_nc_u32_e32 v7, v4, v2
	v_add_nc_u32_e32 v11, s10, v2
	s_wait_kmcnt 0x0
	s_delay_alu instid0(VALU_DEP_2) | instskip(NEXT) | instid1(VALU_DEP_2)
	v_mad_co_i64_i32 v[7:8], null, v7, 18, s[0:1]
	v_mad_co_i64_i32 v[11:12], null, v11, 36, s[2:3]
	s_delay_alu instid0(VALU_DEP_2) | instskip(SKIP_1) | instid1(VALU_DEP_3)
	v_add_co_u32 v9, vcc_lo, v7, v5
	s_wait_alu 0xfffd
	v_add_co_ci_u32_e64 v10, null, 0, v8, vcc_lo
	s_delay_alu instid0(VALU_DEP_3) | instskip(SKIP_1) | instid1(VALU_DEP_4)
	v_add_co_u32 v13, vcc_lo, v11, v6
	s_wait_alu 0xfffd
	v_add_co_ci_u32_e64 v14, null, 0, v12, vcc_lo
	global_load_b64 v[9:10], v[9:10], off offset:2
	global_load_b64 v[15:16], v[13:14], off offset:4
	s_wait_loadcnt 0x1
	v_and_b32_e32 v18, 15, v9
	v_bfe_u32 v19, v9, 8, 4
	v_bfe_u32 v20, v9, 16, 4
	;; [unrolled: 1-line block ×5, first 2 shown]
	v_lshrrev_b32_e32 v23, 28, v9
	v_bfe_u32 v9, v9, 4, 4
	s_clause 0x7
	global_load_i8 v18, v18, s[12:13]
	global_load_i8 v19, v19, s[12:13]
	;; [unrolled: 1-line block ×8, first 2 shown]
	v_and_b32_e32 v25, 15, v10
	v_bfe_u32 v26, v10, 8, 4
	v_bfe_u32 v27, v10, 16, 4
	;; [unrolled: 1-line block ×5, first 2 shown]
	v_lshrrev_b32_e32 v30, 28, v10
	v_bfe_u32 v9, v10, 4, 4
	s_clause 0x7
	global_load_i8 v25, v25, s[12:13]
	global_load_i8 v26, v26, s[12:13]
	;; [unrolled: 1-line block ×8, first 2 shown]
	global_load_b64 v[9:10], v[13:14], off offset:20
	global_load_u16 v7, v[7:8], off
	global_load_b32 v8, v[11:12], off
	s_wait_loadcnt 0x11
	v_perm_b32 v11, v19, v18, 0xc0c0400
	s_wait_loadcnt 0xe
	v_perm_b32 v13, v21, v31, 0xc0c0400
	;; [unrolled: 2-line block ×4, first 2 shown]
	s_delay_alu instid0(VALU_DEP_2) | instskip(NEXT) | instid1(VALU_DEP_2)
	v_or_b32_e32 v13, v14, v13
	v_or_b32_e32 v11, v12, v11
	s_wait_loadcnt 0x9
	v_perm_b32 v12, v26, v25, 0xc0c0400
	s_wait_loadcnt 0x4
	v_perm_b32 v17, v24, v27, 0x4000c0c
	s_wait_loadcnt 0x3
	v_perm_b32 v14, v28, v32, 0xc0c0400
	s_wait_loadcnt 0x1
	v_cvt_f32_f16_e32 v7, v7
	v_dot4_i32_iu8 v11, v15, v11, 0 neg_lo:[1,1,0]
	v_perm_b32 v15, v30, v29, 0x4000c0c
	v_or_b32_e32 v12, v17, v12
	s_wait_loadcnt 0x0
	v_cvt_f32_f16_e32 v8, v8
	v_dot4_i32_iu8 v9, v9, v13, v11 neg_lo:[1,1,0]
	v_or_b32_e32 v11, v15, v14
	s_delay_alu instid0(VALU_DEP_3) | instskip(NEXT) | instid1(VALU_DEP_3)
	v_mul_f32_e32 v7, v7, v8
	v_dot4_i32_iu8 v9, v16, v12, v9 neg_lo:[1,1,0]
	s_delay_alu instid0(VALU_DEP_1) | instskip(NEXT) | instid1(VALU_DEP_1)
	v_dot4_i32_iu8 v9, v10, v11, v9 neg_lo:[1,1,0]
	v_cvt_f32_i32_e32 v8, v9
	s_delay_alu instid0(VALU_DEP_1) | instskip(NEXT) | instid1(VALU_DEP_1)
	v_dual_fmac_f32 v3, v7, v8 :: v_dual_add_nc_u32 v2, 16, v2
	v_cmp_le_u32_e32 vcc_lo, s9, v2
	s_wait_alu 0xfffe
	s_or_b32 s4, vcc_lo, s4
	s_wait_alu 0xfffe
	s_and_not1_b32 exec_lo, exec_lo, s4
	s_cbranch_execnz .LBB112_3
; %bb.4:
	s_or_b32 exec_lo, exec_lo, s4
.LBB112_5:
	s_delay_alu instid0(SALU_CYCLE_1) | instskip(SKIP_1) | instid1(VALU_DEP_1)
	s_or_b32 exec_lo, exec_lo, s8
	v_mbcnt_lo_u32_b32 v2, -1, 0
	v_xor_b32_e32 v4, 16, v2
	v_xor_b32_e32 v5, 8, v2
	s_delay_alu instid0(VALU_DEP_2) | instskip(SKIP_2) | instid1(VALU_DEP_3)
	v_cmp_gt_i32_e32 vcc_lo, 32, v4
	s_wait_alu 0xfffd
	v_cndmask_b32_e32 v4, v2, v4, vcc_lo
	v_cmp_gt_i32_e32 vcc_lo, 32, v5
	s_wait_alu 0xfffd
	v_cndmask_b32_e32 v5, v2, v5, vcc_lo
	s_delay_alu instid0(VALU_DEP_1)
	v_lshlrev_b32_e32 v5, 2, v5
	v_lshlrev_b32_e32 v4, 2, v4
	ds_bpermute_b32 v4, v4, v3
	s_wait_dscnt 0x0
	v_add_f32_e32 v3, v3, v4
	ds_bpermute_b32 v4, v5, v3
	v_xor_b32_e32 v5, 4, v2
	s_delay_alu instid0(VALU_DEP_1) | instskip(SKIP_2) | instid1(VALU_DEP_1)
	v_cmp_gt_i32_e32 vcc_lo, 32, v5
	s_wait_alu 0xfffd
	v_cndmask_b32_e32 v5, v2, v5, vcc_lo
	v_lshlrev_b32_e32 v5, 2, v5
	s_wait_dscnt 0x0
	v_add_f32_e32 v3, v3, v4
	ds_bpermute_b32 v4, v5, v3
	v_xor_b32_e32 v5, 2, v2
	s_delay_alu instid0(VALU_DEP_1) | instskip(SKIP_2) | instid1(VALU_DEP_1)
	v_cmp_gt_i32_e32 vcc_lo, 32, v5
	s_wait_alu 0xfffd
	v_cndmask_b32_e32 v5, v2, v5, vcc_lo
	v_lshlrev_b32_e32 v5, 2, v5
	s_wait_dscnt 0x0
	v_add_f32_e32 v3, v3, v4
	ds_bpermute_b32 v4, v5, v3
	v_xor_b32_e32 v5, 1, v2
	s_delay_alu instid0(VALU_DEP_1) | instskip(SKIP_4) | instid1(VALU_DEP_2)
	v_cmp_gt_i32_e32 vcc_lo, 32, v5
	s_wait_alu 0xfffd
	v_cndmask_b32_e32 v5, v2, v5, vcc_lo
	v_cmp_eq_u32_e32 vcc_lo, 0, v0
	s_wait_dscnt 0x0
	v_dual_add_f32 v2, v3, v4 :: v_dual_lshlrev_b32 v3, 2, v5
	ds_bpermute_b32 v3, v3, v2
	s_and_b32 exec_lo, exec_lo, vcc_lo
	s_cbranch_execz .LBB112_7
; %bb.6:
	s_wait_dscnt 0x0
	v_add_f32_e32 v2, v2, v3
	s_delay_alu instid0(VALU_DEP_1) | instskip(SKIP_3) | instid1(VALU_DEP_2)
	v_mad_co_u64_u32 v[0:1], null, s5, ttmp7, v[1:2]
	v_mov_b32_e32 v1, 0
	v_bfe_u32 v3, v2, 16, 1
	v_cmp_o_f32_e32 vcc_lo, v2, v2
	v_add3_u32 v3, v2, v3, 0x7fff
	s_delay_alu instid0(VALU_DEP_4) | instskip(NEXT) | instid1(VALU_DEP_2)
	v_lshlrev_b64_e32 v[0:1], 1, v[0:1]
	v_lshrrev_b32_e32 v3, 16, v3
	s_wait_alu 0xfffd
	s_delay_alu instid0(VALU_DEP_1) | instskip(SKIP_1) | instid1(VALU_DEP_3)
	v_cndmask_b32_e32 v2, 0x7fc0, v3, vcc_lo
	s_wait_kmcnt 0x0
	v_add_co_u32 v0, vcc_lo, s6, v0
	s_wait_alu 0xfffd
	v_add_co_ci_u32_e64 v1, null, s7, v1, vcc_lo
	global_store_b16 v[0:1], v2, off
.LBB112_7:
	s_endpgm
	.section	.rodata,"a",@progbits
	.p2align	6, 0x0
	.amdhsa_kernel _ZL13mul_mat_vec_qIN3c108BFloat16ELi32ELi4E12block_iq4_nlLi2EXadL_ZL19vec_dot_iq4_nl_q8_1PKvPK10block_q8_1RKiEEEvS4_S4_PT_iii
		.amdhsa_group_segment_fixed_size 0
		.amdhsa_private_segment_fixed_size 0
		.amdhsa_kernarg_size 296
		.amdhsa_user_sgpr_count 2
		.amdhsa_user_sgpr_dispatch_ptr 0
		.amdhsa_user_sgpr_queue_ptr 0
		.amdhsa_user_sgpr_kernarg_segment_ptr 1
		.amdhsa_user_sgpr_dispatch_id 0
		.amdhsa_user_sgpr_private_segment_size 0
		.amdhsa_wavefront_size32 1
		.amdhsa_uses_dynamic_stack 0
		.amdhsa_enable_private_segment 0
		.amdhsa_system_sgpr_workgroup_id_x 1
		.amdhsa_system_sgpr_workgroup_id_y 1
		.amdhsa_system_sgpr_workgroup_id_z 0
		.amdhsa_system_sgpr_workgroup_info 0
		.amdhsa_system_vgpr_workitem_id 1
		.amdhsa_next_free_vgpr 33
		.amdhsa_next_free_sgpr 14
		.amdhsa_reserve_vcc 1
		.amdhsa_float_round_mode_32 0
		.amdhsa_float_round_mode_16_64 0
		.amdhsa_float_denorm_mode_32 3
		.amdhsa_float_denorm_mode_16_64 3
		.amdhsa_fp16_overflow 0
		.amdhsa_workgroup_processor_mode 1
		.amdhsa_memory_ordered 1
		.amdhsa_forward_progress 1
		.amdhsa_inst_pref_size 11
		.amdhsa_round_robin_scheduling 0
		.amdhsa_exception_fp_ieee_invalid_op 0
		.amdhsa_exception_fp_denorm_src 0
		.amdhsa_exception_fp_ieee_div_zero 0
		.amdhsa_exception_fp_ieee_overflow 0
		.amdhsa_exception_fp_ieee_underflow 0
		.amdhsa_exception_fp_ieee_inexact 0
		.amdhsa_exception_int_div_zero 0
	.end_amdhsa_kernel
	.section	.text._ZL13mul_mat_vec_qIN3c108BFloat16ELi32ELi4E12block_iq4_nlLi2EXadL_ZL19vec_dot_iq4_nl_q8_1PKvPK10block_q8_1RKiEEEvS4_S4_PT_iii,"axG",@progbits,_ZL13mul_mat_vec_qIN3c108BFloat16ELi32ELi4E12block_iq4_nlLi2EXadL_ZL19vec_dot_iq4_nl_q8_1PKvPK10block_q8_1RKiEEEvS4_S4_PT_iii,comdat
.Lfunc_end112:
	.size	_ZL13mul_mat_vec_qIN3c108BFloat16ELi32ELi4E12block_iq4_nlLi2EXadL_ZL19vec_dot_iq4_nl_q8_1PKvPK10block_q8_1RKiEEEvS4_S4_PT_iii, .Lfunc_end112-_ZL13mul_mat_vec_qIN3c108BFloat16ELi32ELi4E12block_iq4_nlLi2EXadL_ZL19vec_dot_iq4_nl_q8_1PKvPK10block_q8_1RKiEEEvS4_S4_PT_iii
                                        ; -- End function
	.set _ZL13mul_mat_vec_qIN3c108BFloat16ELi32ELi4E12block_iq4_nlLi2EXadL_ZL19vec_dot_iq4_nl_q8_1PKvPK10block_q8_1RKiEEEvS4_S4_PT_iii.num_vgpr, 33
	.set _ZL13mul_mat_vec_qIN3c108BFloat16ELi32ELi4E12block_iq4_nlLi2EXadL_ZL19vec_dot_iq4_nl_q8_1PKvPK10block_q8_1RKiEEEvS4_S4_PT_iii.num_agpr, 0
	.set _ZL13mul_mat_vec_qIN3c108BFloat16ELi32ELi4E12block_iq4_nlLi2EXadL_ZL19vec_dot_iq4_nl_q8_1PKvPK10block_q8_1RKiEEEvS4_S4_PT_iii.numbered_sgpr, 14
	.set _ZL13mul_mat_vec_qIN3c108BFloat16ELi32ELi4E12block_iq4_nlLi2EXadL_ZL19vec_dot_iq4_nl_q8_1PKvPK10block_q8_1RKiEEEvS4_S4_PT_iii.num_named_barrier, 0
	.set _ZL13mul_mat_vec_qIN3c108BFloat16ELi32ELi4E12block_iq4_nlLi2EXadL_ZL19vec_dot_iq4_nl_q8_1PKvPK10block_q8_1RKiEEEvS4_S4_PT_iii.private_seg_size, 0
	.set _ZL13mul_mat_vec_qIN3c108BFloat16ELi32ELi4E12block_iq4_nlLi2EXadL_ZL19vec_dot_iq4_nl_q8_1PKvPK10block_q8_1RKiEEEvS4_S4_PT_iii.uses_vcc, 1
	.set _ZL13mul_mat_vec_qIN3c108BFloat16ELi32ELi4E12block_iq4_nlLi2EXadL_ZL19vec_dot_iq4_nl_q8_1PKvPK10block_q8_1RKiEEEvS4_S4_PT_iii.uses_flat_scratch, 0
	.set _ZL13mul_mat_vec_qIN3c108BFloat16ELi32ELi4E12block_iq4_nlLi2EXadL_ZL19vec_dot_iq4_nl_q8_1PKvPK10block_q8_1RKiEEEvS4_S4_PT_iii.has_dyn_sized_stack, 0
	.set _ZL13mul_mat_vec_qIN3c108BFloat16ELi32ELi4E12block_iq4_nlLi2EXadL_ZL19vec_dot_iq4_nl_q8_1PKvPK10block_q8_1RKiEEEvS4_S4_PT_iii.has_recursion, 0
	.set _ZL13mul_mat_vec_qIN3c108BFloat16ELi32ELi4E12block_iq4_nlLi2EXadL_ZL19vec_dot_iq4_nl_q8_1PKvPK10block_q8_1RKiEEEvS4_S4_PT_iii.has_indirect_call, 0
	.section	.AMDGPU.csdata,"",@progbits
; Kernel info:
; codeLenInByte = 1308
; TotalNumSgprs: 16
; NumVgprs: 33
; ScratchSize: 0
; MemoryBound: 0
; FloatMode: 240
; IeeeMode: 1
; LDSByteSize: 0 bytes/workgroup (compile time only)
; SGPRBlocks: 0
; VGPRBlocks: 4
; NumSGPRsForWavesPerEU: 16
; NumVGPRsForWavesPerEU: 33
; Occupancy: 16
; WaveLimiterHint : 0
; COMPUTE_PGM_RSRC2:SCRATCH_EN: 0
; COMPUTE_PGM_RSRC2:USER_SGPR: 2
; COMPUTE_PGM_RSRC2:TRAP_HANDLER: 0
; COMPUTE_PGM_RSRC2:TGID_X_EN: 1
; COMPUTE_PGM_RSRC2:TGID_Y_EN: 1
; COMPUTE_PGM_RSRC2:TGID_Z_EN: 0
; COMPUTE_PGM_RSRC2:TIDIG_COMP_CNT: 1
	.section	.text._ZL13mul_mat_vec_qIN3c108BFloat16ELi256ELi8E11block_iq3_sLi1EXadL_ZL18vec_dot_iq3_s_q8_1PKvPK10block_q8_1RKiEEEvS4_S4_PT_iii,"axG",@progbits,_ZL13mul_mat_vec_qIN3c108BFloat16ELi256ELi8E11block_iq3_sLi1EXadL_ZL18vec_dot_iq3_s_q8_1PKvPK10block_q8_1RKiEEEvS4_S4_PT_iii,comdat
	.globl	_ZL13mul_mat_vec_qIN3c108BFloat16ELi256ELi8E11block_iq3_sLi1EXadL_ZL18vec_dot_iq3_s_q8_1PKvPK10block_q8_1RKiEEEvS4_S4_PT_iii ; -- Begin function _ZL13mul_mat_vec_qIN3c108BFloat16ELi256ELi8E11block_iq3_sLi1EXadL_ZL18vec_dot_iq3_s_q8_1PKvPK10block_q8_1RKiEEEvS4_S4_PT_iii
	.p2align	8
	.type	_ZL13mul_mat_vec_qIN3c108BFloat16ELi256ELi8E11block_iq3_sLi1EXadL_ZL18vec_dot_iq3_s_q8_1PKvPK10block_q8_1RKiEEEvS4_S4_PT_iii,@function
_ZL13mul_mat_vec_qIN3c108BFloat16ELi256ELi8E11block_iq3_sLi1EXadL_ZL18vec_dot_iq3_s_q8_1PKvPK10block_q8_1RKiEEEvS4_S4_PT_iii: ; @_ZL13mul_mat_vec_qIN3c108BFloat16ELi256ELi8E11block_iq3_sLi1EXadL_ZL18vec_dot_iq3_s_q8_1PKvPK10block_q8_1RKiEEEvS4_S4_PT_iii
; %bb.0:
	s_clause 0x1
	s_load_u16 s2, s[0:1], 0x36
	s_load_b96 s[4:6], s[0:1], 0x18
	v_bfe_u32 v1, v0, 10, 10
	s_wait_kmcnt 0x0
	s_delay_alu instid0(VALU_DEP_1)
	v_mad_co_u64_u32 v[1:2], null, ttmp9, s2, v[1:2]
	s_cmp_lt_u32 ttmp7, s6
	s_cselect_b32 s2, -1, 0
	v_cmp_gt_u32_e32 vcc_lo, s5, v1
	s_wait_alu 0xfffe
	s_and_b32 s2, s2, vcc_lo
	s_wait_alu 0xfffe
	s_and_saveexec_b32 s3, s2
	s_cbranch_execz .LBB113_9
; %bb.1:
	s_load_b64 s[6:7], s[0:1], 0x10
	s_ashr_i32 s2, s4, 31
	v_bfe_u32 v19, v0, 3, 7
	s_wait_alu 0xfffe
	s_lshr_b32 s2, s2, 24
	v_and_b32_e32 v0, 0x3ff, v0
	v_mov_b32_e32 v18, 0
	s_wait_alu 0xfffe
	s_add_co_i32 s2, s4, s2
	s_mov_b32 s8, exec_lo
	s_wait_alu 0xfffe
	s_ashr_i32 s9, s2, 8
	s_delay_alu instid0(SALU_CYCLE_1)
	v_cmpx_gt_u32_e64 s9, v19
	s_cbranch_execz .LBB113_7
; %bb.2:
	s_load_b128 s[0:3], s[0:1], 0x0
	v_dual_mov_b32 v18, 0 :: v_dual_and_b32 v21, 7, v0
	s_addk_co_i32 s4, 0x1ff
	v_lshlrev_b32_e32 v2, 2, v0
	s_wait_alu 0xfffe
	s_ashr_i32 s10, s4, 31
	v_lshlrev_b32_e32 v3, 2, v21
	v_lshlrev_b32_e32 v6, 3, v21
	s_lshr_b32 s10, s10, 23
	v_mul_lo_u32 v20, v1, s9
	s_add_co_i32 s4, s4, s10
	v_and_b32_e32 v23, 4, v2
	s_wait_alu 0xfffe
	s_ashr_i32 s4, s4, 9
	v_bfe_u32 v22, v0, 1, 2
	s_wait_alu 0xfffe
	s_mul_i32 s4, ttmp7, s4
	v_add_nc_u32_e32 v24, v19, v20
	s_wait_kmcnt 0x0
	v_add_co_u32 v4, s10, s0, v3
	s_delay_alu instid0(VALU_DEP_1)
	v_add_co_ci_u32_e64 v5, null, s1, 0, s10
	v_mad_co_u64_u32 v[2:3], null, v21, 36, s[2:3]
	v_add_co_u32 v6, s2, s0, v6
	s_wait_alu 0xf1ff
	v_add_co_ci_u32_e64 v7, null, s1, 0, s2
	v_add_co_u32 v4, vcc_lo, 0x4a, v4
	s_delay_alu instid0(VALU_DEP_1)
	v_add_co_ci_u32_e64 v5, null, 0, v5, vcc_lo
	v_add_co_u32 v6, vcc_lo, v6, 2
	s_wait_alu 0xfffd
	v_add_co_ci_u32_e64 v7, null, 0, v7, vcc_lo
	s_wait_alu 0xfffe
	s_lshl_b32 s2, s4, 4
	s_mov_b32 s3, 0
.LBB113_3:                              ; =>This Loop Header: Depth=1
                                        ;     Child Loop BB113_4 Depth 2
	v_dual_mov_b32 v25, 0 :: v_dual_add_nc_u32 v8, v19, v20
	v_mad_co_i64_i32 v[12:13], null, 0x6e, v24, v[4:5]
	v_mad_co_i64_i32 v[14:15], null, 0x6e, v24, v[6:7]
	s_delay_alu instid0(VALU_DEP_3)
	v_mad_co_i64_i32 v[8:9], null, 0x6e, v8, s[0:1]
	s_mov_b32 s4, 7
	v_add_co_u32 v10, vcc_lo, v8, v21
	s_wait_alu 0xfffd
	v_add_co_ci_u32_e64 v11, null, 0, v9, vcc_lo
	global_load_u8 v26, v[10:11], off offset:66
	s_wait_alu 0xfffe
	v_lshl_add_u32 v10, v19, 3, s2
	s_delay_alu instid0(VALU_DEP_1) | instskip(NEXT) | instid1(VALU_DEP_1)
	v_mad_co_i64_i32 v[10:11], null, v10, 36, v[2:3]
	v_add_co_u32 v16, vcc_lo, v10, 4
	s_wait_alu 0xfffd
	s_delay_alu instid0(VALU_DEP_2)
	v_add_co_ci_u32_e64 v17, null, 0, v11, vcc_lo
.LBB113_4:                              ;   Parent Loop BB113_3 Depth=1
                                        ; =>  This Inner Loop Header: Depth=2
	global_load_u16 v27, v[14:15], off
	global_load_u8 v29, v[12:13], off
	s_add_co_i32 s12, s4, 1
	s_wait_loadcnt 0x2
	v_lshlrev_b32_e32 v28, s4, v26
	s_wait_alu 0xfffe
	v_lshlrev_b32_e32 v30, s12, v26
	s_getpc_b64 s[10:11]
	s_wait_alu 0xfffe
	s_sext_i32_i16 s11, s11
	s_add_co_u32 s10, s10, _ZL10iq3xs_grid@rel32@lo+12
	s_wait_alu 0xfffe
	s_add_co_ci_u32 s11, s11, _ZL10iq3xs_grid@rel32@hi+24
	s_add_co_i32 s4, s4, -2
	s_wait_alu 0xfffe
	s_cmp_lg_u32 s4, -1
	s_wait_loadcnt 0x1
	v_lshrrev_b16 v31, 8, v27
	v_and_b32_e32 v27, 0xff, v27
	s_wait_loadcnt 0x0
	v_and_b32_e32 v32, 15, v29
	v_lshrrev_b16 v29, 4, v29
	v_and_b32_e32 v31, 0xffff, v31
	v_and_or_b32 v27, 0x100, v30, v27
	s_delay_alu instid0(VALU_DEP_4) | instskip(NEXT) | instid1(VALU_DEP_4)
	v_and_b32_e32 v32, 0xffff, v32
	v_and_b32_e32 v29, 0xffff, v29
	s_delay_alu instid0(VALU_DEP_4) | instskip(NEXT) | instid1(VALU_DEP_4)
	v_and_or_b32 v28, 0x100, v28, v31
	v_lshlrev_b32_e32 v27, 2, v27
	s_delay_alu instid0(VALU_DEP_4) | instskip(NEXT) | instid1(VALU_DEP_4)
	v_mul_lo_u32 v32, 0x1010101, v32
	v_mul_lo_u32 v29, 0x1010101, v29
	s_delay_alu instid0(VALU_DEP_4)
	v_lshlrev_b32_e32 v28, 2, v28
	s_clause 0x1
	global_load_b32 v30, v27, s[10:11]
	global_load_b32 v31, v28, s[10:11]
	global_load_b64 v[27:28], v[16:17], off
	v_not_b32_e32 v32, v32
	v_add_co_u32 v16, vcc_lo, v16, 8
	s_wait_alu 0xfffd
	v_add_co_ci_u32_e64 v17, null, 0, v17, vcc_lo
	s_delay_alu instid0(VALU_DEP_3)
	v_and_b32_e32 v39, 0x8040201, v32
	v_and_b32_e32 v40, 0x40000, v32
	;; [unrolled: 1-line block ×3, first 2 shown]
	v_not_b32_e32 v29, v29
	v_and_b32_e32 v32, 1, v32
	v_cmp_gt_u32_e32 vcc_lo, 0x1000000, v39
	s_delay_alu instid0(VALU_DEP_3)
	v_and_b32_e32 v42, 0x8040201, v29
	v_and_b32_e32 v43, 0x40000, v29
	s_wait_alu 0xfffd
	v_cndmask_b32_e64 v39, 0, -1, vcc_lo
	v_cmp_eq_u32_e32 vcc_lo, 0, v40
	v_and_b32_e32 v44, 0x200, v29
	v_and_b32_e32 v29, 1, v29
	s_delay_alu instid0(VALU_DEP_4)
	v_lshlrev_b32_e32 v39, 24, v39
	s_wait_alu 0xfffd
	v_cndmask_b32_e64 v40, 0, 0xff0000, vcc_lo
	v_cmp_eq_u32_e32 vcc_lo, 0, v41
	s_wait_alu 0xfffd
	v_cndmask_b32_e64 v41, 0, 0xff00, vcc_lo
	v_cmp_eq_u32_e32 vcc_lo, 0, v32
	s_wait_alu 0xfffd
	v_cndmask_b32_e64 v32, 0, 0xff, vcc_lo
	v_cmp_gt_u32_e32 vcc_lo, 0x1000000, v42
	s_delay_alu instid0(VALU_DEP_2) | instskip(SKIP_3) | instid1(VALU_DEP_3)
	v_or_b32_e32 v45, v41, v32
	s_wait_alu 0xfffd
	v_cndmask_b32_e64 v42, 0, -1, vcc_lo
	v_cmp_eq_u32_e32 vcc_lo, 0, v43
	v_or3_b32 v45, v45, v40, v39
	s_delay_alu instid0(VALU_DEP_3)
	v_lshlrev_b32_e32 v42, 24, v42
	s_wait_alu 0xfffd
	v_cndmask_b32_e64 v43, 0, 0xff0000, vcc_lo
	v_cmp_eq_u32_e32 vcc_lo, 0, v44
	s_wait_alu 0xfffd
	v_cndmask_b32_e64 v44, 0, 0xff00, vcc_lo
	v_cmp_eq_u32_e32 vcc_lo, 0, v29
	s_wait_alu 0xfffd
	v_cndmask_b32_e64 v29, 0, 0xff, vcc_lo
	v_add_co_u32 v12, vcc_lo, v12, 1
	s_wait_alu 0xfffd
	v_add_co_ci_u32_e64 v13, null, 0, v13, vcc_lo
	s_delay_alu instid0(VALU_DEP_3) | instskip(SKIP_3) | instid1(VALU_DEP_3)
	v_or_b32_e32 v46, v44, v29
	v_add_co_u32 v14, vcc_lo, v14, 2
	s_wait_alu 0xfffd
	v_add_co_ci_u32_e64 v15, null, 0, v15, vcc_lo
	v_or3_b32 v46, v46, v43, v42
	s_wait_loadcnt 0x2
	v_xor_b32_e32 v30, v45, v30
	s_wait_loadcnt 0x1
	s_delay_alu instid0(VALU_DEP_2)
	v_xor_b32_e32 v31, v46, v31
	s_wait_loadcnt 0x0
	v_lshrrev_b16 v33, 8, v27
	v_ashrrev_i32_e32 v35, 24, v27
	v_bfe_i32 v36, v27, 16, 8
	v_sub_nc_u32_e32 v40, v30, v40
	v_sub_nc_u32_e32 v32, v30, v32
	;; [unrolled: 1-line block ×6, first 2 shown]
	v_perm_b32 v32, v40, v32, 0xc060c00
	v_bfe_i32 v27, v27, 0, 8
	v_lshrrev_b16 v40, 8, v41
	v_sub_nc_u32_e32 v41, v31, v44
	v_sub_nc_u32_e32 v31, v31, v42
	v_perm_b32 v29, v39, v29, 0xc060c00
	v_bfe_i32 v39, v32, 0, 8
	v_lshrrev_b16 v34, 8, v28
	v_ashrrev_i32_e32 v37, 24, v28
	v_bfe_i32 v38, v28, 16, 8
	v_bfe_i32 v33, v33, 0, 8
	v_lshrrev_b16 v41, 8, v41
	v_bfe_i32 v40, v40, 0, 8
	v_ashrrev_i32_e32 v31, 24, v31
	v_mul_i32_i24_e32 v27, v39, v27
	v_bfe_i32 v39, v29, 16, 8
	v_bfe_i32 v28, v28, 0, 8
	;; [unrolled: 1-line block ×3, first 2 shown]
	v_ashrrev_i32_e32 v30, 24, v30
	v_bfe_i32 v32, v32, 16, 8
	v_mul_i32_i24_e32 v33, v40, v33
	v_bfe_i32 v29, v29, 0, 8
	v_bfe_i32 v40, v41, 0, 8
	v_mul_i32_i24_e32 v31, v31, v37
	v_mul_i32_i24_e32 v37, v39, v38
	s_delay_alu instid0(VALU_DEP_4) | instskip(NEXT) | instid1(VALU_DEP_4)
	v_mul_i32_i24_e32 v28, v29, v28
	v_mul_i32_i24_e32 v29, v40, v34
	s_delay_alu instid0(VALU_DEP_4) | instskip(NEXT) | instid1(VALU_DEP_4)
	v_mad_i32_i24 v30, v30, v35, v31
	v_mad_i32_i24 v31, v32, v36, v37
	s_delay_alu instid0(VALU_DEP_2) | instskip(NEXT) | instid1(VALU_DEP_2)
	v_add3_u32 v29, v33, v29, v30
	v_add3_u32 v27, v27, v28, v31
	s_delay_alu instid0(VALU_DEP_1)
	v_add3_u32 v25, v27, v29, v25
	s_cbranch_scc1 .LBB113_4
; %bb.5:                                ;   in Loop: Header=BB113_3 Depth=1
	v_add_co_u32 v12, vcc_lo, v8, v22
	s_wait_alu 0xfffd
	v_add_co_ci_u32_e64 v13, null, 0, v9, vcc_lo
	v_add_nc_u32_e32 v24, 4, v24
	s_clause 0x1
	global_load_u8 v12, v[12:13], off offset:106
	global_load_u16 v8, v[8:9], off
	global_load_b32 v9, v[10:11], off
	v_add_nc_u32_e32 v19, 4, v19
	s_delay_alu instid0(VALU_DEP_1)
	v_cmp_le_u32_e32 vcc_lo, s9, v19
	s_or_b32 s3, vcc_lo, s3
	s_wait_loadcnt 0x2
	v_bfe_u32 v10, v12, v23, 4
	s_wait_loadcnt 0x1
	v_cvt_f32_f16_e32 v8, v8
	s_wait_loadcnt 0x0
	v_cvt_f32_f16_e32 v9, v9
	v_cvt_f32_ubyte0_e32 v10, v10
	s_delay_alu instid0(VALU_DEP_1) | instskip(NEXT) | instid1(VALU_DEP_1)
	v_add_f32_e32 v10, 0.5, v10
	v_mul_f32_e32 v8, v10, v8
	s_delay_alu instid0(VALU_DEP_1) | instskip(SKIP_1) | instid1(VALU_DEP_2)
	v_mul_f32_e32 v8, v8, v9
	v_cvt_f32_i32_e32 v9, v25
	v_mul_f32_e32 v8, 0.5, v8
	s_delay_alu instid0(VALU_DEP_1)
	v_fmac_f32_e32 v18, v8, v9
	s_wait_alu 0xfffe
	s_and_not1_b32 exec_lo, exec_lo, s3
	s_cbranch_execnz .LBB113_3
; %bb.6:
	s_or_b32 exec_lo, exec_lo, s3
.LBB113_7:
	s_delay_alu instid0(SALU_CYCLE_1) | instskip(SKIP_1) | instid1(VALU_DEP_1)
	s_or_b32 exec_lo, exec_lo, s8
	v_mbcnt_lo_u32_b32 v2, -1, 0
	v_xor_b32_e32 v3, 16, v2
	v_xor_b32_e32 v4, 8, v2
	;; [unrolled: 1-line block ×3, first 2 shown]
	s_delay_alu instid0(VALU_DEP_3)
	v_cmp_gt_i32_e32 vcc_lo, 32, v3
	s_wait_alu 0xfffd
	v_cndmask_b32_e32 v3, v2, v3, vcc_lo
	v_cmp_gt_i32_e32 vcc_lo, 32, v4
	s_wait_alu 0xfffd
	v_cndmask_b32_e32 v4, v2, v4, vcc_lo
	;; [unrolled: 3-line block ×3, first 2 shown]
	s_delay_alu instid0(VALU_DEP_1)
	v_lshlrev_b32_e32 v5, 2, v5
	v_lshlrev_b32_e32 v4, 2, v4
	;; [unrolled: 1-line block ×3, first 2 shown]
	ds_bpermute_b32 v3, v3, v18
	s_wait_dscnt 0x0
	v_add_f32_e32 v3, v18, v3
	ds_bpermute_b32 v4, v4, v3
	s_wait_dscnt 0x0
	v_add_f32_e32 v3, v3, v4
	ds_bpermute_b32 v4, v5, v3
	v_xor_b32_e32 v5, 2, v2
	s_delay_alu instid0(VALU_DEP_1) | instskip(SKIP_2) | instid1(VALU_DEP_1)
	v_cmp_gt_i32_e32 vcc_lo, 32, v5
	s_wait_alu 0xfffd
	v_cndmask_b32_e32 v5, v2, v5, vcc_lo
	v_lshlrev_b32_e32 v5, 2, v5
	s_wait_dscnt 0x0
	v_add_f32_e32 v3, v3, v4
	ds_bpermute_b32 v4, v5, v3
	v_xor_b32_e32 v5, 1, v2
	s_delay_alu instid0(VALU_DEP_1) | instskip(SKIP_4) | instid1(VALU_DEP_2)
	v_cmp_gt_i32_e32 vcc_lo, 32, v5
	s_wait_alu 0xfffd
	v_cndmask_b32_e32 v5, v2, v5, vcc_lo
	v_cmp_eq_u32_e32 vcc_lo, 0, v0
	s_wait_dscnt 0x0
	v_dual_add_f32 v2, v3, v4 :: v_dual_lshlrev_b32 v3, 2, v5
	ds_bpermute_b32 v3, v3, v2
	s_and_b32 exec_lo, exec_lo, vcc_lo
	s_cbranch_execz .LBB113_9
; %bb.8:
	s_wait_dscnt 0x0
	v_add_f32_e32 v2, v2, v3
	s_delay_alu instid0(VALU_DEP_1) | instskip(SKIP_3) | instid1(VALU_DEP_2)
	v_mad_co_u64_u32 v[0:1], null, s5, ttmp7, v[1:2]
	v_mov_b32_e32 v1, 0
	v_bfe_u32 v3, v2, 16, 1
	v_cmp_o_f32_e32 vcc_lo, v2, v2
	v_add3_u32 v3, v2, v3, 0x7fff
	s_delay_alu instid0(VALU_DEP_4) | instskip(NEXT) | instid1(VALU_DEP_2)
	v_lshlrev_b64_e32 v[0:1], 1, v[0:1]
	v_lshrrev_b32_e32 v3, 16, v3
	s_wait_alu 0xfffd
	s_delay_alu instid0(VALU_DEP_1) | instskip(SKIP_1) | instid1(VALU_DEP_3)
	v_cndmask_b32_e32 v2, 0x7fc0, v3, vcc_lo
	s_wait_kmcnt 0x0
	v_add_co_u32 v0, vcc_lo, s6, v0
	s_wait_alu 0xfffd
	v_add_co_ci_u32_e64 v1, null, s7, v1, vcc_lo
	global_store_b16 v[0:1], v2, off
.LBB113_9:
	s_endpgm
	.section	.rodata,"a",@progbits
	.p2align	6, 0x0
	.amdhsa_kernel _ZL13mul_mat_vec_qIN3c108BFloat16ELi256ELi8E11block_iq3_sLi1EXadL_ZL18vec_dot_iq3_s_q8_1PKvPK10block_q8_1RKiEEEvS4_S4_PT_iii
		.amdhsa_group_segment_fixed_size 0
		.amdhsa_private_segment_fixed_size 0
		.amdhsa_kernarg_size 296
		.amdhsa_user_sgpr_count 2
		.amdhsa_user_sgpr_dispatch_ptr 0
		.amdhsa_user_sgpr_queue_ptr 0
		.amdhsa_user_sgpr_kernarg_segment_ptr 1
		.amdhsa_user_sgpr_dispatch_id 0
		.amdhsa_user_sgpr_private_segment_size 0
		.amdhsa_wavefront_size32 1
		.amdhsa_uses_dynamic_stack 0
		.amdhsa_enable_private_segment 0
		.amdhsa_system_sgpr_workgroup_id_x 1
		.amdhsa_system_sgpr_workgroup_id_y 1
		.amdhsa_system_sgpr_workgroup_id_z 0
		.amdhsa_system_sgpr_workgroup_info 0
		.amdhsa_system_vgpr_workitem_id 1
		.amdhsa_next_free_vgpr 47
		.amdhsa_next_free_sgpr 13
		.amdhsa_reserve_vcc 1
		.amdhsa_float_round_mode_32 0
		.amdhsa_float_round_mode_16_64 0
		.amdhsa_float_denorm_mode_32 3
		.amdhsa_float_denorm_mode_16_64 3
		.amdhsa_fp16_overflow 0
		.amdhsa_workgroup_processor_mode 1
		.amdhsa_memory_ordered 1
		.amdhsa_forward_progress 1
		.amdhsa_inst_pref_size 15
		.amdhsa_round_robin_scheduling 0
		.amdhsa_exception_fp_ieee_invalid_op 0
		.amdhsa_exception_fp_denorm_src 0
		.amdhsa_exception_fp_ieee_div_zero 0
		.amdhsa_exception_fp_ieee_overflow 0
		.amdhsa_exception_fp_ieee_underflow 0
		.amdhsa_exception_fp_ieee_inexact 0
		.amdhsa_exception_int_div_zero 0
	.end_amdhsa_kernel
	.section	.text._ZL13mul_mat_vec_qIN3c108BFloat16ELi256ELi8E11block_iq3_sLi1EXadL_ZL18vec_dot_iq3_s_q8_1PKvPK10block_q8_1RKiEEEvS4_S4_PT_iii,"axG",@progbits,_ZL13mul_mat_vec_qIN3c108BFloat16ELi256ELi8E11block_iq3_sLi1EXadL_ZL18vec_dot_iq3_s_q8_1PKvPK10block_q8_1RKiEEEvS4_S4_PT_iii,comdat
.Lfunc_end113:
	.size	_ZL13mul_mat_vec_qIN3c108BFloat16ELi256ELi8E11block_iq3_sLi1EXadL_ZL18vec_dot_iq3_s_q8_1PKvPK10block_q8_1RKiEEEvS4_S4_PT_iii, .Lfunc_end113-_ZL13mul_mat_vec_qIN3c108BFloat16ELi256ELi8E11block_iq3_sLi1EXadL_ZL18vec_dot_iq3_s_q8_1PKvPK10block_q8_1RKiEEEvS4_S4_PT_iii
                                        ; -- End function
	.set _ZL13mul_mat_vec_qIN3c108BFloat16ELi256ELi8E11block_iq3_sLi1EXadL_ZL18vec_dot_iq3_s_q8_1PKvPK10block_q8_1RKiEEEvS4_S4_PT_iii.num_vgpr, 47
	.set _ZL13mul_mat_vec_qIN3c108BFloat16ELi256ELi8E11block_iq3_sLi1EXadL_ZL18vec_dot_iq3_s_q8_1PKvPK10block_q8_1RKiEEEvS4_S4_PT_iii.num_agpr, 0
	.set _ZL13mul_mat_vec_qIN3c108BFloat16ELi256ELi8E11block_iq3_sLi1EXadL_ZL18vec_dot_iq3_s_q8_1PKvPK10block_q8_1RKiEEEvS4_S4_PT_iii.numbered_sgpr, 13
	.set _ZL13mul_mat_vec_qIN3c108BFloat16ELi256ELi8E11block_iq3_sLi1EXadL_ZL18vec_dot_iq3_s_q8_1PKvPK10block_q8_1RKiEEEvS4_S4_PT_iii.num_named_barrier, 0
	.set _ZL13mul_mat_vec_qIN3c108BFloat16ELi256ELi8E11block_iq3_sLi1EXadL_ZL18vec_dot_iq3_s_q8_1PKvPK10block_q8_1RKiEEEvS4_S4_PT_iii.private_seg_size, 0
	.set _ZL13mul_mat_vec_qIN3c108BFloat16ELi256ELi8E11block_iq3_sLi1EXadL_ZL18vec_dot_iq3_s_q8_1PKvPK10block_q8_1RKiEEEvS4_S4_PT_iii.uses_vcc, 1
	.set _ZL13mul_mat_vec_qIN3c108BFloat16ELi256ELi8E11block_iq3_sLi1EXadL_ZL18vec_dot_iq3_s_q8_1PKvPK10block_q8_1RKiEEEvS4_S4_PT_iii.uses_flat_scratch, 0
	.set _ZL13mul_mat_vec_qIN3c108BFloat16ELi256ELi8E11block_iq3_sLi1EXadL_ZL18vec_dot_iq3_s_q8_1PKvPK10block_q8_1RKiEEEvS4_S4_PT_iii.has_dyn_sized_stack, 0
	.set _ZL13mul_mat_vec_qIN3c108BFloat16ELi256ELi8E11block_iq3_sLi1EXadL_ZL18vec_dot_iq3_s_q8_1PKvPK10block_q8_1RKiEEEvS4_S4_PT_iii.has_recursion, 0
	.set _ZL13mul_mat_vec_qIN3c108BFloat16ELi256ELi8E11block_iq3_sLi1EXadL_ZL18vec_dot_iq3_s_q8_1PKvPK10block_q8_1RKiEEEvS4_S4_PT_iii.has_indirect_call, 0
	.section	.AMDGPU.csdata,"",@progbits
; Kernel info:
; codeLenInByte = 1884
; TotalNumSgprs: 15
; NumVgprs: 47
; ScratchSize: 0
; MemoryBound: 0
; FloatMode: 240
; IeeeMode: 1
; LDSByteSize: 0 bytes/workgroup (compile time only)
; SGPRBlocks: 0
; VGPRBlocks: 5
; NumSGPRsForWavesPerEU: 15
; NumVGPRsForWavesPerEU: 47
; Occupancy: 16
; WaveLimiterHint : 0
; COMPUTE_PGM_RSRC2:SCRATCH_EN: 0
; COMPUTE_PGM_RSRC2:USER_SGPR: 2
; COMPUTE_PGM_RSRC2:TRAP_HANDLER: 0
; COMPUTE_PGM_RSRC2:TGID_X_EN: 1
; COMPUTE_PGM_RSRC2:TGID_Y_EN: 1
; COMPUTE_PGM_RSRC2:TGID_Z_EN: 0
; COMPUTE_PGM_RSRC2:TIDIG_COMP_CNT: 1
	.section	.text._ZL13mul_mat_vec_qIN3c108BFloat16ELi256ELi8E11block_iq2_sLi1EXadL_ZL18vec_dot_iq2_s_q8_1PKvPK10block_q8_1RKiEEEvS4_S4_PT_iii,"axG",@progbits,_ZL13mul_mat_vec_qIN3c108BFloat16ELi256ELi8E11block_iq2_sLi1EXadL_ZL18vec_dot_iq2_s_q8_1PKvPK10block_q8_1RKiEEEvS4_S4_PT_iii,comdat
	.globl	_ZL13mul_mat_vec_qIN3c108BFloat16ELi256ELi8E11block_iq2_sLi1EXadL_ZL18vec_dot_iq2_s_q8_1PKvPK10block_q8_1RKiEEEvS4_S4_PT_iii ; -- Begin function _ZL13mul_mat_vec_qIN3c108BFloat16ELi256ELi8E11block_iq2_sLi1EXadL_ZL18vec_dot_iq2_s_q8_1PKvPK10block_q8_1RKiEEEvS4_S4_PT_iii
	.p2align	8
	.type	_ZL13mul_mat_vec_qIN3c108BFloat16ELi256ELi8E11block_iq2_sLi1EXadL_ZL18vec_dot_iq2_s_q8_1PKvPK10block_q8_1RKiEEEvS4_S4_PT_iii,@function
_ZL13mul_mat_vec_qIN3c108BFloat16ELi256ELi8E11block_iq2_sLi1EXadL_ZL18vec_dot_iq2_s_q8_1PKvPK10block_q8_1RKiEEEvS4_S4_PT_iii: ; @_ZL13mul_mat_vec_qIN3c108BFloat16ELi256ELi8E11block_iq2_sLi1EXadL_ZL18vec_dot_iq2_s_q8_1PKvPK10block_q8_1RKiEEEvS4_S4_PT_iii
; %bb.0:
	s_clause 0x1
	s_load_u16 s2, s[0:1], 0x36
	s_load_b96 s[4:6], s[0:1], 0x18
	v_bfe_u32 v1, v0, 10, 10
	s_wait_kmcnt 0x0
	s_delay_alu instid0(VALU_DEP_1)
	v_mad_co_u64_u32 v[1:2], null, ttmp9, s2, v[1:2]
	s_cmp_lt_u32 ttmp7, s6
	s_cselect_b32 s2, -1, 0
	v_cmp_gt_u32_e32 vcc_lo, s5, v1
	s_wait_alu 0xfffe
	s_and_b32 s2, s2, vcc_lo
	s_wait_alu 0xfffe
	s_and_saveexec_b32 s3, s2
	s_cbranch_execz .LBB114_7
; %bb.1:
	s_load_b64 s[6:7], s[0:1], 0x10
	s_ashr_i32 s2, s4, 31
	v_bfe_u32 v4, v0, 3, 7
	s_wait_alu 0xfffe
	s_lshr_b32 s2, s2, 24
	v_dual_mov_b32 v5, 0 :: v_dual_and_b32 v0, 0x3ff, v0
	s_wait_alu 0xfffe
	s_add_co_i32 s2, s4, s2
	s_mov_b32 s8, exec_lo
	s_wait_alu 0xfffe
	s_ashr_i32 s9, s2, 8
	s_delay_alu instid0(SALU_CYCLE_1)
	v_cmpx_gt_u32_e64 s9, v4
	s_cbranch_execz .LBB114_5
; %bb.2:
	s_load_b128 s[0:3], s[0:1], 0x0
	s_addk_co_i32 s4, 0x1ff
	v_dual_mov_b32 v5, 0 :: v_dual_and_b32 v6, 7, v0
	s_wait_alu 0xfffe
	s_ashr_i32 s10, s4, 31
	v_lshlrev_b32_e32 v9, 3, v4
	s_lshr_b32 s10, s10, 23
	v_mul_lo_u32 v7, v1, s9
	s_add_co_i32 s4, s4, s10
	v_lshlrev_b32_e32 v8, 2, v6
	s_wait_alu 0xfffe
	s_ashr_i32 s4, s4, 9
	s_wait_alu 0xfffe
	s_mul_i32 s4, ttmp7, s4
	s_wait_alu 0xfffe
	v_lshl_add_u32 v9, s4, 4, v9
	s_mov_b32 s4, 0
	s_wait_kmcnt 0x0
	v_mad_co_u64_u32 v[2:3], null, v6, 36, s[2:3]
.LBB114_3:                              ; =>This Inner Loop Header: Depth=1
	v_add_nc_u32_e32 v10, v7, v4
	s_delay_alu instid0(VALU_DEP_2)
	v_mad_co_i64_i32 v[22:23], null, v9, 36, v[2:3]
	s_getpc_b64 s[2:3]
	s_wait_alu 0xfffe
	s_sext_i32_i16 s3, s3
	s_add_co_u32 s2, s2, _ZL9iq2s_grid@rel32@lo+12
	s_wait_alu 0xfffe
	s_add_co_ci_u32 s3, s3, _ZL9iq2s_grid@rel32@hi+24
	v_add_nc_u32_e32 v4, 4, v4
	v_mad_co_i64_i32 v[18:19], null, 0x52, v10, s[0:1]
	v_add_nc_u32_e32 v9, 32, v9
	s_delay_alu instid0(VALU_DEP_2) | instskip(SKIP_1) | instid1(VALU_DEP_3)
	v_add_co_u32 v20, vcc_lo, v18, v8
	s_wait_alu 0xfffd
	v_add_co_ci_u32_e64 v21, null, 0, v19, vcc_lo
	v_add_co_u32 v10, vcc_lo, v18, v6
	s_wait_alu 0xfffd
	v_add_co_ci_u32_e64 v11, null, 0, v19, vcc_lo
	s_clause 0x2
	global_load_b32 v24, v[20:21], off offset:2
	global_load_u8 v25, v[10:11], off offset:66
	global_load_u8 v30, v[10:11], off offset:74
	s_clause 0x1
	global_load_b128 v[10:13], v[22:23], off offset:4
	global_load_b128 v[14:17], v[22:23], off offset:20
	global_load_b32 v31, v[20:21], off offset:34
	s_wait_loadcnt 0x5
	v_and_b32_e32 v21, 0xff, v24
	s_wait_loadcnt 0x4
	v_lshlrev_b32_e32 v26, 8, v25
	v_bfe_u32 v27, v24, 8, 8
	v_lshlrev_b32_e32 v28, 6, v25
	v_lshrrev_b32_e32 v20, 24, v24
	v_bfe_u32 v24, v24, 16, 8
	v_lshlrev_b32_e32 v29, 4, v25
	v_lshlrev_b32_e32 v25, 2, v25
	v_and_or_b32 v21, 0x300, v26, v21
	v_and_or_b32 v26, 0x300, v28, v27
	s_wait_loadcnt 0x1
	v_perm_b32 v32, v14, v15, 0xc0c0400
	v_and_or_b32 v24, 0x300, v29, v24
	v_and_or_b32 v20, 0x300, v25, v20
	v_lshlrev_b32_e32 v21, 3, v21
	v_lshlrev_b32_e32 v25, 3, v26
	v_perm_b32 v33, v17, v16, 0x4000c0c
	v_lshlrev_b32_e32 v26, 3, v24
	v_lshlrev_b32_e32 v28, 3, v20
	s_clause 0x3
	global_load_b64 v[20:21], v21, s[2:3]
	global_load_b64 v[24:25], v25, s[2:3]
	;; [unrolled: 1-line block ×4, first 2 shown]
	global_load_b32 v22, v[22:23], off
	global_load_u16 v18, v[18:19], off
	v_perm_b32 v19, v14, v15, 0xc0c0602
	v_perm_b32 v23, v17, v16, 0x6020c0c
	;; [unrolled: 1-line block ×14, first 2 shown]
	v_or_b32_e32 v13, v23, v19
	v_or_b32_e32 v19, v33, v32
	s_wait_loadcnt 0x6
	v_and_b32_e32 v32, 15, v31
	v_or_b32_e32 v14, v15, v14
	v_or_b32_e32 v15, v17, v16
	;; [unrolled: 1-line block ×4, first 2 shown]
	v_mul_lo_u32 v32, 0x1010101, v32
	v_bfe_u32 v36, v31, 20, 4
	v_or_b32_e32 v10, v11, v10
	v_lshrrev_b32_e32 v11, 8, v31
	v_lshrrev_b32_e32 v23, 24, v31
	v_lshrrev_b16 v33, 4, v31
	v_mul_lo_u32 v36, 0x1010101, v36
	v_lshrrev_b16 v37, 4, v30
	v_not_b32_e32 v32, v32
	v_lshrrev_b16 v23, 4, v23
	v_and_b32_e32 v33, 15, v33
	v_lshrrev_b16 v11, 4, v11
	v_and_b32_e32 v30, 15, v30
	v_and_b32_e32 v38, 0x8040201, v32
	;; [unrolled: 1-line block ×5, first 2 shown]
	v_not_b32_e32 v36, v36
	v_cmp_gt_u32_e32 vcc_lo, 0x1000000, v38
	v_and_b32_e32 v33, 0xffff, v33
	v_and_b32_e32 v23, 0xffff, v23
	;; [unrolled: 1-line block ×4, first 2 shown]
	s_wait_alu 0xfffd
	v_cndmask_b32_e64 v38, 0, -1, vcc_lo
	v_cmp_eq_u32_e32 vcc_lo, 0, v39
	v_and_b32_e32 v48, 0x40000, v36
	v_and_b32_e32 v49, 0x200, v36
	;; [unrolled: 1-line block ×3, first 2 shown]
	v_mul_lo_u32 v33, 0x1010101, v33
	s_wait_alu 0xfffd
	v_cndmask_b32_e64 v39, 0, 0xff0000, vcc_lo
	v_cmp_eq_u32_e32 vcc_lo, 0, v40
	v_mul_lo_u32 v23, 0x1010101, v23
	v_and_b32_e32 v11, 0xffff, v11
	v_lshlrev_b32_e32 v38, 24, v38
	s_wait_alu 0xfffd
	v_cndmask_b32_e64 v40, 0, 0xff00, vcc_lo
	v_cmp_eq_u32_e32 vcc_lo, 0, v32
	v_not_b32_e32 v33, v33
	v_mul_lo_u32 v11, 0x1010101, v11
	v_not_b32_e32 v23, v23
	s_wait_alu 0xfffd
	v_cndmask_b32_e64 v32, 0, 0xff, vcc_lo
	v_and_b32_e32 v54, 0x8040201, v33
	v_and_b32_e32 v55, 0x40000, v33
	v_and_b32_e32 v56, 0x200, v33
	v_and_b32_e32 v33, 1, v33
	v_and_b32_e32 v61, 0x8040201, v23
	v_and_b32_e32 v62, 0x40000, v23
	v_and_b32_e32 v63, 0x200, v23
	v_not_b32_e32 v11, v11
	v_and_b32_e32 v23, 1, v23
	v_or_b32_e32 v53, v40, v32
	s_delay_alu instid0(VALU_DEP_3)
	v_and_b32_e32 v64, 0x8040201, v11
	v_and_b32_e32 v66, 0x200, v11
	;; [unrolled: 1-line block ×4, first 2 shown]
	v_or3_b32 v53, v53, v39, v38
	s_wait_loadcnt 0x5
	s_delay_alu instid0(VALU_DEP_1)
	v_xor_b32_e32 v20, v53, v20
	s_wait_loadcnt 0x1
	v_cvt_f32_f16_e32 v12, v22
	v_or_b32_e32 v22, v35, v34
	v_bfe_u32 v34, v31, 8, 4
	v_bfe_u32 v35, v31, 16, 4
	;; [unrolled: 1-line block ×3, first 2 shown]
	v_sub_nc_u32_e32 v38, v20, v38
	v_sub_nc_u32_e32 v39, v20, v39
	v_mul_lo_u32 v34, 0x1010101, v34
	v_mul_lo_u32 v35, 0x1010101, v35
	;; [unrolled: 1-line block ×3, first 2 shown]
	v_sub_nc_u32_e32 v40, v20, v40
	v_sub_nc_u32_e32 v20, v20, v32
	v_not_b32_e32 v34, v34
	v_not_b32_e32 v35, v35
	;; [unrolled: 1-line block ×3, first 2 shown]
	s_delay_alu instid0(VALU_DEP_3)
	v_and_b32_e32 v41, 0x8040201, v34
	v_and_b32_e32 v42, 0x40000, v34
	;; [unrolled: 1-line block ×5, first 2 shown]
	v_cmp_gt_u32_e32 vcc_lo, 0x1000000, v41
	v_and_b32_e32 v45, 0x40000, v35
	v_and_b32_e32 v46, 0x200, v35
	;; [unrolled: 1-line block ×4, first 2 shown]
	s_wait_alu 0xfffd
	v_cndmask_b32_e64 v41, 0, -1, vcc_lo
	v_cmp_eq_u32_e32 vcc_lo, 0, v42
	v_and_b32_e32 v51, 0x40000, v31
	v_and_b32_e32 v52, 0x200, v31
	;; [unrolled: 1-line block ×3, first 2 shown]
	v_lshlrev_b32_e32 v41, 24, v41
	s_wait_alu 0xfffd
	v_cndmask_b32_e64 v42, 0, 0xff0000, vcc_lo
	v_cmp_eq_u32_e32 vcc_lo, 0, v43
	s_wait_alu 0xfffd
	v_cndmask_b32_e64 v43, 0, 0xff00, vcc_lo
	v_cmp_eq_u32_e32 vcc_lo, 0, v34
	s_wait_alu 0xfffd
	v_cndmask_b32_e64 v34, 0, 0xff, vcc_lo
	v_cmp_gt_u32_e32 vcc_lo, 0x1000000, v44
	s_delay_alu instid0(VALU_DEP_2) | instskip(SKIP_3) | instid1(VALU_DEP_3)
	v_or_b32_e32 v57, v43, v34
	s_wait_alu 0xfffd
	v_cndmask_b32_e64 v44, 0, -1, vcc_lo
	v_cmp_eq_u32_e32 vcc_lo, 0, v45
	v_or3_b32 v57, v57, v42, v41
	s_delay_alu instid0(VALU_DEP_3)
	v_lshlrev_b32_e32 v44, 24, v44
	s_wait_alu 0xfffd
	v_cndmask_b32_e64 v45, 0, 0xff0000, vcc_lo
	v_cmp_eq_u32_e32 vcc_lo, 0, v46
	v_xor_b32_e32 v24, v57, v24
	s_wait_alu 0xfffd
	v_cndmask_b32_e64 v46, 0, 0xff00, vcc_lo
	v_cmp_eq_u32_e32 vcc_lo, 0, v35
	s_wait_alu 0xfffd
	v_cndmask_b32_e64 v35, 0, 0xff, vcc_lo
	v_cmp_gt_u32_e32 vcc_lo, 0x1000000, v47
	s_delay_alu instid0(VALU_DEP_2) | instskip(SKIP_3) | instid1(VALU_DEP_3)
	v_or_b32_e32 v58, v46, v35
	s_wait_alu 0xfffd
	v_cndmask_b32_e64 v47, 0, -1, vcc_lo
	v_cmp_eq_u32_e32 vcc_lo, 0, v48
	v_or3_b32 v58, v58, v45, v44
	s_delay_alu instid0(VALU_DEP_3)
	v_lshlrev_b32_e32 v47, 24, v47
	s_wait_alu 0xfffd
	v_cndmask_b32_e64 v48, 0, 0xff0000, vcc_lo
	v_cmp_eq_u32_e32 vcc_lo, 0, v49
	v_xor_b32_e32 v26, v58, v26
	;; [unrolled: 18-line block ×5, first 2 shown]
	s_wait_alu 0xfffd
	v_cndmask_b32_e64 v63, 0, 0xff00, vcc_lo
	v_cmp_eq_u32_e32 vcc_lo, 0, v23
	s_delay_alu instid0(VALU_DEP_3)
	v_sub_nc_u32_e32 v32, v21, v54
	v_sub_nc_u32_e32 v53, v21, v55
	;; [unrolled: 1-line block ×4, first 2 shown]
	s_wait_alu 0xfffd
	v_cndmask_b32_e64 v23, 0, 0xff, vcc_lo
	v_cmp_gt_u32_e32 vcc_lo, 0x1000000, v64
	v_sub_nc_u32_e32 v33, v24, v41
	v_sub_nc_u32_e32 v41, v24, v42
	;; [unrolled: 1-line block ×3, first 2 shown]
	v_or_b32_e32 v68, v63, v23
	s_wait_alu 0xfffd
	v_cndmask_b32_e64 v64, 0, -1, vcc_lo
	v_cmp_eq_u32_e32 vcc_lo, 0, v66
	v_sub_nc_u32_e32 v24, v24, v34
	v_or3_b32 v68, v68, v62, v61
	s_delay_alu instid0(VALU_DEP_4)
	v_lshlrev_b32_e32 v64, 24, v64
	s_wait_alu 0xfffd
	v_cndmask_b32_e64 v66, 0, 0xff00, vcc_lo
	v_cmp_eq_u32_e32 vcc_lo, 0, v11
	v_perm_b32 v41, v41, v24, 0xc060c00
	v_xor_b32_e32 v29, v68, v29
	s_wait_alu 0xfffd
	v_cndmask_b32_e64 v11, 0, 0xff, vcc_lo
	v_cmp_eq_u32_e32 vcc_lo, 0, v65
	s_delay_alu instid0(VALU_DEP_3) | instskip(NEXT) | instid1(VALU_DEP_3)
	v_sub_nc_u32_e32 v23, v29, v23
	v_or_b32_e32 v69, v66, v11
	s_wait_alu 0xfffd
	v_cndmask_b32_e64 v65, 0, 0xff0000, vcc_lo
	v_cmp_le_u32_e32 vcc_lo, s9, v4
	s_delay_alu instid0(VALU_DEP_2) | instskip(SKIP_1) | instid1(VALU_DEP_1)
	v_or3_b32 v69, v69, v65, v64
	s_or_b32 s4, vcc_lo, s4
	v_xor_b32_e32 v25, v69, v25
	s_delay_alu instid0(VALU_DEP_1)
	v_sub_nc_u32_e32 v34, v25, v64
	v_sub_nc_u32_e32 v43, v25, v65
	;; [unrolled: 1-line block ×19, first 2 shown]
	v_perm_b32 v44, v44, v26, 0xc060c00
	v_perm_b32 v46, v46, v27, 0xc060c00
	v_perm_b32 v48, v48, v28, 0xc060c00
	v_perm_b32 v50, v50, v23, 0xc060c00
	v_perm_b32 v26, v26, v27, 0xc0c0400
	v_perm_b32 v23, v23, v28, 0x4000c0c
	v_perm_b32 v25, v25, v35, 0xc0c0703
	v_perm_b32 v27, v31, v36, 0x7030c0c
	v_perm_b32 v28, v45, v47, 0xc0c0501
	v_perm_b32 v31, v51, v49, 0x5010c0c
	v_perm_b32 v29, v39, v20, 0xc060c00
	v_perm_b32 v39, v53, v21, 0xc060c00
	v_perm_b32 v43, v43, v11, 0xc060c00
	v_perm_b32 v20, v20, v21, 0xc0c0400
	v_perm_b32 v11, v11, v24, 0x4000c0c
	v_perm_b32 v21, v38, v32, 0xc0c0703
	v_perm_b32 v24, v34, v33, 0x7030c0c
	v_perm_b32 v32, v40, v54, 0xc0c0501
	v_perm_b32 v33, v55, v42, 0x5010c0c
	v_perm_b32 v34, v44, v46, 0xc0c0602
	v_perm_b32 v35, v50, v48, 0x6020c0c
	v_or_b32_e32 v23, v23, v26
	v_or_b32_e32 v25, v27, v25
	;; [unrolled: 1-line block ×3, first 2 shown]
	v_perm_b32 v27, v29, v39, 0xc0c0602
	v_perm_b32 v28, v43, v41, 0x6020c0c
	v_or_b32_e32 v11, v11, v20
	v_or_b32_e32 v20, v24, v21
	;; [unrolled: 1-line block ×4, first 2 shown]
	v_dot4_i32_iu8 v22, v25, v22, 0 neg_lo:[1,1,0]
	v_dot4_i32_iu8 v14, v26, v14, 0 neg_lo:[1,1,0]
	;; [unrolled: 1-line block ×3, first 2 shown]
	v_or_b32_e32 v23, v28, v27
	v_dot4_i32_iu8 v17, v20, v17, 0 neg_lo:[1,1,0]
	v_dot4_i32_iu8 v10, v21, v10, 0 neg_lo:[1,1,0]
	;; [unrolled: 1-line block ×3, first 2 shown]
	v_add_nc_u32_e32 v14, v14, v22
	v_cvt_f32_ubyte0_e32 v20, v37
	v_dot4_i32_iu8 v11, v11, v16, 0 neg_lo:[1,1,0]
	v_dot4_i32_iu8 v15, v23, v15, 0 neg_lo:[1,1,0]
	v_add_nc_u32_e32 v10, v10, v17
	v_add3_u32 v13, v19, v13, v14
	s_wait_loadcnt 0x0
	v_cvt_f32_f16_e32 v14, v18
	v_cvt_f32_ubyte0_e32 v16, v30
	v_add_f32_e32 v17, 0.5, v20
	v_add3_u32 v10, v11, v15, v10
	v_cvt_f32_i32_e32 v11, v13
	v_mul_f32_e32 v12, v14, v12
	v_add_f32_e32 v13, 0.5, v16
	s_delay_alu instid0(VALU_DEP_4) | instskip(NEXT) | instid1(VALU_DEP_3)
	v_cvt_f32_i32_e32 v10, v10
	v_dual_mul_f32 v11, v17, v11 :: v_dual_mul_f32 v12, 0x3e800000, v12
	s_delay_alu instid0(VALU_DEP_1) | instskip(NEXT) | instid1(VALU_DEP_1)
	v_fmac_f32_e32 v11, v13, v10
	v_fmac_f32_e32 v5, v12, v11
	s_wait_alu 0xfffe
	s_and_not1_b32 exec_lo, exec_lo, s4
	s_cbranch_execnz .LBB114_3
; %bb.4:
	s_or_b32 exec_lo, exec_lo, s4
.LBB114_5:
	s_delay_alu instid0(SALU_CYCLE_1) | instskip(SKIP_1) | instid1(VALU_DEP_1)
	s_or_b32 exec_lo, exec_lo, s8
	v_mbcnt_lo_u32_b32 v2, -1, 0
	v_xor_b32_e32 v3, 16, v2
	v_xor_b32_e32 v4, 8, v2
	s_delay_alu instid0(VALU_DEP_2) | instskip(SKIP_2) | instid1(VALU_DEP_3)
	v_cmp_gt_i32_e32 vcc_lo, 32, v3
	s_wait_alu 0xfffd
	v_cndmask_b32_e32 v3, v2, v3, vcc_lo
	v_cmp_gt_i32_e32 vcc_lo, 32, v4
	s_wait_alu 0xfffd
	v_cndmask_b32_e32 v4, v2, v4, vcc_lo
	s_delay_alu instid0(VALU_DEP_1)
	v_lshlrev_b32_e32 v4, 2, v4
	v_lshlrev_b32_e32 v3, 2, v3
	ds_bpermute_b32 v3, v3, v5
	s_wait_dscnt 0x0
	v_add_f32_e32 v3, v5, v3
	v_xor_b32_e32 v5, 4, v2
	ds_bpermute_b32 v4, v4, v3
	v_cmp_gt_i32_e32 vcc_lo, 32, v5
	s_wait_alu 0xfffd
	v_cndmask_b32_e32 v5, v2, v5, vcc_lo
	s_delay_alu instid0(VALU_DEP_1) | instskip(SKIP_4) | instid1(VALU_DEP_1)
	v_lshlrev_b32_e32 v5, 2, v5
	s_wait_dscnt 0x0
	v_add_f32_e32 v3, v3, v4
	ds_bpermute_b32 v4, v5, v3
	v_xor_b32_e32 v5, 2, v2
	v_cmp_gt_i32_e32 vcc_lo, 32, v5
	s_wait_alu 0xfffd
	v_cndmask_b32_e32 v5, v2, v5, vcc_lo
	s_delay_alu instid0(VALU_DEP_1) | instskip(SKIP_4) | instid1(VALU_DEP_1)
	v_lshlrev_b32_e32 v5, 2, v5
	s_wait_dscnt 0x0
	v_add_f32_e32 v3, v3, v4
	ds_bpermute_b32 v4, v5, v3
	v_xor_b32_e32 v5, 1, v2
	v_cmp_gt_i32_e32 vcc_lo, 32, v5
	s_wait_alu 0xfffd
	v_cndmask_b32_e32 v5, v2, v5, vcc_lo
	v_cmp_eq_u32_e32 vcc_lo, 0, v0
	s_wait_dscnt 0x0
	s_delay_alu instid0(VALU_DEP_2)
	v_dual_add_f32 v2, v3, v4 :: v_dual_lshlrev_b32 v3, 2, v5
	ds_bpermute_b32 v3, v3, v2
	s_and_b32 exec_lo, exec_lo, vcc_lo
	s_cbranch_execz .LBB114_7
; %bb.6:
	s_wait_dscnt 0x0
	v_add_f32_e32 v2, v2, v3
	s_delay_alu instid0(VALU_DEP_1) | instskip(SKIP_3) | instid1(VALU_DEP_2)
	v_mad_co_u64_u32 v[0:1], null, s5, ttmp7, v[1:2]
	v_mov_b32_e32 v1, 0
	v_bfe_u32 v3, v2, 16, 1
	v_cmp_o_f32_e32 vcc_lo, v2, v2
	v_add3_u32 v3, v2, v3, 0x7fff
	s_delay_alu instid0(VALU_DEP_4) | instskip(NEXT) | instid1(VALU_DEP_2)
	v_lshlrev_b64_e32 v[0:1], 1, v[0:1]
	v_lshrrev_b32_e32 v3, 16, v3
	s_wait_alu 0xfffd
	s_delay_alu instid0(VALU_DEP_1) | instskip(SKIP_1) | instid1(VALU_DEP_3)
	v_cndmask_b32_e32 v2, 0x7fc0, v3, vcc_lo
	s_wait_kmcnt 0x0
	v_add_co_u32 v0, vcc_lo, s6, v0
	s_wait_alu 0xfffd
	v_add_co_ci_u32_e64 v1, null, s7, v1, vcc_lo
	global_store_b16 v[0:1], v2, off
.LBB114_7:
	s_endpgm
	.section	.rodata,"a",@progbits
	.p2align	6, 0x0
	.amdhsa_kernel _ZL13mul_mat_vec_qIN3c108BFloat16ELi256ELi8E11block_iq2_sLi1EXadL_ZL18vec_dot_iq2_s_q8_1PKvPK10block_q8_1RKiEEEvS4_S4_PT_iii
		.amdhsa_group_segment_fixed_size 0
		.amdhsa_private_segment_fixed_size 0
		.amdhsa_kernarg_size 296
		.amdhsa_user_sgpr_count 2
		.amdhsa_user_sgpr_dispatch_ptr 0
		.amdhsa_user_sgpr_queue_ptr 0
		.amdhsa_user_sgpr_kernarg_segment_ptr 1
		.amdhsa_user_sgpr_dispatch_id 0
		.amdhsa_user_sgpr_private_segment_size 0
		.amdhsa_wavefront_size32 1
		.amdhsa_uses_dynamic_stack 0
		.amdhsa_enable_private_segment 0
		.amdhsa_system_sgpr_workgroup_id_x 1
		.amdhsa_system_sgpr_workgroup_id_y 1
		.amdhsa_system_sgpr_workgroup_id_z 0
		.amdhsa_system_sgpr_workgroup_info 0
		.amdhsa_system_vgpr_workitem_id 1
		.amdhsa_next_free_vgpr 70
		.amdhsa_next_free_sgpr 11
		.amdhsa_reserve_vcc 1
		.amdhsa_float_round_mode_32 0
		.amdhsa_float_round_mode_16_64 0
		.amdhsa_float_denorm_mode_32 3
		.amdhsa_float_denorm_mode_16_64 3
		.amdhsa_fp16_overflow 0
		.amdhsa_workgroup_processor_mode 1
		.amdhsa_memory_ordered 1
		.amdhsa_forward_progress 1
		.amdhsa_inst_pref_size 25
		.amdhsa_round_robin_scheduling 0
		.amdhsa_exception_fp_ieee_invalid_op 0
		.amdhsa_exception_fp_denorm_src 0
		.amdhsa_exception_fp_ieee_div_zero 0
		.amdhsa_exception_fp_ieee_overflow 0
		.amdhsa_exception_fp_ieee_underflow 0
		.amdhsa_exception_fp_ieee_inexact 0
		.amdhsa_exception_int_div_zero 0
	.end_amdhsa_kernel
	.section	.text._ZL13mul_mat_vec_qIN3c108BFloat16ELi256ELi8E11block_iq2_sLi1EXadL_ZL18vec_dot_iq2_s_q8_1PKvPK10block_q8_1RKiEEEvS4_S4_PT_iii,"axG",@progbits,_ZL13mul_mat_vec_qIN3c108BFloat16ELi256ELi8E11block_iq2_sLi1EXadL_ZL18vec_dot_iq2_s_q8_1PKvPK10block_q8_1RKiEEEvS4_S4_PT_iii,comdat
.Lfunc_end114:
	.size	_ZL13mul_mat_vec_qIN3c108BFloat16ELi256ELi8E11block_iq2_sLi1EXadL_ZL18vec_dot_iq2_s_q8_1PKvPK10block_q8_1RKiEEEvS4_S4_PT_iii, .Lfunc_end114-_ZL13mul_mat_vec_qIN3c108BFloat16ELi256ELi8E11block_iq2_sLi1EXadL_ZL18vec_dot_iq2_s_q8_1PKvPK10block_q8_1RKiEEEvS4_S4_PT_iii
                                        ; -- End function
	.set _ZL13mul_mat_vec_qIN3c108BFloat16ELi256ELi8E11block_iq2_sLi1EXadL_ZL18vec_dot_iq2_s_q8_1PKvPK10block_q8_1RKiEEEvS4_S4_PT_iii.num_vgpr, 70
	.set _ZL13mul_mat_vec_qIN3c108BFloat16ELi256ELi8E11block_iq2_sLi1EXadL_ZL18vec_dot_iq2_s_q8_1PKvPK10block_q8_1RKiEEEvS4_S4_PT_iii.num_agpr, 0
	.set _ZL13mul_mat_vec_qIN3c108BFloat16ELi256ELi8E11block_iq2_sLi1EXadL_ZL18vec_dot_iq2_s_q8_1PKvPK10block_q8_1RKiEEEvS4_S4_PT_iii.numbered_sgpr, 11
	.set _ZL13mul_mat_vec_qIN3c108BFloat16ELi256ELi8E11block_iq2_sLi1EXadL_ZL18vec_dot_iq2_s_q8_1PKvPK10block_q8_1RKiEEEvS4_S4_PT_iii.num_named_barrier, 0
	.set _ZL13mul_mat_vec_qIN3c108BFloat16ELi256ELi8E11block_iq2_sLi1EXadL_ZL18vec_dot_iq2_s_q8_1PKvPK10block_q8_1RKiEEEvS4_S4_PT_iii.private_seg_size, 0
	.set _ZL13mul_mat_vec_qIN3c108BFloat16ELi256ELi8E11block_iq2_sLi1EXadL_ZL18vec_dot_iq2_s_q8_1PKvPK10block_q8_1RKiEEEvS4_S4_PT_iii.uses_vcc, 1
	.set _ZL13mul_mat_vec_qIN3c108BFloat16ELi256ELi8E11block_iq2_sLi1EXadL_ZL18vec_dot_iq2_s_q8_1PKvPK10block_q8_1RKiEEEvS4_S4_PT_iii.uses_flat_scratch, 0
	.set _ZL13mul_mat_vec_qIN3c108BFloat16ELi256ELi8E11block_iq2_sLi1EXadL_ZL18vec_dot_iq2_s_q8_1PKvPK10block_q8_1RKiEEEvS4_S4_PT_iii.has_dyn_sized_stack, 0
	.set _ZL13mul_mat_vec_qIN3c108BFloat16ELi256ELi8E11block_iq2_sLi1EXadL_ZL18vec_dot_iq2_s_q8_1PKvPK10block_q8_1RKiEEEvS4_S4_PT_iii.has_recursion, 0
	.set _ZL13mul_mat_vec_qIN3c108BFloat16ELi256ELi8E11block_iq2_sLi1EXadL_ZL18vec_dot_iq2_s_q8_1PKvPK10block_q8_1RKiEEEvS4_S4_PT_iii.has_indirect_call, 0
	.section	.AMDGPU.csdata,"",@progbits
; Kernel info:
; codeLenInByte = 3172
; TotalNumSgprs: 13
; NumVgprs: 70
; ScratchSize: 0
; MemoryBound: 0
; FloatMode: 240
; IeeeMode: 1
; LDSByteSize: 0 bytes/workgroup (compile time only)
; SGPRBlocks: 0
; VGPRBlocks: 8
; NumSGPRsForWavesPerEU: 13
; NumVGPRsForWavesPerEU: 70
; Occupancy: 16
; WaveLimiterHint : 0
; COMPUTE_PGM_RSRC2:SCRATCH_EN: 0
; COMPUTE_PGM_RSRC2:USER_SGPR: 2
; COMPUTE_PGM_RSRC2:TRAP_HANDLER: 0
; COMPUTE_PGM_RSRC2:TGID_X_EN: 1
; COMPUTE_PGM_RSRC2:TGID_Y_EN: 1
; COMPUTE_PGM_RSRC2:TGID_Z_EN: 0
; COMPUTE_PGM_RSRC2:TIDIG_COMP_CNT: 1
	.section	.text._ZL13mul_mat_vec_qIN3c108BFloat16ELi256ELi8E12block_iq4_xsLi1EXadL_ZL19vec_dot_iq4_xs_q8_1PKvPK10block_q8_1RKiEEEvS4_S4_PT_iii,"axG",@progbits,_ZL13mul_mat_vec_qIN3c108BFloat16ELi256ELi8E12block_iq4_xsLi1EXadL_ZL19vec_dot_iq4_xs_q8_1PKvPK10block_q8_1RKiEEEvS4_S4_PT_iii,comdat
	.globl	_ZL13mul_mat_vec_qIN3c108BFloat16ELi256ELi8E12block_iq4_xsLi1EXadL_ZL19vec_dot_iq4_xs_q8_1PKvPK10block_q8_1RKiEEEvS4_S4_PT_iii ; -- Begin function _ZL13mul_mat_vec_qIN3c108BFloat16ELi256ELi8E12block_iq4_xsLi1EXadL_ZL19vec_dot_iq4_xs_q8_1PKvPK10block_q8_1RKiEEEvS4_S4_PT_iii
	.p2align	8
	.type	_ZL13mul_mat_vec_qIN3c108BFloat16ELi256ELi8E12block_iq4_xsLi1EXadL_ZL19vec_dot_iq4_xs_q8_1PKvPK10block_q8_1RKiEEEvS4_S4_PT_iii,@function
_ZL13mul_mat_vec_qIN3c108BFloat16ELi256ELi8E12block_iq4_xsLi1EXadL_ZL19vec_dot_iq4_xs_q8_1PKvPK10block_q8_1RKiEEEvS4_S4_PT_iii: ; @_ZL13mul_mat_vec_qIN3c108BFloat16ELi256ELi8E12block_iq4_xsLi1EXadL_ZL19vec_dot_iq4_xs_q8_1PKvPK10block_q8_1RKiEEEvS4_S4_PT_iii
; %bb.0:
	s_clause 0x1
	s_load_u16 s2, s[0:1], 0x36
	s_load_b96 s[4:6], s[0:1], 0x18
	v_bfe_u32 v1, v0, 10, 10
	s_wait_kmcnt 0x0
	s_delay_alu instid0(VALU_DEP_1)
	v_mad_co_u64_u32 v[1:2], null, ttmp9, s2, v[1:2]
	s_cmp_lt_u32 ttmp7, s6
	s_cselect_b32 s2, -1, 0
	v_cmp_gt_u32_e32 vcc_lo, s5, v1
	s_wait_alu 0xfffe
	s_and_b32 s2, s2, vcc_lo
	s_wait_alu 0xfffe
	s_and_saveexec_b32 s3, s2
	s_cbranch_execz .LBB115_7
; %bb.1:
	s_load_b64 s[6:7], s[0:1], 0x10
	s_ashr_i32 s2, s4, 31
	v_bfe_u32 v5, v0, 3, 7
	s_wait_alu 0xfffe
	s_lshr_b32 s2, s2, 24
	v_and_b32_e32 v0, 0x3ff, v0
	v_mov_b32_e32 v4, 0
	s_wait_alu 0xfffe
	s_add_co_i32 s2, s4, s2
	s_mov_b32 s8, exec_lo
	s_wait_alu 0xfffe
	s_ashr_i32 s9, s2, 8
	s_delay_alu instid0(SALU_CYCLE_1)
	v_cmpx_gt_u32_e64 s9, v5
	s_cbranch_execz .LBB115_5
; %bb.2:
	s_load_b128 s[0:3], s[0:1], 0x0
	s_addk_co_i32 s4, 0x1ff
	v_dual_mov_b32 v4, 0 :: v_dual_and_b32 v9, 7, v0
	s_wait_alu 0xfffe
	s_ashr_i32 s10, s4, 31
	v_lshlrev_b32_e32 v8, 2, v0
	s_lshr_b32 s10, s10, 23
	v_lshlrev_b32_e32 v10, 3, v5
	s_add_co_i32 s4, s4, s10
	v_lshlrev_b32_e32 v11, 2, v9
	s_wait_alu 0xfffe
	s_ashr_i32 s4, s4, 9
	v_mul_lo_u32 v6, v1, s9
	s_wait_alu 0xfffe
	s_mul_i32 s4, ttmp7, s4
	v_bfe_u32 v7, v0, 1, 2
	v_and_b32_e32 v8, 4, v8
	s_wait_alu 0xfffe
	v_lshl_add_u32 v10, s4, 4, v10
	v_lshlrev_b32_e32 v11, 2, v11
	s_mov_b32 s4, 0
	s_wait_kmcnt 0x0
	v_mad_co_u64_u32 v[2:3], null, v9, 36, s[2:3]
	v_lshlrev_b32_e32 v9, 1, v9
.LBB115_3:                              ; =>This Inner Loop Header: Depth=1
	v_add_nc_u32_e32 v12, v6, v5
	s_delay_alu instid0(VALU_DEP_3)
	v_mad_co_i64_i32 v[20:21], null, v10, 36, v[2:3]
	s_getpc_b64 s[2:3]
	s_wait_alu 0xfffe
	s_sext_i32_i16 s3, s3
	s_add_co_u32 s2, s2, _ZL13kvalues_iq4nl@rel32@lo+12
	s_wait_alu 0xfffe
	s_add_co_ci_u32 s3, s3, _ZL13kvalues_iq4nl@rel32@hi+24
	v_add_nc_u32_e32 v5, 4, v5
	v_mad_co_i64_i32 v[24:25], null, 0x88, v12, s[0:1]
	v_add_nc_u32_e32 v10, 32, v10
	s_delay_alu instid0(VALU_DEP_2) | instskip(SKIP_1) | instid1(VALU_DEP_3)
	v_add_co_u32 v12, vcc_lo, v24, v11
	s_wait_alu 0xfffd
	v_add_co_ci_u32_e64 v13, null, 0, v25, vcc_lo
	v_add_co_u32 v16, vcc_lo, v24, v7
	s_wait_alu 0xfffd
	v_add_co_ci_u32_e64 v17, null, 0, v25, vcc_lo
	s_clause 0x1
	global_load_b128 v[12:15], v[12:13], off offset:8
	global_load_u8 v26, v[16:17], off offset:4
	s_clause 0x2
	global_load_b32 v27, v[20:21], off
	global_load_b128 v[16:19], v[20:21], off offset:4
	global_load_b128 v[20:23], v[20:21], off offset:20
	global_load_b32 v24, v[24:25], off
	v_cmp_le_u32_e32 vcc_lo, s9, v5
	s_or_b32 s4, vcc_lo, s4
	s_wait_loadcnt 0x2
	v_perm_b32 v16, v16, v16, 0x3020001
	v_and_b32_e32 v28, 15, v12
	v_bfe_u32 v29, v12, 8, 4
	v_bfe_u32 v30, v12, 16, 4
	;; [unrolled: 1-line block ×5, first 2 shown]
	v_lshrrev_b32_e32 v32, 28, v12
	v_bfe_u32 v12, v12, 12, 4
	v_bfe_u32 v34, v13, 24, 4
	v_and_b32_e32 v35, 15, v13
	v_bfe_u32 v36, v13, 8, 4
	v_bfe_u32 v37, v13, 16, 4
	v_bfe_u32 v38, v13, 20, 4
	v_lshrrev_b32_e32 v39, 28, v13
	v_bfe_u32 v40, v13, 4, 4
	v_bfe_u32 v13, v13, 12, 4
	v_bfe_u32 v41, v14, 24, 4
	v_and_b32_e32 v42, 15, v14
	v_bfe_u32 v43, v14, 8, 4
	v_bfe_u32 v44, v14, 16, 4
	v_bfe_u32 v45, v14, 20, 4
	v_lshrrev_b32_e32 v46, 28, v14
	v_bfe_u32 v47, v14, 4, 4
	;; [unrolled: 8-line block ×3, first 2 shown]
	v_bfe_u32 v15, v15, 12, 4
	s_clause 0x1f
	global_load_i8 v28, v28, s[2:3]
	global_load_i8 v29, v29, s[2:3]
	;; [unrolled: 1-line block ×32, first 2 shown]
	s_wait_loadcnt 0x20
	v_lshrrev_b32_e32 v55, 16, v24
	v_perm_b32 v20, v20, v20, 0x3020001
	v_bfe_u32 v26, v26, v8, 4
	s_delay_alu instid0(VALU_DEP_3) | instskip(NEXT) | instid1(VALU_DEP_1)
	v_lshrrev_b32_e32 v55, v9, v55
	v_lshlrev_b32_e32 v55, 4, v55
	s_delay_alu instid0(VALU_DEP_1)
	v_and_or_b32 v26, v55, 48, v26
	s_wait_loadcnt 0x1e
	v_perm_b32 v28, v28, v29, 0xc0c0400
	s_wait_loadcnt 0x1b
	v_perm_b32 v12, v33, v12, 0xc0c0400
	s_wait_loadcnt 0x19
	v_perm_b32 v29, v32, v31, 0x4000c0c
	s_wait_loadcnt 0x18
	v_perm_b32 v25, v25, v30, 0x4000c0c
	s_wait_loadcnt 0x16
	v_perm_b32 v30, v36, v35, 0xc0c0400
	v_or_b32_e32 v12, v29, v12
	s_wait_loadcnt 0x13
	v_perm_b32 v13, v13, v40, 0xc0c0400
	v_or_b32_e32 v25, v25, v28
	s_wait_loadcnt 0x11
	v_perm_b32 v32, v39, v38, 0x4000c0c
	s_wait_loadcnt 0x10
	v_perm_b32 v31, v34, v37, 0x4000c0c
	v_dot4_i32_iu8 v12, v20, v12, 0 neg_lo:[1,1,0]
	s_wait_loadcnt 0xe
	v_perm_b32 v33, v43, v42, 0xc0c0400
	v_dot4_i32_iu8 v16, v16, v25, 0 neg_lo:[1,1,0]
	v_or_b32_e32 v13, v32, v13
	s_wait_loadcnt 0xb
	v_perm_b32 v14, v14, v47, 0xc0c0400
	v_or_b32_e32 v28, v31, v30
	s_wait_loadcnt 0x9
	v_perm_b32 v35, v46, v45, 0x4000c0c
	s_wait_loadcnt 0x8
	v_perm_b32 v34, v41, v44, 0x4000c0c
	v_dot4_i32_iu8 v12, v21, v13, v12 neg_lo:[1,1,0]
	s_wait_loadcnt 0x6
	v_perm_b32 v36, v50, v49, 0xc0c0400
	v_dot4_i32_iu8 v16, v17, v28, v16 neg_lo:[1,1,0]
	v_or_b32_e32 v14, v35, v14
	v_or_b32_e32 v25, v34, v33
	s_wait_loadcnt 0x2
	v_perm_b32 v20, v53, v52, 0x4000c0c
	s_wait_loadcnt 0x1
	v_perm_b32 v37, v48, v51, 0x4000c0c
	;; [unrolled: 2-line block ×3, first 2 shown]
	v_subrev_nc_u32_e32 v13, 32, v26
	v_dot4_i32_iu8 v16, v18, v25, v16 neg_lo:[1,1,0]
	v_dot4_i32_iu8 v12, v22, v14, v12 neg_lo:[1,1,0]
	v_or_b32_e32 v17, v37, v36
	v_or_b32_e32 v15, v20, v15
	v_cvt_f32_f16_e32 v14, v24
	v_cvt_f32_i32_e32 v13, v13
	s_delay_alu instid0(VALU_DEP_4) | instskip(NEXT) | instid1(VALU_DEP_4)
	v_dot4_i32_iu8 v16, v19, v17, v16 neg_lo:[1,1,0]
	v_dot4_i32_iu8 v12, v23, v15, v12 neg_lo:[1,1,0]
	v_cvt_f32_f16_e32 v15, v27
	s_delay_alu instid0(VALU_DEP_2) | instskip(NEXT) | instid1(VALU_DEP_1)
	v_dual_mul_f32 v13, v14, v13 :: v_dual_add_nc_u32 v12, v12, v16
	v_mul_f32_e32 v13, v13, v15
	s_delay_alu instid0(VALU_DEP_2) | instskip(NEXT) | instid1(VALU_DEP_1)
	v_cvt_f32_i32_e32 v12, v12
	v_fmac_f32_e32 v4, v13, v12
	s_wait_alu 0xfffe
	s_and_not1_b32 exec_lo, exec_lo, s4
	s_cbranch_execnz .LBB115_3
; %bb.4:
	s_or_b32 exec_lo, exec_lo, s4
.LBB115_5:
	s_delay_alu instid0(SALU_CYCLE_1) | instskip(SKIP_1) | instid1(VALU_DEP_1)
	s_or_b32 exec_lo, exec_lo, s8
	v_mbcnt_lo_u32_b32 v2, -1, 0
	v_xor_b32_e32 v3, 16, v2
	v_xor_b32_e32 v5, 8, v2
	s_delay_alu instid0(VALU_DEP_2) | instskip(SKIP_2) | instid1(VALU_DEP_3)
	v_cmp_gt_i32_e32 vcc_lo, 32, v3
	s_wait_alu 0xfffd
	v_cndmask_b32_e32 v3, v2, v3, vcc_lo
	v_cmp_gt_i32_e32 vcc_lo, 32, v5
	s_delay_alu instid0(VALU_DEP_2)
	v_lshlrev_b32_e32 v3, 2, v3
	s_wait_alu 0xfffd
	v_cndmask_b32_e32 v5, v2, v5, vcc_lo
	ds_bpermute_b32 v3, v3, v4
	v_lshlrev_b32_e32 v5, 2, v5
	s_wait_dscnt 0x0
	v_add_f32_e32 v3, v4, v3
	ds_bpermute_b32 v4, v5, v3
	v_xor_b32_e32 v5, 4, v2
	s_delay_alu instid0(VALU_DEP_1) | instskip(SKIP_2) | instid1(VALU_DEP_1)
	v_cmp_gt_i32_e32 vcc_lo, 32, v5
	s_wait_alu 0xfffd
	v_cndmask_b32_e32 v5, v2, v5, vcc_lo
	v_lshlrev_b32_e32 v5, 2, v5
	s_wait_dscnt 0x0
	v_add_f32_e32 v3, v3, v4
	ds_bpermute_b32 v4, v5, v3
	v_xor_b32_e32 v5, 2, v2
	s_delay_alu instid0(VALU_DEP_1) | instskip(SKIP_2) | instid1(VALU_DEP_1)
	v_cmp_gt_i32_e32 vcc_lo, 32, v5
	s_wait_alu 0xfffd
	v_cndmask_b32_e32 v5, v2, v5, vcc_lo
	v_lshlrev_b32_e32 v5, 2, v5
	s_wait_dscnt 0x0
	v_add_f32_e32 v3, v3, v4
	ds_bpermute_b32 v4, v5, v3
	v_xor_b32_e32 v5, 1, v2
	s_delay_alu instid0(VALU_DEP_1) | instskip(SKIP_4) | instid1(VALU_DEP_2)
	v_cmp_gt_i32_e32 vcc_lo, 32, v5
	s_wait_alu 0xfffd
	v_cndmask_b32_e32 v5, v2, v5, vcc_lo
	v_cmp_eq_u32_e32 vcc_lo, 0, v0
	s_wait_dscnt 0x0
	v_dual_add_f32 v2, v3, v4 :: v_dual_lshlrev_b32 v3, 2, v5
	ds_bpermute_b32 v3, v3, v2
	s_and_b32 exec_lo, exec_lo, vcc_lo
	s_cbranch_execz .LBB115_7
; %bb.6:
	s_wait_dscnt 0x0
	v_add_f32_e32 v2, v2, v3
	s_delay_alu instid0(VALU_DEP_1) | instskip(SKIP_3) | instid1(VALU_DEP_2)
	v_mad_co_u64_u32 v[0:1], null, s5, ttmp7, v[1:2]
	v_mov_b32_e32 v1, 0
	v_bfe_u32 v3, v2, 16, 1
	v_cmp_o_f32_e32 vcc_lo, v2, v2
	v_add3_u32 v3, v2, v3, 0x7fff
	s_delay_alu instid0(VALU_DEP_4) | instskip(NEXT) | instid1(VALU_DEP_2)
	v_lshlrev_b64_e32 v[0:1], 1, v[0:1]
	v_lshrrev_b32_e32 v3, 16, v3
	s_wait_alu 0xfffd
	s_delay_alu instid0(VALU_DEP_1) | instskip(SKIP_1) | instid1(VALU_DEP_3)
	v_cndmask_b32_e32 v2, 0x7fc0, v3, vcc_lo
	s_wait_kmcnt 0x0
	v_add_co_u32 v0, vcc_lo, s6, v0
	s_wait_alu 0xfffd
	v_add_co_ci_u32_e64 v1, null, s7, v1, vcc_lo
	global_store_b16 v[0:1], v2, off
.LBB115_7:
	s_endpgm
	.section	.rodata,"a",@progbits
	.p2align	6, 0x0
	.amdhsa_kernel _ZL13mul_mat_vec_qIN3c108BFloat16ELi256ELi8E12block_iq4_xsLi1EXadL_ZL19vec_dot_iq4_xs_q8_1PKvPK10block_q8_1RKiEEEvS4_S4_PT_iii
		.amdhsa_group_segment_fixed_size 0
		.amdhsa_private_segment_fixed_size 0
		.amdhsa_kernarg_size 296
		.amdhsa_user_sgpr_count 2
		.amdhsa_user_sgpr_dispatch_ptr 0
		.amdhsa_user_sgpr_queue_ptr 0
		.amdhsa_user_sgpr_kernarg_segment_ptr 1
		.amdhsa_user_sgpr_dispatch_id 0
		.amdhsa_user_sgpr_private_segment_size 0
		.amdhsa_wavefront_size32 1
		.amdhsa_uses_dynamic_stack 0
		.amdhsa_enable_private_segment 0
		.amdhsa_system_sgpr_workgroup_id_x 1
		.amdhsa_system_sgpr_workgroup_id_y 1
		.amdhsa_system_sgpr_workgroup_id_z 0
		.amdhsa_system_sgpr_workgroup_info 0
		.amdhsa_system_vgpr_workitem_id 1
		.amdhsa_next_free_vgpr 56
		.amdhsa_next_free_sgpr 11
		.amdhsa_reserve_vcc 1
		.amdhsa_float_round_mode_32 0
		.amdhsa_float_round_mode_16_64 0
		.amdhsa_float_denorm_mode_32 3
		.amdhsa_float_denorm_mode_16_64 3
		.amdhsa_fp16_overflow 0
		.amdhsa_workgroup_processor_mode 1
		.amdhsa_memory_ordered 1
		.amdhsa_forward_progress 1
		.amdhsa_inst_pref_size 15
		.amdhsa_round_robin_scheduling 0
		.amdhsa_exception_fp_ieee_invalid_op 0
		.amdhsa_exception_fp_denorm_src 0
		.amdhsa_exception_fp_ieee_div_zero 0
		.amdhsa_exception_fp_ieee_overflow 0
		.amdhsa_exception_fp_ieee_underflow 0
		.amdhsa_exception_fp_ieee_inexact 0
		.amdhsa_exception_int_div_zero 0
	.end_amdhsa_kernel
	.section	.text._ZL13mul_mat_vec_qIN3c108BFloat16ELi256ELi8E12block_iq4_xsLi1EXadL_ZL19vec_dot_iq4_xs_q8_1PKvPK10block_q8_1RKiEEEvS4_S4_PT_iii,"axG",@progbits,_ZL13mul_mat_vec_qIN3c108BFloat16ELi256ELi8E12block_iq4_xsLi1EXadL_ZL19vec_dot_iq4_xs_q8_1PKvPK10block_q8_1RKiEEEvS4_S4_PT_iii,comdat
.Lfunc_end115:
	.size	_ZL13mul_mat_vec_qIN3c108BFloat16ELi256ELi8E12block_iq4_xsLi1EXadL_ZL19vec_dot_iq4_xs_q8_1PKvPK10block_q8_1RKiEEEvS4_S4_PT_iii, .Lfunc_end115-_ZL13mul_mat_vec_qIN3c108BFloat16ELi256ELi8E12block_iq4_xsLi1EXadL_ZL19vec_dot_iq4_xs_q8_1PKvPK10block_q8_1RKiEEEvS4_S4_PT_iii
                                        ; -- End function
	.set _ZL13mul_mat_vec_qIN3c108BFloat16ELi256ELi8E12block_iq4_xsLi1EXadL_ZL19vec_dot_iq4_xs_q8_1PKvPK10block_q8_1RKiEEEvS4_S4_PT_iii.num_vgpr, 56
	.set _ZL13mul_mat_vec_qIN3c108BFloat16ELi256ELi8E12block_iq4_xsLi1EXadL_ZL19vec_dot_iq4_xs_q8_1PKvPK10block_q8_1RKiEEEvS4_S4_PT_iii.num_agpr, 0
	.set _ZL13mul_mat_vec_qIN3c108BFloat16ELi256ELi8E12block_iq4_xsLi1EXadL_ZL19vec_dot_iq4_xs_q8_1PKvPK10block_q8_1RKiEEEvS4_S4_PT_iii.numbered_sgpr, 11
	.set _ZL13mul_mat_vec_qIN3c108BFloat16ELi256ELi8E12block_iq4_xsLi1EXadL_ZL19vec_dot_iq4_xs_q8_1PKvPK10block_q8_1RKiEEEvS4_S4_PT_iii.num_named_barrier, 0
	.set _ZL13mul_mat_vec_qIN3c108BFloat16ELi256ELi8E12block_iq4_xsLi1EXadL_ZL19vec_dot_iq4_xs_q8_1PKvPK10block_q8_1RKiEEEvS4_S4_PT_iii.private_seg_size, 0
	.set _ZL13mul_mat_vec_qIN3c108BFloat16ELi256ELi8E12block_iq4_xsLi1EXadL_ZL19vec_dot_iq4_xs_q8_1PKvPK10block_q8_1RKiEEEvS4_S4_PT_iii.uses_vcc, 1
	.set _ZL13mul_mat_vec_qIN3c108BFloat16ELi256ELi8E12block_iq4_xsLi1EXadL_ZL19vec_dot_iq4_xs_q8_1PKvPK10block_q8_1RKiEEEvS4_S4_PT_iii.uses_flat_scratch, 0
	.set _ZL13mul_mat_vec_qIN3c108BFloat16ELi256ELi8E12block_iq4_xsLi1EXadL_ZL19vec_dot_iq4_xs_q8_1PKvPK10block_q8_1RKiEEEvS4_S4_PT_iii.has_dyn_sized_stack, 0
	.set _ZL13mul_mat_vec_qIN3c108BFloat16ELi256ELi8E12block_iq4_xsLi1EXadL_ZL19vec_dot_iq4_xs_q8_1PKvPK10block_q8_1RKiEEEvS4_S4_PT_iii.has_recursion, 0
	.set _ZL13mul_mat_vec_qIN3c108BFloat16ELi256ELi8E12block_iq4_xsLi1EXadL_ZL19vec_dot_iq4_xs_q8_1PKvPK10block_q8_1RKiEEEvS4_S4_PT_iii.has_indirect_call, 0
	.section	.AMDGPU.csdata,"",@progbits
; Kernel info:
; codeLenInByte = 1904
; TotalNumSgprs: 13
; NumVgprs: 56
; ScratchSize: 0
; MemoryBound: 0
; FloatMode: 240
; IeeeMode: 1
; LDSByteSize: 0 bytes/workgroup (compile time only)
; SGPRBlocks: 0
; VGPRBlocks: 6
; NumSGPRsForWavesPerEU: 13
; NumVGPRsForWavesPerEU: 56
; Occupancy: 16
; WaveLimiterHint : 0
; COMPUTE_PGM_RSRC2:SCRATCH_EN: 0
; COMPUTE_PGM_RSRC2:USER_SGPR: 2
; COMPUTE_PGM_RSRC2:TRAP_HANDLER: 0
; COMPUTE_PGM_RSRC2:TGID_X_EN: 1
; COMPUTE_PGM_RSRC2:TGID_Y_EN: 1
; COMPUTE_PGM_RSRC2:TGID_Z_EN: 0
; COMPUTE_PGM_RSRC2:TIDIG_COMP_CNT: 1
	.section	.text._ZL13mul_mat_vec_qIN3c108BFloat16ELi256ELi8E11block_iq1_mLi1EXadL_ZL18vec_dot_iq1_m_q8_1PKvPK10block_q8_1RKiEEEvS4_S4_PT_iii,"axG",@progbits,_ZL13mul_mat_vec_qIN3c108BFloat16ELi256ELi8E11block_iq1_mLi1EXadL_ZL18vec_dot_iq1_m_q8_1PKvPK10block_q8_1RKiEEEvS4_S4_PT_iii,comdat
	.globl	_ZL13mul_mat_vec_qIN3c108BFloat16ELi256ELi8E11block_iq1_mLi1EXadL_ZL18vec_dot_iq1_m_q8_1PKvPK10block_q8_1RKiEEEvS4_S4_PT_iii ; -- Begin function _ZL13mul_mat_vec_qIN3c108BFloat16ELi256ELi8E11block_iq1_mLi1EXadL_ZL18vec_dot_iq1_m_q8_1PKvPK10block_q8_1RKiEEEvS4_S4_PT_iii
	.p2align	8
	.type	_ZL13mul_mat_vec_qIN3c108BFloat16ELi256ELi8E11block_iq1_mLi1EXadL_ZL18vec_dot_iq1_m_q8_1PKvPK10block_q8_1RKiEEEvS4_S4_PT_iii,@function
_ZL13mul_mat_vec_qIN3c108BFloat16ELi256ELi8E11block_iq1_mLi1EXadL_ZL18vec_dot_iq1_m_q8_1PKvPK10block_q8_1RKiEEEvS4_S4_PT_iii: ; @_ZL13mul_mat_vec_qIN3c108BFloat16ELi256ELi8E11block_iq1_mLi1EXadL_ZL18vec_dot_iq1_m_q8_1PKvPK10block_q8_1RKiEEEvS4_S4_PT_iii
; %bb.0:
	s_clause 0x1
	s_load_u16 s2, s[0:1], 0x36
	s_load_b96 s[4:6], s[0:1], 0x18
	v_bfe_u32 v1, v0, 10, 10
	s_wait_kmcnt 0x0
	s_delay_alu instid0(VALU_DEP_1)
	v_mad_co_u64_u32 v[1:2], null, ttmp9, s2, v[1:2]
	s_cmp_lt_u32 ttmp7, s6
	s_cselect_b32 s2, -1, 0
	v_cmp_gt_u32_e32 vcc_lo, s5, v1
	s_wait_alu 0xfffe
	s_and_b32 s2, s2, vcc_lo
	s_wait_alu 0xfffe
	s_and_saveexec_b32 s3, s2
	s_cbranch_execz .LBB116_7
; %bb.1:
	s_load_b64 s[6:7], s[0:1], 0x10
	s_ashr_i32 s2, s4, 31
	v_bfe_u32 v5, v0, 3, 7
	s_wait_alu 0xfffe
	s_lshr_b32 s2, s2, 24
	v_and_b32_e32 v0, 0x3ff, v0
	v_mov_b32_e32 v4, 0
	s_wait_alu 0xfffe
	s_add_co_i32 s2, s4, s2
	s_mov_b32 s8, exec_lo
	s_wait_alu 0xfffe
	s_ashr_i32 s9, s2, 8
	s_delay_alu instid0(SALU_CYCLE_1)
	v_cmpx_gt_u32_e64 s9, v5
	s_cbranch_execz .LBB116_5
; %bb.2:
	s_load_b128 s[0:3], s[0:1], 0x0
	s_addk_co_i32 s4, 0x1ff
	v_and_b32_e32 v8, 1, v0
	s_wait_alu 0xfffe
	s_ashr_i32 s10, s4, 31
	v_and_b32_e32 v10, 7, v0
	s_lshr_b32 s10, s10, 23
	v_dual_mov_b32 v4, 0 :: v_dual_lshlrev_b32 v9, 3, v5
	s_add_co_i32 s4, s4, s10
	v_bfe_u32 v11, v0, 1, 2
	v_cmp_eq_u32_e32 vcc_lo, 1, v8
	s_wait_alu 0xfffe
	s_ashr_i32 s4, s4, 9
	v_mul_lo_u32 v6, v1, s9
	s_wait_alu 0xfffe
	s_mul_i32 s4, ttmp7, s4
	v_lshlrev_b32_e32 v7, 1, v10
	v_cndmask_b32_e64 v8, 0, 6, vcc_lo
	s_wait_alu 0xfffe
	v_lshl_add_u32 v9, s4, 4, v9
	v_lshlrev_b32_e32 v11, 1, v11
	s_mov_b32 s4, 0
	s_mov_b32 s10, 0xbd000000
	s_wait_kmcnt 0x0
	v_mad_co_u64_u32 v[2:3], null, v10, 36, s[2:3]
	v_lshlrev_b32_e32 v10, 2, v10
.LBB116_3:                              ; =>This Inner Loop Header: Depth=1
	v_add_nc_u32_e32 v12, v6, v5
	s_delay_alu instid0(VALU_DEP_3)
	v_mad_co_i64_i32 v[20:21], null, v9, 36, v[2:3]
	s_getpc_b64 s[2:3]
	s_wait_alu 0xfffe
	s_sext_i32_i16 s3, s3
	s_add_co_u32 s2, s2, _ZL13iq1s_grid_gpu@rel32@lo+12
	s_wait_alu 0xfffe
	s_add_co_ci_u32 s3, s3, _ZL13iq1s_grid_gpu@rel32@hi+24
	v_add_nc_u32_e32 v5, 4, v5
	v_mad_co_i64_i32 v[16:17], null, v12, 56, s[0:1]
	v_add_nc_u32_e32 v9, 32, v9
	s_delay_alu instid0(VALU_DEP_2) | instskip(SKIP_1) | instid1(VALU_DEP_3)
	v_add_co_u32 v12, vcc_lo, v16, v7
	s_wait_alu 0xfffd
	v_add_co_ci_u32_e64 v13, null, 0, v17, vcc_lo
	v_add_co_u32 v14, vcc_lo, v16, v11
	s_wait_alu 0xfffd
	v_add_co_ci_u32_e64 v15, null, 0, v17, vcc_lo
	;; [unrolled: 3-line block ×3, first 2 shown]
	s_clause 0x2
	global_load_u16 v24, v[14:15], off offset:48
	global_load_u16 v25, v[12:13], off offset:32
	global_load_b32 v18, v[18:19], off
	global_load_b128 v[12:15], v[20:21], off offset:20
	global_load_b64 v[22:23], v[16:17], off offset:48
	v_cmp_le_u32_e32 vcc_lo, s9, v5
	s_or_b32 s4, vcc_lo, s4
	s_wait_loadcnt 0x4
	v_lshrrev_b32_e32 v24, v8, v24
	s_wait_loadcnt 0x3
	v_lshrrev_b16 v26, 4, v25
	s_wait_loadcnt 0x1
	v_lshrrev_b16 v45, 8, v13
	v_lshrrev_b16 v47, 8, v15
	;; [unrolled: 1-line block ×3, first 2 shown]
	v_ashrrev_i32_e32 v48, 24, v12
	v_bfe_i32 v49, v12, 16, 8
	v_bfe_i32 v12, v12, 0, 8
	;; [unrolled: 1-line block ×5, first 2 shown]
	v_lshrrev_b16 v46, 8, v14
	v_ashrrev_i32_e32 v50, 24, v13
	v_bfe_i32 v51, v13, 16, 8
	v_bfe_i32 v13, v13, 0, 8
	v_ashrrev_i32_e32 v54, 24, v15
	v_bfe_i32 v55, v15, 16, 8
	v_bfe_i32 v15, v15, 0, 8
	v_add_nc_u32_e32 v57, v45, v12
	s_wait_loadcnt 0x0
	v_pk_lshrrev_b16 v22, 0x8000c, v22
	v_add_nc_u32_e32 v59, v47, v52
	v_bfe_i32 v44, v44, 0, 8
	v_bfe_i32 v46, v46, 0, 8
	v_add3_u32 v57, v57, v13, v51
	v_lshrrev_b32_e32 v60, 16, v22
	v_add3_u32 v59, v59, v15, v55
	v_ashrrev_i32_e32 v53, 24, v14
	v_bfe_i32 v14, v14, 16, 8
	v_pk_lshrrev_b16 v23, 4, v23
	v_and_b32_e32 v60, 0xf0, v60
	v_add3_u32 v57, v57, v50, v44
	v_add3_u32 v59, v59, v54, v46
	v_lshlrev_b32_e32 v27, 8, v25
	v_lshrrev_b16 v28, 8, v25
	v_lshrrev_b16 v29, 12, v25
	v_and_b32_e32 v25, 8, v25
	v_and_b32_e32 v23, 0xf0000f00, v23
	v_or_b32_e32 v22, v60, v22
	v_add3_u32 v57, v57, v49, v48
	v_add3_u32 v59, v59, v14, v53
	v_bfe_u32 v17, v18, 8, 8
	v_bfe_u32 v19, v18, 16, 8
	v_cvt_f32_ubyte0_e32 v25, v25
	v_and_b32_e32 v30, 15, v26
	v_lshrrev_b32_e32 v62, 16, v23
	v_or_b32_e32 v22, v22, v23
	v_cvt_f32_i32_e32 v23, v57
	v_cvt_f32_i32_e32 v57, v59
	v_and_b32_e32 v16, 0xff, v18
	v_alignbit_b32 v18, v29, v18, 24
	v_and_b32_e32 v29, 8, v29
	v_dual_fmaak_f32 v25, s10, v25, 0xbf600000 :: v_dual_and_b32 v26, 8, v26
	s_delay_alu instid0(VALU_DEP_4) | instskip(NEXT) | instid1(VALU_DEP_4)
	v_and_or_b32 v16, 0x700, v27, v16
	v_and_b32_e32 v18, 0x7ff, v18
	s_delay_alu instid0(VALU_DEP_4) | instskip(SKIP_3) | instid1(VALU_DEP_4)
	v_cvt_f32_ubyte0_e32 v29, v29
	v_lshlrev_b32_e32 v30, 8, v30
	v_cvt_f32_ubyte0_e32 v26, v26
	v_lshlrev_b32_e32 v27, 8, v28
	v_dual_fmaak_f32 v29, s10, v29, 0xbf600000 :: v_dual_lshlrev_b32 v16, 3, v16
	s_delay_alu instid0(VALU_DEP_4) | instskip(NEXT) | instid1(VALU_DEP_4)
	v_and_or_b32 v17, 0x700, v30, v17
	v_fmaak_f32 v26, s10, v26, 0xbf600000
	s_delay_alu instid0(VALU_DEP_4)
	v_and_or_b32 v19, 0x700, v27, v19
	global_load_b32 v27, v16, s[2:3]
	v_lshlrev_b32_e32 v18, 3, v18
	v_lshlrev_b32_e32 v17, 3, v17
	;; [unrolled: 1-line block ×4, first 2 shown]
	s_clause 0x2
	global_load_b32 v30, v17, s[2:3]
	global_load_b32 v31, v16, s[2:3]
	;; [unrolled: 1-line block ×3, first 2 shown]
	s_clause 0x1
	global_load_b128 v[16:19], v[20:21], off offset:4
	global_load_b32 v20, v[20:21], off
	v_and_b32_e32 v61, 14, v61
	v_and_b32_e32 v28, 8, v28
	v_lshrrev_b32_e32 v24, 2, v24
	s_delay_alu instid0(VALU_DEP_3) | instskip(NEXT) | instid1(VALU_DEP_3)
	v_or_b32_e32 v60, 1, v61
	v_cvt_f32_ubyte0_e32 v28, v28
	s_delay_alu instid0(VALU_DEP_3) | instskip(NEXT) | instid1(VALU_DEP_2)
	v_and_b32_e32 v24, 14, v24
	v_fmaak_f32 v28, s10, v28, 0xbf600000
	s_delay_alu instid0(VALU_DEP_2)
	v_or_b32_e32 v24, 1, v24
	s_wait_loadcnt 0x5
	v_and_b32_e32 v61, 0xf0f0f0f, v27
	v_bfe_u32 v59, v27, 24, 4
	v_lshrrev_b32_e32 v63, 4, v27
	v_lshrrev_b32_e32 v64, 28, v27
	v_bfe_u32 v65, v27, 16, 4
	v_lshrrev_b16 v61, 8, v61
	v_and_b32_e32 v66, 15, v27
	s_wait_loadcnt 0x1
	v_lshrrev_b16 v21, 8, v16
	v_lshrrev_b16 v35, 8, v19
	v_ashrrev_i32_e32 v36, 24, v16
	v_bfe_i32 v37, v16, 16, 8
	v_bfe_i32 v16, v16, 0, 8
	;; [unrolled: 1-line block ×5, first 2 shown]
	v_lshrrev_b16 v33, 8, v17
	v_lshrrev_b16 v34, 8, v18
	v_ashrrev_i32_e32 v42, 24, v19
	v_bfe_i32 v43, v19, 16, 8
	v_bfe_i32 v19, v19, 0, 8
	v_add_nc_u32_e32 v56, v21, v16
	v_add_nc_u32_e32 v58, v35, v40
	v_ashrrev_i32_e32 v38, 24, v17
	v_bfe_i32 v39, v17, 16, 8
	v_bfe_i32 v17, v17, 0, 8
	;; [unrolled: 1-line block ×4, first 2 shown]
	v_add3_u32 v56, v56, v37, v36
	v_add3_u32 v58, v58, v19, v43
	v_ashrrev_i32_e32 v41, 24, v18
	v_bfe_i32 v18, v18, 16, 8
	v_bfe_u32 v67, v27, 20, 4
	v_add3_u32 v56, v56, v33, v17
	v_add3_u32 v58, v58, v42, v34
	v_bfe_u32 v27, v27, 4, 4
	v_lshrrev_b16 v63, 8, v63
	v_mul_i32_i24_e32 v36, v59, v36
	v_and_b32_e32 v59, 0xffff, v61
	v_bfe_u32 v61, v30, 24, 4
	v_lshrrev_b32_e32 v71, 4, v31
	v_add3_u32 v56, v56, v39, v38
	v_add3_u32 v58, v58, v18, v41
	v_mul_i32_i24_e32 v37, v65, v37
	v_mul_i32_i24_e32 v17, v27, v17
	;; [unrolled: 1-line block ×3, first 2 shown]
	v_and_b32_e32 v39, 15, v63
	v_and_b32_e32 v63, 0xf0f0f0f, v30
	v_lshrrev_b32_e32 v65, 28, v30
	v_bfe_u32 v76, v32, 24, 4
	v_and_b32_e32 v77, 0xf0f0f0f, v32
	v_lshrrev_b32_e32 v78, 4, v32
	v_lshrrev_b32_e32 v79, 28, v32
	v_and_b32_e32 v80, 15, v32
	v_bfe_u32 v81, v32, 16, 4
	v_bfe_u32 v82, v32, 20, 4
	;; [unrolled: 1-line block ×3, first 2 shown]
	v_mul_i32_i24_e32 v41, v41, v61
	v_lshrrev_b16 v61, 8, v71
	v_mul_i32_i24_e32 v16, v66, v16
	v_mul_i32_i24_e32 v38, v64, v38
	v_lshrrev_b32_e32 v64, 4, v30
	v_and_b32_e32 v66, 15, v30
	v_bfe_u32 v67, v30, 16, 4
	v_bfe_u32 v68, v30, 20, 4
	;; [unrolled: 1-line block ×3, first 2 shown]
	v_and_b32_e32 v70, 0xf0f0f0f, v31
	v_lshrrev_b16 v63, 8, v63
	v_mul_i32_i24_e32 v42, v65, v42
	v_lshrrev_b16 v65, 8, v78
	v_mul_i32_i24_e32 v15, v32, v15
	v_mul_i32_i24_e32 v32, v82, v55
	v_and_b32_e32 v55, 15, v61
	v_bfe_u32 v69, v31, 24, 4
	v_lshrrev_b32_e32 v72, 28, v31
	v_and_b32_e32 v39, 0xffff, v39
	v_lshrrev_b16 v64, 8, v64
	v_mul_i32_i24_e32 v19, v30, v19
	v_mul_i32_i24_e32 v30, v68, v43
	v_lshrrev_b16 v43, 8, v70
	v_and_b32_e32 v61, 0xffff, v63
	v_and_b32_e32 v63, 15, v65
	;; [unrolled: 1-line block ×3, first 2 shown]
	v_bfe_u32 v73, v31, 16, 4
	v_and_b32_e32 v74, 15, v31
	v_bfe_u32 v75, v31, 20, 4
	v_bfe_u32 v31, v31, 4, 4
	v_mul_i32_i24_e32 v48, v48, v69
	v_mul_i32_i24_e32 v50, v72, v50
	;; [unrolled: 1-line block ×4, first 2 shown]
	v_and_b32_e32 v39, 15, v64
	v_add3_u32 v27, v37, v27, v30
	v_add3_u32 v30, v36, v38, v42
	v_and_b32_e32 v36, 0xffff, v43
	v_and_b32_e32 v37, 0xffff, v63
	v_mul_i32_i24_e32 v38, v55, v45
	v_mul_i32_i24_e32 v12, v12, v74
	;; [unrolled: 1-line block ×5, first 2 shown]
	v_lshrrev_b16 v51, 8, v77
	v_add3_u32 v43, v48, v50, v54
	v_and_b32_e32 v39, 0xffff, v39
	v_mul_i32_i24_e32 v37, v37, v47
	v_mad_i32_i24 v36, v44, v36, v38
	v_mul_i32_i24_e32 v14, v14, v81
	v_mul_i32_i24_e32 v53, v53, v76
	v_and_b32_e32 v42, 0xffff, v51
	v_add3_u32 v31, v49, v31, v32
	v_add3_u32 v12, v12, v13, v15
	v_mad_i32_i24 v13, v59, v21, v33
	v_mul_i32_i24_e32 v15, v39, v35
	v_add3_u32 v21, v36, v37, v43
	v_mul_i32_i24_e32 v18, v18, v67
	v_add3_u32 v16, v16, v17, v19
	v_mad_i32_i24 v14, v52, v80, v14
	v_mad_i32_i24 v17, v46, v42, v53
	v_add3_u32 v13, v13, v15, v30
	v_add3_u32 v12, v12, v31, v21
	v_cvt_f32_i32_e32 v56, v56
	v_fma_f32 v15, v28, v23, 0
	v_mad_i32_i24 v18, v40, v66, v18
	v_mad_i32_i24 v19, v34, v61, v41
	v_add3_u32 v13, v16, v27, v13
	v_add3_u32 v12, v14, v17, v12
	v_cvt_f32_i32_e32 v14, v58
	v_fma_f32 v16, v25, v56, 0
	v_fmac_f32_e32 v15, v29, v57
	v_add3_u32 v13, v18, v19, v13
	v_cvt_f32_i32_e32 v12, v12
	v_cvt_f32_ubyte0_e32 v17, v24
	v_or_b32_e32 v18, v22, v62
	v_fmac_f32_e32 v16, v26, v14
	v_cvt_f32_i32_e32 v13, v13
	v_add_f32_e32 v12, v15, v12
	s_wait_loadcnt 0x0
	v_cvt_f32_f16_e32 v14, v20
	v_cvt_f32_ubyte0_e32 v15, v60
	v_cvt_f32_f16_e32 v18, v18
	v_add_f32_e32 v13, v16, v13
	v_mul_f32_e32 v12, v12, v17
	s_delay_alu instid0(VALU_DEP_3) | instskip(NEXT) | instid1(VALU_DEP_2)
	v_mul_f32_e32 v14, v14, v18
	v_fmac_f32_e32 v12, v13, v15
	s_delay_alu instid0(VALU_DEP_1)
	v_fmac_f32_e32 v4, v14, v12
	s_wait_alu 0xfffe
	s_and_not1_b32 exec_lo, exec_lo, s4
	s_cbranch_execnz .LBB116_3
; %bb.4:
	s_or_b32 exec_lo, exec_lo, s4
.LBB116_5:
	s_delay_alu instid0(SALU_CYCLE_1) | instskip(SKIP_1) | instid1(VALU_DEP_1)
	s_or_b32 exec_lo, exec_lo, s8
	v_mbcnt_lo_u32_b32 v2, -1, 0
	v_xor_b32_e32 v3, 16, v2
	v_xor_b32_e32 v5, 8, v2
	s_delay_alu instid0(VALU_DEP_2) | instskip(SKIP_2) | instid1(VALU_DEP_3)
	v_cmp_gt_i32_e32 vcc_lo, 32, v3
	s_wait_alu 0xfffd
	v_cndmask_b32_e32 v3, v2, v3, vcc_lo
	v_cmp_gt_i32_e32 vcc_lo, 32, v5
	s_delay_alu instid0(VALU_DEP_2)
	v_lshlrev_b32_e32 v3, 2, v3
	s_wait_alu 0xfffd
	v_cndmask_b32_e32 v5, v2, v5, vcc_lo
	ds_bpermute_b32 v3, v3, v4
	v_lshlrev_b32_e32 v5, 2, v5
	s_wait_dscnt 0x0
	v_add_f32_e32 v3, v4, v3
	ds_bpermute_b32 v4, v5, v3
	v_xor_b32_e32 v5, 4, v2
	s_delay_alu instid0(VALU_DEP_1) | instskip(SKIP_2) | instid1(VALU_DEP_1)
	v_cmp_gt_i32_e32 vcc_lo, 32, v5
	s_wait_alu 0xfffd
	v_cndmask_b32_e32 v5, v2, v5, vcc_lo
	v_lshlrev_b32_e32 v5, 2, v5
	s_wait_dscnt 0x0
	v_add_f32_e32 v3, v3, v4
	ds_bpermute_b32 v4, v5, v3
	v_xor_b32_e32 v5, 2, v2
	s_delay_alu instid0(VALU_DEP_1) | instskip(SKIP_2) | instid1(VALU_DEP_1)
	v_cmp_gt_i32_e32 vcc_lo, 32, v5
	s_wait_alu 0xfffd
	v_cndmask_b32_e32 v5, v2, v5, vcc_lo
	v_lshlrev_b32_e32 v5, 2, v5
	s_wait_dscnt 0x0
	v_add_f32_e32 v3, v3, v4
	ds_bpermute_b32 v4, v5, v3
	v_xor_b32_e32 v5, 1, v2
	s_delay_alu instid0(VALU_DEP_1) | instskip(SKIP_4) | instid1(VALU_DEP_2)
	v_cmp_gt_i32_e32 vcc_lo, 32, v5
	s_wait_alu 0xfffd
	v_cndmask_b32_e32 v5, v2, v5, vcc_lo
	v_cmp_eq_u32_e32 vcc_lo, 0, v0
	s_wait_dscnt 0x0
	v_dual_add_f32 v2, v3, v4 :: v_dual_lshlrev_b32 v3, 2, v5
	ds_bpermute_b32 v3, v3, v2
	s_and_b32 exec_lo, exec_lo, vcc_lo
	s_cbranch_execz .LBB116_7
; %bb.6:
	s_wait_dscnt 0x0
	v_add_f32_e32 v2, v2, v3
	s_delay_alu instid0(VALU_DEP_1) | instskip(SKIP_3) | instid1(VALU_DEP_2)
	v_mad_co_u64_u32 v[0:1], null, s5, ttmp7, v[1:2]
	v_mov_b32_e32 v1, 0
	v_bfe_u32 v3, v2, 16, 1
	v_cmp_o_f32_e32 vcc_lo, v2, v2
	v_add3_u32 v3, v2, v3, 0x7fff
	s_delay_alu instid0(VALU_DEP_4) | instskip(NEXT) | instid1(VALU_DEP_2)
	v_lshlrev_b64_e32 v[0:1], 1, v[0:1]
	v_lshrrev_b32_e32 v3, 16, v3
	s_wait_alu 0xfffd
	s_delay_alu instid0(VALU_DEP_1) | instskip(SKIP_1) | instid1(VALU_DEP_3)
	v_cndmask_b32_e32 v2, 0x7fc0, v3, vcc_lo
	s_wait_kmcnt 0x0
	v_add_co_u32 v0, vcc_lo, s6, v0
	s_wait_alu 0xfffd
	v_add_co_ci_u32_e64 v1, null, s7, v1, vcc_lo
	global_store_b16 v[0:1], v2, off
.LBB116_7:
	s_endpgm
	.section	.rodata,"a",@progbits
	.p2align	6, 0x0
	.amdhsa_kernel _ZL13mul_mat_vec_qIN3c108BFloat16ELi256ELi8E11block_iq1_mLi1EXadL_ZL18vec_dot_iq1_m_q8_1PKvPK10block_q8_1RKiEEEvS4_S4_PT_iii
		.amdhsa_group_segment_fixed_size 0
		.amdhsa_private_segment_fixed_size 0
		.amdhsa_kernarg_size 296
		.amdhsa_user_sgpr_count 2
		.amdhsa_user_sgpr_dispatch_ptr 0
		.amdhsa_user_sgpr_queue_ptr 0
		.amdhsa_user_sgpr_kernarg_segment_ptr 1
		.amdhsa_user_sgpr_dispatch_id 0
		.amdhsa_user_sgpr_private_segment_size 0
		.amdhsa_wavefront_size32 1
		.amdhsa_uses_dynamic_stack 0
		.amdhsa_enable_private_segment 0
		.amdhsa_system_sgpr_workgroup_id_x 1
		.amdhsa_system_sgpr_workgroup_id_y 1
		.amdhsa_system_sgpr_workgroup_id_z 0
		.amdhsa_system_sgpr_workgroup_info 0
		.amdhsa_system_vgpr_workitem_id 1
		.amdhsa_next_free_vgpr 83
		.amdhsa_next_free_sgpr 11
		.amdhsa_reserve_vcc 1
		.amdhsa_float_round_mode_32 0
		.amdhsa_float_round_mode_16_64 0
		.amdhsa_float_denorm_mode_32 3
		.amdhsa_float_denorm_mode_16_64 3
		.amdhsa_fp16_overflow 0
		.amdhsa_workgroup_processor_mode 1
		.amdhsa_memory_ordered 1
		.amdhsa_forward_progress 1
		.amdhsa_inst_pref_size 19
		.amdhsa_round_robin_scheduling 0
		.amdhsa_exception_fp_ieee_invalid_op 0
		.amdhsa_exception_fp_denorm_src 0
		.amdhsa_exception_fp_ieee_div_zero 0
		.amdhsa_exception_fp_ieee_overflow 0
		.amdhsa_exception_fp_ieee_underflow 0
		.amdhsa_exception_fp_ieee_inexact 0
		.amdhsa_exception_int_div_zero 0
	.end_amdhsa_kernel
	.section	.text._ZL13mul_mat_vec_qIN3c108BFloat16ELi256ELi8E11block_iq1_mLi1EXadL_ZL18vec_dot_iq1_m_q8_1PKvPK10block_q8_1RKiEEEvS4_S4_PT_iii,"axG",@progbits,_ZL13mul_mat_vec_qIN3c108BFloat16ELi256ELi8E11block_iq1_mLi1EXadL_ZL18vec_dot_iq1_m_q8_1PKvPK10block_q8_1RKiEEEvS4_S4_PT_iii,comdat
.Lfunc_end116:
	.size	_ZL13mul_mat_vec_qIN3c108BFloat16ELi256ELi8E11block_iq1_mLi1EXadL_ZL18vec_dot_iq1_m_q8_1PKvPK10block_q8_1RKiEEEvS4_S4_PT_iii, .Lfunc_end116-_ZL13mul_mat_vec_qIN3c108BFloat16ELi256ELi8E11block_iq1_mLi1EXadL_ZL18vec_dot_iq1_m_q8_1PKvPK10block_q8_1RKiEEEvS4_S4_PT_iii
                                        ; -- End function
	.set _ZL13mul_mat_vec_qIN3c108BFloat16ELi256ELi8E11block_iq1_mLi1EXadL_ZL18vec_dot_iq1_m_q8_1PKvPK10block_q8_1RKiEEEvS4_S4_PT_iii.num_vgpr, 83
	.set _ZL13mul_mat_vec_qIN3c108BFloat16ELi256ELi8E11block_iq1_mLi1EXadL_ZL18vec_dot_iq1_m_q8_1PKvPK10block_q8_1RKiEEEvS4_S4_PT_iii.num_agpr, 0
	.set _ZL13mul_mat_vec_qIN3c108BFloat16ELi256ELi8E11block_iq1_mLi1EXadL_ZL18vec_dot_iq1_m_q8_1PKvPK10block_q8_1RKiEEEvS4_S4_PT_iii.numbered_sgpr, 11
	.set _ZL13mul_mat_vec_qIN3c108BFloat16ELi256ELi8E11block_iq1_mLi1EXadL_ZL18vec_dot_iq1_m_q8_1PKvPK10block_q8_1RKiEEEvS4_S4_PT_iii.num_named_barrier, 0
	.set _ZL13mul_mat_vec_qIN3c108BFloat16ELi256ELi8E11block_iq1_mLi1EXadL_ZL18vec_dot_iq1_m_q8_1PKvPK10block_q8_1RKiEEEvS4_S4_PT_iii.private_seg_size, 0
	.set _ZL13mul_mat_vec_qIN3c108BFloat16ELi256ELi8E11block_iq1_mLi1EXadL_ZL18vec_dot_iq1_m_q8_1PKvPK10block_q8_1RKiEEEvS4_S4_PT_iii.uses_vcc, 1
	.set _ZL13mul_mat_vec_qIN3c108BFloat16ELi256ELi8E11block_iq1_mLi1EXadL_ZL18vec_dot_iq1_m_q8_1PKvPK10block_q8_1RKiEEEvS4_S4_PT_iii.uses_flat_scratch, 0
	.set _ZL13mul_mat_vec_qIN3c108BFloat16ELi256ELi8E11block_iq1_mLi1EXadL_ZL18vec_dot_iq1_m_q8_1PKvPK10block_q8_1RKiEEEvS4_S4_PT_iii.has_dyn_sized_stack, 0
	.set _ZL13mul_mat_vec_qIN3c108BFloat16ELi256ELi8E11block_iq1_mLi1EXadL_ZL18vec_dot_iq1_m_q8_1PKvPK10block_q8_1RKiEEEvS4_S4_PT_iii.has_recursion, 0
	.set _ZL13mul_mat_vec_qIN3c108BFloat16ELi256ELi8E11block_iq1_mLi1EXadL_ZL18vec_dot_iq1_m_q8_1PKvPK10block_q8_1RKiEEEvS4_S4_PT_iii.has_indirect_call, 0
	.section	.AMDGPU.csdata,"",@progbits
; Kernel info:
; codeLenInByte = 2352
; TotalNumSgprs: 13
; NumVgprs: 83
; ScratchSize: 0
; MemoryBound: 0
; FloatMode: 240
; IeeeMode: 1
; LDSByteSize: 0 bytes/workgroup (compile time only)
; SGPRBlocks: 0
; VGPRBlocks: 10
; NumSGPRsForWavesPerEU: 13
; NumVGPRsForWavesPerEU: 83
; Occupancy: 16
; WaveLimiterHint : 0
; COMPUTE_PGM_RSRC2:SCRATCH_EN: 0
; COMPUTE_PGM_RSRC2:USER_SGPR: 2
; COMPUTE_PGM_RSRC2:TRAP_HANDLER: 0
; COMPUTE_PGM_RSRC2:TGID_X_EN: 1
; COMPUTE_PGM_RSRC2:TGID_Y_EN: 1
; COMPUTE_PGM_RSRC2:TGID_Z_EN: 0
; COMPUTE_PGM_RSRC2:TIDIG_COMP_CNT: 1
	.section	.text._ZL12mul_mat_q4_0IfLb0EEvPKvS1_PT_iiiii,"axG",@progbits,_ZL12mul_mat_q4_0IfLb0EEvPKvS1_PT_iiiii,comdat
	.globl	_ZL12mul_mat_q4_0IfLb0EEvPKvS1_PT_iiiii ; -- Begin function _ZL12mul_mat_q4_0IfLb0EEvPKvS1_PT_iiiii
	.p2align	8
	.type	_ZL12mul_mat_q4_0IfLb0EEvPKvS1_PT_iiiii,@function
_ZL12mul_mat_q4_0IfLb0EEvPKvS1_PT_iiiii: ; @_ZL12mul_mat_q4_0IfLb0EEvPKvS1_PT_iiiii
; %bb.0:
	s_clause 0x1
	s_load_b32 s2, s[0:1], 0x18
	s_load_b96 s[4:6], s[0:1], 0x20
	v_bfe_u32 v20, v0, 10, 10
	v_and_b32_e32 v21, 0x3ff, v0
	s_lshl_b32 s7, ttmp7, 6
	s_wait_kmcnt 0x0
	s_cmp_gt_i32 s2, 31
	s_cbranch_scc1 .LBB117_2
; %bb.1:
	v_bfe_u32 v1, v0, 10, 10
	v_and_b32_e32 v2, 0x3ff, v0
	s_mov_b32 s3, 0
	s_delay_alu instid0(VALU_DEP_2)
	v_add_nc_u32_e32 v3, s7, v1
	s_branch .LBB117_3
.LBB117_2:
	s_mov_b32 s3, -1
                                        ; implicit-def: $vgpr1
                                        ; implicit-def: $vgpr2
                                        ; implicit-def: $vgpr3
.LBB117_3:
	s_load_b64 s[8:9], s[0:1], 0x10
	v_dual_mov_b32 v10, 0 :: v_dual_mov_b32 v29, 0
	v_dual_mov_b32 v14, 0 :: v_dual_mov_b32 v11, 0
	;; [unrolled: 1-line block ×15, first 2 shown]
	v_mov_b32_e32 v28, 0
	v_mov_b32_e32 v32, 0
	s_and_not1_b32 vcc_lo, exec_lo, s3
	s_lshl_b32 s14, ttmp9, 7
	s_cbranch_vccnz .LBB117_14
; %bb.4:
	v_and_b32_e32 v23, 31, v0
	v_lshlrev_b32_e32 v24, 7, v20
	v_dual_mov_b32 v33, 0 :: v_dual_add_nc_u32 v10, s7, v20
	s_add_co_i32 s10, s4, -1
	s_delay_alu instid0(VALU_DEP_3) | instskip(NEXT) | instid1(VALU_DEP_3)
	v_lshl_or_b32 v23, v23, 2, 0x4200
	v_add_nc_u32_e32 v37, 0x1800, v24
	v_cvt_f64_i32_e32 v[1:2], s10
	v_cvt_f64_u32_e32 v[3:4], v10
	v_add_nc_u32_e32 v5, 8, v10
	v_add_nc_u32_e32 v7, 16, v10
	;; [unrolled: 1-line block ×3, first 2 shown]
	v_dual_mov_b32 v37, 0 :: v_dual_add_nc_u32 v32, 0x800, v24
	v_add_nc_u32_e32 v13, 40, v10
	v_add_nc_u32_e32 v9, 24, v10
	;; [unrolled: 1-line block ×3, first 2 shown]
	v_cvt_f64_u32_e32 v[7:8], v7
	v_dual_mov_b32 v32, 0 :: v_dual_add_nc_u32 v95, v23, v32
	v_cvt_f64_u32_e32 v[5:6], v5
	v_add_nc_u32_e32 v15, 48, v10
	v_add_nc_u32_e32 v17, 56, v10
	v_cvt_f64_u32_e32 v[13:14], v13
	v_add_nc_u32_e32 v36, 0x1400, v24
	scratch_store_b32 off, v10, off offset:96 ; 4-byte Folded Spill
	v_cvt_f64_u32_e32 v[9:10], v9
	v_cvt_f64_u32_e32 v[15:16], v15
	;; [unrolled: 1-line block ×3, first 2 shown]
	v_add_nc_u32_e32 v98, v23, v36
	v_mov_b32_e32 v36, 0
	v_cvt_f64_u32_e32 v[11:12], v11
	v_bfe_u32 v25, v0, 3, 7
	v_bfe_u32 v40, v0, 2, 8
	v_and_b32_e32 v41, 7, v0
	v_dual_mov_b32 v48, 0 :: v_dual_and_b32 v19, 3, v0
	s_ashr_i32 s3, s2, 31
	s_delay_alu instid0(VALU_DEP_3) | instskip(SKIP_1) | instid1(VALU_DEP_2)
	v_lshl_add_u32 v29, v20, 3, v40
	s_lshr_b32 s3, s3, 27
	v_lshlrev_b32_e32 v30, 2, v19
	v_add_nc_u32_e32 v35, 0x1000, v24
	s_add_co_i32 s11, s2, s3
	s_ashr_i32 s12, s5, 31
	s_wait_alu 0xfffe
	s_ashr_i32 s15, s11, 5
	s_lshr_b32 s12, s12, 27
	v_min_num_f64_e32 v[3:4], v[3:4], v[1:2]
	s_add_co_i32 s5, s5, s12
	v_add_nc_u32_e32 v26, 0x60, v21
	s_ashr_i32 s5, s5, 5
	v_add_nc_u32_e32 v27, 64, v21
	v_add_nc_u32_e32 v34, 0xc00, v24
	v_and_b32_e32 v0, 0xfc, v0
	v_add_nc_u32_e32 v28, 32, v21
	v_mul_lo_u32 v39, s15, v20
	v_min_num_f64_e32 v[7:8], v[7:8], v[1:2]
	s_lshl_b32 s16, s15, 3
	v_add_nc_u32_e32 v38, 0x1c00, v24
	v_min_num_f64_e32 v[5:6], v[5:6], v[1:2]
	v_add_nc_u32_e32 v31, 0x400, v24
	v_add_nc_u32_e32 v84, 0x4200, v24
	v_min_num_f64_e32 v[13:14], v[13:14], v[1:2]
	v_add_nc_u32_e32 v43, s16, v39
	v_add_nc_u32_e32 v100, v23, v38
	v_min_num_f64_e32 v[9:10], v[9:10], v[1:2]
	v_min_num_f64_e32 v[15:16], v[15:16], v[1:2]
	s_load_b128 s[0:3], s[0:1], 0x0
	v_lshlrev_b32_e32 v22, 2, v21
	s_and_not1_b32 s11, s11, 31
	v_min_num_f64_e32 v[11:12], v[11:12], v[1:2]
	v_min_num_f64_e32 v[1:2], v[17:18], v[1:2]
	v_lshl_add_u32 v17, v20, 2, v25
	v_lshlrev_b32_e32 v18, 2, v41
	s_mul_i32 s12, s15, s14
	v_mov_b32_e32 v49, 0
	s_ashr_i32 s13, s12, 31
	v_add_nc_u32_e32 v47, 32, v17
	v_mul_lo_u32 v59, s15, v17
	v_and_b32_e32 v42, 0x7fc, v17
	v_dual_mov_b32 v51, 0 :: v_dual_lshlrev_b32 v46, 5, v17
	s_mul_u64 s[12:13], s[12:13], 18
	v_mov_b32_e32 v38, 0
	v_cvt_i32_f64_e32 v3, v[3:4]
	s_wait_alu 0xfffe
	v_add_nc_u32_e32 v64, s11, v59
	s_wait_kmcnt 0x0
	s_add_nc_u64 s[0:1], s[0:1], s[12:13]
	s_delay_alu instid0(VALU_DEP_1) | instskip(NEXT) | instid1(VALU_DEP_1)
	v_add_nc_u32_e32 v66, s11, v64
	v_add_nc_u32_e32 v69, s11, v66
	v_cvt_i32_f64_e32 v4, v[5:6]
	v_cvt_i32_f64_e32 v5, v[7:8]
	s_mov_b32 s11, 0
	v_cvt_i32_f64_e32 v8, v[13:14]
	v_and_b32_e32 v13, 0xffc, v47
	v_lshlrev_b32_e32 v14, 5, v47
	v_cvt_i32_f64_e32 v6, v[9:10]
	v_cvt_i32_f64_e32 v9, v[15:16]
	v_mov_b32_e32 v47, 0
	v_add3_u32 v13, v13, v18, 0x6200
	v_and_b32_e32 v52, 12, v22
	v_cvt_i32_f64_e32 v7, v[11:12]
	v_cvt_i32_f64_e32 v10, v[1:2]
	v_add_nc_u32_e32 v1, 64, v17
	v_add_nc_u32_e32 v2, 0x60, v17
	v_and_b32_e32 v11, 63, v29
	v_add_nc_u32_e32 v90, v13, v14
	s_delay_alu instid0(VALU_DEP_4)
	v_dual_mov_b32 v14, 0 :: v_dual_and_b32 v15, 0xffc, v1
	v_lshlrev_b32_e32 v16, 5, v1
	v_and_b32_e32 v1, 0xffc, v2
	v_lshlrev_b32_e32 v17, 5, v2
	v_or_b32_e32 v2, s7, v11
	v_add_nc_u32_e32 v97, v23, v35
	v_mov_b32_e32 v35, 0
	v_lshl_or_b32 v11, v11, 4, v30
	v_add3_u32 v12, v42, v18, 0x6200
	v_add3_u32 v15, v15, v18, 0x6200
	;; [unrolled: 1-line block ×3, first 2 shown]
	v_min_i32_e32 v1, s10, v2
	v_add_nc_u32_e32 v2, 0x7280, v11
	scratch_store_b32 off, v25, off offset:44 ; 4-byte Folded Spill
	v_add_nc_u32_e32 v91, v15, v16
	v_dual_mov_b32 v15, 0 :: v_dual_add_nc_u32 v96, v23, v34
	scratch_store_b32 off, v2, off          ; 4-byte Folded Spill
	v_mad_co_u64_u32 v[1:2], null, v1, s5, v[19:20]
	v_mov_b32_e32 v34, 0
	v_dual_mov_b32 v17, 0 :: v_dual_add_nc_u32 v92, v18, v17
	v_dual_mov_b32 v30, 0 :: v_dual_add_nc_u32 v45, s16, v43
	v_mov_b32_e32 v13, 0
	scratch_store_b64 off, v[1:2], off offset:48 ; 8-byte Folded Spill
	v_mul_lo_u32 v1, s5, v3
	v_lshlrev_b32_e32 v2, 5, v21
	v_and_b32_e32 v3, 0x1fc, v26
	v_add_nc_u32_e32 v50, s16, v45
	v_mov_b32_e32 v18, 0
	v_dual_mov_b32 v31, 0 :: v_dual_add_nc_u32 v94, v23, v31
	v_mad_u32_u24 v53, 0x84, v20, v22
	scratch_store_b32 off, v1, off offset:4 ; 4-byte Folded Spill
	v_mul_lo_u32 v1, s5, v4
	v_and_b32_e32 v4, 0x1fc, v27
	v_add_nc_u32_e32 v54, s16, v50
	v_and_b32_e32 v22, 28, v22
	v_dual_mov_b32 v46, 0 :: v_dual_add_nc_u32 v89, v12, v46
	s_delay_alu instid0(VALU_DEP_4) | instskip(NEXT) | instid1(VALU_DEP_4)
	v_add_nc_u32_e32 v4, v2, v4
	v_add_nc_u32_e32 v55, s16, v54
	scratch_store_b32 off, v1, off offset:8 ; 4-byte Folded Spill
	v_mul_lo_u32 v1, s5, v5
	v_and_b32_e32 v5, 0x1fc, v28
	v_dual_mov_b32 v27, 0 :: v_dual_mov_b32 v16, 0
	v_mov_b32_e32 v12, 0
	s_delay_alu instid0(VALU_DEP_3)
	v_dual_mov_b32 v42, 0 :: v_dual_add_nc_u32 v5, v2, v5
	v_mov_b32_e32 v26, 0
	scratch_store_b32 off, v1, off offset:12 ; 4-byte Folded Spill
	v_mul_lo_u32 v1, s5, v6
	v_dual_mov_b32 v19, 0 :: v_dual_add_nc_u32 v6, v2, v3
	v_mov_b32_e32 v29, 0
	s_wait_alu 0xfffe
	s_mov_b32 s10, s11
	v_mov_b32_e32 v11, 0
	scratch_store_b32 off, v1, off offset:16 ; 4-byte Folded Spill
	v_mul_lo_u32 v1, s5, v7
	v_add_nc_u32_e32 v7, v2, v0
	v_add_nc_u32_e32 v0, 0x6e00, v6
	s_clause 0x1
	scratch_store_b32 off, v0, off offset:56
	scratch_store_b32 off, v1, off offset:20
	v_mul_lo_u32 v1, s5, v8
	v_add_nc_u32_e32 v0, 0x6a00, v4
	scratch_store_b32 off, v0, off offset:60 ; 4-byte Folded Spill
	v_add_nc_u32_e32 v0, 0x6600, v5
	scratch_store_b32 off, v1, off offset:24 ; 4-byte Folded Spill
	v_mul_lo_u32 v1, s5, v9
	scratch_store_b32 off, v0, off offset:64 ; 4-byte Folded Spill
	v_add_nc_u32_e32 v0, 0x6200, v7
	scratch_store_b32 off, v1, off offset:28 ; 4-byte Folded Spill
	v_mul_lo_u32 v1, s5, v10
	v_add_co_u32 v2, s5, s2, v22
	s_wait_alu 0xf1ff
	v_add_co_ci_u32_e64 v3, null, s3, 0, s5
	v_mov_b32_e32 v22, 0
	v_mov_b32_e32 v10, 0
	s_add_co_i32 s5, s15, 3
	scratch_store_b32 off, v1, off offset:32 ; 4-byte Folded Spill
	v_lshrrev_b32_e32 v1, 3, v28
	v_mov_b32_e32 v28, 0
	s_clause 0x2
	scratch_store_b32 off, v1, off offset:72
	scratch_store_b32 off, v0, off offset:68
	;; [unrolled: 1-line block ×3, first 2 shown]
	v_lshl_add_u32 v0, v20, 4, 0x7280
	scratch_store_b32 off, v0, off offset:36 ; 4-byte Folded Spill
	v_add_nc_u32_e32 v0, 0x6e10, v6
	scratch_store_b32 off, v0, off offset:76 ; 4-byte Folded Spill
	v_add_nc_u32_e32 v0, 0x6a10, v4
	;; [unrolled: 2-line block ×5, first 2 shown]
	v_mov_b32_e32 v24, 0
	v_dual_mov_b32 v23, 0 :: v_dual_add_nc_u32 v56, s16, v55
	scratch_store_b32 off, v0, off offset:40 ; 4-byte Folded Spill
	v_add_nc_u32_e32 v57, s16, v56
	s_delay_alu instid0(VALU_DEP_1) | instskip(NEXT) | instid1(VALU_DEP_1)
	v_add_nc_u32_e32 v58, s16, v57
	v_add_nc_u32_e32 v60, s16, v58
	s_delay_alu instid0(VALU_DEP_1) | instskip(NEXT) | instid1(VALU_DEP_1)
	v_add_nc_u32_e32 v61, s16, v60
	v_add_nc_u32_e32 v62, s16, v61
	s_delay_alu instid0(VALU_DEP_1) | instskip(NEXT) | instid1(VALU_DEP_1)
	v_add_nc_u32_e32 v63, s16, v62
	v_add_nc_u32_e32 v65, s16, v63
	s_delay_alu instid0(VALU_DEP_1) | instskip(NEXT) | instid1(VALU_DEP_1)
	v_add_nc_u32_e32 v67, s16, v65
	v_add_nc_u32_e32 v70, s16, v67
	s_branch .LBB117_6
.LBB117_5:                              ;   in Loop: Header=BB117_6 Depth=1
	s_add_co_i32 s10, s10, 8
	s_add_co_i32 s5, s5, -8
	s_wait_alu 0xfffe
	s_cmp_ge_i32 s10, s15
	s_cbranch_scc1 .LBB117_13
.LBB117_6:                              ; =>This Loop Header: Depth=1
                                        ;     Child Loop BB117_8 Depth 2
                                        ;     Child Loop BB117_11 Depth 2
	s_wait_alu 0xfffe
	s_mul_u64 s[12:13], s[10:11], 18
	s_cmp_gt_u32 s5, 3
	s_wait_alu 0xfffe
	s_add_nc_u64 s[12:13], s[0:1], s[12:13]
	v_add_nc_u32_e32 v123, 0x35a0, v53
	s_wait_alu 0xfffe
	v_mad_co_u64_u32 v[4:5], null, v40, 18, s[12:13]
	v_add_nc_u32_e32 v124, 0x39c0, v53
	v_add_nc_u32_e32 v125, 0x3de0, v53
	s_delay_alu instid0(VALU_DEP_3) | instskip(SKIP_3) | instid1(VALU_DEP_4)
	v_mad_co_u64_u32 v[6:7], null, v39, 18, v[4:5]
	v_mad_co_u64_u32 v[8:9], null, v43, 18, v[4:5]
	;; [unrolled: 1-line block ×4, first 2 shown]
	v_add_co_u32 v6, vcc_lo, v6, v52
	v_mad_co_u64_u32 v[105:106], null, v54, 18, v[4:5]
	s_wait_alu 0xfffd
	v_add_co_ci_u32_e64 v7, null, 0, v7, vcc_lo
	v_add_co_u32 v8, vcc_lo, v8, v52
	v_mad_co_u64_u32 v[107:108], null, v55, 18, v[4:5]
	s_wait_alu 0xfffd
	v_add_co_ci_u32_e64 v9, null, 0, v9, vcc_lo
	;; [unrolled: 4-line block ×4, first 2 shown]
	v_add_co_u32 v105, vcc_lo, v105, v52
	s_wait_alu 0xfffd
	v_add_co_ci_u32_e64 v106, null, 0, v106, vcc_lo
	v_add_co_u32 v107, vcc_lo, v107, v52
	s_wait_alu 0xfffd
	v_add_co_ci_u32_e64 v108, null, 0, v108, vcc_lo
	;; [unrolled: 3-line block ×3, first 2 shown]
	v_add_co_u32 v111, vcc_lo, v111, v52
	v_mad_co_u64_u32 v[113:114], null, v58, 18, v[4:5]
	s_wait_alu 0xfffd
	v_add_co_ci_u32_e64 v112, null, 0, v112, vcc_lo
	s_clause 0x7
	global_load_b32 v85, v[6:7], off offset:2
	global_load_b32 v86, v[8:9], off offset:2
	global_load_b32 v87, v[101:102], off offset:2
	global_load_b32 v88, v[103:104], off offset:2
	global_load_b32 v119, v[105:106], off offset:2
	global_load_b32 v120, v[107:108], off offset:2
	global_load_b32 v121, v[109:110], off offset:2
	global_load_b32 v122, v[111:112], off offset:2
	v_mad_co_u64_u32 v[6:7], null, v60, 18, v[4:5]
	v_mad_co_u64_u32 v[101:102], null, v61, 18, v[4:5]
	;; [unrolled: 1-line block ×4, first 2 shown]
	v_add_co_u32 v8, vcc_lo, v113, v52
	v_mad_co_u64_u32 v[105:106], null, v63, 18, v[4:5]
	s_wait_alu 0xfffd
	v_add_co_ci_u32_e64 v9, null, 0, v114, vcc_lo
	v_add_co_u32 v6, vcc_lo, v6, v52
	v_mad_co_u64_u32 v[107:108], null, v65, 18, v[4:5]
	s_wait_alu 0xfffd
	v_add_co_ci_u32_e64 v7, null, 0, v7, vcc_lo
	v_add_co_u32 v101, vcc_lo, v101, v52
	v_mad_co_u64_u32 v[111:112], null, v59, 18, v[109:110]
	v_mad_co_u64_u32 v[117:118], null, v67, 18, v[4:5]
	;; [unrolled: 1-line block ×3, first 2 shown]
	s_wait_alu 0xfffd
	v_add_co_ci_u32_e64 v102, null, 0, v102, vcc_lo
	v_add_co_u32 v103, vcc_lo, v103, v52
	v_mad_co_u64_u32 v[115:116], null, v66, 18, v[109:110]
	v_mad_co_u64_u32 v[4:5], null, v70, 18, v[4:5]
	;; [unrolled: 1-line block ×3, first 2 shown]
	s_wait_alu 0xfffd
	v_add_co_ci_u32_e64 v104, null, 0, v104, vcc_lo
	v_add_co_u32 v105, vcc_lo, v105, v52
	s_wait_alu 0xfffd
	v_add_co_ci_u32_e64 v106, null, 0, v106, vcc_lo
	v_add_co_u32 v107, vcc_lo, v107, v52
	s_wait_alu 0xfffd
	v_add_co_ci_u32_e64 v108, null, 0, v108, vcc_lo
	s_clause 0x3
	global_load_u16 v111, v[111:112], off
	global_load_u16 v112, v[113:114], off
	;; [unrolled: 1-line block ×4, first 2 shown]
	v_add_co_u32 v109, vcc_lo, v117, v52
	s_wait_alu 0xfffd
	v_add_co_ci_u32_e64 v110, null, 0, v118, vcc_lo
	v_add_co_u32 v4, vcc_lo, v4, v52
	s_wait_alu 0xfffd
	v_add_co_ci_u32_e64 v5, null, 0, v5, vcc_lo
	s_clause 0x7
	global_load_b32 v8, v[8:9], off offset:2
	global_load_b32 v6, v[6:7], off offset:2
	;; [unrolled: 1-line block ×8, first 2 shown]
	v_add_nc_u32_e32 v5, 0x420, v53
	v_add_nc_u32_e32 v104, 0x840, v53
	;; [unrolled: 1-line block ×12, first 2 shown]
	s_wait_loadcnt 0xb
	v_cvt_f32_f16_e32 v111, v111
	s_wait_loadcnt 0xa
	v_cvt_f32_f16_e32 v112, v112
	;; [unrolled: 2-line block ×4, first 2 shown]
	ds_store_b32 v53, v85
	ds_store_b32 v5, v86
	;; [unrolled: 1-line block ×8, first 2 shown]
	s_wait_loadcnt 0x7
	ds_store_b32 v110, v8
	s_wait_loadcnt 0x6
	ds_store_b32 v115, v6
	;; [unrolled: 2-line block ×8, first 2 shown]
	ds_store_b32 v89, v111
	ds_store_b32 v90, v112
	;; [unrolled: 1-line block ×4, first 2 shown]
	s_cbranch_scc0 .LBB117_5
; %bb.7:                                ;   in Loop: Header=BB117_6 Depth=1
	scratch_load_b32 v0, off, off offset:44 ; 4-byte Folded Reload
	s_mov_b32 s12, -4
	s_wait_loadcnt 0x0
	v_add_nc_u32_e32 v85, s10, v0
	scratch_load_b64 v[0:1], off, off offset:48 ; 8-byte Folded Reload
	s_wait_loadcnt 0x0
	v_add_nc_u32_e32 v101, s10, v0
	scratch_load_b32 v0, off, off offset:4  ; 4-byte Folded Reload
	v_mad_co_u64_u32 v[112:113], null, v101, 36, s[2:3]
	s_wait_loadcnt 0x0
	v_add_nc_u32_e32 v4, v85, v0
	scratch_load_b32 v0, off, off offset:8  ; 4-byte Folded Reload
	v_mad_co_i64_i32 v[4:5], null, v4, 36, v[2:3]
	s_wait_loadcnt 0x0
	v_add_nc_u32_e32 v6, v85, v0
	scratch_load_b32 v0, off, off offset:12 ; 4-byte Folded Reload
	v_mad_co_i64_i32 v[6:7], null, v6, 36, v[2:3]
	s_wait_loadcnt 0x0
	v_add_nc_u32_e32 v8, v85, v0
	scratch_load_b32 v0, off, off offset:16 ; 4-byte Folded Reload
	;; [unrolled: 4-line block ×6, first 2 shown]
	v_mad_co_i64_i32 v[108:109], null, v88, 36, v[2:3]
	s_wait_loadcnt 0x0
	v_add_nc_u32_e32 v85, v85, v0
	s_delay_alu instid0(VALU_DEP_1)
	v_mad_co_i64_i32 v[110:111], null, v85, 36, v[2:3]
	s_clause 0x8
	global_load_b32 v85, v[104:105], off offset:4
	global_load_b32 v4, v[4:5], off offset:4
	;; [unrolled: 1-line block ×8, first 2 shown]
	global_load_b32 v87, v[112:113], off
	s_clause 0x5
	scratch_load_b32 v103, off, off offset:36
	scratch_load_b32 v104, off, off offset:68
	;; [unrolled: 1-line block ×6, first 2 shown]
	v_mov_b32_e32 v102, v84
	v_mul_u32_u24_e32 v108, 0x84, v21
	s_wait_loadcnt 0xe
	ds_store_b32 v100, v85
	s_wait_loadcnt 0x0
	ds_store_b32 v0, v4
	ds_store_b32 v94, v5
	;; [unrolled: 1-line block ×7, first 2 shown]
	scratch_load_b32 v0, off, off           ; 4-byte Folded Reload
	s_wait_loadcnt 0x0
	ds_store_b32 v0, v87
	s_wait_storecnt_dscnt 0x0
	s_barrier_signal -1
	s_barrier_wait -1
	global_inv scope:SCOPE_SE
.LBB117_8:                              ;   Parent Loop BB117_6 Depth=1
                                        ; =>  This Inner Loop Header: Depth=2
	ds_load_2addr_b32 v[4:5], v102 offset0:4 offset1:7
	ds_load_2addr_b32 v[141:142], v108 offset1:1
	ds_load_2addr_b32 v[161:162], v102 offset1:3
	ds_load_b32 v109, v105
	ds_load_2addr_b32 v[147:148], v102 offset0:1 offset1:2
	ds_load_2addr_b32 v[167:168], v102 offset0:5 offset1:6
	;; [unrolled: 1-line block ×3, first 2 shown]
	v_add_nc_u32_e32 v155, 0x400, v102
	v_add_nc_u32_e32 v105, 4, v105
	s_wait_alu 0xfffe
	s_add_co_i32 s12, s12, 4
	s_wait_alu 0xfffe
	s_cmp_lt_u32 s12, 12
	s_wait_dscnt 0x6
	v_bfe_i32 v85, v4, 16, 8
	s_wait_dscnt 0x5
	v_bfe_u32 v153, v141, 20, 4
	s_wait_dscnt 0x4
	v_bfe_i32 v86, v161, 16, 8
	v_bfe_u32 v110, v141, 16, 4
	s_wait_dscnt 0x2
	v_bfe_i32 v87, v147, 16, 8
	v_bfe_u32 v145, v142, 16, 4
	v_mul_i32_i24_e32 v6, v153, v85
	s_wait_dscnt 0x1
	v_bfe_i32 v88, v167, 16, 8
	v_bfe_u32 v134, v142, 20, 4
	v_lshrrev_b32_e32 v157, 28, v141
	v_mul_i32_i24_e32 v7, v87, v145
	v_mad_i32_i24 v6, v110, v86, v6
	v_ashrrev_i32_e32 v169, 24, v4
	v_mul_i32_i24_e32 v8, v88, v134
	v_bfe_u32 v111, v141, 24, 4
	v_ashrrev_i32_e32 v137, 24, v161
	v_bfe_u32 v156, v142, 24, 4
	v_lshrrev_b32_e32 v143, 28, v142
	v_add3_u32 v6, v6, v7, v8
	v_mul_i32_i24_e32 v7, v157, v169
	v_ashrrev_i32_e32 v181, 24, v147
	v_ashrrev_i32_e32 v183, 24, v167
	v_bfe_i32 v164, v4, 0, 8
	v_bfe_u32 v160, v141, 4, 4
	v_mad_i32_i24 v7, v111, v137, v7
	v_mul_i32_i24_e32 v8, v181, v156
	v_mul_i32_i24_e32 v9, v183, v143
	v_bfe_i32 v122, v161, 0, 8
	v_and_b32_e32 v112, 15, v141
	v_bfe_i32 v204, v147, 0, 8
	v_and_b32_e32 v150, 15, v142
	v_add3_u32 v7, v7, v8, v9
	v_mul_i32_i24_e32 v8, v160, v164
	v_bfe_i32 v205, v167, 0, 8
	v_bfe_u32 v146, v142, 4, 4
	v_mul_i32_i24_e32 v9, v204, v150
	s_wait_dscnt 0x0
	v_bfe_u32 v135, v179, 24, 4
	v_mad_i32_i24 v8, v112, v122, v8
	v_lshrrev_b32_e32 v127, 28, v179
	v_mul_i32_i24_e32 v113, v205, v146
	v_ashrrev_i32_e32 v208, 24, v148
	v_ashrrev_i32_e32 v240, 24, v168
	v_bfe_i32 v209, v148, 16, 8
	v_bfe_u32 v131, v179, 16, 4
	v_add3_u32 v8, v8, v9, v113
	v_mul_i32_i24_e32 v9, v208, v135
	v_mul_i32_i24_e32 v113, v240, v127
	v_bfe_i32 v241, v168, 16, 8
	v_bfe_u32 v121, v179, 20, 4
	v_bfe_i32 v210, v148, 0, 8
	v_and_b32_e32 v132, 15, v179
	v_add3_u32 v123, v7, v9, v113
	v_mul_i32_i24_e32 v7, v209, v131
	v_mul_i32_i24_e32 v9, v241, v121
	v_bfe_i32 v211, v168, 0, 8
	v_bfe_u32 v128, v179, 4, 4
	v_lshrrev_b16 v4, 8, v4
	v_bfe_i32 v223, v147, 8, 8
	v_add3_u32 v124, v6, v7, v9
	v_mul_i32_i24_e32 v6, v210, v132
	v_mul_i32_i24_e32 v7, v211, v128
	v_bfe_i32 v212, v4, 0, 8
	v_and_b32_e32 v4, 0xf0f0f0f, v142
	v_bfe_i32 v242, v162, 16, 8
	v_bfe_u32 v133, v180, 16, 4
	v_add3_u32 v125, v8, v6, v7
	v_lshrrev_b16 v6, 8, v161
	v_add_nc_u32_e32 v7, 0x2108, v108
	v_add_nc_u32_e32 v8, 0x1088, v108
	v_bfe_i32 v243, v5, 16, 8
	v_bfe_u32 v140, v180, 24, 4
	v_bfe_i32 v138, v6, 0, 8
	v_add_nc_u32_e32 v6, 0x2100, v108
	ds_load_2addr_b32 v[192:193], v6 offset1:1
	ds_load_2addr_b32 v[6:7], v7 offset1:1
	;; [unrolled: 1-line block ×3, first 2 shown]
	v_ashrrev_i32_e32 v244, 24, v162
	v_ashrrev_i32_e32 v245, 24, v5
	v_bfe_i32 v246, v162, 0, 8
	v_and_b32_e32 v136, 15, v180
	v_bfe_i32 v247, v5, 0, 8
	v_lshrrev_b32_e32 v142, 4, v142
	v_bfe_i32 v254, v148, 8, 8
	v_and_b32_e32 v148, 0xf0f0f0f, v179
	v_bfe_i32 v233, v167, 8, 8
	v_bfe_i32 v82, v162, 8, 8
	v_lshrrev_b16 v142, 8, v142
	v_lshrrev_b32_e32 v162, 4, v179
	v_lshrrev_b16 v148, 8, v148
	v_bfe_i32 v81, v168, 8, 8
	s_delay_alu instid0(VALU_DEP_4) | instskip(NEXT) | instid1(VALU_DEP_4)
	v_and_b32_e32 v142, 15, v142
	v_lshrrev_b16 v162, 8, v162
	s_wait_dscnt 0x2
	v_and_b32_e32 v116, 15, v192
	v_bfe_u32 v115, v192, 8, 4
	v_bfe_u32 v113, v192, 16, 4
	;; [unrolled: 1-line block ×3, first 2 shown]
	s_wait_dscnt 0x0
	v_bfe_u32 v139, v194, 16, 4
	v_mul_i32_i24_e32 v8, v122, v116
	v_and_b32_e32 v144, 15, v194
	v_mul_i32_i24_e32 v9, v86, v113
	v_mul_i32_i24_e32 v117, v137, v114
	v_bfe_u32 v151, v194, 24, 4
	v_mad_i32_i24 v8, v138, v115, v8
	v_bfe_u32 v184, v192, 4, 4
	v_bfe_u32 v186, v192, 12, 4
	v_lshrrev_b32_e32 v188, 28, v192
	v_and_b32_e32 v162, 15, v162
	v_add3_u32 v149, v8, v9, v117
	v_add_nc_u32_e32 v8, 0x3180, v108
	v_add_nc_u32_e32 v9, 0x3188, v108
	;; [unrolled: 1-line block ×3, first 2 shown]
	ds_load_2addr_b32 v[196:197], v8 offset1:1
	ds_load_2addr_b32 v[8:9], v9 offset1:1
	;; [unrolled: 1-line block ×3, first 2 shown]
	ds_load_2addr_b32 v[189:190], v155 offset0:4 offset1:7
	ds_load_2addr_b32 v[202:203], v155 offset1:3
	v_bfe_u32 v155, v194, 4, 4
	v_and_b32_e32 v168, 0xffff, v162
	v_bfe_u32 v236, v193, 4, 4
	s_delay_alu instid0(VALU_DEP_2)
	v_mul_i32_i24_e32 v179, v81, v168
	s_wait_dscnt 0x4
	v_and_b32_e32 v119, 15, v196
	v_bfe_u32 v120, v196, 8, 4
	v_bfe_u32 v118, v196, 24, 4
	s_wait_dscnt 0x2
	v_bfe_i32 v216, v198, 16, 8
	s_wait_dscnt 0x1
	v_bfe_i32 v174, v189, 16, 8
	v_mul_i32_i24_e32 v117, v122, v119
	v_bfe_i32 v219, v199, 16, 8
	v_mul_i32_i24_e32 v130, v137, v118
	v_bfe_i32 v218, v198, 0, 8
	v_bfe_i32 v206, v189, 0, 8
	v_mad_i32_i24 v126, v138, v120, v117
	v_bfe_u32 v117, v196, 16, 4
	v_bfe_i32 v221, v199, 0, 8
	v_ashrrev_i32_e32 v222, 24, v198
	v_ashrrev_i32_e32 v207, 24, v189
	v_ashrrev_i32_e32 v225, 24, v199
	v_mul_i32_i24_e32 v129, v86, v117
	v_bfe_u32 v182, v196, 4, 4
	v_bfe_u32 v185, v196, 12, 4
	s_wait_dscnt 0x0
	v_ashrrev_i32_e32 v249, 24, v203
	v_bfe_i32 v251, v203, 0, 8
	v_add3_u32 v154, v126, v129, v130
	v_add_nc_u32_e32 v126, 0x1080, v108
	v_add_nc_u32_e32 v129, 0x414, v102
	v_mul_i32_i24_e32 v130, v219, v139
	v_bfe_i32 v253, v203, 16, 8
	v_bfe_u32 v191, v196, 20, 4
	ds_load_2addr_b32 v[177:178], v126 offset1:1
	ds_load_2addr_b32 v[200:201], v129 offset1:1
	v_bfe_i32 v198, v198, 8, 8
	v_bfe_i32 v255, v202, 16, 8
	;; [unrolled: 1-line block ×5, first 2 shown]
	v_ashrrev_i32_e32 v79, 24, v202
	v_ashrrev_i32_e32 v80, 24, v190
	v_bfe_i32 v44, v190, 8, 8
	v_bfe_i32 v190, v203, 8, 8
	v_bfe_u32 v238, v197, 4, 4
	v_lshrrev_b32_e32 v239, 28, v197
	v_add_nc_u32_e32 v108, 16, v108
	s_wait_dscnt 0x1
	v_bfe_u32 v159, v178, 16, 4
	v_bfe_u32 v166, v177, 20, 4
	;; [unrolled: 1-line block ×3, first 2 shown]
	s_wait_dscnt 0x0
	v_bfe_i32 v217, v200, 16, 8
	v_and_b32_e32 v163, 15, v178
	v_mul_i32_i24_e32 v126, v216, v159
	v_bfe_u32 v172, v177, 4, 4
	v_bfe_u32 v158, v178, 4, 4
	v_mul_i32_i24_e32 v129, v217, v152
	v_bfe_i32 v220, v200, 0, 8
	v_mad_i32_i24 v126, v174, v166, v126
	v_bfe_u32 v165, v178, 24, 4
	v_lshrrev_b32_e32 v170, 28, v177
	v_lshrrev_b32_e32 v161, 28, v178
	v_ashrrev_i32_e32 v224, 24, v200
	v_add3_u32 v171, v126, v129, v130
	v_mul_i32_i24_e32 v126, v218, v163
	v_mul_i32_i24_e32 v129, v220, v158
	;; [unrolled: 1-line block ×3, first 2 shown]
	v_ashrrev_i32_e32 v248, 24, v201
	v_bfe_i32 v250, v201, 0, 8
	v_mad_i32_i24 v126, v206, v172, v126
	v_bfe_i32 v252, v201, 16, 8
	v_bfe_i32 v200, v200, 8, 8
	s_delay_alu instid0(VALU_DEP_3) | instskip(SKIP_3) | instid1(VALU_DEP_3)
	v_add3_u32 v175, v126, v129, v130
	v_mul_i32_i24_e32 v126, v222, v165
	v_mul_i32_i24_e32 v129, v224, v161
	;; [unrolled: 1-line block ×3, first 2 shown]
	v_mad_i32_i24 v126, v207, v170, v126
	s_delay_alu instid0(VALU_DEP_1) | instskip(SKIP_4) | instid1(VALU_DEP_4)
	v_add3_u32 v187, v126, v129, v130
	v_lshrrev_b32_e32 v129, 4, v141
	v_and_b32_e32 v126, 0xf0f0f0f, v141
	v_lshrrev_b16 v130, 8, v4
	v_bfe_u32 v141, v195, 24, 4
	v_lshrrev_b16 v129, 8, v129
	s_delay_alu instid0(VALU_DEP_4) | instskip(NEXT) | instid1(VALU_DEP_4)
	v_lshrrev_b16 v126, 8, v126
	v_and_b32_e32 v173, 0xffff, v130
	s_delay_alu instid0(VALU_DEP_3) | instskip(NEXT) | instid1(VALU_DEP_3)
	v_and_b32_e32 v129, 15, v129
	v_and_b32_e32 v4, 0xffff, v126
	s_delay_alu instid0(VALU_DEP_2) | instskip(NEXT) | instid1(VALU_DEP_2)
	v_and_b32_e32 v176, 0xffff, v129
	v_mul_i32_i24_e32 v126, v4, v138
	v_mul_i32_i24_e32 v129, v223, v173
	s_delay_alu instid0(VALU_DEP_3) | instskip(NEXT) | instid1(VALU_DEP_1)
	v_mul_i32_i24_e32 v130, v176, v212
	v_add3_u32 v147, v126, v130, v129
	v_bfe_u32 v126, v180, 20, 4
	v_mul_i32_i24_e32 v129, v242, v133
	s_delay_alu instid0(VALU_DEP_2) | instskip(NEXT) | instid1(VALU_DEP_1)
	v_mul_i32_i24_e32 v130, v243, v126
	v_add3_u32 v226, v124, v129, v130
	v_lshrrev_b32_e32 v129, 28, v180
	v_mul_i32_i24_e32 v124, v244, v140
	s_delay_alu instid0(VALU_DEP_2) | instskip(NEXT) | instid1(VALU_DEP_1)
	v_mul_i32_i24_e32 v130, v245, v129
	v_add3_u32 v228, v123, v124, v130
	v_bfe_u32 v130, v180, 4, 4
	v_mul_i32_i24_e32 v123, v246, v136
	s_delay_alu instid0(VALU_DEP_2) | instskip(NEXT) | instid1(VALU_DEP_1)
	v_mul_i32_i24_e32 v124, v247, v130
	v_add3_u32 v230, v125, v123, v124
	v_mul_i32_i24_e32 v123, v164, v184
	v_mul_i32_i24_e32 v124, v212, v186
	s_delay_alu instid0(VALU_DEP_1) | instskip(SKIP_2) | instid1(VALU_DEP_1)
	v_add3_u32 v213, v149, v124, v123
	v_mul_i32_i24_e32 v123, v164, v182
	v_mul_i32_i24_e32 v124, v212, v185
	v_add3_u32 v214, v154, v124, v123
	v_and_b32_e32 v123, 0xf0f0f0f, v177
	v_and_b32_e32 v124, 15, v177
	v_lshrrev_b32_e32 v154, 28, v194
	s_delay_alu instid0(VALU_DEP_3) | instskip(NEXT) | instid1(VALU_DEP_3)
	v_lshrrev_b16 v123, 8, v123
	v_mul_i32_i24_e32 v122, v124, v122
	s_delay_alu instid0(VALU_DEP_2) | instskip(SKIP_1) | instid1(VALU_DEP_2)
	v_and_b32_e32 v125, 0xffff, v123
	v_bfe_u32 v123, v177, 24, 4
	v_mad_i32_i24 v138, v125, v138, v122
	v_bfe_u32 v122, v177, 16, 4
	s_delay_alu instid0(VALU_DEP_3) | instskip(NEXT) | instid1(VALU_DEP_2)
	v_mul_i32_i24_e32 v137, v123, v137
	v_mul_i32_i24_e32 v86, v122, v86
	s_delay_alu instid0(VALU_DEP_1) | instskip(SKIP_2) | instid1(VALU_DEP_1)
	v_add3_u32 v86, v138, v86, v137
	v_mul_i32_i24_e32 v137, v248, v154
	v_mul_i32_i24_e32 v138, v249, v141
	v_add3_u32 v215, v187, v137, v138
	v_and_b32_e32 v137, 15, v195
	v_mul_i32_i24_e32 v138, v250, v155
	s_delay_alu instid0(VALU_DEP_2) | instskip(NEXT) | instid1(VALU_DEP_1)
	v_mul_i32_i24_e32 v149, v251, v137
	v_add3_u32 v227, v175, v138, v149
	v_bfe_u32 v149, v194, 20, 4
	v_bfe_u32 v138, v195, 16, 4
	s_delay_alu instid0(VALU_DEP_2) | instskip(NEXT) | instid1(VALU_DEP_2)
	v_mul_i32_i24_e32 v175, v252, v149
	v_mul_i32_i24_e32 v187, v253, v138
	s_delay_alu instid0(VALU_DEP_1) | instskip(SKIP_4) | instid1(VALU_DEP_4)
	v_add3_u32 v229, v171, v175, v187
	v_lshrrev_b16 v171, 8, v189
	v_bfe_u32 v189, v192, 20, 4
	v_mul_i32_i24_e32 v187, v207, v188
	v_lshrrev_b32_e32 v192, 28, v196
	v_bfe_i32 v231, v171, 0, 8
	s_delay_alu instid0(VALU_DEP_4) | instskip(NEXT) | instid1(VALU_DEP_2)
	v_mul_i32_i24_e32 v175, v174, v189
	v_mul_i32_i24_e32 v171, v231, v186
	s_delay_alu instid0(VALU_DEP_1) | instskip(NEXT) | instid1(VALU_DEP_1)
	v_mad_i32_i24 v171, v206, v184, v171
	v_add3_u32 v232, v171, v175, v187
	v_mul_i32_i24_e32 v171, v231, v185
	v_mul_i32_i24_e32 v175, v174, v191
	;; [unrolled: 1-line block ×3, first 2 shown]
	s_delay_alu instid0(VALU_DEP_3) | instskip(NEXT) | instid1(VALU_DEP_1)
	v_mad_i32_i24 v171, v206, v182, v171
	v_add3_u32 v196, v171, v175, v187
	v_and_b32_e32 v171, 0xffff, v148
	v_and_b32_e32 v175, 0xffff, v142
	s_delay_alu instid0(VALU_DEP_2) | instskip(NEXT) | instid1(VALU_DEP_2)
	v_mul_i32_i24_e32 v142, v254, v171
	v_mul_i32_i24_e32 v148, v233, v175
	s_delay_alu instid0(VALU_DEP_1) | instskip(SKIP_4) | instid1(VALU_DEP_3)
	v_add3_u32 v167, v147, v148, v142
	v_mul_i32_i24_e32 v142, v85, v189
	v_mul_i32_i24_e32 v147, v169, v188
	;; [unrolled: 1-line block ×3, first 2 shown]
	v_and_b32_e32 v207, 15, v197
	v_add3_u32 v234, v213, v142, v147
	v_mul_i32_i24_e32 v142, v85, v191
	v_mul_i32_i24_e32 v147, v169, v192
	v_bfe_u32 v213, v193, 8, 4
	v_mul_i32_i24_e32 v85, v166, v85
	s_delay_alu instid0(VALU_DEP_3) | instskip(SKIP_3) | instid1(VALU_DEP_3)
	v_add3_u32 v235, v214, v142, v147
	v_lshrrev_b32_e32 v142, 4, v177
	v_mul_i32_i24_e32 v147, v172, v164
	v_bfe_u32 v214, v197, 8, 4
	v_lshrrev_b16 v142, 8, v142
	s_delay_alu instid0(VALU_DEP_1) | instskip(NEXT) | instid1(VALU_DEP_1)
	v_and_b32_e32 v142, 15, v142
	v_and_b32_e32 v187, 0xffff, v142
	s_delay_alu instid0(VALU_DEP_1) | instskip(SKIP_1) | instid1(VALU_DEP_2)
	v_mul_i32_i24_e32 v142, v187, v212
	v_bfe_u32 v212, v193, 24, 4
	v_add3_u32 v86, v86, v142, v147
	v_mul_i32_i24_e32 v142, v231, v176
	v_mul_i32_i24_e32 v147, v174, v153
	s_delay_alu instid0(VALU_DEP_2) | instskip(NEXT) | instid1(VALU_DEP_1)
	v_mad_i32_i24 v142, v206, v160, v142
	v_add3_u32 v177, v142, v147, v148
	v_lshrrev_b32_e32 v142, 4, v178
	v_and_b32_e32 v147, 0xf0f0f0f, v178
	s_delay_alu instid0(VALU_DEP_2) | instskip(NEXT) | instid1(VALU_DEP_2)
	v_lshrrev_b16 v142, 8, v142
	v_lshrrev_b16 v147, 8, v147
	s_delay_alu instid0(VALU_DEP_2) | instskip(NEXT) | instid1(VALU_DEP_2)
	v_and_b32_e32 v142, 15, v142
	v_and_b32_e32 v178, 0xffff, v147
	s_delay_alu instid0(VALU_DEP_2) | instskip(SKIP_1) | instid1(VALU_DEP_3)
	v_and_b32_e32 v174, 0xffff, v142
	v_mul_i32_i24_e32 v142, v231, v187
	v_mul_i32_i24_e32 v147, v198, v178
	s_delay_alu instid0(VALU_DEP_3) | instskip(NEXT) | instid1(VALU_DEP_1)
	v_mul_i32_i24_e32 v148, v200, v174
	v_add3_u32 v231, v142, v147, v148
	v_bfe_u32 v142, v195, 20, 4
	v_mul_i32_i24_e32 v147, v255, v122
	s_delay_alu instid0(VALU_DEP_2) | instskip(NEXT) | instid1(VALU_DEP_1)
	v_mul_i32_i24_e32 v148, v0, v142
	v_add3_u32 v20, v229, v148, v147
	v_bfe_u32 v147, v195, 4, 4
	v_mul_i32_i24_e32 v148, v83, v124
	s_delay_alu instid0(VALU_DEP_2) | instskip(NEXT) | instid1(VALU_DEP_1)
	v_mul_i32_i24_e32 v164, v25, v147
	v_add3_u32 v1, v227, v164, v148
	v_lshrrev_b32_e32 v148, 28, v195
	v_mul_i32_i24_e32 v164, v79, v123
	v_bfe_u32 v227, v193, 16, 4
	s_delay_alu instid0(VALU_DEP_3) | instskip(NEXT) | instid1(VALU_DEP_1)
	v_mul_i32_i24_e32 v206, v80, v148
	v_add3_u32 v237, v215, v206, v164
	v_mul_i32_i24_e32 v164, v198, v213
	v_mul_i32_i24_e32 v206, v222, v212
	v_bfe_u32 v215, v197, 24, 4
	s_delay_alu instid0(VALU_DEP_2) | instskip(SKIP_1) | instid1(VALU_DEP_3)
	v_add3_u32 v229, v232, v206, v164
	v_mul_i32_i24_e32 v164, v198, v214
	v_mul_i32_i24_e32 v206, v222, v215
	s_delay_alu instid0(VALU_DEP_1) | instskip(SKIP_2) | instid1(VALU_DEP_2)
	v_add3_u32 v196, v196, v206, v164
	v_and_b32_e32 v164, 0xf0f0f0f, v180
	v_and_b32_e32 v206, 15, v193
	v_lshrrev_b16 v164, 8, v164
	s_delay_alu instid0(VALU_DEP_1) | instskip(NEXT) | instid1(VALU_DEP_1)
	v_and_b32_e32 v164, 0xffff, v164
	v_mul_i32_i24_e32 v162, v82, v164
	s_delay_alu instid0(VALU_DEP_1) | instskip(SKIP_2) | instid1(VALU_DEP_1)
	v_add3_u32 v179, v167, v179, v162
	v_mul_i32_i24_e32 v162, v223, v213
	v_mul_i32_i24_e32 v167, v204, v206
	v_add3_u32 v232, v234, v162, v167
	v_mul_i32_i24_e32 v162, v223, v214
	v_mul_i32_i24_e32 v167, v204, v207
	s_delay_alu instid0(VALU_DEP_1) | instskip(SKIP_3) | instid1(VALU_DEP_3)
	v_add3_u32 v234, v235, v162, v167
	v_mul_i32_i24_e32 v162, v170, v169
	v_and_b32_e32 v167, 0xf0f0f0f, v194
	v_lshrrev_b32_e32 v235, 28, v193
	v_add3_u32 v85, v86, v85, v162
	v_mul_i32_i24_e32 v86, v222, v156
	v_mul_i32_i24_e32 v162, v198, v173
	v_lshrrev_b16 v167, 8, v167
	v_bfe_i32 v198, v199, 8, 8
	v_bfe_i32 v199, v201, 8, 8
	v_bfe_u32 v222, v193, 12, 4
	v_add3_u32 v86, v177, v86, v162
	v_lshrrev_b32_e32 v162, 4, v194
	v_and_b32_e32 v177, 0xffff, v167
	s_delay_alu instid0(VALU_DEP_2) | instskip(NEXT) | instid1(VALU_DEP_1)
	v_lshrrev_b16 v162, 8, v162
	v_and_b32_e32 v162, 15, v162
	s_delay_alu instid0(VALU_DEP_1) | instskip(NEXT) | instid1(VALU_DEP_4)
	v_and_b32_e32 v167, 0xffff, v162
	v_mul_i32_i24_e32 v162, v198, v177
	s_delay_alu instid0(VALU_DEP_2) | instskip(NEXT) | instid1(VALU_DEP_1)
	v_mul_i32_i24_e32 v169, v199, v167
	v_add3_u32 v194, v231, v162, v169
	v_mul_i32_i24_e32 v162, v218, v206
	v_mul_i32_i24_e32 v169, v216, v227
	s_delay_alu instid0(VALU_DEP_1) | instskip(SKIP_2) | instid1(VALU_DEP_2)
	v_add3_u32 v201, v229, v162, v169
	v_bfe_u32 v229, v197, 16, 4
	v_mul_i32_i24_e32 v162, v218, v207
	v_mul_i32_i24_e32 v169, v216, v229
	s_delay_alu instid0(VALU_DEP_1) | instskip(SKIP_3) | instid1(VALU_DEP_3)
	v_add3_u32 v196, v196, v162, v169
	v_lshrrev_b32_e32 v162, 4, v180
	v_bfe_i32 v180, v5, 8, 8
	v_mul_i32_i24_e32 v169, v181, v212
	v_lshrrev_b16 v5, 8, v162
	s_delay_alu instid0(VALU_DEP_1) | instskip(NEXT) | instid1(VALU_DEP_1)
	v_and_b32_e32 v5, 15, v5
	v_and_b32_e32 v162, 0xffff, v5
	s_delay_alu instid0(VALU_DEP_1) | instskip(NEXT) | instid1(VALU_DEP_1)
	v_mul_i32_i24_e32 v5, v180, v162
	v_add3_u32 v179, v179, v5, v228
	v_mul_i32_i24_e32 v5, v87, v227
	s_delay_alu instid0(VALU_DEP_2) | instskip(NEXT) | instid1(VALU_DEP_2)
	v_add3_u32 v179, v230, v226, v179
	v_add3_u32 v228, v232, v5, v169
	v_mul_i32_i24_e32 v5, v87, v229
	v_mul_i32_i24_e32 v169, v181, v215
	v_mul_i32_i24_e32 v181, v181, v165
	v_mul_i32_i24_e32 v87, v87, v159
	v_bfe_u32 v230, v6, 24, 4
	v_bfe_u32 v232, v8, 8, 4
	v_add3_u32 v231, v234, v5, v169
	v_mul_i32_i24_e32 v5, v204, v163
	v_mul_i32_i24_e32 v169, v223, v178
	v_bfe_u32 v234, v193, 20, 4
	v_bfe_u32 v223, v197, 12, 4
	v_mul_i32_i24_e32 v193, v200, v222
	v_bfe_u32 v226, v6, 16, 4
	v_add3_u32 v85, v85, v169, v5
	v_mul_i32_i24_e32 v5, v218, v150
	v_mul_i32_i24_e32 v169, v216, v145
	;; [unrolled: 1-line block ×3, first 2 shown]
	v_and_b32_e32 v216, 15, v6
	v_add3_u32 v85, v85, v87, v181
	v_mul_i32_i24_e32 v87, v220, v146
	v_add3_u32 v86, v86, v5, v169
	v_lshrrev_b32_e32 v5, 4, v195
	v_and_b32_e32 v169, 0xf0f0f0f, v195
	v_mul_i32_i24_e32 v181, v224, v143
	v_and_b32_e32 v218, 15, v8
	s_delay_alu instid0(VALU_DEP_4) | instskip(NEXT) | instid1(VALU_DEP_4)
	v_lshrrev_b16 v5, 8, v5
	v_lshrrev_b16 v169, 8, v169
	s_delay_alu instid0(VALU_DEP_4) | instskip(SKIP_4) | instid1(VALU_DEP_4)
	v_add3_u32 v86, v86, v181, v87
	v_lshrrev_b16 v87, 8, v202
	v_bfe_u32 v202, v7, 16, 4
	v_and_b32_e32 v5, 15, v5
	v_and_b32_e32 v169, 0xffff, v169
	v_bfe_i32 v87, v87, 0, 8
	s_delay_alu instid0(VALU_DEP_3) | instskip(NEXT) | instid1(VALU_DEP_3)
	v_and_b32_e32 v5, 0xffff, v5
	v_mul_i32_i24_e32 v195, v190, v169
	s_delay_alu instid0(VALU_DEP_3) | instskip(NEXT) | instid1(VALU_DEP_3)
	v_mul_i32_i24_e32 v181, v87, v125
	v_mul_i32_i24_e32 v203, v44, v5
	s_delay_alu instid0(VALU_DEP_1) | instskip(SKIP_2) | instid1(VALU_DEP_3)
	v_add3_u32 v194, v194, v195, v203
	v_mul_i32_i24_e32 v195, v220, v236
	v_mul_i32_i24_e32 v203, v224, v235
	v_add3_u32 v181, v194, v181, v237
	v_mul_i32_i24_e32 v194, v217, v234
	s_delay_alu instid0(VALU_DEP_3)
	v_add3_u32 v195, v201, v203, v195
	v_mul_i32_i24_e32 v201, v220, v238
	v_mul_i32_i24_e32 v203, v224, v239
	v_bfe_u32 v237, v197, 20, 4
	v_mul_i32_i24_e32 v197, v183, v239
	v_add3_u32 v193, v195, v193, v194
	v_mul_i32_i24_e32 v194, v200, v223
	v_add3_u32 v196, v196, v203, v201
	v_mul_i32_i24_e32 v201, v205, v236
	v_mul_i32_i24_e32 v203, v233, v222
	v_mul_i32_i24_e32 v195, v217, v237
	v_mul_i32_i24_e32 v200, v200, v175
	v_add3_u32 v1, v1, v20, v181
	v_mul_i32_i24_e32 v181, v225, v230
	v_add3_u32 v201, v228, v201, v203
	v_mul_i32_i24_e32 v203, v205, v238
	;; [unrolled: 2-line block ×3, first 2 shown]
	v_mul_i32_i24_e32 v196, v183, v235
	v_mul_i32_i24_e32 v183, v183, v161
	v_add3_u32 v203, v231, v203, v204
	v_bfe_u32 v231, v6, 8, 4
	v_bfe_u32 v228, v8, 16, 4
	v_add3_u32 v195, v201, v195, v196
	v_mul_i32_i24_e32 v196, v88, v237
	v_mul_i32_i24_e32 v201, v233, v174
	;; [unrolled: 1-line block ×4, first 2 shown]
	v_bfe_u32 v233, v8, 24, 4
	v_add3_u32 v196, v203, v196, v197
	v_mul_i32_i24_e32 v197, v205, v158
	v_lshrrev_b32_e32 v220, 28, v6
	v_add3_u32 v20, v193, v181, v20
	v_mul_i32_i24_e32 v181, v198, v232
	v_mul_i32_i24_e32 v193, v225, v233
	v_add3_u32 v85, v85, v197, v201
	v_mul_i32_i24_e32 v197, v217, v134
	v_bfe_u32 v224, v8, 4, 4
	v_bfe_u32 v203, v6, 12, 4
	v_add3_u32 v181, v194, v193, v181
	v_add3_u32 v85, v85, v88, v183
	;; [unrolled: 1-line block ×3, first 2 shown]
	v_mul_i32_i24_e32 v88, v225, v135
	v_mul_i32_i24_e32 v183, v198, v171
	;; [unrolled: 1-line block ×4, first 2 shown]
	v_lshrrev_b32_e32 v225, 28, v8
	v_bfe_u32 v205, v8, 12, 4
	v_add3_u32 v86, v86, v88, v183
	v_mul_i32_i24_e32 v88, v221, v216
	v_mul_i32_i24_e32 v183, v219, v226
	v_add3_u32 v193, v195, v193, v194
	v_mul_i32_i24_e32 v194, v254, v232
	v_mul_i32_i24_e32 v195, v210, v218
	v_bfe_u32 v217, v6, 20, 4
	v_add3_u32 v20, v20, v88, v183
	v_mul_i32_i24_e32 v88, v221, v218
	v_mul_i32_i24_e32 v183, v219, v228
	v_add3_u32 v194, v196, v194, v195
	v_and_b32_e32 v195, 15, v7
	v_and_b32_e32 v196, 15, v9
	v_bfe_u32 v204, v9, 16, 4
	v_add3_u32 v88, v181, v88, v183
	v_mul_i32_i24_e32 v181, v209, v226
	v_mul_i32_i24_e32 v183, v208, v230
	v_lshrrev_b32_e32 v198, 28, v7
	v_bfe_u32 v200, v9, 4, 4
	v_lshrrev_b32_e32 v201, 28, v9
	v_bfe_u32 v197, v9, 20, 4
	v_add3_u32 v181, v193, v181, v183
	v_mul_i32_i24_e32 v183, v209, v228
	v_mul_i32_i24_e32 v193, v208, v233
	v_cvt_f32_i32_e32 v1, v1
	s_delay_alu instid0(VALU_DEP_2) | instskip(SKIP_3) | instid1(VALU_DEP_2)
	v_add3_u32 v183, v194, v183, v193
	v_mul_i32_i24_e32 v193, v210, v144
	v_mul_i32_i24_e32 v194, v254, v177
	v_bfe_u32 v210, v9, 8, 4
	v_add3_u32 v85, v85, v194, v193
	v_mul_i32_i24_e32 v193, v221, v132
	v_mul_i32_i24_e32 v194, v219, v131
	v_bfe_u32 v221, v6, 4, 4
	v_mul_i32_i24_e32 v6, v199, v203
	v_bfe_u32 v219, v8, 20, 4
	v_mul_i32_i24_e32 v8, v199, v205
	v_add3_u32 v86, v86, v193, v194
	v_mul_i32_i24_e32 v193, v250, v221
	v_mul_i32_i24_e32 v194, v248, v220
	s_delay_alu instid0(VALU_DEP_1) | instskip(SKIP_2) | instid1(VALU_DEP_1)
	v_add3_u32 v20, v20, v194, v193
	v_mul_i32_i24_e32 v193, v250, v224
	v_mul_i32_i24_e32 v194, v248, v225
	v_add3_u32 v88, v88, v194, v193
	v_mul_i32_i24_e32 v193, v211, v221
	v_mul_i32_i24_e32 v194, v81, v203
	s_delay_alu instid0(VALU_DEP_1) | instskip(SKIP_3) | instid1(VALU_DEP_2)
	v_add3_u32 v181, v181, v193, v194
	v_mul_i32_i24_e32 v193, v211, v224
	v_mul_i32_i24_e32 v194, v81, v205
	;; [unrolled: 1-line block ×3, first 2 shown]
	v_add3_u32 v183, v183, v193, v194
	v_mul_i32_i24_e32 v193, v208, v151
	v_mul_i32_i24_e32 v194, v209, v139
	v_bfe_u32 v209, v7, 8, 4
	v_bfe_u32 v208, v7, 24, 4
	s_delay_alu instid0(VALU_DEP_3) | instskip(SKIP_3) | instid1(VALU_DEP_2)
	v_add3_u32 v85, v85, v194, v193
	v_mul_i32_i24_e32 v193, v250, v128
	v_mul_i32_i24_e32 v194, v248, v127
	v_add_nc_u32_e32 v248, 0xc04, v102
	v_add3_u32 v86, v86, v194, v193
	v_mul_i32_i24_e32 v193, v252, v217
	v_bfe_u32 v194, v7, 20, 4
	s_delay_alu instid0(VALU_DEP_2) | instskip(SKIP_2) | instid1(VALU_DEP_2)
	v_add3_u32 v6, v20, v6, v193
	v_mul_i32_i24_e32 v20, v252, v219
	v_bfe_u32 v193, v9, 12, 4
	v_add3_u32 v8, v88, v8, v20
	v_mul_i32_i24_e32 v20, v241, v217
	v_mul_i32_i24_e32 v88, v240, v220
	s_delay_alu instid0(VALU_DEP_1) | instskip(SKIP_2) | instid1(VALU_DEP_1)
	v_add3_u32 v20, v181, v20, v88
	v_mul_i32_i24_e32 v88, v241, v219
	v_mul_i32_i24_e32 v181, v240, v225
	v_add3_u32 v88, v183, v88, v181
	v_mul_i32_i24_e32 v181, v211, v155
	v_bfe_u32 v211, v9, 24, 4
	v_mul_i32_i24_e32 v9, v0, v197
	s_delay_alu instid0(VALU_DEP_3) | instskip(SKIP_3) | instid1(VALU_DEP_2)
	v_add3_u32 v81, v85, v181, v81
	v_mul_i32_i24_e32 v85, v252, v121
	v_mul_i32_i24_e32 v181, v199, v168
	v_bfe_u32 v199, v7, 4, 4
	v_add3_u32 v85, v86, v181, v85
	v_mul_i32_i24_e32 v86, v190, v209
	v_mul_i32_i24_e32 v181, v249, v208
	s_delay_alu instid0(VALU_DEP_1) | instskip(SKIP_2) | instid1(VALU_DEP_1)
	v_add3_u32 v6, v6, v181, v86
	v_mul_i32_i24_e32 v86, v190, v210
	v_mul_i32_i24_e32 v181, v249, v211
	v_add3_u32 v8, v8, v181, v86
	v_mul_i32_i24_e32 v86, v82, v209
	v_mul_i32_i24_e32 v181, v246, v195
	s_delay_alu instid0(VALU_DEP_1) | instskip(SKIP_3) | instid1(VALU_DEP_2)
	v_add3_u32 v20, v20, v86, v181
	v_mul_i32_i24_e32 v86, v82, v210
	v_mul_i32_i24_e32 v181, v246, v196
	;; [unrolled: 1-line block ×3, first 2 shown]
	v_add3_u32 v86, v88, v86, v181
	v_mul_i32_i24_e32 v88, v240, v154
	v_mul_i32_i24_e32 v181, v241, v149
	ds_load_2addr_b32 v[240:241], v103 offset1:32
	v_add3_u32 v81, v81, v181, v88
	v_mul_i32_i24_e32 v88, v249, v140
	v_mul_i32_i24_e32 v181, v190, v164
	v_bfe_u32 v190, v7, 12, 4
	s_delay_alu instid0(VALU_DEP_2) | instskip(SKIP_2) | instid1(VALU_DEP_4)
	v_add3_u32 v85, v85, v88, v181
	v_mul_i32_i24_e32 v88, v251, v195
	v_mul_i32_i24_e32 v181, v253, v202
	;; [unrolled: 1-line block ×3, first 2 shown]
	s_delay_alu instid0(VALU_DEP_2) | instskip(SKIP_2) | instid1(VALU_DEP_1)
	v_add3_u32 v6, v6, v88, v181
	v_mul_i32_i24_e32 v88, v251, v196
	v_mul_i32_i24_e32 v181, v253, v204
	v_add3_u32 v8, v8, v88, v181
	v_mul_i32_i24_e32 v88, v242, v202
	v_mul_i32_i24_e32 v181, v244, v208
	s_delay_alu instid0(VALU_DEP_1) | instskip(SKIP_2) | instid1(VALU_DEP_1)
	v_add3_u32 v20, v20, v88, v181
	v_mul_i32_i24_e32 v88, v242, v204
	v_mul_i32_i24_e32 v181, v244, v211
	v_add3_u32 v86, v86, v88, v181
	v_mul_i32_i24_e32 v88, v246, v137
	s_delay_alu instid0(VALU_DEP_1) | instskip(SKIP_2) | instid1(VALU_DEP_1)
	v_add3_u32 v81, v81, v82, v88
	v_mul_i32_i24_e32 v82, v251, v136
	v_mul_i32_i24_e32 v88, v253, v133
	v_add3_u32 v82, v85, v82, v88
	v_mul_i32_i24_e32 v85, v25, v199
	v_mul_i32_i24_e32 v88, v80, v198
	s_delay_alu instid0(VALU_DEP_1) | instskip(SKIP_4) | instid1(VALU_DEP_3)
	v_add3_u32 v6, v6, v88, v85
	v_mul_i32_i24_e32 v85, v25, v200
	v_mul_i32_i24_e32 v88, v80, v201
	;; [unrolled: 1-line block ×4, first 2 shown]
	v_add3_u32 v8, v8, v88, v85
	v_mul_i32_i24_e32 v85, v247, v199
	s_delay_alu instid0(VALU_DEP_3) | instskip(SKIP_3) | instid1(VALU_DEP_3)
	v_add3_u32 v25, v82, v80, v25
	v_mul_i32_i24_e32 v80, v0, v194
	v_mul_i32_i24_e32 v88, v180, v190
	;; [unrolled: 1-line block ×3, first 2 shown]
	v_add3_u32 v6, v6, v7, v80
	v_mul_i32_i24_e32 v7, v44, v193
	s_delay_alu instid0(VALU_DEP_4)
	v_add3_u32 v20, v20, v85, v88
	v_mul_i32_i24_e32 v85, v247, v200
	v_mul_i32_i24_e32 v88, v180, v193
	;; [unrolled: 1-line block ×3, first 2 shown]
	v_add3_u32 v7, v8, v7, v9
	v_mul_i32_i24_e32 v8, v243, v194
	v_mul_i32_i24_e32 v9, v245, v198
	v_add3_u32 v85, v86, v85, v88
	v_mul_i32_i24_e32 v86, v244, v141
	v_mul_i32_i24_e32 v88, v242, v138
	v_add3_u32 v0, v25, v44, v0
	v_add3_u32 v8, v20, v8, v9
	v_mul_i32_i24_e32 v9, v243, v197
	v_mul_i32_i24_e32 v20, v245, v201
	;; [unrolled: 1-line block ×4, first 2 shown]
	v_add3_u32 v81, v81, v88, v86
	v_mul_i32_i24_e32 v80, v180, v5
	v_add3_u32 v9, v85, v9, v20
	v_mul_i32_i24_e32 v20, v247, v147
	;; [unrolled: 2-line block ×3, first 2 shown]
	v_mul_i32_i24_e32 v44, v87, v120
	v_cvt_f32_i32_e32 v8, v8
	v_add3_u32 v20, v81, v20, v80
	v_cvt_f32_i32_e32 v9, v9
	s_delay_alu instid0(VALU_DEP_4) | instskip(SKIP_2) | instid1(VALU_DEP_1)
	v_add3_u32 v7, v7, v25, v44
	v_mul_i32_i24_e32 v25, v243, v142
	v_mul_i32_i24_e32 v44, v245, v148
	v_add3_u32 v20, v20, v25, v44
	v_mul_i32_i24_e32 v25, v83, v112
	v_mul_i32_i24_e32 v44, v87, v4
	s_delay_alu instid0(VALU_DEP_3) | instskip(NEXT) | instid1(VALU_DEP_2)
	v_cvt_f32_i32_e32 v20, v20
	v_add3_u32 v0, v0, v25, v44
	v_mul_i32_i24_e32 v25, v255, v113
	v_mul_i32_i24_e32 v44, v79, v114
	s_delay_alu instid0(VALU_DEP_1) | instskip(SKIP_2) | instid1(VALU_DEP_1)
	v_add3_u32 v25, v6, v25, v44
	v_mul_i32_i24_e32 v6, v255, v117
	v_mul_i32_i24_e32 v44, v79, v118
	v_add3_u32 v44, v7, v6, v44
	v_mul_i32_i24_e32 v6, v255, v110
	v_mul_i32_i24_e32 v7, v79, v111
	s_delay_alu instid0(VALU_DEP_1) | instskip(SKIP_3) | instid1(VALU_DEP_3)
	v_add3_u32 v0, v0, v6, v7
	s_wait_dscnt 0x0
	v_lshrrev_b32_e32 v6, 16, v240
	v_cvt_f32_i32_e32 v7, v179
	v_cvt_f32_i32_e32 v0, v0
	s_delay_alu instid0(VALU_DEP_3) | instskip(NEXT) | instid1(VALU_DEP_1)
	v_cvt_f32_f16_e32 v6, v6
	v_mul_f32_e32 v6, 0x41000000, v6
	s_delay_alu instid0(VALU_DEP_1) | instskip(SKIP_4) | instid1(VALU_DEP_4)
	v_fma_mix_f32 v181, v240, v8, -v6 op_sel_hi:[1,0,0]
	v_lshrrev_b32_e32 v8, 16, v241
	v_fma_mix_f32 v7, v240, v7, -v6 op_sel_hi:[1,0,0]
	v_fma_mix_f32 v9, v240, v9, -v6 op_sel_hi:[1,0,0]
	;; [unrolled: 1-line block ×3, first 2 shown]
	v_cvt_f32_f16_e32 v8, v8
	s_delay_alu instid0(VALU_DEP_1) | instskip(NEXT) | instid1(VALU_DEP_1)
	v_dual_fmac_f32 v51, v109, v6 :: v_dual_mul_f32 v20, 0x41000000, v8
	v_fma_mix_f32 v8, v241, v1, -v20 op_sel_hi:[1,0,0]
	v_cvt_f32_i32_e32 v1, v25
	v_cvt_f32_i32_e32 v25, v44
	v_fma_mix_f32 v179, v241, v0, -v20 op_sel_hi:[1,0,0]
	v_add_nc_u32_e32 v0, 0x800, v102
	v_fmac_f32_e32 v46, v109, v8
	v_fma_mix_f32 v183, v241, v1, -v20 op_sel_hi:[1,0,0]
	v_fma_mix_f32 v180, v241, v25, -v20 op_sel_hi:[1,0,0]
	ds_load_2addr_b32 v[240:241], v0 offset0:4 offset1:7
	s_wait_dscnt 0x0
	v_bfe_i32 v1, v240, 8, 8
	v_bfe_i32 v20, v240, 0, 8
	;; [unrolled: 1-line block ×3, first 2 shown]
	v_ashrrev_i32_e32 v79, 24, v240
	s_delay_alu instid0(VALU_DEP_4) | instskip(NEXT) | instid1(VALU_DEP_3)
	v_mul_i32_i24_e32 v25, v1, v186
	v_mul_i32_i24_e32 v80, v44, v189
	s_delay_alu instid0(VALU_DEP_3) | instskip(SKIP_1) | instid1(VALU_DEP_4)
	v_mul_i32_i24_e32 v81, v79, v188
	v_mul_i32_i24_e32 v82, v79, v192
	v_mad_i32_i24 v25, v20, v184, v25
	v_mul_i32_i24_e32 v254, v157, v79
	s_delay_alu instid0(VALU_DEP_2) | instskip(SKIP_2) | instid1(VALU_DEP_2)
	v_add3_u32 v25, v25, v80, v81
	v_mul_i32_i24_e32 v80, v1, v185
	v_mul_i32_i24_e32 v81, v44, v191
	v_mad_i32_i24 v80, v20, v182, v80
	s_delay_alu instid0(VALU_DEP_1)
	v_add3_u32 v80, v80, v81, v82
	v_add_nc_u32_e32 v81, 0xc00, v102
	ds_load_2addr_b32 v[242:243], v81 offset0:4 offset1:7
	s_wait_dscnt 0x0
	v_bfe_i32 v82, v242, 8, 8
	v_bfe_i32 v83, v242, 0, 8
	;; [unrolled: 1-line block ×3, first 2 shown]
	v_ashrrev_i32_e32 v87, 24, v242
	s_delay_alu instid0(VALU_DEP_4) | instskip(NEXT) | instid1(VALU_DEP_3)
	v_mul_i32_i24_e32 v85, v82, v186
	v_mul_i32_i24_e32 v88, v86, v189
	s_delay_alu instid0(VALU_DEP_3) | instskip(SKIP_1) | instid1(VALU_DEP_4)
	v_mul_i32_i24_e32 v240, v87, v188
	v_mul_i32_i24_e32 v242, v87, v192
	v_mad_i32_i24 v85, v83, v184, v85
	v_mul_i32_i24_e32 v68, v157, v87
	s_delay_alu instid0(VALU_DEP_2) | instskip(SKIP_2) | instid1(VALU_DEP_2)
	v_add3_u32 v85, v85, v88, v240
	v_mul_i32_i24_e32 v88, v82, v185
	v_mul_i32_i24_e32 v240, v86, v191
	v_mad_i32_i24 v88, v83, v182, v88
	s_delay_alu instid0(VALU_DEP_1)
	v_add3_u32 v88, v88, v240, v242
	v_add_nc_u32_e32 v240, 0x804, v102
	v_add_nc_u32_e32 v242, 0x814, v102
	ds_load_2addr_b32 v[244:245], v240 offset1:1
	ds_load_2addr_b32 v[246:247], v242 offset1:1
	;; [unrolled: 1-line block ×3, first 2 shown]
	s_wait_dscnt 0x2
	v_bfe_i32 v240, v244, 8, 8
	v_ashrrev_i32_e32 v242, 24, v244
	s_wait_dscnt 0x0
	v_bfe_i32 v252, v248, 8, 8
	v_ashrrev_i32_e32 v253, 24, v248
	v_mul_i32_i24_e32 v250, v240, v213
	v_mul_i32_i24_e32 v251, v242, v212
	s_delay_alu instid0(VALU_DEP_1) | instskip(SKIP_2) | instid1(VALU_DEP_1)
	v_add3_u32 v25, v25, v251, v250
	v_mul_i32_i24_e32 v250, v240, v214
	v_mul_i32_i24_e32 v251, v242, v215
	v_add3_u32 v80, v80, v251, v250
	v_mul_i32_i24_e32 v250, v252, v213
	v_mul_i32_i24_e32 v251, v253, v212
	s_delay_alu instid0(VALU_DEP_1) | instskip(SKIP_2) | instid1(VALU_DEP_1)
	v_add3_u32 v85, v85, v251, v250
	v_mul_i32_i24_e32 v250, v252, v214
	v_mul_i32_i24_e32 v251, v253, v215
	v_add3_u32 v88, v88, v251, v250
	v_mul_i32_i24_e32 v250, v176, v1
	v_mul_i32_i24_e32 v251, v153, v44
	;; [unrolled: 1-line block ×3, first 2 shown]
	s_delay_alu instid0(VALU_DEP_3) | instskip(NEXT) | instid1(VALU_DEP_2)
	v_mad_i32_i24 v250, v160, v20, v250
	v_mad_i32_i24 v1, v172, v20, v1
	v_mul_i32_i24_e32 v20, v166, v44
	v_mul_i32_i24_e32 v44, v170, v79
	s_delay_alu instid0(VALU_DEP_4) | instskip(SKIP_2) | instid1(VALU_DEP_4)
	v_add3_u32 v250, v250, v251, v254
	v_bfe_i32 v254, v244, 0, 8
	v_bfe_i32 v244, v244, 16, 8
	v_add3_u32 v1, v1, v20, v44
	v_bfe_i32 v20, v246, 0, 8
	s_delay_alu instid0(VALU_DEP_4) | instskip(NEXT) | instid1(VALU_DEP_4)
	v_mul_i32_i24_e32 v251, v254, v206
	v_mul_i32_i24_e32 v255, v244, v227
	v_ashrrev_i32_e32 v44, 24, v246
	s_delay_alu instid0(VALU_DEP_4) | instskip(NEXT) | instid1(VALU_DEP_3)
	v_mul_i32_i24_e32 v79, v20, v236
	v_add3_u32 v25, v25, v251, v255
	v_mul_i32_i24_e32 v251, v254, v207
	v_mul_i32_i24_e32 v255, v244, v229
	s_delay_alu instid0(VALU_DEP_1) | instskip(SKIP_2) | instid1(VALU_DEP_2)
	v_add3_u32 v80, v80, v251, v255
	v_mul_i32_i24_e32 v251, v176, v82
	v_mul_i32_i24_e32 v255, v153, v86
	v_mad_i32_i24 v251, v160, v83, v251
	s_delay_alu instid0(VALU_DEP_1) | instskip(SKIP_2) | instid1(VALU_DEP_2)
	v_add3_u32 v68, v251, v255, v68
	v_bfe_i32 v255, v248, 0, 8
	v_bfe_i32 v248, v248, 16, 8
	v_mul_i32_i24_e32 v251, v255, v206
	s_delay_alu instid0(VALU_DEP_2) | instskip(NEXT) | instid1(VALU_DEP_1)
	v_mul_i32_i24_e32 v71, v248, v227
	v_add3_u32 v71, v85, v251, v71
	v_mul_i32_i24_e32 v85, v255, v207
	v_mul_i32_i24_e32 v251, v248, v229
	s_delay_alu instid0(VALU_DEP_1) | instskip(SKIP_2) | instid1(VALU_DEP_1)
	v_add3_u32 v85, v88, v85, v251
	v_mul_i32_i24_e32 v88, v242, v156
	v_mul_i32_i24_e32 v251, v240, v173
	v_add3_u32 v88, v250, v88, v251
	v_mul_i32_i24_e32 v250, v44, v235
	s_delay_alu instid0(VALU_DEP_1) | instskip(SKIP_2) | instid1(VALU_DEP_1)
	v_add3_u32 v25, v25, v250, v79
	v_mul_i32_i24_e32 v79, v20, v238
	v_mul_i32_i24_e32 v250, v44, v239
	v_add3_u32 v79, v80, v250, v79
	v_mul_i32_i24_e32 v80, v253, v156
	v_mul_i32_i24_e32 v250, v252, v173
	s_delay_alu instid0(VALU_DEP_1) | instskip(SKIP_2) | instid1(VALU_DEP_2)
	v_add3_u32 v68, v68, v80, v250
	v_mul_i32_i24_e32 v80, v187, v82
	v_mul_i32_i24_e32 v82, v166, v86
	v_mad_i32_i24 v80, v172, v83, v80
	v_mul_i32_i24_e32 v83, v170, v87
	s_delay_alu instid0(VALU_DEP_1)
	v_add3_u32 v80, v80, v82, v83
	v_add_nc_u32_e32 v82, 0xc14, v102
	ds_load_2addr_b32 v[250:251], v82 offset1:1
	s_wait_dscnt 0x0
	v_bfe_i32 v82, v250, 0, 8
	v_ashrrev_i32_e32 v83, 24, v250
	s_delay_alu instid0(VALU_DEP_2) | instskip(NEXT) | instid1(VALU_DEP_2)
	v_mul_i32_i24_e32 v86, v82, v236
	v_mul_i32_i24_e32 v87, v83, v235
	s_delay_alu instid0(VALU_DEP_1) | instskip(SKIP_2) | instid1(VALU_DEP_1)
	v_add3_u32 v71, v71, v87, v86
	v_mul_i32_i24_e32 v86, v82, v238
	v_mul_i32_i24_e32 v87, v83, v239
	v_add3_u32 v85, v85, v87, v86
	v_mul_i32_i24_e32 v86, v254, v150
	v_mul_i32_i24_e32 v87, v244, v145
	;; [unrolled: 1-line block ×3, first 2 shown]
	s_delay_alu instid0(VALU_DEP_2) | instskip(SKIP_2) | instid1(VALU_DEP_1)
	v_add3_u32 v86, v88, v86, v87
	v_mul_i32_i24_e32 v87, v242, v165
	v_mul_i32_i24_e32 v88, v240, v178
	v_add3_u32 v1, v1, v87, v88
	v_bfe_i32 v87, v246, 8, 8
	v_bfe_i32 v88, v246, 16, 8
	s_delay_alu instid0(VALU_DEP_2) | instskip(NEXT) | instid1(VALU_DEP_2)
	v_mul_i32_i24_e32 v240, v87, v222
	v_mul_i32_i24_e32 v242, v88, v234
	s_delay_alu instid0(VALU_DEP_1) | instskip(SKIP_2) | instid1(VALU_DEP_1)
	v_add3_u32 v25, v25, v240, v242
	v_mul_i32_i24_e32 v240, v87, v223
	v_mul_i32_i24_e32 v242, v88, v237
	v_add3_u32 v79, v79, v240, v242
	v_mul_i32_i24_e32 v240, v255, v150
	v_mul_i32_i24_e32 v242, v248, v145
	v_mul_i32_i24_e32 v248, v248, v159
	s_delay_alu instid0(VALU_DEP_2) | instskip(SKIP_2) | instid1(VALU_DEP_1)
	v_add3_u32 v68, v68, v240, v242
	v_mul_i32_i24_e32 v240, v253, v165
	v_mul_i32_i24_e32 v242, v252, v178
	v_add3_u32 v80, v80, v240, v242
	v_bfe_i32 v240, v250, 8, 8
	v_bfe_i32 v242, v250, 16, 8
	s_delay_alu instid0(VALU_DEP_2) | instskip(NEXT) | instid1(VALU_DEP_2)
	v_mul_i32_i24_e32 v246, v240, v222
	v_mul_i32_i24_e32 v250, v242, v234
	s_delay_alu instid0(VALU_DEP_1) | instskip(SKIP_2) | instid1(VALU_DEP_1)
	v_add3_u32 v71, v71, v246, v250
	v_mul_i32_i24_e32 v246, v240, v223
	v_mul_i32_i24_e32 v250, v242, v237
	v_add3_u32 v85, v85, v246, v250
	v_mul_i32_i24_e32 v246, v20, v146
	v_mul_i32_i24_e32 v250, v44, v143
	;; [unrolled: 1-line block ×4, first 2 shown]
	s_delay_alu instid0(VALU_DEP_3) | instskip(SKIP_1) | instid1(VALU_DEP_1)
	v_add3_u32 v86, v86, v250, v246
	v_mul_i32_i24_e32 v246, v254, v163
	v_add3_u32 v1, v1, v246, v244
	v_bfe_i32 v244, v245, 8, 8
	v_ashrrev_i32_e32 v246, 24, v245
	s_delay_alu instid0(VALU_DEP_3) | instskip(NEXT) | instid1(VALU_DEP_3)
	v_add3_u32 v1, v1, v44, v20
	v_mul_i32_i24_e32 v250, v244, v231
	s_delay_alu instid0(VALU_DEP_3) | instskip(SKIP_2) | instid1(VALU_DEP_3)
	v_mul_i32_i24_e32 v252, v246, v230
	v_bfe_i32 v20, v245, 0, 8
	v_bfe_i32 v44, v245, 16, 8
	v_add3_u32 v25, v25, v252, v250
	v_mul_i32_i24_e32 v250, v244, v232
	v_mul_i32_i24_e32 v252, v246, v233
	;; [unrolled: 1-line block ×3, first 2 shown]
	s_delay_alu instid0(VALU_DEP_2) | instskip(SKIP_4) | instid1(VALU_DEP_3)
	v_add3_u32 v79, v79, v252, v250
	v_mul_i32_i24_e32 v250, v82, v146
	v_mul_i32_i24_e32 v252, v83, v143
	;; [unrolled: 1-line block ×4, first 2 shown]
	v_add3_u32 v68, v68, v252, v250
	v_mul_i32_i24_e32 v250, v255, v163
	s_delay_alu instid0(VALU_DEP_1) | instskip(SKIP_2) | instid1(VALU_DEP_3)
	v_add3_u32 v80, v80, v250, v248
	v_bfe_i32 v248, v249, 8, 8
	v_ashrrev_i32_e32 v250, 24, v249
	v_add3_u32 v80, v80, v83, v82
	s_delay_alu instid0(VALU_DEP_3) | instskip(NEXT) | instid1(VALU_DEP_3)
	v_mul_i32_i24_e32 v252, v248, v231
	v_mul_i32_i24_e32 v253, v250, v230
	v_bfe_i32 v82, v249, 0, 8
	v_bfe_i32 v83, v249, 16, 8
	s_delay_alu instid0(VALU_DEP_3) | instskip(SKIP_2) | instid1(VALU_DEP_4)
	v_add3_u32 v71, v71, v253, v252
	v_mul_i32_i24_e32 v252, v248, v232
	v_mul_i32_i24_e32 v253, v250, v233
	;; [unrolled: 1-line block ×3, first 2 shown]
	s_delay_alu instid0(VALU_DEP_2) | instskip(SKIP_4) | instid1(VALU_DEP_3)
	v_add3_u32 v85, v85, v253, v252
	v_mul_i32_i24_e32 v252, v88, v134
	v_mul_i32_i24_e32 v253, v87, v175
	;; [unrolled: 1-line block ×4, first 2 shown]
	v_add3_u32 v86, v86, v253, v252
	v_mul_i32_i24_e32 v252, v44, v226
	s_delay_alu instid0(VALU_DEP_3) | instskip(SKIP_2) | instid1(VALU_DEP_4)
	v_add3_u32 v1, v1, v87, v88
	v_bfe_i32 v87, v247, 0, 8
	v_ashrrev_i32_e32 v88, 24, v247
	v_add3_u32 v25, v25, v245, v252
	v_mul_i32_i24_e32 v245, v20, v218
	v_mul_i32_i24_e32 v252, v44, v228
	s_delay_alu instid0(VALU_DEP_1) | instskip(SKIP_4) | instid1(VALU_DEP_3)
	v_add3_u32 v79, v79, v245, v252
	v_mul_i32_i24_e32 v245, v242, v134
	v_mul_i32_i24_e32 v252, v240, v175
	;; [unrolled: 1-line block ×4, first 2 shown]
	v_add3_u32 v68, v68, v252, v245
	v_mul_i32_i24_e32 v245, v82, v216
	s_delay_alu instid0(VALU_DEP_3)
	v_add3_u32 v80, v80, v240, v242
	v_bfe_i32 v240, v251, 0, 8
	v_ashrrev_i32_e32 v242, 24, v251
	v_bfe_i32 v252, v247, 16, 8
	v_add3_u32 v71, v71, v245, v249
	v_mul_i32_i24_e32 v245, v82, v218
	v_mul_i32_i24_e32 v249, v83, v228
	s_delay_alu instid0(VALU_DEP_1) | instskip(SKIP_3) | instid1(VALU_DEP_2)
	v_add3_u32 v85, v85, v245, v249
	v_mul_i32_i24_e32 v245, v246, v135
	v_mul_i32_i24_e32 v249, v244, v171
	;; [unrolled: 1-line block ×3, first 2 shown]
	v_add3_u32 v86, v86, v245, v249
	v_mul_i32_i24_e32 v245, v87, v221
	v_mul_i32_i24_e32 v249, v88, v220
	s_delay_alu instid0(VALU_DEP_1) | instskip(SKIP_2) | instid1(VALU_DEP_1)
	v_add3_u32 v25, v25, v249, v245
	v_mul_i32_i24_e32 v245, v87, v224
	v_mul_i32_i24_e32 v249, v88, v225
	v_add3_u32 v79, v79, v249, v245
	v_mul_i32_i24_e32 v245, v250, v135
	v_mul_i32_i24_e32 v249, v248, v171
	s_delay_alu instid0(VALU_DEP_1) | instskip(SKIP_2) | instid1(VALU_DEP_1)
	v_add3_u32 v68, v68, v245, v249
	v_mul_i32_i24_e32 v245, v240, v221
	v_mul_i32_i24_e32 v249, v242, v220
	v_add3_u32 v71, v71, v249, v245
	v_mul_i32_i24_e32 v245, v240, v224
	v_mul_i32_i24_e32 v249, v242, v225
	s_delay_alu instid0(VALU_DEP_1) | instskip(SKIP_4) | instid1(VALU_DEP_3)
	v_add3_u32 v85, v85, v249, v245
	v_mul_i32_i24_e32 v245, v20, v132
	v_mul_i32_i24_e32 v249, v44, v131
	;; [unrolled: 1-line block ×4, first 2 shown]
	v_add3_u32 v86, v86, v245, v249
	v_mul_i32_i24_e32 v245, v246, v151
	v_bfe_i32 v249, v247, 8, 8
	s_delay_alu instid0(VALU_DEP_2) | instskip(NEXT) | instid1(VALU_DEP_2)
	v_add3_u32 v1, v1, v245, v244
	v_mul_i32_i24_e32 v244, v249, v203
	v_mul_i32_i24_e32 v245, v252, v217
	s_delay_alu instid0(VALU_DEP_3) | instskip(NEXT) | instid1(VALU_DEP_2)
	v_add3_u32 v1, v1, v20, v44
	v_add3_u32 v25, v25, v244, v245
	v_mul_i32_i24_e32 v244, v249, v205
	v_mul_i32_i24_e32 v245, v252, v219
	s_delay_alu instid0(VALU_DEP_1) | instskip(SKIP_2) | instid1(VALU_DEP_1)
	v_add3_u32 v79, v79, v244, v245
	v_mul_i32_i24_e32 v244, v82, v132
	v_mul_i32_i24_e32 v245, v83, v131
	v_add3_u32 v68, v68, v244, v245
	v_mul_i32_i24_e32 v244, v250, v151
	v_mul_i32_i24_e32 v245, v248, v177
	v_bfe_i32 v248, v251, 8, 8
	v_bfe_i32 v250, v251, 16, 8
	s_delay_alu instid0(VALU_DEP_3) | instskip(NEXT) | instid1(VALU_DEP_3)
	v_add3_u32 v80, v80, v244, v245
	v_mul_i32_i24_e32 v244, v248, v203
	s_delay_alu instid0(VALU_DEP_3) | instskip(NEXT) | instid1(VALU_DEP_1)
	v_mul_i32_i24_e32 v245, v250, v217
	v_add3_u32 v71, v71, v244, v245
	v_mul_i32_i24_e32 v244, v248, v205
	v_mul_i32_i24_e32 v245, v250, v219
	s_delay_alu instid0(VALU_DEP_1) | instskip(SKIP_2) | instid1(VALU_DEP_1)
	v_add3_u32 v85, v85, v244, v245
	v_mul_i32_i24_e32 v244, v87, v128
	v_mul_i32_i24_e32 v245, v88, v127
	v_add3_u32 v86, v86, v245, v244
	ds_load_2addr_b32 v[244:245], v0 offset1:3
	s_wait_dscnt 0x0
	v_bfe_i32 v0, v245, 8, 8
	v_ashrrev_i32_e32 v20, 24, v245
	s_delay_alu instid0(VALU_DEP_2) | instskip(NEXT) | instid1(VALU_DEP_2)
	v_mul_i32_i24_e32 v44, v0, v209
	v_mul_i32_i24_e32 v246, v20, v208
	s_delay_alu instid0(VALU_DEP_1) | instskip(SKIP_2) | instid1(VALU_DEP_1)
	v_add3_u32 v25, v25, v246, v44
	v_mul_i32_i24_e32 v44, v0, v210
	v_mul_i32_i24_e32 v246, v20, v211
	v_add3_u32 v44, v79, v246, v44
	v_mul_i32_i24_e32 v79, v240, v128
	v_mul_i32_i24_e32 v246, v242, v127
	s_delay_alu instid0(VALU_DEP_1) | instskip(SKIP_3) | instid1(VALU_DEP_1)
	v_add3_u32 v68, v68, v246, v79
	ds_load_2addr_b32 v[246:247], v81 offset1:3
	v_mul_i32_i24_e32 v79, v82, v144
	v_mul_i32_i24_e32 v82, v83, v139
	v_add3_u32 v79, v80, v79, v82
	s_wait_dscnt 0x0
	v_bfe_i32 v80, v247, 8, 8
	v_ashrrev_i32_e32 v81, 24, v247
	s_delay_alu instid0(VALU_DEP_2) | instskip(NEXT) | instid1(VALU_DEP_2)
	v_mul_i32_i24_e32 v82, v80, v209
	v_mul_i32_i24_e32 v83, v81, v208
	s_delay_alu instid0(VALU_DEP_1) | instskip(SKIP_2) | instid1(VALU_DEP_1)
	v_add3_u32 v71, v71, v83, v82
	v_mul_i32_i24_e32 v82, v80, v210
	v_mul_i32_i24_e32 v83, v81, v211
	v_add3_u32 v82, v85, v83, v82
	v_mul_i32_i24_e32 v83, v252, v121
	v_mul_i32_i24_e32 v85, v249, v168
	s_delay_alu instid0(VALU_DEP_1) | instskip(SKIP_2) | instid1(VALU_DEP_1)
	v_add3_u32 v83, v86, v85, v83
	v_mul_i32_i24_e32 v85, v87, v155
	v_mul_i32_i24_e32 v86, v88, v154
	v_add3_u32 v1, v1, v86, v85
	v_bfe_i32 v85, v245, 0, 8
	v_bfe_i32 v86, v245, 16, 8
	s_delay_alu instid0(VALU_DEP_2) | instskip(NEXT) | instid1(VALU_DEP_2)
	v_mul_i32_i24_e32 v87, v85, v195
	v_mul_i32_i24_e32 v88, v86, v202
	s_delay_alu instid0(VALU_DEP_1) | instskip(SKIP_2) | instid1(VALU_DEP_1)
	v_add3_u32 v25, v25, v87, v88
	v_mul_i32_i24_e32 v87, v85, v196
	v_mul_i32_i24_e32 v88, v86, v204
	v_add3_u32 v44, v44, v87, v88
	v_mul_i32_i24_e32 v87, v250, v121
	v_mul_i32_i24_e32 v88, v248, v168
	s_delay_alu instid0(VALU_DEP_1) | instskip(SKIP_2) | instid1(VALU_DEP_1)
	v_add3_u32 v68, v68, v88, v87
	v_mul_i32_i24_e32 v87, v240, v155
	v_mul_i32_i24_e32 v88, v242, v154
	v_add3_u32 v79, v79, v88, v87
	v_bfe_i32 v87, v247, 0, 8
	v_bfe_i32 v88, v247, 16, 8
	s_delay_alu instid0(VALU_DEP_2) | instskip(NEXT) | instid1(VALU_DEP_2)
	v_mul_i32_i24_e32 v240, v87, v195
	v_mul_i32_i24_e32 v242, v88, v202
	s_delay_alu instid0(VALU_DEP_1) | instskip(SKIP_2) | instid1(VALU_DEP_1)
	v_add3_u32 v71, v71, v240, v242
	v_mul_i32_i24_e32 v240, v87, v196
	v_mul_i32_i24_e32 v242, v88, v204
	v_add3_u32 v82, v82, v240, v242
	v_mul_i32_i24_e32 v240, v20, v140
	v_mul_i32_i24_e32 v242, v0, v164
	;; [unrolled: 1-line block ×4, first 2 shown]
	s_delay_alu instid0(VALU_DEP_3) | instskip(SKIP_2) | instid1(VALU_DEP_1)
	v_add3_u32 v83, v83, v240, v242
	v_mul_i32_i24_e32 v240, v252, v149
	v_mul_i32_i24_e32 v242, v249, v167
	v_add3_u32 v1, v1, v242, v240
	v_bfe_i32 v240, v241, 0, 8
	v_ashrrev_i32_e32 v242, 24, v241
	s_delay_alu instid0(VALU_DEP_3) | instskip(NEXT) | instid1(VALU_DEP_3)
	v_add3_u32 v0, v1, v20, v0
	v_mul_i32_i24_e32 v245, v240, v199
	s_delay_alu instid0(VALU_DEP_3) | instskip(SKIP_2) | instid1(VALU_DEP_3)
	v_mul_i32_i24_e32 v247, v242, v198
	v_bfe_i32 v1, v241, 8, 8
	v_bfe_i32 v20, v241, 16, 8
	v_add3_u32 v25, v25, v247, v245
	v_mul_i32_i24_e32 v245, v240, v200
	v_mul_i32_i24_e32 v247, v242, v201
	;; [unrolled: 1-line block ×3, first 2 shown]
	s_delay_alu instid0(VALU_DEP_2) | instskip(SKIP_4) | instid1(VALU_DEP_3)
	v_add3_u32 v44, v44, v247, v245
	v_mul_i32_i24_e32 v245, v81, v140
	v_mul_i32_i24_e32 v247, v80, v164
	;; [unrolled: 1-line block ×4, first 2 shown]
	v_add3_u32 v68, v68, v245, v247
	v_mul_i32_i24_e32 v245, v250, v149
	v_mul_i32_i24_e32 v247, v248, v167
	s_delay_alu instid0(VALU_DEP_1) | instskip(SKIP_2) | instid1(VALU_DEP_3)
	v_add3_u32 v79, v79, v247, v245
	v_bfe_i32 v245, v243, 0, 8
	v_ashrrev_i32_e32 v247, 24, v243
	v_add3_u32 v79, v79, v81, v80
	s_delay_alu instid0(VALU_DEP_3) | instskip(NEXT) | instid1(VALU_DEP_3)
	v_mul_i32_i24_e32 v248, v245, v199
	v_mul_i32_i24_e32 v249, v247, v198
	v_bfe_i32 v80, v243, 8, 8
	v_bfe_i32 v81, v243, 16, 8
	s_delay_alu instid0(VALU_DEP_3) | instskip(SKIP_2) | instid1(VALU_DEP_4)
	v_add3_u32 v71, v71, v249, v248
	v_mul_i32_i24_e32 v248, v245, v200
	v_mul_i32_i24_e32 v249, v247, v201
	v_mul_i32_i24_e32 v243, v81, v194
	s_delay_alu instid0(VALU_DEP_2) | instskip(SKIP_4) | instid1(VALU_DEP_3)
	v_add3_u32 v82, v82, v249, v248
	v_mul_i32_i24_e32 v248, v85, v136
	v_mul_i32_i24_e32 v249, v86, v133
	;; [unrolled: 1-line block ×4, first 2 shown]
	v_add3_u32 v83, v83, v248, v249
	v_mul_i32_i24_e32 v248, v20, v194
	s_delay_alu instid0(VALU_DEP_3) | instskip(SKIP_2) | instid1(VALU_DEP_4)
	v_add3_u32 v0, v0, v85, v86
	v_bfe_i32 v85, v244, 0, 8
	v_bfe_i32 v86, v244, 8, 8
	v_add3_u32 v25, v25, v241, v248
	v_mul_i32_i24_e32 v241, v1, v193
	v_mul_i32_i24_e32 v248, v20, v197
	s_delay_alu instid0(VALU_DEP_1) | instskip(SKIP_4) | instid1(VALU_DEP_3)
	v_add3_u32 v44, v44, v241, v248
	v_mul_i32_i24_e32 v241, v87, v136
	v_mul_i32_i24_e32 v248, v88, v133
	;; [unrolled: 1-line block ×4, first 2 shown]
	v_add3_u32 v68, v68, v241, v248
	v_mul_i32_i24_e32 v241, v80, v190
	s_delay_alu instid0(VALU_DEP_3) | instskip(SKIP_2) | instid1(VALU_DEP_4)
	v_add3_u32 v79, v79, v87, v88
	v_bfe_i32 v87, v246, 0, 8
	v_bfe_i32 v88, v246, 8, 8
	v_add3_u32 v71, v71, v241, v243
	v_mul_i32_i24_e32 v241, v80, v193
	v_mul_i32_i24_e32 v243, v81, v197
	s_delay_alu instid0(VALU_DEP_1) | instskip(SKIP_3) | instid1(VALU_DEP_2)
	v_add3_u32 v82, v82, v241, v243
	v_mul_i32_i24_e32 v241, v240, v130
	v_mul_i32_i24_e32 v243, v242, v129
	;; [unrolled: 1-line block ×3, first 2 shown]
	v_add3_u32 v83, v83, v243, v241
	v_mul_i32_i24_e32 v241, v85, v116
	v_mul_i32_i24_e32 v243, v86, v115
	s_delay_alu instid0(VALU_DEP_1) | instskip(SKIP_2) | instid1(VALU_DEP_1)
	v_add3_u32 v25, v25, v241, v243
	v_mul_i32_i24_e32 v241, v85, v119
	v_mul_i32_i24_e32 v243, v86, v120
	v_add3_u32 v44, v44, v241, v243
	v_mul_i32_i24_e32 v241, v245, v130
	v_mul_i32_i24_e32 v243, v247, v129
	s_delay_alu instid0(VALU_DEP_1) | instskip(SKIP_2) | instid1(VALU_DEP_1)
	v_add3_u32 v68, v68, v243, v241
	v_mul_i32_i24_e32 v241, v87, v116
	v_mul_i32_i24_e32 v243, v88, v115
	v_add3_u32 v71, v71, v241, v243
	v_mul_i32_i24_e32 v241, v87, v119
	v_mul_i32_i24_e32 v243, v88, v120
	s_delay_alu instid0(VALU_DEP_1) | instskip(SKIP_4) | instid1(VALU_DEP_3)
	v_add3_u32 v82, v82, v241, v243
	v_mul_i32_i24_e32 v241, v20, v126
	v_mul_i32_i24_e32 v243, v1, v162
	;; [unrolled: 1-line block ×4, first 2 shown]
	v_add3_u32 v83, v83, v243, v241
	v_mul_i32_i24_e32 v241, v242, v148
	s_delay_alu instid0(VALU_DEP_1) | instskip(SKIP_2) | instid1(VALU_DEP_3)
	v_add3_u32 v0, v0, v241, v240
	v_bfe_i32 v240, v244, 16, 8
	v_ashrrev_i32_e32 v241, 24, v244
	v_add3_u32 v0, v0, v1, v20
	s_delay_alu instid0(VALU_DEP_3) | instskip(NEXT) | instid1(VALU_DEP_3)
	v_mul_i32_i24_e32 v242, v240, v113
	v_mul_i32_i24_e32 v243, v241, v114
	v_mul_i32_i24_e32 v1, v112, v87
	v_mul_i32_i24_e32 v20, v4, v88
	s_delay_alu instid0(VALU_DEP_3) | instskip(SKIP_2) | instid1(VALU_DEP_3)
	v_add3_u32 v25, v25, v242, v243
	v_mul_i32_i24_e32 v242, v240, v117
	v_mul_i32_i24_e32 v243, v241, v118
	v_cvt_f32_i32_e32 v25, v25
	s_delay_alu instid0(VALU_DEP_2) | instskip(SKIP_2) | instid1(VALU_DEP_3)
	v_add3_u32 v44, v44, v242, v243
	v_mul_i32_i24_e32 v242, v81, v126
	v_mul_i32_i24_e32 v243, v80, v162
	v_cvt_f32_i32_e32 v44, v44
	s_delay_alu instid0(VALU_DEP_2)
	v_add3_u32 v68, v68, v243, v242
	v_mul_i32_i24_e32 v242, v245, v147
	v_mul_i32_i24_e32 v243, v247, v148
	ds_load_2addr_b32 v[247:248], v103 offset0:64 offset1:96
	v_add3_u32 v1, v68, v1, v20
	v_mul_i32_i24_e32 v20, v81, v142
	v_add3_u32 v79, v79, v243, v242
	v_bfe_i32 v242, v246, 16, 8
	v_ashrrev_i32_e32 v243, 24, v246
	v_mul_i32_i24_e32 v68, v80, v5
	v_mul_i32_i24_e32 v80, v125, v86
	s_delay_alu instid0(VALU_DEP_4) | instskip(NEXT) | instid1(VALU_DEP_4)
	v_mul_i32_i24_e32 v244, v242, v113
	v_mul_i32_i24_e32 v245, v243, v114
	s_delay_alu instid0(VALU_DEP_4) | instskip(SKIP_2) | instid1(VALU_DEP_4)
	v_add3_u32 v20, v79, v68, v20
	v_mul_i32_i24_e32 v68, v110, v240
	v_mul_i32_i24_e32 v79, v111, v241
	v_add3_u32 v71, v71, v244, v245
	v_mul_i32_i24_e32 v244, v242, v117
	v_mul_i32_i24_e32 v245, v243, v118
	s_delay_alu instid0(VALU_DEP_1) | instskip(SKIP_2) | instid1(VALU_DEP_1)
	v_add3_u32 v82, v82, v244, v245
	v_mul_i32_i24_e32 v244, v112, v85
	v_mul_i32_i24_e32 v245, v4, v86
	v_add3_u32 v83, v83, v244, v245
	s_delay_alu instid0(VALU_DEP_1) | instskip(SKIP_1) | instid1(VALU_DEP_1)
	v_add3_u32 v68, v83, v68, v79
	v_mul_i32_i24_e32 v79, v124, v85
	v_add3_u32 v0, v0, v79, v80
	v_mul_i32_i24_e32 v79, v110, v242
	v_mul_i32_i24_e32 v80, v111, v243
	s_delay_alu instid0(VALU_DEP_1) | instskip(SKIP_2) | instid1(VALU_DEP_3)
	v_add3_u32 v1, v1, v79, v80
	v_mul_i32_i24_e32 v79, v124, v87
	v_mul_i32_i24_e32 v80, v125, v88
	v_cvt_f32_i32_e32 v1, v1
	s_delay_alu instid0(VALU_DEP_2) | instskip(SKIP_2) | instid1(VALU_DEP_1)
	v_add3_u32 v20, v20, v79, v80
	v_mul_i32_i24_e32 v79, v122, v240
	v_mul_i32_i24_e32 v80, v123, v241
	v_add3_u32 v0, v0, v79, v80
	v_mul_i32_i24_e32 v79, v122, v242
	v_mul_i32_i24_e32 v80, v123, v243
	s_delay_alu instid0(VALU_DEP_3) | instskip(NEXT) | instid1(VALU_DEP_2)
	v_cvt_f32_i32_e32 v0, v0
	v_add3_u32 v20, v20, v79, v80
	s_wait_dscnt 0x0
	v_lshrrev_b32_e32 v79, 16, v247
	s_delay_alu instid0(VALU_DEP_2) | instskip(NEXT) | instid1(VALU_DEP_2)
	v_cvt_f32_i32_e32 v20, v20
	v_cvt_f32_f16_e32 v79, v79
	s_delay_alu instid0(VALU_DEP_1) | instskip(NEXT) | instid1(VALU_DEP_1)
	v_mul_f32_e32 v79, 0x41000000, v79
	v_fma_mix_f32 v240, v247, v0, -v79 op_sel_hi:[1,0,0]
	v_lshrrev_b32_e32 v0, 16, v248
	v_fma_mix_f32 v245, v247, v25, -v79 op_sel_hi:[1,0,0]
	v_cvt_f32_i32_e32 v25, v68
	v_fma_mix_f32 v243, v247, v44, -v79 op_sel_hi:[1,0,0]
	v_cvt_f32_i32_e32 v44, v82
	v_cvt_f32_f16_e32 v0, v0
	v_fmac_f32_e32 v36, v109, v240
	v_fma_mix_f32 v241, v247, v25, -v79 op_sel_hi:[1,0,0]
	v_cvt_f32_i32_e32 v25, v71
	s_delay_alu instid0(VALU_DEP_4) | instskip(NEXT) | instid1(VALU_DEP_1)
	v_mul_f32_e32 v0, 0x41000000, v0
	v_fma_mix_f32 v247, v248, v25, -v0 op_sel_hi:[1,0,0]
	v_fma_mix_f32 v246, v248, v44, -v0 op_sel_hi:[1,0,0]
	;; [unrolled: 1-line block ×4, first 2 shown]
	v_add_nc_u32_e32 v0, 0x1000, v102
	s_delay_alu instid0(VALU_DEP_2)
	v_fmac_f32_e32 v31, v109, v242
	ds_load_2addr_b32 v[248:249], v0 offset0:4 offset1:7
	s_wait_dscnt 0x0
	v_bfe_i32 v1, v248, 8, 8
	v_bfe_i32 v20, v248, 0, 8
	;; [unrolled: 1-line block ×3, first 2 shown]
	v_ashrrev_i32_e32 v68, 24, v248
	v_add_nc_u32_e32 v248, 0x1404, v102
	v_mul_i32_i24_e32 v25, v1, v186
	s_delay_alu instid0(VALU_DEP_4) | instskip(NEXT) | instid1(VALU_DEP_4)
	v_mul_i32_i24_e32 v71, v44, v189
	v_mul_i32_i24_e32 v79, v68, v188
	;; [unrolled: 1-line block ×3, first 2 shown]
	s_delay_alu instid0(VALU_DEP_4) | instskip(SKIP_1) | instid1(VALU_DEP_2)
	v_mad_i32_i24 v25, v20, v184, v25
	v_mul_i32_i24_e32 v76, v157, v68
	v_add3_u32 v25, v25, v71, v79
	v_mul_i32_i24_e32 v71, v1, v185
	v_mul_i32_i24_e32 v79, v44, v191
	s_delay_alu instid0(VALU_DEP_2) | instskip(NEXT) | instid1(VALU_DEP_1)
	v_mad_i32_i24 v71, v20, v182, v71
	v_add3_u32 v71, v71, v79, v80
	v_add_nc_u32_e32 v79, 0x1400, v102
	ds_load_2addr_b32 v[250:251], v79 offset0:4 offset1:7
	s_wait_dscnt 0x0
	v_bfe_i32 v80, v250, 8, 8
	v_bfe_i32 v81, v250, 0, 8
	;; [unrolled: 1-line block ×3, first 2 shown]
	v_ashrrev_i32_e32 v87, 24, v250
	s_delay_alu instid0(VALU_DEP_4) | instskip(NEXT) | instid1(VALU_DEP_3)
	v_mul_i32_i24_e32 v82, v80, v186
	v_mul_i32_i24_e32 v85, v83, v189
	s_delay_alu instid0(VALU_DEP_3) | instskip(SKIP_1) | instid1(VALU_DEP_4)
	v_mul_i32_i24_e32 v86, v87, v188
	v_mul_i32_i24_e32 v88, v87, v192
	v_mad_i32_i24 v82, v81, v184, v82
	v_mul_i32_i24_e32 v78, v157, v87
	s_delay_alu instid0(VALU_DEP_2) | instskip(SKIP_2) | instid1(VALU_DEP_2)
	v_add3_u32 v82, v82, v85, v86
	v_mul_i32_i24_e32 v85, v80, v185
	v_mul_i32_i24_e32 v86, v83, v191
	v_mad_i32_i24 v85, v81, v182, v85
	s_delay_alu instid0(VALU_DEP_1)
	v_add3_u32 v88, v85, v86, v88
	v_add_nc_u32_e32 v85, 0x1004, v102
	v_add_nc_u32_e32 v86, 0x1014, v102
	ds_load_2addr_b32 v[252:253], v85 offset1:1
	ds_load_2addr_b32 v[254:255], v86 offset1:1
	;; [unrolled: 1-line block ×3, first 2 shown]
	s_wait_dscnt 0x2
	v_bfe_i32 v248, v252, 8, 8
	v_ashrrev_i32_e32 v250, 24, v252
	s_delay_alu instid0(VALU_DEP_2) | instskip(NEXT) | instid1(VALU_DEP_2)
	v_mul_i32_i24_e32 v72, v248, v213
	v_mul_i32_i24_e32 v73, v250, v212
	s_delay_alu instid0(VALU_DEP_1) | instskip(SKIP_2) | instid1(VALU_DEP_1)
	v_add3_u32 v25, v25, v73, v72
	v_mul_i32_i24_e32 v72, v248, v214
	v_mul_i32_i24_e32 v73, v250, v215
	v_add3_u32 v71, v71, v73, v72
	s_wait_dscnt 0x0
	v_bfe_i32 v72, v85, 8, 8
	v_ashrrev_i32_e32 v73, 24, v85
	s_delay_alu instid0(VALU_DEP_2) | instskip(NEXT) | instid1(VALU_DEP_2)
	v_mul_i32_i24_e32 v74, v72, v213
	v_mul_i32_i24_e32 v75, v73, v212
	s_delay_alu instid0(VALU_DEP_1) | instskip(SKIP_2) | instid1(VALU_DEP_1)
	v_add3_u32 v74, v82, v75, v74
	v_mul_i32_i24_e32 v75, v72, v214
	v_mul_i32_i24_e32 v82, v73, v215
	v_add3_u32 v75, v88, v82, v75
	v_mul_i32_i24_e32 v82, v176, v1
	v_mul_i32_i24_e32 v88, v153, v44
	;; [unrolled: 1-line block ×3, first 2 shown]
	s_delay_alu instid0(VALU_DEP_3) | instskip(NEXT) | instid1(VALU_DEP_2)
	v_mad_i32_i24 v82, v160, v20, v82
	v_mad_i32_i24 v1, v172, v20, v1
	v_mul_i32_i24_e32 v20, v166, v44
	v_mul_i32_i24_e32 v44, v170, v68
	s_delay_alu instid0(VALU_DEP_4) | instskip(SKIP_2) | instid1(VALU_DEP_4)
	v_add3_u32 v76, v82, v88, v76
	v_bfe_i32 v82, v252, 0, 8
	v_bfe_i32 v252, v252, 16, 8
	v_add3_u32 v1, v1, v20, v44
	v_bfe_i32 v20, v254, 0, 8
	s_delay_alu instid0(VALU_DEP_4) | instskip(NEXT) | instid1(VALU_DEP_4)
	v_mul_i32_i24_e32 v88, v82, v206
	v_mul_i32_i24_e32 v77, v252, v227
	v_ashrrev_i32_e32 v44, 24, v254
	s_delay_alu instid0(VALU_DEP_4) | instskip(NEXT) | instid1(VALU_DEP_3)
	v_mul_i32_i24_e32 v68, v20, v236
	v_add3_u32 v25, v25, v88, v77
	v_mul_i32_i24_e32 v77, v82, v207
	v_mul_i32_i24_e32 v88, v252, v229
	s_delay_alu instid0(VALU_DEP_1) | instskip(SKIP_2) | instid1(VALU_DEP_2)
	v_add3_u32 v71, v71, v77, v88
	v_mul_i32_i24_e32 v77, v176, v80
	v_mul_i32_i24_e32 v88, v153, v83
	v_mad_i32_i24 v77, v160, v81, v77
	s_delay_alu instid0(VALU_DEP_1) | instskip(SKIP_2) | instid1(VALU_DEP_2)
	v_add3_u32 v77, v77, v88, v78
	v_bfe_i32 v78, v85, 0, 8
	v_bfe_i32 v85, v85, 16, 8
	v_mul_i32_i24_e32 v88, v78, v206
	s_delay_alu instid0(VALU_DEP_2) | instskip(NEXT) | instid1(VALU_DEP_1)
	v_mul_i32_i24_e32 v93, v85, v227
	v_add3_u32 v74, v74, v88, v93
	v_mul_i32_i24_e32 v88, v78, v207
	v_mul_i32_i24_e32 v93, v85, v229
	s_delay_alu instid0(VALU_DEP_1) | instskip(SKIP_2) | instid1(VALU_DEP_1)
	v_add3_u32 v75, v75, v88, v93
	v_mul_i32_i24_e32 v88, v250, v156
	v_mul_i32_i24_e32 v93, v248, v173
	v_add3_u32 v76, v76, v88, v93
	v_mul_i32_i24_e32 v88, v44, v235
	s_delay_alu instid0(VALU_DEP_1) | instskip(SKIP_2) | instid1(VALU_DEP_1)
	v_add3_u32 v25, v25, v88, v68
	v_mul_i32_i24_e32 v68, v20, v238
	v_mul_i32_i24_e32 v88, v44, v239
	v_add3_u32 v68, v71, v88, v68
	v_mul_i32_i24_e32 v71, v73, v156
	v_mul_i32_i24_e32 v88, v72, v173
	;; [unrolled: 1-line block ×4, first 2 shown]
	s_delay_alu instid0(VALU_DEP_3) | instskip(SKIP_2) | instid1(VALU_DEP_2)
	v_add3_u32 v71, v77, v71, v88
	v_mul_i32_i24_e32 v77, v187, v80
	v_mul_i32_i24_e32 v80, v166, v83
	v_mad_i32_i24 v77, v172, v81, v77
	v_mul_i32_i24_e32 v81, v170, v87
	s_delay_alu instid0(VALU_DEP_1) | instskip(SKIP_1) | instid1(VALU_DEP_2)
	v_add3_u32 v77, v77, v80, v81
	v_add_nc_u32_e32 v80, 0x1414, v102
	v_add3_u32 v72, v77, v73, v72
	ds_load_2addr_b32 v[87:88], v80 offset1:1
	s_wait_dscnt 0x0
	v_bfe_i32 v80, v87, 0, 8
	v_ashrrev_i32_e32 v81, 24, v87
	v_bfe_i32 v73, v87, 8, 8
	v_bfe_i32 v77, v87, 16, 8
	s_delay_alu instid0(VALU_DEP_4) | instskip(NEXT) | instid1(VALU_DEP_4)
	v_mul_i32_i24_e32 v83, v80, v236
	v_mul_i32_i24_e32 v93, v81, v235
	s_delay_alu instid0(VALU_DEP_4) | instskip(NEXT) | instid1(VALU_DEP_2)
	v_mul_i32_i24_e32 v87, v73, v222
	v_add3_u32 v74, v74, v93, v83
	v_mul_i32_i24_e32 v83, v80, v238
	v_mul_i32_i24_e32 v93, v81, v239
	s_delay_alu instid0(VALU_DEP_1) | instskip(SKIP_3) | instid1(VALU_DEP_2)
	v_add3_u32 v75, v75, v93, v83
	v_mul_i32_i24_e32 v83, v82, v150
	v_mul_i32_i24_e32 v93, v252, v145
	v_mul_i32_i24_e32 v82, v82, v163
	v_add3_u32 v76, v76, v83, v93
	v_mul_i32_i24_e32 v83, v250, v165
	v_mul_i32_i24_e32 v93, v248, v178
	s_delay_alu instid0(VALU_DEP_1) | instskip(SKIP_2) | instid1(VALU_DEP_2)
	v_add3_u32 v1, v1, v83, v93
	v_bfe_i32 v83, v254, 8, 8
	v_bfe_i32 v93, v254, 16, 8
	v_mul_i32_i24_e32 v248, v83, v222
	s_delay_alu instid0(VALU_DEP_2) | instskip(NEXT) | instid1(VALU_DEP_1)
	v_mul_i32_i24_e32 v250, v93, v234
	v_add3_u32 v25, v25, v248, v250
	v_mul_i32_i24_e32 v248, v83, v223
	v_mul_i32_i24_e32 v250, v93, v237
	s_delay_alu instid0(VALU_DEP_1) | instskip(SKIP_4) | instid1(VALU_DEP_3)
	v_add3_u32 v68, v68, v248, v250
	v_mul_i32_i24_e32 v248, v78, v150
	v_mul_i32_i24_e32 v250, v85, v145
	;; [unrolled: 1-line block ×4, first 2 shown]
	v_add3_u32 v71, v71, v248, v250
	v_mul_i32_i24_e32 v248, v77, v234
	s_delay_alu instid0(VALU_DEP_3) | instskip(SKIP_2) | instid1(VALU_DEP_4)
	v_add3_u32 v72, v72, v78, v85
	v_bfe_i32 v78, v86, 8, 8
	v_ashrrev_i32_e32 v85, 24, v86
	v_add3_u32 v74, v74, v87, v248
	v_mul_i32_i24_e32 v87, v73, v223
	v_mul_i32_i24_e32 v248, v77, v237
	s_delay_alu instid0(VALU_DEP_1) | instskip(SKIP_4) | instid1(VALU_DEP_3)
	v_add3_u32 v75, v75, v87, v248
	v_mul_i32_i24_e32 v87, v20, v146
	v_mul_i32_i24_e32 v248, v44, v143
	;; [unrolled: 1-line block ×4, first 2 shown]
	v_add3_u32 v76, v76, v248, v87
	v_mul_i32_i24_e32 v87, v252, v159
	s_delay_alu instid0(VALU_DEP_1) | instskip(SKIP_2) | instid1(VALU_DEP_3)
	v_add3_u32 v1, v1, v82, v87
	v_bfe_i32 v82, v253, 8, 8
	v_ashrrev_i32_e32 v87, 24, v253
	v_add3_u32 v1, v1, v44, v20
	s_delay_alu instid0(VALU_DEP_3) | instskip(NEXT) | instid1(VALU_DEP_3)
	v_mul_i32_i24_e32 v248, v82, v231
	v_mul_i32_i24_e32 v250, v87, v230
	v_bfe_i32 v20, v253, 0, 8
	v_bfe_i32 v44, v253, 16, 8
	s_delay_alu instid0(VALU_DEP_3) | instskip(SKIP_2) | instid1(VALU_DEP_1)
	v_add3_u32 v25, v25, v250, v248
	v_mul_i32_i24_e32 v248, v82, v232
	v_mul_i32_i24_e32 v250, v87, v233
	v_add3_u32 v68, v68, v250, v248
	v_mul_i32_i24_e32 v248, v80, v146
	v_mul_i32_i24_e32 v250, v81, v143
	;; [unrolled: 1-line block ×4, first 2 shown]
	s_delay_alu instid0(VALU_DEP_3) | instskip(SKIP_2) | instid1(VALU_DEP_4)
	v_add3_u32 v71, v71, v250, v248
	v_mul_i32_i24_e32 v248, v78, v231
	v_mul_i32_i24_e32 v250, v85, v230
	v_add3_u32 v72, v72, v81, v80
	v_bfe_i32 v80, v86, 0, 8
	v_bfe_i32 v81, v86, 16, 8
	s_delay_alu instid0(VALU_DEP_4) | instskip(SKIP_3) | instid1(VALU_DEP_2)
	v_add3_u32 v74, v74, v250, v248
	v_mul_i32_i24_e32 v248, v78, v232
	v_mul_i32_i24_e32 v250, v85, v233
	;; [unrolled: 1-line block ×3, first 2 shown]
	v_add3_u32 v75, v75, v250, v248
	v_mul_i32_i24_e32 v248, v93, v134
	v_mul_i32_i24_e32 v250, v83, v175
	;; [unrolled: 1-line block ×3, first 2 shown]
	s_delay_alu instid0(VALU_DEP_2) | instskip(SKIP_2) | instid1(VALU_DEP_1)
	v_add3_u32 v76, v76, v250, v248
	v_mul_i32_i24_e32 v248, v20, v216
	v_mul_i32_i24_e32 v250, v44, v226
	v_add3_u32 v25, v25, v248, v250
	v_mul_i32_i24_e32 v248, v20, v218
	v_mul_i32_i24_e32 v250, v44, v228
	s_delay_alu instid0(VALU_DEP_1) | instskip(SKIP_4) | instid1(VALU_DEP_3)
	v_add3_u32 v68, v68, v248, v250
	v_mul_i32_i24_e32 v248, v77, v134
	v_mul_i32_i24_e32 v250, v73, v175
	;; [unrolled: 1-line block ×4, first 2 shown]
	v_add3_u32 v71, v71, v250, v248
	v_mul_i32_i24_e32 v248, v81, v226
	s_delay_alu instid0(VALU_DEP_3)
	v_add3_u32 v72, v72, v73, v77
	v_bfe_i32 v73, v88, 0, 8
	v_ashrrev_i32_e32 v77, 24, v88
	v_bfe_i32 v250, v88, 16, 8
	v_add3_u32 v74, v74, v86, v248
	v_mul_i32_i24_e32 v86, v80, v218
	v_mul_i32_i24_e32 v248, v81, v228
	s_delay_alu instid0(VALU_DEP_1) | instskip(SKIP_3) | instid1(VALU_DEP_2)
	v_add3_u32 v75, v75, v86, v248
	v_mul_i32_i24_e32 v86, v87, v135
	v_mul_i32_i24_e32 v248, v82, v171
	;; [unrolled: 1-line block ×3, first 2 shown]
	v_add3_u32 v76, v76, v86, v248
	v_mul_i32_i24_e32 v86, v93, v152
	v_ashrrev_i32_e32 v93, 24, v255
	s_delay_alu instid0(VALU_DEP_2) | instskip(SKIP_1) | instid1(VALU_DEP_3)
	v_add3_u32 v1, v1, v83, v86
	v_bfe_i32 v83, v255, 0, 8
	v_mul_i32_i24_e32 v248, v93, v220
	s_delay_alu instid0(VALU_DEP_2) | instskip(NEXT) | instid1(VALU_DEP_1)
	v_mul_i32_i24_e32 v86, v83, v221
	v_add3_u32 v25, v25, v248, v86
	v_mul_i32_i24_e32 v86, v83, v224
	v_mul_i32_i24_e32 v248, v93, v225
	s_delay_alu instid0(VALU_DEP_1) | instskip(SKIP_4) | instid1(VALU_DEP_3)
	v_add3_u32 v68, v68, v248, v86
	v_mul_i32_i24_e32 v86, v85, v135
	v_mul_i32_i24_e32 v248, v78, v171
	;; [unrolled: 1-line block ×4, first 2 shown]
	v_add3_u32 v71, v71, v86, v248
	v_mul_i32_i24_e32 v86, v73, v221
	v_mul_i32_i24_e32 v248, v77, v220
	s_delay_alu instid0(VALU_DEP_4) | instskip(SKIP_1) | instid1(VALU_DEP_3)
	v_add3_u32 v72, v72, v85, v78
	v_bfe_i32 v78, v88, 8, 8
	v_add3_u32 v74, v74, v248, v86
	v_mul_i32_i24_e32 v86, v73, v224
	v_mul_i32_i24_e32 v248, v77, v225
	s_delay_alu instid0(VALU_DEP_4) | instskip(NEXT) | instid1(VALU_DEP_2)
	v_mul_i32_i24_e32 v85, v78, v203
	v_add3_u32 v75, v75, v248, v86
	v_mul_i32_i24_e32 v86, v20, v132
	v_mul_i32_i24_e32 v248, v44, v131
	;; [unrolled: 1-line block ×4, first 2 shown]
	s_delay_alu instid0(VALU_DEP_3) | instskip(SKIP_2) | instid1(VALU_DEP_2)
	v_add3_u32 v76, v76, v86, v248
	v_mul_i32_i24_e32 v86, v87, v151
	v_bfe_i32 v248, v255, 16, 8
	v_add3_u32 v1, v1, v86, v82
	v_bfe_i32 v82, v255, 8, 8
	s_delay_alu instid0(VALU_DEP_3) | instskip(NEXT) | instid1(VALU_DEP_3)
	v_mul_i32_i24_e32 v87, v248, v217
	v_add3_u32 v1, v1, v20, v44
	s_delay_alu instid0(VALU_DEP_3) | instskip(NEXT) | instid1(VALU_DEP_1)
	v_mul_i32_i24_e32 v86, v82, v203
	v_add3_u32 v25, v25, v86, v87
	v_mul_i32_i24_e32 v86, v82, v205
	v_mul_i32_i24_e32 v87, v248, v219
	s_delay_alu instid0(VALU_DEP_1) | instskip(SKIP_2) | instid1(VALU_DEP_1)
	v_add3_u32 v68, v68, v86, v87
	v_mul_i32_i24_e32 v86, v80, v132
	v_mul_i32_i24_e32 v87, v81, v131
	v_add3_u32 v71, v71, v86, v87
	v_mul_i32_i24_e32 v86, v250, v217
	s_delay_alu instid0(VALU_DEP_1) | instskip(SKIP_2) | instid1(VALU_DEP_1)
	v_add3_u32 v74, v74, v85, v86
	v_mul_i32_i24_e32 v85, v78, v205
	v_mul_i32_i24_e32 v86, v250, v219
	v_add3_u32 v75, v75, v85, v86
	v_mul_i32_i24_e32 v85, v83, v128
	v_mul_i32_i24_e32 v86, v93, v127
	s_delay_alu instid0(VALU_DEP_1) | instskip(SKIP_4) | instid1(VALU_DEP_2)
	v_add3_u32 v76, v76, v86, v85
	ds_load_2addr_b32 v[85:86], v0 offset1:3
	s_wait_dscnt 0x0
	v_bfe_i32 v0, v86, 8, 8
	v_ashrrev_i32_e32 v20, 24, v86
	v_mul_i32_i24_e32 v44, v0, v209
	s_delay_alu instid0(VALU_DEP_2) | instskip(NEXT) | instid1(VALU_DEP_1)
	v_mul_i32_i24_e32 v87, v20, v208
	v_add3_u32 v25, v25, v87, v44
	v_mul_i32_i24_e32 v44, v0, v210
	v_mul_i32_i24_e32 v87, v20, v211
	s_delay_alu instid0(VALU_DEP_1) | instskip(SKIP_4) | instid1(VALU_DEP_3)
	v_add3_u32 v44, v68, v87, v44
	v_mul_i32_i24_e32 v68, v73, v128
	v_mul_i32_i24_e32 v87, v77, v127
	;; [unrolled: 1-line block ×4, first 2 shown]
	v_add3_u32 v68, v71, v87, v68
	ds_load_2addr_b32 v[87:88], v79 offset1:3
	v_mul_i32_i24_e32 v71, v80, v144
	v_mul_i32_i24_e32 v80, v81, v139
	s_delay_alu instid0(VALU_DEP_1) | instskip(NEXT) | instid1(VALU_DEP_1)
	v_add3_u32 v71, v72, v71, v80
	v_add3_u32 v71, v71, v77, v73
	s_wait_dscnt 0x0
	v_bfe_i32 v72, v88, 8, 8
	v_ashrrev_i32_e32 v79, 24, v88
	v_bfe_i32 v73, v88, 0, 8
	v_bfe_i32 v77, v88, 16, 8
	s_delay_alu instid0(VALU_DEP_4) | instskip(NEXT) | instid1(VALU_DEP_4)
	v_mul_i32_i24_e32 v80, v72, v209
	v_mul_i32_i24_e32 v81, v79, v208
	s_delay_alu instid0(VALU_DEP_1) | instskip(SKIP_2) | instid1(VALU_DEP_1)
	v_add3_u32 v74, v74, v81, v80
	v_mul_i32_i24_e32 v80, v72, v210
	v_mul_i32_i24_e32 v81, v79, v211
	v_add3_u32 v75, v75, v81, v80
	v_mul_i32_i24_e32 v80, v248, v121
	v_mul_i32_i24_e32 v81, v82, v168
	;; [unrolled: 1-line block ×3, first 2 shown]
	s_delay_alu instid0(VALU_DEP_2) | instskip(SKIP_2) | instid1(VALU_DEP_1)
	v_add3_u32 v76, v76, v81, v80
	v_mul_i32_i24_e32 v80, v83, v155
	v_mul_i32_i24_e32 v81, v93, v154
	v_add3_u32 v1, v1, v81, v80
	v_bfe_i32 v80, v86, 0, 8
	v_bfe_i32 v81, v86, 16, 8
	s_delay_alu instid0(VALU_DEP_2) | instskip(NEXT) | instid1(VALU_DEP_2)
	v_mul_i32_i24_e32 v83, v80, v195
	v_mul_i32_i24_e32 v86, v81, v202
	s_delay_alu instid0(VALU_DEP_1) | instskip(SKIP_2) | instid1(VALU_DEP_1)
	v_add3_u32 v25, v25, v83, v86
	v_mul_i32_i24_e32 v83, v80, v196
	v_mul_i32_i24_e32 v86, v81, v204
	v_add3_u32 v44, v44, v83, v86
	v_mul_i32_i24_e32 v83, v250, v121
	v_mul_i32_i24_e32 v86, v78, v168
	;; [unrolled: 1-line block ×3, first 2 shown]
	s_delay_alu instid0(VALU_DEP_2) | instskip(SKIP_2) | instid1(VALU_DEP_1)
	v_add3_u32 v68, v68, v86, v83
	v_mul_i32_i24_e32 v83, v73, v195
	v_mul_i32_i24_e32 v86, v77, v202
	v_add3_u32 v74, v74, v83, v86
	v_mul_i32_i24_e32 v83, v73, v196
	v_mul_i32_i24_e32 v86, v77, v204
	s_delay_alu instid0(VALU_DEP_1) | instskip(SKIP_4) | instid1(VALU_DEP_3)
	v_add3_u32 v75, v75, v83, v86
	v_mul_i32_i24_e32 v83, v20, v140
	v_mul_i32_i24_e32 v86, v0, v164
	;; [unrolled: 1-line block ×4, first 2 shown]
	v_add3_u32 v76, v76, v83, v86
	v_mul_i32_i24_e32 v83, v248, v149
	s_delay_alu instid0(VALU_DEP_1) | instskip(SKIP_2) | instid1(VALU_DEP_3)
	v_add3_u32 v1, v1, v82, v83
	v_bfe_i32 v82, v249, 0, 8
	v_ashrrev_i32_e32 v83, 24, v249
	v_add3_u32 v0, v1, v20, v0
	s_delay_alu instid0(VALU_DEP_3) | instskip(NEXT) | instid1(VALU_DEP_3)
	v_mul_i32_i24_e32 v86, v82, v199
	v_mul_i32_i24_e32 v88, v83, v198
	v_bfe_i32 v1, v249, 8, 8
	v_bfe_i32 v20, v249, 16, 8
	s_delay_alu instid0(VALU_DEP_3) | instskip(SKIP_2) | instid1(VALU_DEP_1)
	v_add3_u32 v25, v25, v88, v86
	v_mul_i32_i24_e32 v86, v82, v200
	v_mul_i32_i24_e32 v88, v83, v201
	v_add3_u32 v44, v44, v88, v86
	v_mul_i32_i24_e32 v86, v79, v140
	v_mul_i32_i24_e32 v88, v72, v164
	;; [unrolled: 1-line block ×4, first 2 shown]
	s_delay_alu instid0(VALU_DEP_3) | instskip(SKIP_1) | instid1(VALU_DEP_1)
	v_add3_u32 v68, v68, v86, v88
	v_mul_i32_i24_e32 v86, v250, v149
	v_add3_u32 v71, v71, v78, v86
	v_bfe_i32 v78, v251, 0, 8
	v_ashrrev_i32_e32 v86, 24, v251
	s_delay_alu instid0(VALU_DEP_3) | instskip(NEXT) | instid1(VALU_DEP_3)
	v_add3_u32 v71, v71, v79, v72
	v_mul_i32_i24_e32 v88, v78, v199
	s_delay_alu instid0(VALU_DEP_3) | instskip(SKIP_2) | instid1(VALU_DEP_3)
	v_mul_i32_i24_e32 v93, v86, v198
	v_bfe_i32 v72, v251, 8, 8
	v_bfe_i32 v79, v251, 16, 8
	v_add3_u32 v74, v74, v93, v88
	v_mul_i32_i24_e32 v88, v78, v200
	v_mul_i32_i24_e32 v93, v86, v201
	s_delay_alu instid0(VALU_DEP_1) | instskip(SKIP_4) | instid1(VALU_DEP_3)
	v_add3_u32 v75, v75, v93, v88
	v_mul_i32_i24_e32 v88, v80, v136
	v_mul_i32_i24_e32 v93, v81, v133
	v_mul_i32_i24_e32 v80, v80, v137
	v_mul_i32_i24_e32 v81, v81, v138
	v_add3_u32 v76, v76, v88, v93
	v_mul_i32_i24_e32 v88, v1, v190
	v_mul_i32_i24_e32 v93, v20, v194
	s_delay_alu instid0(VALU_DEP_4) | instskip(SKIP_2) | instid1(VALU_DEP_4)
	v_add3_u32 v0, v0, v80, v81
	v_bfe_i32 v80, v85, 0, 8
	v_bfe_i32 v81, v85, 8, 8
	v_add3_u32 v25, v25, v88, v93
	v_mul_i32_i24_e32 v88, v1, v193
	v_mul_i32_i24_e32 v93, v20, v197
	s_delay_alu instid0(VALU_DEP_1) | instskip(SKIP_4) | instid1(VALU_DEP_3)
	v_add3_u32 v44, v44, v88, v93
	v_mul_i32_i24_e32 v88, v73, v136
	v_mul_i32_i24_e32 v93, v77, v133
	v_mul_i32_i24_e32 v73, v73, v137
	v_mul_i32_i24_e32 v77, v77, v138
	v_add3_u32 v68, v68, v88, v93
	v_mul_i32_i24_e32 v88, v72, v190
	v_mul_i32_i24_e32 v93, v79, v194
	s_delay_alu instid0(VALU_DEP_4) | instskip(SKIP_2) | instid1(VALU_DEP_4)
	v_add3_u32 v71, v71, v73, v77
	;; [unrolled: 16-line block ×3, first 2 shown]
	v_bfe_i32 v82, v85, 16, 8
	v_ashrrev_i32_e32 v83, 24, v85
	v_add3_u32 v25, v25, v88, v93
	v_mul_i32_i24_e32 v88, v80, v119
	v_mul_i32_i24_e32 v93, v81, v120
	;; [unrolled: 1-line block ×3, first 2 shown]
	s_delay_alu instid0(VALU_DEP_2) | instskip(SKIP_3) | instid1(VALU_DEP_2)
	v_add3_u32 v44, v44, v88, v93
	v_mul_i32_i24_e32 v88, v78, v130
	v_mul_i32_i24_e32 v93, v86, v129
	;; [unrolled: 1-line block ×3, first 2 shown]
	v_add3_u32 v68, v68, v93, v88
	v_mul_i32_i24_e32 v88, v73, v116
	v_mul_i32_i24_e32 v93, v77, v115
	s_delay_alu instid0(VALU_DEP_1) | instskip(SKIP_2) | instid1(VALU_DEP_1)
	v_add3_u32 v74, v74, v88, v93
	v_mul_i32_i24_e32 v88, v73, v119
	v_mul_i32_i24_e32 v93, v77, v120
	v_add3_u32 v75, v75, v88, v93
	v_mul_i32_i24_e32 v88, v20, v126
	v_mul_i32_i24_e32 v93, v1, v162
	;; [unrolled: 1-line block ×4, first 2 shown]
	s_delay_alu instid0(VALU_DEP_3) | instskip(SKIP_1) | instid1(VALU_DEP_3)
	v_add3_u32 v76, v76, v93, v88
	v_mul_i32_i24_e32 v88, v83, v114
	v_add3_u32 v0, v0, v1, v20
	v_mul_i32_i24_e32 v1, v112, v73
	v_mul_i32_i24_e32 v20, v4, v77
	s_delay_alu instid0(VALU_DEP_4) | instskip(SKIP_2) | instid1(VALU_DEP_3)
	v_add3_u32 v25, v25, v85, v88
	v_mul_i32_i24_e32 v85, v82, v117
	v_mul_i32_i24_e32 v88, v83, v118
	v_cvt_f32_i32_e32 v25, v25
	s_delay_alu instid0(VALU_DEP_2) | instskip(SKIP_2) | instid1(VALU_DEP_3)
	v_add3_u32 v44, v44, v85, v88
	v_mul_i32_i24_e32 v85, v79, v126
	v_mul_i32_i24_e32 v88, v72, v162
	v_cvt_f32_i32_e32 v44, v44
	s_delay_alu instid0(VALU_DEP_2) | instskip(SKIP_1) | instid1(VALU_DEP_2)
	v_add3_u32 v68, v68, v88, v85
	v_mul_i32_i24_e32 v85, v86, v148
	v_add3_u32 v1, v68, v1, v20
	s_delay_alu instid0(VALU_DEP_2)
	v_add3_u32 v71, v71, v85, v78
	v_bfe_i32 v78, v87, 16, 8
	v_ashrrev_i32_e32 v85, 24, v87
	v_mul_i32_i24_e32 v20, v79, v142
	v_mul_i32_i24_e32 v68, v72, v5
	;; [unrolled: 1-line block ×5, first 2 shown]
	s_delay_alu instid0(VALU_DEP_4) | instskip(SKIP_2) | instid1(VALU_DEP_4)
	v_add3_u32 v20, v71, v68, v20
	v_mul_i32_i24_e32 v68, v110, v82
	v_mul_i32_i24_e32 v71, v111, v83
	v_add3_u32 v74, v74, v86, v87
	v_mul_i32_i24_e32 v86, v78, v117
	v_mul_i32_i24_e32 v87, v85, v118
	s_delay_alu instid0(VALU_DEP_1) | instskip(SKIP_2) | instid1(VALU_DEP_1)
	v_add3_u32 v75, v75, v86, v87
	v_mul_i32_i24_e32 v86, v112, v80
	v_mul_i32_i24_e32 v87, v4, v81
	v_add3_u32 v76, v76, v86, v87
	s_delay_alu instid0(VALU_DEP_1) | instskip(SKIP_1) | instid1(VALU_DEP_1)
	v_add3_u32 v68, v76, v68, v71
	v_mul_i32_i24_e32 v71, v124, v80
	v_add3_u32 v0, v0, v71, v72
	v_mul_i32_i24_e32 v71, v110, v78
	v_mul_i32_i24_e32 v72, v111, v85
	s_delay_alu instid0(VALU_DEP_1) | instskip(SKIP_2) | instid1(VALU_DEP_3)
	v_add3_u32 v1, v1, v71, v72
	v_mul_i32_i24_e32 v71, v124, v73
	v_mul_i32_i24_e32 v72, v125, v77
	v_cvt_f32_i32_e32 v1, v1
	s_delay_alu instid0(VALU_DEP_2) | instskip(SKIP_2) | instid1(VALU_DEP_1)
	v_add3_u32 v20, v20, v71, v72
	v_mul_i32_i24_e32 v71, v122, v82
	v_mul_i32_i24_e32 v72, v123, v83
	v_add3_u32 v0, v0, v71, v72
	v_mul_i32_i24_e32 v72, v123, v85
	ds_load_2addr_b32 v[85:86], v103 offset0:128 offset1:160
	v_mul_i32_i24_e32 v71, v122, v78
	v_cvt_f32_i32_e32 v0, v0
	s_delay_alu instid0(VALU_DEP_2) | instskip(NEXT) | instid1(VALU_DEP_1)
	v_add3_u32 v20, v20, v71, v72
	v_cvt_f32_i32_e32 v20, v20
	s_wait_dscnt 0x0
	v_lshrrev_b32_e32 v71, 16, v85
	s_delay_alu instid0(VALU_DEP_1) | instskip(NEXT) | instid1(VALU_DEP_1)
	v_cvt_f32_f16_e32 v71, v71
	v_mul_f32_e32 v71, 0x41000000, v71
	s_delay_alu instid0(VALU_DEP_1)
	v_fma_mix_f32 v248, v85, v0, -v71 op_sel_hi:[1,0,0]
	v_lshrrev_b32_e32 v0, 16, v86
	v_fma_mix_f32 v251, v85, v44, -v71 op_sel_hi:[1,0,0]
	v_cvt_f32_i32_e32 v44, v68
	v_cvt_f32_i32_e32 v68, v75
	v_fma_mix_f32 v25, v85, v25, -v71 op_sel_hi:[1,0,0]
	v_cvt_f32_f16_e32 v0, v0
	v_fmac_f32_e32 v27, v109, v248
	v_fma_mix_f32 v250, v85, v44, -v71 op_sel_hi:[1,0,0]
	v_cvt_f32_i32_e32 v44, v74
	s_delay_alu instid0(VALU_DEP_4) | instskip(NEXT) | instid1(VALU_DEP_1)
	v_mul_f32_e32 v0, 0x41000000, v0
	v_fma_mix_f32 v44, v86, v44, -v0 op_sel_hi:[1,0,0]
	v_fma_mix_f32 v68, v86, v68, -v0 op_sel_hi:[1,0,0]
	;; [unrolled: 1-line block ×4, first 2 shown]
	v_add_nc_u32_e32 v0, 0x1800, v102
	s_delay_alu instid0(VALU_DEP_2)
	v_fmac_f32_e32 v22, v109, v249
	ds_load_2addr_b32 v[85:86], v0 offset0:4 offset1:7
	s_wait_dscnt 0x0
	v_bfe_i32 v1, v85, 8, 8
	v_bfe_i32 v20, v85, 0, 8
	;; [unrolled: 1-line block ×3, first 2 shown]
	v_ashrrev_i32_e32 v73, 24, v85
	v_add_nc_u32_e32 v85, 0x1c04, v102
	v_mul_i32_i24_e32 v71, v1, v186
	s_delay_alu instid0(VALU_DEP_4) | instskip(NEXT) | instid1(VALU_DEP_4)
	v_mul_i32_i24_e32 v74, v72, v189
	v_mul_i32_i24_e32 v75, v73, v188
	;; [unrolled: 1-line block ×3, first 2 shown]
	s_delay_alu instid0(VALU_DEP_4) | instskip(NEXT) | instid1(VALU_DEP_1)
	v_mad_i32_i24 v71, v20, v184, v71
	v_add3_u32 v71, v71, v74, v75
	v_mul_i32_i24_e32 v74, v1, v185
	v_mul_i32_i24_e32 v75, v72, v191
	s_delay_alu instid0(VALU_DEP_2) | instskip(NEXT) | instid1(VALU_DEP_1)
	v_mad_i32_i24 v74, v20, v182, v74
	v_add3_u32 v74, v74, v75, v76
	v_add_nc_u32_e32 v75, 0x1c00, v102
	ds_load_2addr_b32 v[87:88], v75 offset0:4 offset1:7
	s_wait_dscnt 0x0
	v_bfe_i32 v76, v87, 8, 8
	v_bfe_i32 v78, v87, 0, 8
	;; [unrolled: 1-line block ×3, first 2 shown]
	v_ashrrev_i32_e32 v81, 24, v87
	s_delay_alu instid0(VALU_DEP_4) | instskip(SKIP_1) | instid1(VALU_DEP_4)
	v_mul_i32_i24_e32 v77, v76, v186
	v_mul_i32_i24_e32 v186, v157, v73
	v_mul_i32_i24_e32 v80, v79, v189
	s_delay_alu instid0(VALU_DEP_4)
	v_mul_i32_i24_e32 v82, v81, v188
	v_mul_i32_i24_e32 v83, v81, v192
	v_mad_i32_i24 v77, v78, v184, v77
	v_mul_i32_i24_e32 v157, v157, v81
	v_mul_i32_i24_e32 v73, v170, v73
	;; [unrolled: 1-line block ×3, first 2 shown]
	s_delay_alu instid0(VALU_DEP_4) | instskip(SKIP_2) | instid1(VALU_DEP_2)
	v_add3_u32 v77, v77, v80, v82
	v_mul_i32_i24_e32 v80, v76, v185
	v_mul_i32_i24_e32 v82, v79, v191
	v_mad_i32_i24 v80, v78, v182, v80
	s_delay_alu instid0(VALU_DEP_1)
	v_add3_u32 v80, v80, v82, v83
	v_add_nc_u32_e32 v82, 0x1804, v102
	v_add_nc_u32_e32 v83, 0x1814, v102
	ds_load_2addr_b32 v[184:185], v82 offset1:1
	ds_load_2addr_b32 v[188:189], v83 offset1:1
	ds_load_2addr_b32 v[191:192], v85 offset1:1
	s_wait_dscnt 0x2
	v_bfe_i32 v82, v184, 8, 8
	v_ashrrev_i32_e32 v83, 24, v184
	s_wait_dscnt 0x0
	v_ashrrev_i32_e32 v93, 24, v191
	s_delay_alu instid0(VALU_DEP_3) | instskip(NEXT) | instid1(VALU_DEP_3)
	v_mul_i32_i24_e32 v85, v82, v213
	v_mul_i32_i24_e32 v87, v83, v212
	s_delay_alu instid0(VALU_DEP_3) | instskip(NEXT) | instid1(VALU_DEP_2)
	v_mul_i32_i24_e32 v182, v93, v212
	v_add3_u32 v71, v71, v87, v85
	v_mul_i32_i24_e32 v85, v82, v214
	v_mul_i32_i24_e32 v87, v83, v215
	s_delay_alu instid0(VALU_DEP_1) | instskip(SKIP_1) | instid1(VALU_DEP_1)
	v_add3_u32 v74, v74, v87, v85
	v_bfe_i32 v85, v191, 8, 8
	v_mul_i32_i24_e32 v87, v85, v213
	s_delay_alu instid0(VALU_DEP_1) | instskip(SKIP_2) | instid1(VALU_DEP_1)
	v_add3_u32 v77, v77, v182, v87
	v_mul_i32_i24_e32 v87, v85, v214
	v_mul_i32_i24_e32 v182, v93, v215
	v_add3_u32 v80, v80, v182, v87
	v_mul_i32_i24_e32 v87, v176, v1
	v_mul_i32_i24_e32 v176, v176, v76
	;; [unrolled: 1-line block ×5, first 2 shown]
	v_mad_i32_i24 v87, v160, v20, v87
	v_mad_i32_i24 v160, v160, v78, v176
	v_mul_i32_i24_e32 v76, v187, v76
	v_mul_i32_i24_e32 v72, v166, v72
	v_mad_i32_i24 v1, v172, v20, v1
	v_add3_u32 v87, v87, v182, v186
	v_add3_u32 v153, v160, v153, v157
	v_mad_i32_i24 v20, v172, v78, v76
	v_bfe_i32 v76, v191, 0, 8
	v_bfe_i32 v160, v191, 16, 8
	;; [unrolled: 1-line block ×4, first 2 shown]
	v_add3_u32 v1, v1, v72, v73
	v_mul_i32_i24_e32 v78, v76, v206
	v_mul_i32_i24_e32 v157, v160, v227
	;; [unrolled: 1-line block ×4, first 2 shown]
	v_bfe_i32 v72, v188, 0, 8
	v_ashrrev_i32_e32 v73, 24, v188
	v_add3_u32 v77, v77, v78, v157
	v_mul_i32_i24_e32 v78, v76, v207
	v_mul_i32_i24_e32 v157, v160, v229
	v_add3_u32 v71, v71, v186, v212
	v_mul_i32_i24_e32 v186, v182, v207
	v_mul_i32_i24_e32 v212, v184, v229
	;; [unrolled: 1-line block ×3, first 2 shown]
	v_add3_u32 v78, v80, v78, v157
	v_mul_i32_i24_e32 v80, v83, v156
	v_mul_i32_i24_e32 v157, v82, v173
	v_add3_u32 v74, v74, v186, v212
	v_add3_u32 v20, v20, v79, v81
	v_add_nc_u32_e32 v79, 0x1c14, v102
	v_mul_i32_i24_e32 v82, v82, v178
	v_add3_u32 v80, v87, v80, v157
	v_mul_i32_i24_e32 v87, v72, v236
	v_mul_i32_i24_e32 v157, v73, v235
	v_add_nc_u32_e32 v102, 32, v102
	s_delay_alu instid0(VALU_DEP_2) | instskip(SKIP_2) | instid1(VALU_DEP_1)
	v_add3_u32 v71, v71, v157, v87
	v_mul_i32_i24_e32 v87, v72, v238
	v_mul_i32_i24_e32 v157, v73, v239
	v_add3_u32 v74, v74, v157, v87
	v_mul_i32_i24_e32 v87, v93, v156
	v_mul_i32_i24_e32 v156, v85, v173
	;; [unrolled: 1-line block ×3, first 2 shown]
	s_delay_alu instid0(VALU_DEP_2) | instskip(SKIP_4) | instid1(VALU_DEP_2)
	v_add3_u32 v87, v153, v87, v156
	ds_load_2addr_b32 v[156:157], v79 offset1:1
	s_wait_dscnt 0x0
	v_bfe_i32 v79, v156, 0, 8
	v_ashrrev_i32_e32 v153, 24, v156
	v_mul_i32_i24_e32 v81, v79, v236
	s_delay_alu instid0(VALU_DEP_2) | instskip(NEXT) | instid1(VALU_DEP_1)
	v_mul_i32_i24_e32 v166, v153, v235
	v_add3_u32 v77, v77, v166, v81
	v_mul_i32_i24_e32 v81, v79, v238
	v_mul_i32_i24_e32 v166, v153, v239
	s_delay_alu instid0(VALU_DEP_1) | instskip(SKIP_3) | instid1(VALU_DEP_2)
	v_add3_u32 v78, v78, v166, v81
	v_mul_i32_i24_e32 v81, v182, v150
	v_mul_i32_i24_e32 v166, v184, v145
	v_mul_i32_i24_e32 v145, v160, v145
	v_add3_u32 v80, v80, v81, v166
	v_mul_i32_i24_e32 v81, v83, v165
	s_delay_alu instid0(VALU_DEP_1) | instskip(SKIP_2) | instid1(VALU_DEP_2)
	v_add3_u32 v1, v1, v81, v82
	v_bfe_i32 v81, v188, 8, 8
	v_bfe_i32 v82, v188, 16, 8
	v_mul_i32_i24_e32 v83, v81, v222
	s_delay_alu instid0(VALU_DEP_2) | instskip(NEXT) | instid1(VALU_DEP_1)
	v_mul_i32_i24_e32 v166, v82, v234
	v_add3_u32 v71, v71, v83, v166
	v_mul_i32_i24_e32 v83, v81, v223
	v_mul_i32_i24_e32 v166, v82, v237
	s_delay_alu instid0(VALU_DEP_1) | instskip(SKIP_2) | instid1(VALU_DEP_2)
	v_add3_u32 v74, v74, v83, v166
	v_mul_i32_i24_e32 v83, v76, v150
	v_mul_i32_i24_e32 v76, v76, v163
	v_add3_u32 v83, v87, v83, v145
	v_mul_i32_i24_e32 v87, v93, v165
	v_bfe_i32 v93, v156, 16, 8
	s_delay_alu instid0(VALU_DEP_2) | instskip(SKIP_1) | instid1(VALU_DEP_3)
	v_add3_u32 v20, v20, v87, v85
	v_bfe_i32 v85, v156, 8, 8
	v_mul_i32_i24_e32 v145, v93, v234
	s_delay_alu instid0(VALU_DEP_2) | instskip(NEXT) | instid1(VALU_DEP_1)
	v_mul_i32_i24_e32 v87, v85, v222
	v_add3_u32 v77, v77, v87, v145
	v_mul_i32_i24_e32 v87, v85, v223
	v_mul_i32_i24_e32 v145, v93, v237
	s_delay_alu instid0(VALU_DEP_1)
	v_add3_u32 v78, v78, v87, v145
	v_mul_i32_i24_e32 v87, v72, v146
	v_mul_i32_i24_e32 v145, v73, v143
	;; [unrolled: 1-line block ×6, first 2 shown]
	v_add3_u32 v80, v80, v145, v87
	v_mul_i32_i24_e32 v87, v182, v163
	v_mul_i32_i24_e32 v145, v184, v159
	v_add3_u32 v83, v83, v143, v146
	v_mul_i32_i24_e32 v143, v160, v159
	v_ashrrev_i32_e32 v146, 24, v192
	v_mul_i32_i24_e32 v79, v79, v158
	v_add3_u32 v1, v1, v87, v145
	v_bfe_i32 v87, v185, 8, 8
	v_ashrrev_i32_e32 v145, 24, v185
	v_add3_u32 v20, v20, v76, v143
	v_bfe_i32 v76, v192, 8, 8
	v_add3_u32 v1, v1, v73, v72
	v_mul_i32_i24_e32 v150, v87, v231
	v_mul_i32_i24_e32 v156, v145, v230
	v_bfe_i32 v72, v185, 0, 8
	v_mul_i32_i24_e32 v143, v76, v231
	v_bfe_i32 v73, v185, 16, 8
	s_delay_alu instid0(VALU_DEP_4) | instskip(SKIP_2) | instid1(VALU_DEP_1)
	v_add3_u32 v71, v71, v156, v150
	v_mul_i32_i24_e32 v150, v87, v232
	v_mul_i32_i24_e32 v156, v145, v233
	v_add3_u32 v74, v74, v156, v150
	v_mul_i32_i24_e32 v150, v146, v230
	s_delay_alu instid0(VALU_DEP_1) | instskip(SKIP_2) | instid1(VALU_DEP_1)
	v_add3_u32 v77, v77, v150, v143
	v_mul_i32_i24_e32 v143, v76, v232
	v_mul_i32_i24_e32 v150, v146, v233
	v_add3_u32 v78, v78, v150, v143
	v_mul_i32_i24_e32 v143, v82, v134
	v_mul_i32_i24_e32 v150, v81, v175
	;; [unrolled: 1-line block ×6, first 2 shown]
	v_add3_u32 v80, v80, v150, v143
	v_mul_i32_i24_e32 v143, v72, v216
	v_mul_i32_i24_e32 v150, v73, v226
	v_add3_u32 v1, v1, v81, v82
	v_bfe_i32 v81, v189, 0, 8
	v_ashrrev_i32_e32 v82, 24, v189
	s_delay_alu instid0(VALU_DEP_4) | instskip(SKIP_2) | instid1(VALU_DEP_1)
	v_add3_u32 v71, v71, v143, v150
	v_mul_i32_i24_e32 v143, v72, v218
	v_mul_i32_i24_e32 v150, v73, v228
	v_add3_u32 v74, v74, v143, v150
	v_mul_i32_i24_e32 v143, v85, v175
	v_mul_i32_i24_e32 v85, v85, v174
	s_delay_alu instid0(VALU_DEP_2) | instskip(SKIP_1) | instid1(VALU_DEP_1)
	v_add3_u32 v83, v83, v143, v134
	v_mul_i32_i24_e32 v134, v153, v161
	v_add3_u32 v20, v20, v134, v79
	v_bfe_i32 v79, v192, 0, 8
	v_bfe_i32 v134, v192, 16, 8
	s_delay_alu instid0(VALU_DEP_3) | instskip(NEXT) | instid1(VALU_DEP_3)
	v_add3_u32 v20, v20, v85, v93
	v_mul_i32_i24_e32 v143, v79, v216
	s_delay_alu instid0(VALU_DEP_3) | instskip(SKIP_1) | instid1(VALU_DEP_2)
	v_mul_i32_i24_e32 v150, v134, v226
	v_bfe_i32 v85, v157, 0, 8
	v_add3_u32 v77, v77, v143, v150
	v_mul_i32_i24_e32 v143, v79, v218
	v_mul_i32_i24_e32 v150, v134, v228
	s_delay_alu instid0(VALU_DEP_4) | instskip(NEXT) | instid1(VALU_DEP_2)
	v_mul_i32_i24_e32 v93, v85, v221
	v_add3_u32 v78, v78, v143, v150
	v_mul_i32_i24_e32 v143, v145, v135
	v_mul_i32_i24_e32 v150, v87, v171
	;; [unrolled: 1-line block ×4, first 2 shown]
	s_delay_alu instid0(VALU_DEP_3) | instskip(SKIP_2) | instid1(VALU_DEP_1)
	v_add3_u32 v80, v80, v143, v150
	v_mul_i32_i24_e32 v143, v81, v221
	v_mul_i32_i24_e32 v150, v82, v220
	v_add3_u32 v71, v71, v150, v143
	v_mul_i32_i24_e32 v143, v81, v224
	v_mul_i32_i24_e32 v150, v82, v225
	s_delay_alu instid0(VALU_DEP_1) | instskip(SKIP_2) | instid1(VALU_DEP_2)
	v_add3_u32 v74, v74, v150, v143
	v_mul_i32_i24_e32 v143, v76, v171
	v_mul_i32_i24_e32 v76, v76, v177
	v_add3_u32 v83, v83, v135, v143
	v_ashrrev_i32_e32 v135, 24, v157
	s_delay_alu instid0(VALU_DEP_1) | instskip(NEXT) | instid1(VALU_DEP_1)
	v_mul_i32_i24_e32 v143, v135, v220
	v_add3_u32 v77, v77, v143, v93
	v_mul_i32_i24_e32 v93, v85, v224
	v_mul_i32_i24_e32 v143, v135, v225
	s_delay_alu instid0(VALU_DEP_1)
	v_add3_u32 v78, v78, v143, v93
	v_mul_i32_i24_e32 v93, v72, v132
	v_mul_i32_i24_e32 v143, v73, v131
	;; [unrolled: 1-line block ×6, first 2 shown]
	v_add3_u32 v80, v80, v93, v143
	v_mul_i32_i24_e32 v93, v145, v151
	v_add3_u32 v83, v83, v132, v131
	v_mul_i32_i24_e32 v131, v146, v151
	v_mul_i32_i24_e32 v79, v79, v144
	s_delay_alu instid0(VALU_DEP_4)
	v_add3_u32 v1, v1, v93, v87
	v_bfe_i32 v87, v189, 8, 8
	v_bfe_i32 v93, v189, 16, 8
	v_add3_u32 v20, v20, v131, v76
	v_bfe_i32 v76, v157, 8, 8
	v_add3_u32 v1, v1, v72, v73
	v_mul_i32_i24_e32 v143, v87, v203
	v_mul_i32_i24_e32 v145, v93, v217
	s_delay_alu instid0(VALU_DEP_4) | instskip(NEXT) | instid1(VALU_DEP_2)
	v_mul_i32_i24_e32 v131, v76, v203
	v_add3_u32 v71, v71, v143, v145
	v_mul_i32_i24_e32 v143, v87, v205
	v_mul_i32_i24_e32 v145, v93, v219
	s_delay_alu instid0(VALU_DEP_1) | instskip(SKIP_1) | instid1(VALU_DEP_1)
	v_add3_u32 v74, v74, v143, v145
	v_bfe_i32 v143, v157, 16, 8
	v_mul_i32_i24_e32 v132, v143, v217
	s_delay_alu instid0(VALU_DEP_1) | instskip(SKIP_2) | instid1(VALU_DEP_1)
	v_add3_u32 v77, v77, v131, v132
	v_mul_i32_i24_e32 v131, v76, v205
	v_mul_i32_i24_e32 v132, v143, v219
	v_add3_u32 v78, v78, v131, v132
	v_mul_i32_i24_e32 v131, v81, v128
	v_mul_i32_i24_e32 v132, v82, v127
	;; [unrolled: 1-line block ×3, first 2 shown]
	s_delay_alu instid0(VALU_DEP_2) | instskip(SKIP_4) | instid1(VALU_DEP_2)
	v_add3_u32 v80, v80, v132, v131
	ds_load_2addr_b32 v[131:132], v0 offset1:3
	s_wait_dscnt 0x0
	v_bfe_i32 v0, v132, 8, 8
	v_ashrrev_i32_e32 v72, 24, v132
	v_mul_i32_i24_e32 v73, v0, v209
	s_delay_alu instid0(VALU_DEP_2) | instskip(NEXT) | instid1(VALU_DEP_1)
	v_mul_i32_i24_e32 v145, v72, v208
	v_add3_u32 v71, v71, v145, v73
	v_mul_i32_i24_e32 v73, v0, v210
	v_mul_i32_i24_e32 v145, v72, v211
	s_delay_alu instid0(VALU_DEP_1) | instskip(SKIP_1) | instid1(VALU_DEP_1)
	v_add3_u32 v73, v74, v145, v73
	v_mul_i32_i24_e32 v74, v85, v128
	v_add3_u32 v74, v83, v127, v74
	ds_load_2addr_b32 v[127:128], v75 offset1:3
	v_mul_i32_i24_e32 v83, v134, v139
	s_delay_alu instid0(VALU_DEP_1) | instskip(SKIP_3) | instid1(VALU_DEP_2)
	v_add3_u32 v20, v20, v79, v83
	s_wait_dscnt 0x0
	v_bfe_i32 v75, v128, 8, 8
	v_ashrrev_i32_e32 v83, 24, v128
	v_mul_i32_i24_e32 v79, v75, v209
	s_delay_alu instid0(VALU_DEP_2) | instskip(NEXT) | instid1(VALU_DEP_1)
	v_mul_i32_i24_e32 v134, v83, v208
	v_add3_u32 v77, v77, v134, v79
	v_mul_i32_i24_e32 v79, v75, v210
	v_mul_i32_i24_e32 v134, v83, v211
	s_delay_alu instid0(VALU_DEP_1) | instskip(SKIP_3) | instid1(VALU_DEP_2)
	v_add3_u32 v78, v78, v134, v79
	v_mul_i32_i24_e32 v79, v93, v121
	v_mul_i32_i24_e32 v134, v87, v168
	;; [unrolled: 1-line block ×3, first 2 shown]
	v_add3_u32 v79, v80, v134, v79
	v_mul_i32_i24_e32 v80, v81, v155
	v_mul_i32_i24_e32 v81, v82, v154
	s_delay_alu instid0(VALU_DEP_1) | instskip(SKIP_2) | instid1(VALU_DEP_2)
	v_add3_u32 v1, v1, v81, v80
	v_bfe_i32 v80, v132, 0, 8
	v_bfe_i32 v81, v132, 16, 8
	v_mul_i32_i24_e32 v82, v80, v195
	s_delay_alu instid0(VALU_DEP_2) | instskip(NEXT) | instid1(VALU_DEP_1)
	v_mul_i32_i24_e32 v132, v81, v202
	v_add3_u32 v71, v71, v82, v132
	v_mul_i32_i24_e32 v82, v80, v196
	v_mul_i32_i24_e32 v132, v81, v204
	s_delay_alu instid0(VALU_DEP_1) | instskip(SKIP_3) | instid1(VALU_DEP_2)
	v_add3_u32 v73, v73, v82, v132
	v_mul_i32_i24_e32 v82, v143, v121
	v_mul_i32_i24_e32 v121, v76, v168
	;; [unrolled: 1-line block ×3, first 2 shown]
	v_add3_u32 v74, v74, v121, v82
	v_mul_i32_i24_e32 v82, v85, v155
	v_mul_i32_i24_e32 v85, v135, v154
	v_bfe_i32 v121, v128, 16, 8
	s_delay_alu instid0(VALU_DEP_2) | instskip(SKIP_1) | instid1(VALU_DEP_3)
	v_add3_u32 v20, v20, v85, v82
	v_bfe_i32 v82, v128, 0, 8
	v_mul_i32_i24_e32 v128, v121, v202
	s_delay_alu instid0(VALU_DEP_2) | instskip(NEXT) | instid1(VALU_DEP_1)
	v_mul_i32_i24_e32 v85, v82, v195
	v_add3_u32 v77, v77, v85, v128
	v_mul_i32_i24_e32 v85, v82, v196
	v_mul_i32_i24_e32 v128, v121, v204
	s_delay_alu instid0(VALU_DEP_1) | instskip(SKIP_4) | instid1(VALU_DEP_3)
	v_add3_u32 v78, v78, v85, v128
	v_mul_i32_i24_e32 v85, v72, v140
	v_mul_i32_i24_e32 v128, v0, v164
	;; [unrolled: 1-line block ×4, first 2 shown]
	v_add3_u32 v79, v79, v85, v128
	v_mul_i32_i24_e32 v85, v93, v149
	s_delay_alu instid0(VALU_DEP_1) | instskip(SKIP_2) | instid1(VALU_DEP_3)
	v_add3_u32 v1, v1, v87, v85
	v_bfe_i32 v85, v86, 0, 8
	v_ashrrev_i32_e32 v87, 24, v86
	v_add3_u32 v0, v1, v72, v0
	s_delay_alu instid0(VALU_DEP_3) | instskip(NEXT) | instid1(VALU_DEP_3)
	v_mul_i32_i24_e32 v93, v85, v199
	v_mul_i32_i24_e32 v128, v87, v198
	v_bfe_i32 v1, v86, 8, 8
	v_bfe_i32 v72, v86, 16, 8
	s_delay_alu instid0(VALU_DEP_3) | instskip(SKIP_3) | instid1(VALU_DEP_2)
	v_add3_u32 v71, v71, v128, v93
	v_mul_i32_i24_e32 v93, v85, v200
	v_mul_i32_i24_e32 v128, v87, v201
	;; [unrolled: 1-line block ×3, first 2 shown]
	v_add3_u32 v73, v73, v128, v93
	v_mul_i32_i24_e32 v93, v83, v140
	v_mul_i32_i24_e32 v128, v75, v164
	;; [unrolled: 1-line block ×4, first 2 shown]
	s_delay_alu instid0(VALU_DEP_3) | instskip(SKIP_2) | instid1(VALU_DEP_2)
	v_add3_u32 v74, v74, v93, v128
	v_mul_i32_i24_e32 v93, v143, v149
	v_ashrrev_i32_e32 v128, 24, v88
	v_add3_u32 v20, v20, v76, v93
	v_bfe_i32 v76, v88, 0, 8
	s_delay_alu instid0(VALU_DEP_3) | instskip(NEXT) | instid1(VALU_DEP_3)
	v_mul_i32_i24_e32 v132, v128, v198
	v_add3_u32 v20, v20, v83, v75
	s_delay_alu instid0(VALU_DEP_3) | instskip(SKIP_2) | instid1(VALU_DEP_3)
	v_mul_i32_i24_e32 v93, v76, v199
	v_bfe_i32 v75, v88, 8, 8
	v_bfe_i32 v83, v88, 16, 8
	v_add3_u32 v77, v77, v132, v93
	v_mul_i32_i24_e32 v93, v76, v200
	v_mul_i32_i24_e32 v132, v128, v201
	s_delay_alu instid0(VALU_DEP_4) | instskip(NEXT) | instid1(VALU_DEP_2)
	v_mul_i32_i24_e32 v88, v83, v194
	v_add3_u32 v78, v78, v132, v93
	v_mul_i32_i24_e32 v93, v80, v136
	v_mul_i32_i24_e32 v132, v81, v133
	v_mul_i32_i24_e32 v80, v80, v137
	v_mul_i32_i24_e32 v81, v81, v138
	s_delay_alu instid0(VALU_DEP_3) | instskip(SKIP_1) | instid1(VALU_DEP_3)
	v_add3_u32 v79, v79, v93, v132
	v_mul_i32_i24_e32 v93, v72, v194
	v_add3_u32 v0, v0, v80, v81
	v_bfe_i32 v80, v131, 0, 8
	v_bfe_i32 v81, v131, 8, 8
	s_delay_alu instid0(VALU_DEP_4) | instskip(SKIP_2) | instid1(VALU_DEP_1)
	v_add3_u32 v71, v71, v86, v93
	v_mul_i32_i24_e32 v86, v1, v193
	v_mul_i32_i24_e32 v93, v72, v197
	v_add3_u32 v73, v73, v86, v93
	v_mul_i32_i24_e32 v86, v82, v136
	v_mul_i32_i24_e32 v93, v121, v133
	;; [unrolled: 1-line block ×3, first 2 shown]
	s_delay_alu instid0(VALU_DEP_2) | instskip(SKIP_1) | instid1(VALU_DEP_1)
	v_add3_u32 v74, v74, v86, v93
	v_mul_i32_i24_e32 v86, v75, v190
	v_add3_u32 v77, v77, v86, v88
	v_mul_i32_i24_e32 v86, v75, v193
	v_mul_i32_i24_e32 v88, v83, v197
	s_delay_alu instid0(VALU_DEP_1) | instskip(SKIP_3) | instid1(VALU_DEP_2)
	v_add3_u32 v78, v78, v86, v88
	v_mul_i32_i24_e32 v86, v85, v130
	v_mul_i32_i24_e32 v88, v87, v129
	;; [unrolled: 1-line block ×3, first 2 shown]
	v_add3_u32 v79, v79, v88, v86
	v_mul_i32_i24_e32 v86, v80, v116
	v_mul_i32_i24_e32 v88, v81, v115
	s_delay_alu instid0(VALU_DEP_1) | instskip(SKIP_2) | instid1(VALU_DEP_1)
	v_add3_u32 v71, v71, v86, v88
	v_mul_i32_i24_e32 v86, v80, v119
	v_mul_i32_i24_e32 v88, v81, v120
	v_add3_u32 v73, v73, v86, v88
	v_mul_i32_i24_e32 v86, v76, v130
	v_mul_i32_i24_e32 v88, v128, v129
	;; [unrolled: 1-line block ×3, first 2 shown]
	s_delay_alu instid0(VALU_DEP_2) | instskip(SKIP_2) | instid1(VALU_DEP_2)
	v_add3_u32 v74, v74, v88, v86
	v_mul_i32_i24_e32 v86, v121, v138
	v_bfe_i32 v88, v127, 8, 8
	v_add3_u32 v20, v20, v82, v86
	v_bfe_i32 v82, v127, 0, 8
	s_delay_alu instid0(VALU_DEP_3) | instskip(NEXT) | instid1(VALU_DEP_2)
	v_mul_i32_i24_e32 v93, v88, v115
	v_mul_i32_i24_e32 v86, v82, v116
	s_delay_alu instid0(VALU_DEP_1) | instskip(SKIP_2) | instid1(VALU_DEP_1)
	v_add3_u32 v77, v77, v86, v93
	v_mul_i32_i24_e32 v86, v82, v119
	v_mul_i32_i24_e32 v93, v88, v120
	v_add3_u32 v78, v78, v86, v93
	v_mul_i32_i24_e32 v86, v72, v126
	v_mul_i32_i24_e32 v93, v1, v162
	;; [unrolled: 1-line block ×5, first 2 shown]
	s_delay_alu instid0(VALU_DEP_4) | instskip(SKIP_1) | instid1(VALU_DEP_1)
	v_add3_u32 v79, v79, v93, v86
	v_mul_i32_i24_e32 v86, v87, v148
	v_add3_u32 v0, v0, v86, v85
	v_bfe_i32 v85, v131, 16, 8
	v_ashrrev_i32_e32 v86, 24, v131
	s_delay_alu instid0(VALU_DEP_3) | instskip(NEXT) | instid1(VALU_DEP_3)
	v_add3_u32 v0, v0, v1, v72
	v_mul_i32_i24_e32 v87, v85, v113
	s_delay_alu instid0(VALU_DEP_3) | instskip(SKIP_2) | instid1(VALU_DEP_3)
	v_mul_i32_i24_e32 v93, v86, v114
	v_mul_i32_i24_e32 v1, v112, v82
	;; [unrolled: 1-line block ×3, first 2 shown]
	v_add3_u32 v71, v71, v87, v93
	v_mul_i32_i24_e32 v87, v85, v117
	v_mul_i32_i24_e32 v93, v86, v118
	s_delay_alu instid0(VALU_DEP_3) | instskip(NEXT) | instid1(VALU_DEP_2)
	v_cvt_f32_i32_e32 v71, v71
	v_add3_u32 v73, v73, v87, v93
	v_mul_i32_i24_e32 v87, v83, v126
	v_mul_i32_i24_e32 v93, v75, v162
	s_delay_alu instid0(VALU_DEP_3) | instskip(NEXT) | instid1(VALU_DEP_2)
	v_cvt_f32_i32_e32 v73, v73
	v_add3_u32 v74, v74, v93, v87
	v_mul_i32_i24_e32 v87, v128, v148
	s_delay_alu instid0(VALU_DEP_1) | instskip(SKIP_2) | instid1(VALU_DEP_2)
	v_add3_u32 v20, v20, v87, v76
	v_bfe_i32 v76, v127, 16, 8
	v_ashrrev_i32_e32 v87, 24, v127
	v_mul_i32_i24_e32 v93, v76, v113
	s_delay_alu instid0(VALU_DEP_2) | instskip(NEXT) | instid1(VALU_DEP_1)
	v_mul_i32_i24_e32 v113, v87, v114
	v_add3_u32 v77, v77, v93, v113
	v_mul_i32_i24_e32 v93, v76, v117
	v_mul_i32_i24_e32 v113, v87, v118
	s_delay_alu instid0(VALU_DEP_1) | instskip(SKIP_3) | instid1(VALU_DEP_4)
	v_add3_u32 v78, v78, v93, v113
	v_mul_i32_i24_e32 v113, v4, v81
	v_mul_i32_i24_e32 v4, v4, v88
	;; [unrolled: 1-line block ×3, first 2 shown]
	v_cvt_f32_i32_e32 v75, v78
	s_delay_alu instid0(VALU_DEP_3) | instskip(SKIP_1) | instid1(VALU_DEP_4)
	v_add3_u32 v1, v74, v1, v4
	v_mul_i32_i24_e32 v4, v83, v142
	v_add3_u32 v79, v79, v93, v113
	s_delay_alu instid0(VALU_DEP_2) | instskip(SKIP_2) | instid1(VALU_DEP_1)
	v_add3_u32 v4, v20, v5, v4
	v_mul_i32_i24_e32 v5, v110, v85
	v_mul_i32_i24_e32 v20, v111, v86
	v_add3_u32 v20, v79, v5, v20
	v_mul_i32_i24_e32 v5, v124, v80
	s_delay_alu instid0(VALU_DEP_2) | instskip(NEXT) | instid1(VALU_DEP_2)
	v_cvt_f32_i32_e32 v20, v20
	v_add3_u32 v0, v0, v5, v72
	v_mul_i32_i24_e32 v5, v110, v76
	v_mul_i32_i24_e32 v72, v111, v87
	s_delay_alu instid0(VALU_DEP_1) | instskip(SKIP_2) | instid1(VALU_DEP_3)
	v_add3_u32 v1, v1, v5, v72
	v_mul_i32_i24_e32 v5, v124, v82
	v_mul_i32_i24_e32 v72, v125, v88
	v_cvt_f32_i32_e32 v1, v1
	s_delay_alu instid0(VALU_DEP_2) | instskip(SKIP_2) | instid1(VALU_DEP_1)
	v_add3_u32 v4, v4, v5, v72
	v_mul_i32_i24_e32 v5, v122, v85
	v_mul_i32_i24_e32 v72, v123, v86
	v_add3_u32 v0, v0, v5, v72
	v_mul_i32_i24_e32 v5, v122, v76
	v_mul_i32_i24_e32 v72, v123, v87
	s_delay_alu instid0(VALU_DEP_3) | instskip(NEXT) | instid1(VALU_DEP_2)
	v_cvt_f32_i32_e32 v0, v0
	v_add3_u32 v72, v4, v5, v72
	ds_load_2addr_b32 v[4:5], v103 offset0:192 offset1:224
	v_add_nc_u32_e32 v103, 4, v103
	v_cvt_f32_i32_e32 v72, v72
	s_wait_dscnt 0x0
	v_lshrrev_b32_e32 v74, 16, v4
	s_delay_alu instid0(VALU_DEP_1) | instskip(NEXT) | instid1(VALU_DEP_1)
	v_cvt_f32_f16_e32 v74, v74
	v_mul_f32_e32 v74, 0x41000000, v74
	s_delay_alu instid0(VALU_DEP_1)
	v_fma_mix_f32 v71, v4, v71, -v74 op_sel_hi:[1,0,0]
	v_fma_mix_f32 v73, v4, v73, -v74 op_sel_hi:[1,0,0]
	;; [unrolled: 1-line block ×4, first 2 shown]
	v_lshrrev_b32_e32 v4, 16, v5
	v_cvt_f32_i32_e32 v74, v77
	s_delay_alu instid0(VALU_DEP_3) | instskip(NEXT) | instid1(VALU_DEP_3)
	v_fmac_f32_e32 v16, v109, v0
	v_cvt_f32_f16_e32 v4, v4
	s_delay_alu instid0(VALU_DEP_1) | instskip(NEXT) | instid1(VALU_DEP_1)
	v_mul_f32_e32 v4, 0x41000000, v4
	v_fma_mix_f32 v74, v5, v74, -v4 op_sel_hi:[1,0,0]
	v_fma_mix_f32 v75, v5, v75, -v4 op_sel_hi:[1,0,0]
	;; [unrolled: 1-line block ×4, first 2 shown]
	ds_load_b32 v5, v106
	v_add_nc_u32_e32 v106, 4, v106
	v_fmac_f32_e32 v12, v109, v4
	s_wait_dscnt 0x0
	v_fmac_f32_e32 v49, v5, v181
	v_fmac_f32_e32 v35, v5, v245
	;; [unrolled: 1-line block ×8, first 2 shown]
	ds_load_b32 v5, v107
	s_wait_dscnt 0x0
	v_dual_fmac_f32 v48, v5, v9 :: v_dual_add_nc_u32 v107, 4, v107
	v_fmac_f32_e32 v34, v5, v243
	v_fmac_f32_e32 v29, v5, v246
	;; [unrolled: 1-line block ×7, first 2 shown]
	ds_load_b32 v5, v104
	s_wait_dscnt 0x0
	v_dual_fmac_f32 v33, v5, v7 :: v_dual_add_nc_u32 v104, 4, v104
	v_fmac_f32_e32 v47, v5, v179
	v_fmac_f32_e32 v37, v5, v241
	;; [unrolled: 1-line block ×7, first 2 shown]
	s_cbranch_scc1 .LBB117_8
; %bb.9:                                ;   in Loop: Header=BB117_6 Depth=1
	s_and_b32 s12, s5, -4
	s_wait_loadcnt 0x0
	s_wait_alu 0xfffe
	s_cmp_eq_u32 s12, 4
	s_barrier_signal -1
	s_barrier_wait -1
	global_inv scope:SCOPE_SE
	s_cbranch_scc1 .LBB117_5
; %bb.10:                               ;   in Loop: Header=BB117_6 Depth=1
	s_clause 0x3
	scratch_load_b32 v0, off, off offset:72
	scratch_load_b32 v1, off, off offset:4
	;; [unrolled: 1-line block ×4, first 2 shown]
	s_mov_b32 s12, 12
	s_wait_loadcnt 0x3
	v_add_nc_u32_e32 v0, s10, v0
	s_wait_loadcnt 0x1
	s_delay_alu instid0(VALU_DEP_1)
	v_add_nc_u32_e32 v6, v0, v4
	scratch_load_b32 v4, off, off offset:12 ; 4-byte Folded Reload
	v_add_nc_u32_e32 v1, v0, v1
	v_mad_co_i64_i32 v[6:7], null, v6, 36, v[2:3]
	s_wait_loadcnt 0x0
	v_add_nc_u32_e32 v8, v0, v4
	scratch_load_b32 v4, off, off offset:16 ; 4-byte Folded Reload
	v_mad_co_i64_i32 v[8:9], null, v8, 36, v[2:3]
	s_wait_loadcnt 0x0
	v_add_nc_u32_e32 v20, v0, v4
	v_mad_co_i64_i32 v[4:5], null, v1, 36, v[2:3]
	scratch_load_b32 v1, off, off offset:20 ; 4-byte Folded Reload
	v_mad_co_i64_i32 v[85:86], null, v20, 36, v[2:3]
	scratch_load_b32 v20, off, off offset:32 ; 4-byte Folded Reload
	s_wait_loadcnt 0x1
	v_add_nc_u32_e32 v1, v0, v1
	s_wait_loadcnt 0x0
	v_add_nc_u32_e32 v20, v0, v20
	s_delay_alu instid0(VALU_DEP_2) | instskip(SKIP_3) | instid1(VALU_DEP_1)
	v_mad_co_i64_i32 v[87:88], null, v1, 36, v[2:3]
	scratch_load_b32 v1, off, off offset:24 ; 4-byte Folded Reload
	v_mad_co_i64_i32 v[102:103], null, v20, 36, v[2:3]
	v_add_nc_u32_e32 v20, 4, v101
	v_mad_co_u64_u32 v[108:109], null, v20, 36, s[2:3]
	s_wait_loadcnt 0x0
	v_add_nc_u32_e32 v1, v0, v1
	v_add_nc_u32_e32 v0, v0, v25
	s_delay_alu instid0(VALU_DEP_2) | instskip(NEXT) | instid1(VALU_DEP_2)
	v_mad_co_i64_i32 v[104:105], null, v1, 36, v[2:3]
	v_mad_co_i64_i32 v[106:107], null, v0, 36, v[2:3]
	s_clause 0x8
	global_load_b32 v0, v[102:103], off offset:4
	global_load_b32 v1, v[4:5], off offset:4
	;; [unrolled: 1-line block ×8, first 2 shown]
	global_load_b32 v20, v[108:109], off
	s_clause 0x4
	scratch_load_b32 v101, off, off offset:36
	scratch_load_b32 v103, off, off offset:88
	;; [unrolled: 1-line block ×5, first 2 shown]
	v_mov_b32_e32 v102, v84
	v_mad_u32_u24 v107, 0x84, v21, 64
	s_wait_loadcnt 0xd
	ds_store_b32 v100, v0
	scratch_load_b32 v0, off, off offset:40 ; 4-byte Folded Reload
	s_wait_loadcnt 0x0
	ds_store_b32 v0, v1
	ds_store_b32 v94, v4
	;; [unrolled: 1-line block ×7, first 2 shown]
	scratch_load_b32 v0, off, off           ; 4-byte Folded Reload
	s_wait_loadcnt 0x0
	ds_store_b32 v0, v20
	s_wait_dscnt 0x0
	s_barrier_signal -1
	s_barrier_wait -1
	global_inv scope:SCOPE_SE
.LBB117_11:                             ;   Parent Loop BB117_6 Depth=1
                                        ; =>  This Inner Loop Header: Depth=2
	ds_load_2addr_b32 v[4:5], v102 offset0:4 offset1:7
	ds_load_2addr_b32 v[85:86], v107 offset1:1
	ds_load_2addr_b32 v[87:88], v102 offset1:3
	ds_load_b32 v108, v104
	ds_load_2addr_b32 v[140:141], v102 offset0:1 offset1:2
	ds_load_2addr_b32 v[166:167], v102 offset0:5 offset1:6
	;; [unrolled: 1-line block ×3, first 2 shown]
	v_add_nc_u32_e32 v136, 0x400, v102
	v_add_nc_u32_e32 v104, 4, v104
	s_wait_alu 0xfffe
	s_add_co_i32 s12, s12, 4
	s_wait_alu 0xfffe
	s_cmp_lt_u32 s12, 28
	s_wait_dscnt 0x6
	v_bfe_i32 v0, v4, 16, 8
	s_wait_dscnt 0x5
	v_bfe_u32 v152, v85, 20, 4
	s_wait_dscnt 0x4
	v_bfe_i32 v1, v87, 16, 8
	v_bfe_u32 v109, v85, 16, 4
	s_wait_dscnt 0x2
	v_bfe_i32 v20, v140, 16, 8
	v_bfe_u32 v144, v86, 16, 4
	v_mul_i32_i24_e32 v6, v152, v0
	s_wait_dscnt 0x1
	v_bfe_i32 v25, v166, 16, 8
	v_bfe_u32 v133, v86, 20, 4
	v_lshrrev_b32_e32 v156, 28, v85
	v_mul_i32_i24_e32 v7, v20, v144
	v_mad_i32_i24 v6, v109, v1, v6
	v_ashrrev_i32_e32 v44, 24, v4
	v_mul_i32_i24_e32 v8, v25, v133
	v_bfe_u32 v110, v85, 24, 4
	v_ashrrev_i32_e32 v68, 24, v87
	v_bfe_u32 v155, v86, 24, 4
	v_lshrrev_b32_e32 v142, 28, v86
	v_add3_u32 v6, v6, v7, v8
	v_mul_i32_i24_e32 v7, v156, v44
	v_ashrrev_i32_e32 v71, 24, v140
	v_ashrrev_i32_e32 v72, 24, v166
	v_bfe_i32 v73, v4, 0, 8
	v_bfe_u32 v159, v85, 4, 4
	v_mad_i32_i24 v7, v110, v68, v7
	v_mul_i32_i24_e32 v8, v71, v155
	v_mul_i32_i24_e32 v9, v72, v142
	v_bfe_i32 v74, v87, 0, 8
	v_and_b32_e32 v111, 15, v85
	v_bfe_i32 v75, v140, 0, 8
	v_and_b32_e32 v149, 15, v86
	v_add3_u32 v7, v7, v8, v9
	v_mul_i32_i24_e32 v8, v159, v73
	v_bfe_i32 v76, v166, 0, 8
	v_bfe_u32 v145, v86, 4, 4
	v_mul_i32_i24_e32 v9, v75, v149
	s_wait_dscnt 0x0
	v_bfe_u32 v134, v179, 24, 4
	v_mad_i32_i24 v8, v111, v74, v8
	v_lshrrev_b32_e32 v126, 28, v179
	v_mul_i32_i24_e32 v77, v76, v145
	v_ashrrev_i32_e32 v178, 24, v167
	v_bfe_i32 v79, v141, 16, 8
	v_bfe_u32 v130, v179, 16, 4
	v_bfe_i32 v80, v167, 16, 8
	v_add3_u32 v8, v8, v9, v77
	v_ashrrev_i32_e32 v77, 24, v141
	v_mul_i32_i24_e32 v78, v178, v126
	v_bfe_u32 v120, v179, 20, 4
	v_bfe_i32 v82, v141, 0, 8
	v_and_b32_e32 v131, 15, v179
	v_mul_i32_i24_e32 v9, v77, v134
	v_bfe_i32 v83, v167, 0, 8
	v_bfe_u32 v127, v179, 4, 4
	v_lshrrev_b16 v4, 8, v4
	v_bfe_i32 v239, v88, 16, 8
	v_add3_u32 v78, v7, v9, v78
	v_mul_i32_i24_e32 v7, v79, v130
	v_mul_i32_i24_e32 v9, v80, v120
	v_bfe_i32 v205, v4, 0, 8
	v_and_b32_e32 v4, 0xf0f0f0f, v86
	v_bfe_u32 v132, v180, 16, 4
	v_bfe_i32 v240, v5, 16, 8
	v_add3_u32 v81, v6, v7, v9
	v_mul_i32_i24_e32 v6, v82, v131
	v_mul_i32_i24_e32 v7, v83, v127
	v_bfe_u32 v139, v180, 24, 4
	v_lshrrev_b32_e32 v128, 28, v180
	v_ashrrev_i32_e32 v241, 24, v88
	v_ashrrev_i32_e32 v242, 24, v5
	v_add3_u32 v93, v8, v6, v7
	v_lshrrev_b16 v6, 8, v87
	v_add_nc_u32_e32 v7, 0x2108, v107
	v_add_nc_u32_e32 v8, 0x1088, v107
	v_bfe_i32 v243, v88, 0, 8
	v_and_b32_e32 v135, 15, v180
	v_bfe_i32 v87, v6, 0, 8
	v_add_nc_u32_e32 v6, 0x2100, v107
	ds_load_2addr_b32 v[191:192], v6 offset1:1
	ds_load_2addr_b32 v[6:7], v7 offset1:1
	;; [unrolled: 1-line block ×3, first 2 shown]
	v_bfe_i32 v244, v5, 0, 8
	v_bfe_u32 v129, v180, 4, 4
	v_lshrrev_b32_e32 v86, 4, v86
	v_bfe_i32 v218, v141, 8, 8
	v_and_b32_e32 v141, 0xf0f0f0f, v179
	v_bfe_i32 v254, v167, 8, 8
	v_and_b32_e32 v167, 0xf0f0f0f, v180
	v_lshrrev_b16 v86, 8, v86
	v_bfe_i32 v88, v88, 8, 8
	v_lshrrev_b16 v141, 8, v141
	s_delay_alu instid0(VALU_DEP_4) | instskip(NEXT) | instid1(VALU_DEP_4)
	v_lshrrev_b16 v167, 8, v167
	v_and_b32_e32 v86, 15, v86
	s_wait_dscnt 0x2
	v_and_b32_e32 v115, 15, v191
	v_bfe_u32 v114, v191, 8, 4
	v_bfe_u32 v112, v191, 16, 4
	;; [unrolled: 1-line block ×3, first 2 shown]
	s_wait_dscnt 0x0
	v_bfe_u32 v138, v193, 16, 4
	v_mul_i32_i24_e32 v8, v74, v115
	v_and_b32_e32 v143, 15, v193
	v_mul_i32_i24_e32 v9, v1, v112
	v_mul_i32_i24_e32 v116, v68, v113
	v_bfe_u32 v150, v193, 24, 4
	v_mad_i32_i24 v8, v87, v114, v8
	v_bfe_u32 v183, v191, 4, 4
	v_bfe_u32 v185, v191, 12, 4
	v_lshrrev_b32_e32 v153, 28, v193
	v_bfe_u32 v154, v193, 4, 4
	v_add3_u32 v121, v8, v9, v116
	v_add_nc_u32_e32 v8, 0x3180, v107
	v_add_nc_u32_e32 v9, 0x3188, v107
	;; [unrolled: 1-line block ×3, first 2 shown]
	ds_load_2addr_b32 v[195:196], v8 offset1:1
	ds_load_2addr_b32 v[8:9], v9 offset1:1
	;; [unrolled: 1-line block ×3, first 2 shown]
	ds_load_2addr_b32 v[188:189], v136 offset0:4 offset1:7
	ds_load_2addr_b32 v[201:202], v136 offset1:3
	v_lshrrev_b32_e32 v187, 28, v191
	v_bfe_u32 v226, v192, 16, 4
	v_bfe_u32 v235, v192, 4, 4
	v_lshrrev_b32_e32 v234, 28, v192
	v_bfe_u32 v233, v192, 20, 4
	v_bfe_u32 v230, v6, 8, 4
	;; [unrolled: 1-line block ×4, first 2 shown]
	s_wait_dscnt 0x4
	v_and_b32_e32 v118, 15, v195
	v_bfe_u32 v119, v195, 8, 4
	v_bfe_u32 v117, v195, 24, 4
	s_wait_dscnt 0x2
	v_bfe_i32 v168, v197, 16, 8
	s_wait_dscnt 0x1
	v_bfe_i32 v161, v188, 16, 8
	v_mul_i32_i24_e32 v116, v74, v118
	v_bfe_i32 v203, v198, 16, 8
	v_mul_i32_i24_e32 v124, v68, v117
	v_bfe_i32 v204, v197, 0, 8
	v_bfe_i32 v173, v188, 0, 8
	v_mad_i32_i24 v122, v87, v119, v116
	v_bfe_u32 v116, v195, 16, 4
	v_mul_i32_i24_e32 v125, v203, v138
	v_bfe_i32 v208, v198, 0, 8
	v_ashrrev_i32_e32 v176, 24, v197
	v_ashrrev_i32_e32 v177, 24, v188
	v_mul_i32_i24_e32 v123, v1, v116
	v_ashrrev_i32_e32 v210, 24, v198
	v_bfe_u32 v181, v195, 4, 4
	v_bfe_u32 v184, v195, 12, 4
	s_wait_dscnt 0x0
	v_bfe_i32 v245, v202, 0, 8
	v_add3_u32 v122, v122, v123, v124
	v_add_nc_u32_e32 v123, 0x1080, v107
	v_add_nc_u32_e32 v124, 0x414, v102
	v_bfe_i32 v247, v202, 16, 8
	v_mul_i32_i24_e32 v190, v177, v187
	v_bfe_i32 v248, v201, 16, 8
	ds_load_2addr_b32 v[146:147], v123 offset1:1
	ds_load_2addr_b32 v[199:200], v124 offset1:1
	v_bfe_i32 v249, v189, 16, 8
	v_bfe_i32 v250, v201, 0, 8
	;; [unrolled: 1-line block ×3, first 2 shown]
	v_ashrrev_i32_e32 v252, 24, v201
	v_ashrrev_i32_e32 v253, 24, v189
	v_bfe_u32 v228, v196, 16, 4
	v_bfe_u32 v237, v196, 4, 4
	v_lshrrev_b32_e32 v238, 28, v196
	v_bfe_u32 v236, v196, 20, 4
	v_bfe_u32 v231, v8, 8, 4
	;; [unrolled: 1-line block ×5, first 2 shown]
	v_lshrrev_b32_e32 v224, 28, v8
	v_add_nc_u32_e32 v107, 16, v107
	s_wait_dscnt 0x1
	v_bfe_u32 v158, v147, 16, 4
	v_bfe_u32 v165, v146, 20, 4
	;; [unrolled: 1-line block ×3, first 2 shown]
	s_wait_dscnt 0x0
	v_bfe_i32 v182, v199, 16, 8
	v_and_b32_e32 v162, 15, v147
	v_mul_i32_i24_e32 v123, v168, v158
	v_bfe_u32 v171, v146, 4, 4
	v_bfe_u32 v157, v147, 4, 4
	v_mul_i32_i24_e32 v124, v182, v151
	v_bfe_i32 v207, v199, 0, 8
	v_mad_i32_i24 v123, v161, v165, v123
	v_bfe_u32 v164, v147, 24, 4
	v_lshrrev_b32_e32 v169, 28, v146
	v_lshrrev_b32_e32 v160, 28, v147
	v_ashrrev_i32_e32 v209, 24, v199
	v_add3_u32 v163, v123, v124, v125
	v_mul_i32_i24_e32 v123, v204, v162
	v_mul_i32_i24_e32 v124, v207, v157
	;; [unrolled: 1-line block ×3, first 2 shown]
	v_bfe_i32 v216, v200, 0, 8
	v_bfe_i32 v246, v200, 16, 8
	v_mad_i32_i24 v123, v173, v171, v123
	s_delay_alu instid0(VALU_DEP_1) | instskip(SKIP_3) | instid1(VALU_DEP_3)
	v_add3_u32 v137, v123, v124, v125
	v_mul_i32_i24_e32 v123, v176, v164
	v_mul_i32_i24_e32 v124, v209, v160
	;; [unrolled: 1-line block ×3, first 2 shown]
	v_mad_i32_i24 v123, v177, v169, v123
	s_delay_alu instid0(VALU_DEP_1) | instskip(SKIP_3) | instid1(VALU_DEP_3)
	v_add3_u32 v148, v123, v124, v125
	v_and_b32_e32 v123, 0xf0f0f0f, v85
	v_lshrrev_b32_e32 v85, 4, v85
	v_lshrrev_b16 v124, 8, v4
	v_lshrrev_b16 v123, 8, v123
	s_delay_alu instid0(VALU_DEP_3) | instskip(NEXT) | instid1(VALU_DEP_3)
	v_lshrrev_b16 v85, 8, v85
	v_and_b32_e32 v172, 0xffff, v124
	s_delay_alu instid0(VALU_DEP_3) | instskip(NEXT) | instid1(VALU_DEP_3)
	v_and_b32_e32 v4, 0xffff, v123
	v_and_b32_e32 v85, 15, v85
	s_delay_alu instid0(VALU_DEP_2) | instskip(NEXT) | instid1(VALU_DEP_2)
	v_mul_i32_i24_e32 v123, v4, v87
	v_and_b32_e32 v175, 0xffff, v85
	v_bfe_i32 v85, v140, 8, 8
	v_bfe_u32 v140, v194, 24, 4
	s_delay_alu instid0(VALU_DEP_3) | instskip(NEXT) | instid1(VALU_DEP_3)
	v_mul_i32_i24_e32 v125, v175, v205
	v_mul_i32_i24_e32 v124, v85, v172
	s_delay_alu instid0(VALU_DEP_1) | instskip(SKIP_2) | instid1(VALU_DEP_2)
	v_add3_u32 v186, v123, v125, v124
	v_bfe_u32 v125, v180, 20, 4
	v_mul_i32_i24_e32 v123, v239, v132
	v_mul_i32_i24_e32 v124, v240, v125
	s_delay_alu instid0(VALU_DEP_1) | instskip(SKIP_2) | instid1(VALU_DEP_1)
	v_add3_u32 v81, v81, v123, v124
	v_mul_i32_i24_e32 v123, v241, v139
	v_mul_i32_i24_e32 v124, v242, v128
	v_add3_u32 v78, v78, v123, v124
	v_mul_i32_i24_e32 v123, v243, v135
	v_mul_i32_i24_e32 v124, v244, v129
	s_delay_alu instid0(VALU_DEP_1) | instskip(SKIP_2) | instid1(VALU_DEP_1)
	v_add3_u32 v93, v93, v123, v124
	v_mul_i32_i24_e32 v123, v73, v183
	v_mul_i32_i24_e32 v124, v205, v185
	v_add3_u32 v206, v121, v124, v123
	v_mul_i32_i24_e32 v121, v73, v181
	v_mul_i32_i24_e32 v123, v205, v184
	;; [unrolled: 1-line block ×3, first 2 shown]
	s_delay_alu instid0(VALU_DEP_2) | instskip(SKIP_3) | instid1(VALU_DEP_3)
	v_add3_u32 v211, v122, v123, v121
	v_and_b32_e32 v121, 0xf0f0f0f, v146
	v_and_b32_e32 v123, 15, v146
	v_bfe_u32 v122, v146, 24, 4
	v_lshrrev_b16 v121, 8, v121
	s_delay_alu instid0(VALU_DEP_3) | instskip(NEXT) | instid1(VALU_DEP_3)
	v_mul_i32_i24_e32 v74, v123, v74
	v_mul_i32_i24_e32 v68, v122, v68
	s_delay_alu instid0(VALU_DEP_3) | instskip(SKIP_1) | instid1(VALU_DEP_2)
	v_and_b32_e32 v124, 0xffff, v121
	v_bfe_u32 v121, v146, 16, 4
	v_mad_i32_i24 v74, v124, v87, v74
	s_delay_alu instid0(VALU_DEP_2) | instskip(NEXT) | instid1(VALU_DEP_1)
	v_mul_i32_i24_e32 v1, v121, v1
	v_add3_u32 v1, v74, v1, v68
	v_ashrrev_i32_e32 v68, 24, v200
	v_ashrrev_i32_e32 v74, 24, v202
	s_delay_alu instid0(VALU_DEP_2) | instskip(NEXT) | instid1(VALU_DEP_2)
	v_mul_i32_i24_e32 v87, v68, v153
	v_mul_i32_i24_e32 v136, v74, v140
	s_delay_alu instid0(VALU_DEP_1) | instskip(SKIP_2) | instid1(VALU_DEP_2)
	v_add3_u32 v87, v148, v87, v136
	v_and_b32_e32 v136, 15, v194
	v_mul_i32_i24_e32 v148, v216, v154
	v_mul_i32_i24_e32 v170, v245, v136
	s_delay_alu instid0(VALU_DEP_1) | instskip(SKIP_2) | instid1(VALU_DEP_2)
	v_add3_u32 v212, v137, v148, v170
	v_bfe_u32 v148, v193, 20, 4
	v_bfe_u32 v137, v194, 16, 4
	v_mul_i32_i24_e32 v170, v246, v148
	s_delay_alu instid0(VALU_DEP_2) | instskip(NEXT) | instid1(VALU_DEP_1)
	v_mul_i32_i24_e32 v174, v247, v137
	v_add3_u32 v163, v163, v170, v174
	v_lshrrev_b16 v170, 8, v188
	v_bfe_u32 v188, v191, 20, 4
	v_lshrrev_b32_e32 v191, 28, v195
	s_delay_alu instid0(VALU_DEP_3) | instskip(NEXT) | instid1(VALU_DEP_3)
	v_bfe_i32 v213, v170, 0, 8
	v_mul_i32_i24_e32 v174, v161, v188
	s_delay_alu instid0(VALU_DEP_2) | instskip(NEXT) | instid1(VALU_DEP_1)
	v_mul_i32_i24_e32 v170, v213, v185
	v_mad_i32_i24 v170, v173, v183, v170
	s_delay_alu instid0(VALU_DEP_1) | instskip(SKIP_3) | instid1(VALU_DEP_3)
	v_add3_u32 v214, v170, v174, v190
	v_mul_i32_i24_e32 v170, v213, v184
	v_bfe_u32 v190, v195, 20, 4
	v_mul_i32_i24_e32 v195, v177, v191
	v_mad_i32_i24 v170, v173, v181, v170
	s_delay_alu instid0(VALU_DEP_3) | instskip(NEXT) | instid1(VALU_DEP_1)
	v_mul_i32_i24_e32 v174, v161, v190
	v_add3_u32 v195, v170, v174, v195
	v_and_b32_e32 v170, 0xffff, v141
	v_and_b32_e32 v174, 0xffff, v86
	v_bfe_i32 v86, v166, 8, 8
	s_delay_alu instid0(VALU_DEP_3) | instskip(NEXT) | instid1(VALU_DEP_2)
	v_mul_i32_i24_e32 v141, v218, v170
	v_mul_i32_i24_e32 v166, v86, v174
	s_delay_alu instid0(VALU_DEP_1) | instskip(SKIP_2) | instid1(VALU_DEP_1)
	v_add3_u32 v166, v186, v166, v141
	v_mul_i32_i24_e32 v141, v0, v188
	v_mul_i32_i24_e32 v186, v44, v187
	v_add3_u32 v206, v206, v141, v186
	v_mul_i32_i24_e32 v141, v0, v190
	v_mul_i32_i24_e32 v186, v44, v191
	;; [unrolled: 1-line block ×4, first 2 shown]
	s_delay_alu instid0(VALU_DEP_3) | instskip(SKIP_3) | instid1(VALU_DEP_3)
	v_add3_u32 v215, v211, v141, v186
	v_lshrrev_b32_e32 v141, 4, v146
	v_mul_i32_i24_e32 v146, v177, v156
	v_bfe_u32 v211, v192, 24, 4
	v_lshrrev_b16 v141, 8, v141
	s_delay_alu instid0(VALU_DEP_1) | instskip(NEXT) | instid1(VALU_DEP_1)
	v_and_b32_e32 v141, 15, v141
	v_and_b32_e32 v186, 0xffff, v141
	s_delay_alu instid0(VALU_DEP_1) | instskip(NEXT) | instid1(VALU_DEP_1)
	v_mul_i32_i24_e32 v141, v186, v205
	v_add3_u32 v1, v1, v141, v73
	v_mul_i32_i24_e32 v73, v213, v175
	v_mul_i32_i24_e32 v141, v161, v152
	v_bfe_i32 v161, v197, 8, 8
	v_bfe_i32 v197, v199, 8, 8
	v_add3_u32 v0, v1, v0, v44
	v_mad_i32_i24 v73, v173, v159, v73
	v_mul_i32_i24_e32 v1, v176, v155
	v_mul_i32_i24_e32 v44, v161, v172
	s_delay_alu instid0(VALU_DEP_3) | instskip(SKIP_2) | instid1(VALU_DEP_3)
	v_add3_u32 v73, v73, v141, v146
	v_lshrrev_b32_e32 v141, 4, v147
	v_and_b32_e32 v146, 0xf0f0f0f, v147
	v_add3_u32 v1, v73, v1, v44
	s_delay_alu instid0(VALU_DEP_3) | instskip(NEXT) | instid1(VALU_DEP_3)
	v_lshrrev_b16 v141, 8, v141
	v_lshrrev_b16 v146, 8, v146
	v_bfe_i32 v44, v198, 8, 8
	v_bfe_i32 v73, v200, 8, 8
	v_mul_i32_i24_e32 v198, v168, v226
	v_and_b32_e32 v141, 15, v141
	v_and_b32_e32 v177, 0xffff, v146
	v_lshrrev_b32_e32 v200, 28, v9
	s_delay_alu instid0(VALU_DEP_3) | instskip(SKIP_1) | instid1(VALU_DEP_4)
	v_and_b32_e32 v173, 0xffff, v141
	v_mul_i32_i24_e32 v141, v213, v186
	v_mul_i32_i24_e32 v146, v161, v177
	v_bfe_u32 v213, v196, 8, 4
	s_delay_alu instid0(VALU_DEP_4) | instskip(NEXT) | instid1(VALU_DEP_1)
	v_mul_i32_i24_e32 v147, v197, v173
	v_add3_u32 v199, v141, v146, v147
	v_bfe_u32 v141, v194, 20, 4
	v_mul_i32_i24_e32 v146, v248, v121
	s_delay_alu instid0(VALU_DEP_2) | instskip(NEXT) | instid1(VALU_DEP_1)
	v_mul_i32_i24_e32 v147, v249, v141
	v_add3_u32 v217, v163, v147, v146
	v_bfe_u32 v146, v194, 4, 4
	v_mul_i32_i24_e32 v147, v250, v123
	s_delay_alu instid0(VALU_DEP_2) | instskip(NEXT) | instid1(VALU_DEP_1)
	v_mul_i32_i24_e32 v163, v251, v146
	v_add3_u32 v219, v212, v163, v147
	v_lshrrev_b32_e32 v147, 28, v194
	v_mul_i32_i24_e32 v163, v252, v122
	v_bfe_u32 v212, v192, 8, 4
	s_delay_alu instid0(VALU_DEP_3) | instskip(NEXT) | instid1(VALU_DEP_1)
	v_mul_i32_i24_e32 v205, v253, v147
	v_add3_u32 v87, v87, v205, v163
	s_delay_alu instid0(VALU_DEP_3) | instskip(SKIP_1) | instid1(VALU_DEP_1)
	v_mul_i32_i24_e32 v163, v161, v212
	v_mul_i32_i24_e32 v205, v176, v211
	v_add3_u32 v220, v214, v205, v163
	v_bfe_u32 v214, v196, 24, 4
	v_mul_i32_i24_e32 v163, v161, v213
	v_lshrrev_b32_e32 v161, 4, v193
	s_delay_alu instid0(VALU_DEP_3) | instskip(NEXT) | instid1(VALU_DEP_2)
	v_mul_i32_i24_e32 v205, v176, v214
	v_lshrrev_b16 v161, 8, v161
	s_delay_alu instid0(VALU_DEP_2) | instskip(SKIP_1) | instid1(VALU_DEP_3)
	v_add3_u32 v195, v195, v205, v163
	v_lshrrev_b32_e32 v163, 4, v179
	v_and_b32_e32 v161, 15, v161
	s_delay_alu instid0(VALU_DEP_2) | instskip(NEXT) | instid1(VALU_DEP_1)
	v_lshrrev_b16 v163, 8, v163
	v_and_b32_e32 v179, 15, v163
	v_and_b32_e32 v163, 0xffff, v167
	s_delay_alu instid0(VALU_DEP_2) | instskip(NEXT) | instid1(VALU_DEP_2)
	v_and_b32_e32 v167, 0xffff, v179
	v_mul_i32_i24_e32 v179, v88, v163
	s_delay_alu instid0(VALU_DEP_2) | instskip(NEXT) | instid1(VALU_DEP_1)
	v_mul_i32_i24_e32 v205, v254, v167
	v_add3_u32 v179, v166, v205, v179
	v_and_b32_e32 v205, 15, v192
	v_mul_i32_i24_e32 v166, v85, v212
	s_delay_alu instid0(VALU_DEP_2) | instskip(NEXT) | instid1(VALU_DEP_1)
	v_mul_i32_i24_e32 v221, v75, v205
	v_add3_u32 v221, v206, v166, v221
	;; [unrolled: 5-line block ×3, first 2 shown]
	v_and_b32_e32 v166, 0xf0f0f0f, v193
	v_bfe_u32 v222, v196, 12, 4
	v_bfe_u32 v196, v9, 20, 4
	s_delay_alu instid0(VALU_DEP_3) | instskip(NEXT) | instid1(VALU_DEP_1)
	v_lshrrev_b16 v166, 8, v166
	v_and_b32_e32 v176, 0xffff, v166
	v_and_b32_e32 v166, 0xffff, v161
	s_delay_alu instid0(VALU_DEP_2) | instskip(NEXT) | instid1(VALU_DEP_2)
	v_mul_i32_i24_e32 v161, v44, v176
	v_mul_i32_i24_e32 v193, v73, v166
	s_delay_alu instid0(VALU_DEP_1) | instskip(SKIP_2) | instid1(VALU_DEP_2)
	v_add3_u32 v193, v199, v161, v193
	v_mul_i32_i24_e32 v161, v204, v205
	v_mul_i32_i24_e32 v199, v168, v228
	v_add3_u32 v198, v220, v161, v198
	v_mul_i32_i24_e32 v161, v204, v206
	v_bfe_u32 v220, v6, 4, 4
	s_delay_alu instid0(VALU_DEP_2) | instskip(SKIP_3) | instid1(VALU_DEP_3)
	v_add3_u32 v195, v195, v161, v199
	v_lshrrev_b32_e32 v161, 4, v180
	v_bfe_i32 v180, v5, 8, 8
	v_mul_i32_i24_e32 v199, v71, v214
	v_lshrrev_b16 v5, 8, v161
	s_delay_alu instid0(VALU_DEP_1) | instskip(NEXT) | instid1(VALU_DEP_1)
	v_and_b32_e32 v5, 15, v5
	v_and_b32_e32 v161, 0xffff, v5
	s_delay_alu instid0(VALU_DEP_1) | instskip(NEXT) | instid1(VALU_DEP_1)
	v_mul_i32_i24_e32 v5, v180, v161
	v_add3_u32 v78, v179, v5, v78
	v_mul_i32_i24_e32 v5, v20, v226
	v_mul_i32_i24_e32 v179, v71, v211
	;; [unrolled: 1-line block ×3, first 2 shown]
	s_delay_alu instid0(VALU_DEP_4) | instskip(SKIP_1) | instid1(VALU_DEP_4)
	v_add3_u32 v78, v93, v81, v78
	v_mul_i32_i24_e32 v81, v76, v235
	v_add3_u32 v179, v221, v5, v179
	v_mul_i32_i24_e32 v5, v20, v228
	v_mul_i32_i24_e32 v20, v20, v158
	v_bfe_u32 v221, v192, 12, 4
	v_mul_i32_i24_e32 v192, v72, v234
	s_delay_alu instid0(VALU_DEP_4)
	v_add3_u32 v199, v215, v5, v199
	v_mul_i32_i24_e32 v5, v75, v162
	v_mul_i32_i24_e32 v75, v85, v177
	v_bfe_i32 v85, v189, 8, 8
	v_mul_i32_i24_e32 v93, v86, v221
	v_and_b32_e32 v215, 15, v6
	s_delay_alu instid0(VALU_DEP_4)
	v_add3_u32 v0, v0, v75, v5
	v_mul_i32_i24_e32 v5, v204, v149
	v_mul_i32_i24_e32 v75, v168, v144
	v_add3_u32 v81, v179, v81, v93
	v_mul_i32_i24_e32 v93, v76, v237
	v_add3_u32 v0, v0, v20, v71
	;; [unrolled: 2-line block ×3, first 2 shown]
	v_lshrrev_b32_e32 v5, 4, v194
	v_and_b32_e32 v75, 0xf0f0f0f, v194
	v_mul_i32_i24_e32 v71, v209, v142
	v_mul_i32_i24_e32 v179, v86, v222
	;; [unrolled: 1-line block ×3, first 2 shown]
	v_lshrrev_b16 v5, 8, v5
	v_lshrrev_b16 v75, 8, v75
	v_add3_u32 v1, v1, v71, v20
	v_lshrrev_b16 v20, 8, v201
	v_add3_u32 v93, v199, v93, v179
	v_and_b32_e32 v5, 15, v5
	v_and_b32_e32 v168, 0xffff, v75
	v_bfe_i32 v75, v202, 8, 8
	v_bfe_i32 v20, v20, 0, 8
	v_mul_i32_i24_e32 v179, v182, v233
	v_and_b32_e32 v5, 0xffff, v5
	v_mul_i32_i24_e32 v86, v86, v173
	v_mul_i32_i24_e32 v189, v75, v168
	;; [unrolled: 1-line block ×3, first 2 shown]
	v_bfe_u32 v202, v6, 12, 4
	v_mul_i32_i24_e32 v194, v85, v5
	v_add3_u32 v0, v0, v76, v86
	v_mul_i32_i24_e32 v76, v182, v133
	v_mul_i32_i24_e32 v86, v197, v174
	v_bfe_u32 v204, v8, 12, 4
	v_add3_u32 v189, v193, v189, v194
	v_mul_i32_i24_e32 v193, v207, v235
	v_mul_i32_i24_e32 v194, v209, v234
	v_add3_u32 v1, v1, v86, v76
	v_mul_i32_i24_e32 v76, v44, v230
	v_add3_u32 v71, v189, v71, v87
	;; [unrolled: 2-line block ×3, first 2 shown]
	v_mul_i32_i24_e32 v194, v207, v237
	v_mul_i32_i24_e32 v198, v209, v238
	;; [unrolled: 1-line block ×4, first 2 shown]
	v_add3_u32 v87, v193, v87, v179
	v_mul_i32_i24_e32 v179, v197, v222
	v_add3_u32 v194, v195, v198, v194
	v_add3_u32 v71, v219, v217, v71
	v_and_b32_e32 v217, 15, v8
	v_add3_u32 v76, v87, v86, v76
	v_mul_i32_i24_e32 v86, v44, v231
	v_add3_u32 v179, v194, v179, v189
	v_mul_i32_i24_e32 v189, v25, v233
	v_mul_i32_i24_e32 v44, v44, v170
	;; [unrolled: 1-line block ×3, first 2 shown]
	v_lshrrev_b32_e32 v219, 28, v6
	v_bfe_u32 v207, v7, 24, 4
	v_add3_u32 v81, v81, v189, v192
	v_mul_i32_i24_e32 v189, v25, v236
	v_mul_i32_i24_e32 v192, v72, v238
	;; [unrolled: 1-line block ×4, first 2 shown]
	v_add3_u32 v86, v179, v87, v86
	v_mul_i32_i24_e32 v87, v82, v215
	v_mul_i32_i24_e32 v179, v218, v230
	v_add3_u32 v93, v93, v189, v192
	v_add3_u32 v0, v0, v25, v72
	v_mul_i32_i24_e32 v25, v210, v134
	v_mul_i32_i24_e32 v72, v203, v227
	v_add3_u32 v81, v81, v179, v87
	v_mul_i32_i24_e32 v87, v82, v217
	v_mul_i32_i24_e32 v179, v218, v231
	;; [unrolled: 3-line block ×3, first 2 shown]
	v_bfe_u32 v209, v9, 8, 4
	v_add3_u32 v87, v93, v179, v87
	v_bfe_u32 v210, v9, 24, 4
	v_and_b32_e32 v194, 15, v7
	v_add3_u32 v25, v76, v25, v44
	v_mul_i32_i24_e32 v44, v208, v217
	v_mul_i32_i24_e32 v76, v77, v229
	v_and_b32_e32 v195, 15, v9
	v_bfe_u32 v201, v7, 16, 4
	v_bfe_u32 v198, v7, 4, 4
	v_add3_u32 v44, v86, v44, v72
	v_mul_i32_i24_e32 v72, v79, v225
	v_lshrrev_b32_e32 v197, 28, v7
	v_bfe_u32 v199, v9, 4, 4
	v_bfe_u32 v189, v7, 12, 4
	v_bfe_u32 v192, v9, 12, 4
	v_add3_u32 v72, v81, v72, v76
	v_mul_i32_i24_e32 v76, v79, v227
	v_mul_i32_i24_e32 v81, v77, v232
	v_mul_i32_i24_e32 v77, v77, v150
	v_mul_i32_i24_e32 v79, v79, v138
	v_bfe_u32 v193, v7, 20, 4
	s_delay_alu instid0(VALU_DEP_4) | instskip(SKIP_4) | instid1(VALU_DEP_3)
	v_add3_u32 v76, v87, v76, v81
	v_mul_i32_i24_e32 v81, v82, v143
	v_mul_i32_i24_e32 v82, v218, v176
	v_bfe_u32 v218, v8, 20, 4
	v_mul_i32_i24_e32 v8, v73, v204
	v_add3_u32 v0, v0, v82, v81
	v_mul_i32_i24_e32 v81, v208, v131
	v_mul_i32_i24_e32 v82, v203, v130
	v_bfe_u32 v208, v7, 8, 4
	v_bfe_u32 v203, v9, 16, 4
	v_add3_u32 v0, v0, v79, v77
	v_mul_i32_i24_e32 v77, v216, v127
	v_add3_u32 v1, v1, v81, v82
	v_mul_i32_i24_e32 v81, v216, v220
	v_mul_i32_i24_e32 v82, v68, v219
	;; [unrolled: 1-line block ×4, first 2 shown]
	s_delay_alu instid0(VALU_DEP_3)
	v_add3_u32 v25, v25, v82, v81
	v_mul_i32_i24_e32 v81, v216, v223
	v_mul_i32_i24_e32 v82, v68, v224
	;; [unrolled: 1-line block ×3, first 2 shown]
	v_bfe_u32 v216, v6, 20, 4
	v_mul_i32_i24_e32 v6, v73, v202
	s_delay_alu instid0(VALU_DEP_4) | instskip(NEXT) | instid1(VALU_DEP_4)
	v_add3_u32 v44, v44, v82, v81
	v_add3_u32 v1, v1, v68, v77
	s_delay_alu instid0(VALU_DEP_4) | instskip(SKIP_2) | instid1(VALU_DEP_3)
	v_mul_i32_i24_e32 v68, v246, v216
	v_mul_i32_i24_e32 v81, v83, v220
	;; [unrolled: 1-line block ×3, first 2 shown]
	v_add3_u32 v6, v25, v6, v68
	v_mul_i32_i24_e32 v25, v246, v218
	s_delay_alu instid0(VALU_DEP_3)
	v_add3_u32 v72, v72, v81, v82
	v_mul_i32_i24_e32 v81, v83, v223
	v_mul_i32_i24_e32 v82, v254, v204
	;; [unrolled: 1-line block ×3, first 2 shown]
	v_add3_u32 v8, v44, v8, v25
	v_mul_i32_i24_e32 v25, v80, v216
	v_mul_i32_i24_e32 v44, v178, v219
	v_add3_u32 v76, v76, v81, v82
	v_add_nc_u32_e32 v81, 0xc04, v102
	s_delay_alu instid0(VALU_DEP_3) | instskip(SKIP_2) | instid1(VALU_DEP_2)
	v_add3_u32 v25, v72, v25, v44
	v_mul_i32_i24_e32 v44, v80, v218
	v_mul_i32_i24_e32 v72, v254, v166
	v_add3_u32 v44, v76, v44, v68
	v_mul_i32_i24_e32 v68, v83, v154
	s_delay_alu instid0(VALU_DEP_1) | instskip(SKIP_2) | instid1(VALU_DEP_1)
	v_add3_u32 v0, v0, v68, v72
	v_mul_i32_i24_e32 v68, v246, v120
	v_mul_i32_i24_e32 v72, v73, v167
	v_add3_u32 v1, v1, v72, v68
	v_mul_i32_i24_e32 v68, v75, v208
	v_mul_i32_i24_e32 v72, v74, v207
	s_delay_alu instid0(VALU_DEP_1) | instskip(SKIP_2) | instid1(VALU_DEP_1)
	v_add3_u32 v6, v6, v72, v68
	v_mul_i32_i24_e32 v68, v75, v209
	v_mul_i32_i24_e32 v72, v74, v210
	v_add3_u32 v8, v8, v72, v68
	v_mul_i32_i24_e32 v68, v243, v194
	;; [unrolled: 7-line block ×10, first 2 shown]
	s_delay_alu instid0(VALU_DEP_1) | instskip(SKIP_1) | instid1(VALU_DEP_1)
	v_add3_u32 v6, v6, v7, v68
	v_mul_i32_i24_e32 v7, v85, v192
	v_add3_u32 v7, v8, v7, v9
	v_mul_i32_i24_e32 v8, v240, v193
	v_mul_i32_i24_e32 v9, v242, v197
	s_delay_alu instid0(VALU_DEP_1) | instskip(SKIP_2) | instid1(VALU_DEP_3)
	v_add3_u32 v8, v25, v8, v9
	v_mul_i32_i24_e32 v9, v240, v196
	v_mul_i32_i24_e32 v25, v242, v200
	v_cvt_f32_i32_e32 v8, v8
	s_delay_alu instid0(VALU_DEP_2) | instskip(SKIP_2) | instid1(VALU_DEP_3)
	v_add3_u32 v9, v44, v9, v25
	v_mul_i32_i24_e32 v25, v244, v146
	v_mul_i32_i24_e32 v44, v180, v5
	v_cvt_f32_i32_e32 v9, v9
	s_delay_alu instid0(VALU_DEP_2)
	v_add3_u32 v0, v0, v25, v44
	v_mul_i32_i24_e32 v25, v249, v125
	v_mul_i32_i24_e32 v44, v85, v161
	ds_load_2addr_b32 v[85:86], v101 offset1:32
	v_add3_u32 v1, v1, v44, v25
	v_mul_i32_i24_e32 v25, v250, v115
	v_mul_i32_i24_e32 v44, v20, v114
	s_delay_alu instid0(VALU_DEP_1) | instskip(SKIP_3) | instid1(VALU_DEP_2)
	v_add3_u32 v6, v6, v25, v44
	v_mul_i32_i24_e32 v25, v250, v118
	v_mul_i32_i24_e32 v44, v20, v119
	;; [unrolled: 1-line block ×3, first 2 shown]
	v_add3_u32 v7, v7, v25, v44
	v_mul_i32_i24_e32 v25, v240, v141
	v_mul_i32_i24_e32 v44, v242, v147
	s_delay_alu instid0(VALU_DEP_1) | instskip(SKIP_1) | instid1(VALU_DEP_2)
	v_add3_u32 v0, v0, v25, v44
	v_mul_i32_i24_e32 v25, v250, v111
	v_cvt_f32_i32_e32 v0, v0
	s_delay_alu instid0(VALU_DEP_2) | instskip(SKIP_2) | instid1(VALU_DEP_1)
	v_add3_u32 v1, v1, v25, v20
	v_mul_i32_i24_e32 v20, v248, v112
	v_mul_i32_i24_e32 v25, v252, v113
	v_add3_u32 v20, v6, v20, v25
	v_mul_i32_i24_e32 v6, v248, v116
	v_mul_i32_i24_e32 v25, v252, v117
	s_delay_alu instid0(VALU_DEP_3) | instskip(NEXT) | instid1(VALU_DEP_2)
	v_cvt_f32_i32_e32 v20, v20
	v_add3_u32 v25, v7, v6, v25
	v_mul_i32_i24_e32 v6, v248, v109
	v_mul_i32_i24_e32 v7, v252, v110
	s_delay_alu instid0(VALU_DEP_3) | instskip(NEXT) | instid1(VALU_DEP_2)
	v_cvt_f32_i32_e32 v25, v25
	v_add3_u32 v1, v1, v6, v7
	s_wait_dscnt 0x0
	v_lshrrev_b32_e32 v6, 16, v85
	v_cvt_f32_i32_e32 v7, v78
	s_delay_alu instid0(VALU_DEP_3) | instskip(NEXT) | instid1(VALU_DEP_3)
	v_cvt_f32_i32_e32 v1, v1
	v_cvt_f32_f16_e32 v6, v6
	s_delay_alu instid0(VALU_DEP_1) | instskip(NEXT) | instid1(VALU_DEP_1)
	v_mul_f32_e32 v6, 0x41000000, v6
	v_fma_mix_f32 v7, v85, v7, -v6 op_sel_hi:[1,0,0]
	v_fma_mix_f32 v180, v85, v8, -v6 op_sel_hi:[1,0,0]
	;; [unrolled: 1-line block ×4, first 2 shown]
	v_lshrrev_b32_e32 v0, 16, v86
	v_cvt_f32_i32_e32 v8, v71
	s_delay_alu instid0(VALU_DEP_3) | instskip(NEXT) | instid1(VALU_DEP_3)
	v_fmac_f32_e32 v51, v108, v6
	v_cvt_f32_f16_e32 v0, v0
	s_delay_alu instid0(VALU_DEP_1) | instskip(NEXT) | instid1(VALU_DEP_1)
	v_mul_f32_e32 v0, 0x41000000, v0
	v_fma_mix_f32 v8, v86, v8, -v0 op_sel_hi:[1,0,0]
	v_fma_mix_f32 v182, v86, v20, -v0 op_sel_hi:[1,0,0]
	;; [unrolled: 1-line block ×4, first 2 shown]
	v_add_nc_u32_e32 v0, 0x800, v102
	v_fmac_f32_e32 v46, v108, v8
	ds_load_2addr_b32 v[85:86], v0 offset0:4 offset1:7
	s_wait_dscnt 0x0
	v_bfe_i32 v1, v85, 8, 8
	v_bfe_i32 v20, v85, 0, 8
	v_bfe_i32 v44, v85, 16, 8
	v_ashrrev_i32_e32 v68, 24, v85
	s_delay_alu instid0(VALU_DEP_4) | instskip(NEXT) | instid1(VALU_DEP_3)
	v_mul_i32_i24_e32 v25, v1, v185
	v_mul_i32_i24_e32 v71, v44, v188
	s_delay_alu instid0(VALU_DEP_3) | instskip(SKIP_1) | instid1(VALU_DEP_4)
	v_mul_i32_i24_e32 v72, v68, v187
	v_mul_i32_i24_e32 v73, v68, v191
	v_mad_i32_i24 v25, v20, v183, v25
	s_delay_alu instid0(VALU_DEP_1) | instskip(SKIP_2) | instid1(VALU_DEP_2)
	v_add3_u32 v25, v25, v71, v72
	v_mul_i32_i24_e32 v71, v1, v184
	v_mul_i32_i24_e32 v72, v44, v190
	v_mad_i32_i24 v71, v20, v181, v71
	s_delay_alu instid0(VALU_DEP_1)
	v_add3_u32 v71, v71, v72, v73
	v_add_nc_u32_e32 v72, 0xc00, v102
	ds_load_2addr_b32 v[87:88], v72 offset0:4 offset1:7
	s_wait_dscnt 0x0
	v_bfe_i32 v73, v87, 8, 8
	v_bfe_i32 v74, v87, 0, 8
	;; [unrolled: 1-line block ×3, first 2 shown]
	v_ashrrev_i32_e32 v77, 24, v87
	v_mul_i32_i24_e32 v87, v156, v68
	v_mul_i32_i24_e32 v75, v73, v185
	s_delay_alu instid0(VALU_DEP_4) | instskip(NEXT) | instid1(VALU_DEP_4)
	v_mul_i32_i24_e32 v78, v76, v188
	v_mul_i32_i24_e32 v79, v77, v187
	v_mul_i32_i24_e32 v80, v77, v191
	s_delay_alu instid0(VALU_DEP_4) | instskip(SKIP_1) | instid1(VALU_DEP_2)
	v_mad_i32_i24 v75, v74, v183, v75
	v_mul_i32_i24_e32 v245, v156, v77
	v_add3_u32 v75, v75, v78, v79
	v_mul_i32_i24_e32 v78, v73, v184
	v_mul_i32_i24_e32 v79, v76, v190
	s_delay_alu instid0(VALU_DEP_2) | instskip(NEXT) | instid1(VALU_DEP_1)
	v_mad_i32_i24 v78, v74, v181, v78
	v_add3_u32 v78, v78, v79, v80
	v_add_nc_u32_e32 v79, 0x804, v102
	v_add_nc_u32_e32 v80, 0x814, v102
	ds_load_2addr_b32 v[239:240], v79 offset1:1
	ds_load_2addr_b32 v[241:242], v80 offset1:1
	;; [unrolled: 1-line block ×3, first 2 shown]
	s_wait_dscnt 0x2
	v_bfe_i32 v79, v239, 8, 8
	v_ashrrev_i32_e32 v80, 24, v239
	s_delay_alu instid0(VALU_DEP_2) | instskip(NEXT) | instid1(VALU_DEP_2)
	v_mul_i32_i24_e32 v81, v79, v212
	v_mul_i32_i24_e32 v82, v80, v211
	s_delay_alu instid0(VALU_DEP_1) | instskip(SKIP_2) | instid1(VALU_DEP_1)
	v_add3_u32 v25, v25, v82, v81
	v_mul_i32_i24_e32 v81, v79, v213
	v_mul_i32_i24_e32 v82, v80, v214
	v_add3_u32 v71, v71, v82, v81
	s_wait_dscnt 0x0
	v_bfe_i32 v81, v243, 8, 8
	v_ashrrev_i32_e32 v82, 24, v243
	s_delay_alu instid0(VALU_DEP_2) | instskip(NEXT) | instid1(VALU_DEP_2)
	v_mul_i32_i24_e32 v83, v81, v212
	v_mul_i32_i24_e32 v85, v82, v211
	s_delay_alu instid0(VALU_DEP_1) | instskip(SKIP_2) | instid1(VALU_DEP_1)
	v_add3_u32 v75, v75, v85, v83
	v_mul_i32_i24_e32 v83, v81, v213
	v_mul_i32_i24_e32 v85, v82, v214
	v_add3_u32 v78, v78, v85, v83
	v_mul_i32_i24_e32 v83, v175, v1
	v_mul_i32_i24_e32 v85, v152, v44
	;; [unrolled: 1-line block ×3, first 2 shown]
	s_delay_alu instid0(VALU_DEP_3) | instskip(NEXT) | instid1(VALU_DEP_2)
	v_mad_i32_i24 v83, v159, v20, v83
	v_mad_i32_i24 v1, v171, v20, v1
	v_mul_i32_i24_e32 v20, v165, v44
	v_mul_i32_i24_e32 v44, v169, v68
	s_delay_alu instid0(VALU_DEP_4) | instskip(SKIP_2) | instid1(VALU_DEP_4)
	v_add3_u32 v83, v83, v85, v87
	v_bfe_i32 v85, v239, 0, 8
	v_bfe_i32 v87, v239, 16, 8
	v_add3_u32 v1, v1, v20, v44
	v_bfe_i32 v20, v241, 0, 8
	s_delay_alu instid0(VALU_DEP_4) | instskip(NEXT) | instid1(VALU_DEP_4)
	v_mul_i32_i24_e32 v93, v85, v205
	v_mul_i32_i24_e32 v239, v87, v226
	v_ashrrev_i32_e32 v44, 24, v241
	s_delay_alu instid0(VALU_DEP_4) | instskip(NEXT) | instid1(VALU_DEP_3)
	v_mul_i32_i24_e32 v68, v20, v235
	v_add3_u32 v25, v25, v93, v239
	v_mul_i32_i24_e32 v93, v85, v206
	v_mul_i32_i24_e32 v239, v87, v228
	s_delay_alu instid0(VALU_DEP_1) | instskip(SKIP_3) | instid1(VALU_DEP_3)
	v_add3_u32 v71, v71, v93, v239
	v_mul_i32_i24_e32 v93, v175, v73
	v_mul_i32_i24_e32 v239, v152, v76
	;; [unrolled: 1-line block ×3, first 2 shown]
	v_mad_i32_i24 v93, v159, v74, v93
	s_delay_alu instid0(VALU_DEP_2) | instskip(SKIP_2) | instid1(VALU_DEP_4)
	v_mad_i32_i24 v73, v171, v74, v73
	v_mul_i32_i24_e32 v74, v165, v76
	v_mul_i32_i24_e32 v76, v169, v77
	v_add3_u32 v93, v93, v239, v245
	v_bfe_i32 v239, v243, 0, 8
	v_bfe_i32 v243, v243, 16, 8
	s_delay_alu instid0(VALU_DEP_4) | instskip(SKIP_1) | instid1(VALU_DEP_4)
	v_add3_u32 v73, v73, v74, v76
	v_add_nc_u32_e32 v74, 0xc14, v102
	v_mul_i32_i24_e32 v245, v239, v205
	s_delay_alu instid0(VALU_DEP_4) | instskip(NEXT) | instid1(VALU_DEP_1)
	v_mul_i32_i24_e32 v246, v243, v226
	v_add3_u32 v75, v75, v245, v246
	v_mul_i32_i24_e32 v245, v239, v206
	v_mul_i32_i24_e32 v246, v243, v228
	s_delay_alu instid0(VALU_DEP_1) | instskip(SKIP_4) | instid1(VALU_DEP_3)
	v_add3_u32 v78, v78, v245, v246
	v_mul_i32_i24_e32 v245, v80, v155
	v_mul_i32_i24_e32 v246, v79, v172
	;; [unrolled: 1-line block ×4, first 2 shown]
	v_add3_u32 v83, v83, v245, v246
	v_mul_i32_i24_e32 v245, v44, v234
	s_delay_alu instid0(VALU_DEP_3) | instskip(SKIP_2) | instid1(VALU_DEP_4)
	v_add3_u32 v1, v1, v80, v79
	v_bfe_i32 v79, v241, 8, 8
	v_bfe_i32 v80, v241, 16, 8
	v_add3_u32 v25, v25, v245, v68
	v_mul_i32_i24_e32 v68, v20, v237
	v_mul_i32_i24_e32 v245, v44, v238
	s_delay_alu instid0(VALU_DEP_1) | instskip(SKIP_4) | instid1(VALU_DEP_3)
	v_add3_u32 v68, v71, v245, v68
	v_mul_i32_i24_e32 v71, v82, v155
	v_mul_i32_i24_e32 v245, v81, v172
	;; [unrolled: 1-line block ×4, first 2 shown]
	v_add3_u32 v71, v93, v71, v245
	ds_load_2addr_b32 v[245:246], v74 offset1:1
	v_add3_u32 v73, v73, v82, v81
	s_wait_dscnt 0x0
	v_bfe_i32 v74, v245, 0, 8
	v_ashrrev_i32_e32 v76, 24, v245
	v_bfe_i32 v81, v245, 8, 8
	v_bfe_i32 v82, v245, 16, 8
	s_delay_alu instid0(VALU_DEP_4) | instskip(NEXT) | instid1(VALU_DEP_4)
	v_mul_i32_i24_e32 v77, v74, v235
	v_mul_i32_i24_e32 v93, v76, v234
	s_delay_alu instid0(VALU_DEP_1) | instskip(SKIP_2) | instid1(VALU_DEP_1)
	v_add3_u32 v75, v75, v93, v77
	v_mul_i32_i24_e32 v77, v74, v237
	v_mul_i32_i24_e32 v93, v76, v238
	v_add3_u32 v77, v78, v93, v77
	v_mul_i32_i24_e32 v78, v85, v149
	v_mul_i32_i24_e32 v93, v87, v144
	s_delay_alu instid0(VALU_DEP_1) | instskip(SKIP_2) | instid1(VALU_DEP_1)
	v_add3_u32 v78, v83, v78, v93
	v_mul_i32_i24_e32 v83, v79, v221
	v_mul_i32_i24_e32 v93, v80, v233
	v_add3_u32 v25, v25, v83, v93
	;; [unrolled: 7-line block ×4, first 2 shown]
	v_mul_i32_i24_e32 v83, v20, v145
	v_mul_i32_i24_e32 v93, v44, v142
	;; [unrolled: 1-line block ×4, first 2 shown]
	s_delay_alu instid0(VALU_DEP_3) | instskip(SKIP_2) | instid1(VALU_DEP_1)
	v_add3_u32 v78, v78, v93, v83
	v_mul_i32_i24_e32 v83, v85, v162
	v_mul_i32_i24_e32 v85, v87, v158
	v_add3_u32 v1, v1, v83, v85
	v_bfe_i32 v83, v240, 8, 8
	v_ashrrev_i32_e32 v85, 24, v240
	s_delay_alu instid0(VALU_DEP_3) | instskip(NEXT) | instid1(VALU_DEP_3)
	v_add3_u32 v1, v1, v44, v20
	v_mul_i32_i24_e32 v87, v83, v230
	s_delay_alu instid0(VALU_DEP_3) | instskip(SKIP_2) | instid1(VALU_DEP_3)
	v_mul_i32_i24_e32 v93, v85, v229
	v_bfe_i32 v20, v240, 0, 8
	v_bfe_i32 v44, v240, 16, 8
	v_add3_u32 v25, v25, v93, v87
	v_mul_i32_i24_e32 v87, v83, v231
	v_mul_i32_i24_e32 v93, v85, v232
	s_delay_alu instid0(VALU_DEP_4) | instskip(NEXT) | instid1(VALU_DEP_2)
	v_mul_i32_i24_e32 v240, v44, v225
	v_add3_u32 v68, v68, v93, v87
	v_mul_i32_i24_e32 v87, v74, v145
	v_mul_i32_i24_e32 v93, v76, v142
	;; [unrolled: 1-line block ×4, first 2 shown]
	s_delay_alu instid0(VALU_DEP_3) | instskip(SKIP_2) | instid1(VALU_DEP_1)
	v_add3_u32 v71, v71, v93, v87
	v_mul_i32_i24_e32 v87, v239, v162
	v_mul_i32_i24_e32 v93, v243, v158
	v_add3_u32 v73, v73, v87, v93
	v_bfe_i32 v87, v244, 8, 8
	v_ashrrev_i32_e32 v93, 24, v244
	s_delay_alu instid0(VALU_DEP_3) | instskip(NEXT) | instid1(VALU_DEP_3)
	v_add3_u32 v73, v73, v76, v74
	v_mul_i32_i24_e32 v239, v87, v230
	s_delay_alu instid0(VALU_DEP_3) | instskip(SKIP_2) | instid1(VALU_DEP_3)
	v_mul_i32_i24_e32 v241, v93, v229
	v_bfe_i32 v74, v244, 0, 8
	v_bfe_i32 v76, v244, 16, 8
	v_add3_u32 v75, v75, v241, v239
	v_mul_i32_i24_e32 v239, v87, v231
	v_mul_i32_i24_e32 v241, v93, v232
	s_delay_alu instid0(VALU_DEP_1) | instskip(SKIP_4) | instid1(VALU_DEP_3)
	v_add3_u32 v77, v77, v241, v239
	v_mul_i32_i24_e32 v239, v80, v133
	v_mul_i32_i24_e32 v241, v79, v174
	;; [unrolled: 1-line block ×4, first 2 shown]
	v_add3_u32 v78, v78, v241, v239
	v_mul_i32_i24_e32 v239, v20, v215
	s_delay_alu instid0(VALU_DEP_3) | instskip(SKIP_2) | instid1(VALU_DEP_4)
	v_add3_u32 v1, v1, v79, v80
	v_bfe_i32 v79, v242, 0, 8
	v_ashrrev_i32_e32 v80, 24, v242
	v_add3_u32 v25, v25, v239, v240
	v_mul_i32_i24_e32 v239, v20, v217
	v_mul_i32_i24_e32 v240, v44, v227
	s_delay_alu instid0(VALU_DEP_1) | instskip(SKIP_4) | instid1(VALU_DEP_3)
	v_add3_u32 v68, v68, v239, v240
	v_mul_i32_i24_e32 v239, v82, v133
	v_mul_i32_i24_e32 v240, v81, v174
	;; [unrolled: 1-line block ×4, first 2 shown]
	v_add3_u32 v71, v71, v240, v239
	v_mul_i32_i24_e32 v239, v74, v215
	v_mul_i32_i24_e32 v240, v76, v225
	s_delay_alu instid0(VALU_DEP_4) | instskip(SKIP_2) | instid1(VALU_DEP_4)
	v_add3_u32 v73, v73, v81, v82
	v_bfe_i32 v81, v246, 0, 8
	v_ashrrev_i32_e32 v82, 24, v246
	v_add3_u32 v75, v75, v239, v240
	v_mul_i32_i24_e32 v239, v74, v217
	v_mul_i32_i24_e32 v240, v76, v227
	s_delay_alu instid0(VALU_DEP_1) | instskip(SKIP_4) | instid1(VALU_DEP_3)
	v_add3_u32 v77, v77, v239, v240
	v_mul_i32_i24_e32 v239, v85, v134
	v_mul_i32_i24_e32 v240, v83, v170
	v_mul_i32_i24_e32 v85, v85, v150
	v_mul_i32_i24_e32 v83, v83, v176
	v_add3_u32 v78, v78, v239, v240
	v_mul_i32_i24_e32 v239, v79, v220
	v_mul_i32_i24_e32 v240, v80, v219
	s_delay_alu instid0(VALU_DEP_4) | instskip(SKIP_2) | instid1(VALU_DEP_4)
	v_add3_u32 v1, v1, v85, v83
	v_bfe_i32 v83, v242, 8, 8
	v_bfe_i32 v85, v242, 16, 8
	v_add3_u32 v25, v25, v240, v239
	v_mul_i32_i24_e32 v239, v79, v223
	v_mul_i32_i24_e32 v240, v80, v224
	s_delay_alu instid0(VALU_DEP_1) | instskip(SKIP_4) | instid1(VALU_DEP_3)
	v_add3_u32 v68, v68, v240, v239
	v_mul_i32_i24_e32 v239, v93, v134
	v_mul_i32_i24_e32 v240, v87, v170
	;; [unrolled: 1-line block ×4, first 2 shown]
	v_add3_u32 v71, v71, v239, v240
	v_mul_i32_i24_e32 v239, v81, v220
	v_mul_i32_i24_e32 v240, v82, v219
	s_delay_alu instid0(VALU_DEP_4) | instskip(SKIP_2) | instid1(VALU_DEP_4)
	v_add3_u32 v73, v73, v93, v87
	v_bfe_i32 v87, v246, 8, 8
	v_bfe_i32 v93, v246, 16, 8
	v_add3_u32 v75, v75, v240, v239
	v_mul_i32_i24_e32 v239, v81, v223
	v_mul_i32_i24_e32 v240, v82, v224
	s_delay_alu instid0(VALU_DEP_1) | instskip(SKIP_4) | instid1(VALU_DEP_3)
	v_add3_u32 v77, v77, v240, v239
	v_mul_i32_i24_e32 v239, v20, v131
	v_mul_i32_i24_e32 v240, v44, v130
	;; [unrolled: 1-line block ×4, first 2 shown]
	v_add3_u32 v78, v78, v239, v240
	v_mul_i32_i24_e32 v239, v83, v202
	v_mul_i32_i24_e32 v240, v85, v216
	s_delay_alu instid0(VALU_DEP_4) | instskip(NEXT) | instid1(VALU_DEP_2)
	v_add3_u32 v1, v1, v20, v44
	v_add3_u32 v25, v25, v239, v240
	v_mul_i32_i24_e32 v239, v83, v204
	v_mul_i32_i24_e32 v240, v85, v218
	s_delay_alu instid0(VALU_DEP_1) | instskip(SKIP_2) | instid1(VALU_DEP_1)
	v_add3_u32 v68, v68, v239, v240
	v_mul_i32_i24_e32 v239, v74, v131
	v_mul_i32_i24_e32 v240, v76, v130
	v_add3_u32 v71, v71, v239, v240
	v_mul_i32_i24_e32 v239, v87, v202
	v_mul_i32_i24_e32 v240, v93, v216
	s_delay_alu instid0(VALU_DEP_1) | instskip(SKIP_2) | instid1(VALU_DEP_1)
	v_add3_u32 v75, v75, v239, v240
	v_mul_i32_i24_e32 v239, v87, v204
	v_mul_i32_i24_e32 v240, v93, v218
	v_add3_u32 v77, v77, v239, v240
	v_mul_i32_i24_e32 v239, v79, v127
	v_mul_i32_i24_e32 v240, v80, v126
	s_delay_alu instid0(VALU_DEP_1) | instskip(SKIP_4) | instid1(VALU_DEP_2)
	v_add3_u32 v78, v78, v240, v239
	ds_load_2addr_b32 v[239:240], v0 offset1:3
	s_wait_dscnt 0x0
	v_bfe_i32 v0, v240, 8, 8
	v_ashrrev_i32_e32 v20, 24, v240
	v_mul_i32_i24_e32 v44, v0, v208
	s_delay_alu instid0(VALU_DEP_2) | instskip(NEXT) | instid1(VALU_DEP_1)
	v_mul_i32_i24_e32 v241, v20, v207
	v_add3_u32 v25, v25, v241, v44
	v_mul_i32_i24_e32 v44, v0, v209
	v_mul_i32_i24_e32 v241, v20, v210
	s_delay_alu instid0(VALU_DEP_1) | instskip(SKIP_2) | instid1(VALU_DEP_1)
	v_add3_u32 v44, v68, v241, v44
	v_mul_i32_i24_e32 v68, v81, v127
	v_mul_i32_i24_e32 v241, v82, v126
	v_add3_u32 v68, v71, v241, v68
	ds_load_2addr_b32 v[241:242], v72 offset1:3
	v_mul_i32_i24_e32 v71, v74, v143
	v_mul_i32_i24_e32 v74, v76, v138
	s_delay_alu instid0(VALU_DEP_1) | instskip(SKIP_3) | instid1(VALU_DEP_2)
	v_add3_u32 v71, v73, v71, v74
	s_wait_dscnt 0x0
	v_bfe_i32 v72, v242, 8, 8
	v_ashrrev_i32_e32 v73, 24, v242
	v_mul_i32_i24_e32 v74, v72, v208
	s_delay_alu instid0(VALU_DEP_2) | instskip(NEXT) | instid1(VALU_DEP_1)
	v_mul_i32_i24_e32 v76, v73, v207
	v_add3_u32 v74, v75, v76, v74
	v_mul_i32_i24_e32 v75, v72, v209
	v_mul_i32_i24_e32 v76, v73, v210
	s_delay_alu instid0(VALU_DEP_1) | instskip(SKIP_2) | instid1(VALU_DEP_1)
	v_add3_u32 v75, v77, v76, v75
	v_mul_i32_i24_e32 v76, v85, v120
	v_mul_i32_i24_e32 v77, v83, v167
	v_add3_u32 v76, v78, v77, v76
	v_mul_i32_i24_e32 v77, v79, v154
	v_mul_i32_i24_e32 v78, v80, v153
	s_delay_alu instid0(VALU_DEP_1) | instskip(SKIP_2) | instid1(VALU_DEP_2)
	v_add3_u32 v1, v1, v78, v77
	v_bfe_i32 v77, v240, 0, 8
	v_bfe_i32 v78, v240, 16, 8
	v_mul_i32_i24_e32 v79, v77, v194
	s_delay_alu instid0(VALU_DEP_2) | instskip(NEXT) | instid1(VALU_DEP_1)
	v_mul_i32_i24_e32 v80, v78, v201
	v_add3_u32 v25, v25, v79, v80
	v_mul_i32_i24_e32 v79, v77, v195
	v_mul_i32_i24_e32 v80, v78, v203
	s_delay_alu instid0(VALU_DEP_1) | instskip(SKIP_2) | instid1(VALU_DEP_1)
	v_add3_u32 v44, v44, v79, v80
	v_mul_i32_i24_e32 v79, v93, v120
	v_mul_i32_i24_e32 v80, v87, v167
	v_add3_u32 v68, v68, v80, v79
	v_mul_i32_i24_e32 v79, v81, v154
	v_mul_i32_i24_e32 v80, v82, v153
	s_delay_alu instid0(VALU_DEP_1) | instskip(SKIP_2) | instid1(VALU_DEP_2)
	v_add3_u32 v71, v71, v80, v79
	v_bfe_i32 v79, v242, 0, 8
	v_bfe_i32 v80, v242, 16, 8
	v_mul_i32_i24_e32 v81, v79, v194
	s_delay_alu instid0(VALU_DEP_2) | instskip(NEXT) | instid1(VALU_DEP_1)
	v_mul_i32_i24_e32 v82, v80, v201
	v_add3_u32 v74, v74, v81, v82
	v_mul_i32_i24_e32 v81, v79, v195
	v_mul_i32_i24_e32 v82, v80, v203
	s_delay_alu instid0(VALU_DEP_1) | instskip(SKIP_4) | instid1(VALU_DEP_3)
	v_add3_u32 v75, v75, v81, v82
	v_mul_i32_i24_e32 v81, v20, v139
	v_mul_i32_i24_e32 v82, v0, v163
	;; [unrolled: 1-line block ×4, first 2 shown]
	v_add3_u32 v76, v76, v81, v82
	v_mul_i32_i24_e32 v81, v85, v148
	v_mul_i32_i24_e32 v82, v83, v166
	s_delay_alu instid0(VALU_DEP_1) | instskip(SKIP_2) | instid1(VALU_DEP_3)
	v_add3_u32 v1, v1, v82, v81
	v_bfe_i32 v81, v86, 0, 8
	v_ashrrev_i32_e32 v82, 24, v86
	v_add3_u32 v0, v1, v20, v0
	s_delay_alu instid0(VALU_DEP_3) | instskip(NEXT) | instid1(VALU_DEP_3)
	v_mul_i32_i24_e32 v83, v81, v198
	v_mul_i32_i24_e32 v85, v82, v197
	v_bfe_i32 v1, v86, 8, 8
	v_bfe_i32 v20, v86, 16, 8
	s_delay_alu instid0(VALU_DEP_3) | instskip(SKIP_3) | instid1(VALU_DEP_2)
	v_add3_u32 v25, v25, v85, v83
	v_mul_i32_i24_e32 v83, v81, v199
	v_mul_i32_i24_e32 v85, v82, v200
	;; [unrolled: 1-line block ×3, first 2 shown]
	v_add3_u32 v44, v44, v85, v83
	v_mul_i32_i24_e32 v83, v73, v139
	v_mul_i32_i24_e32 v85, v72, v163
	;; [unrolled: 1-line block ×4, first 2 shown]
	s_delay_alu instid0(VALU_DEP_3) | instskip(SKIP_2) | instid1(VALU_DEP_1)
	v_add3_u32 v68, v68, v83, v85
	v_mul_i32_i24_e32 v83, v93, v148
	v_mul_i32_i24_e32 v85, v87, v166
	v_add3_u32 v71, v71, v85, v83
	v_bfe_i32 v83, v88, 0, 8
	v_ashrrev_i32_e32 v85, 24, v88
	s_delay_alu instid0(VALU_DEP_3) | instskip(NEXT) | instid1(VALU_DEP_3)
	v_add3_u32 v71, v71, v73, v72
	v_mul_i32_i24_e32 v87, v83, v198
	s_delay_alu instid0(VALU_DEP_3) | instskip(SKIP_2) | instid1(VALU_DEP_3)
	v_mul_i32_i24_e32 v93, v85, v197
	v_bfe_i32 v72, v88, 8, 8
	v_bfe_i32 v73, v88, 16, 8
	v_add3_u32 v74, v74, v93, v87
	v_mul_i32_i24_e32 v87, v83, v199
	v_mul_i32_i24_e32 v93, v85, v200
	s_delay_alu instid0(VALU_DEP_1) | instskip(SKIP_4) | instid1(VALU_DEP_3)
	v_add3_u32 v75, v75, v93, v87
	v_mul_i32_i24_e32 v87, v77, v135
	v_mul_i32_i24_e32 v93, v78, v132
	;; [unrolled: 1-line block ×4, first 2 shown]
	v_add3_u32 v76, v76, v87, v93
	v_mul_i32_i24_e32 v87, v20, v193
	s_delay_alu instid0(VALU_DEP_3) | instskip(SKIP_2) | instid1(VALU_DEP_4)
	v_add3_u32 v0, v0, v77, v78
	v_bfe_i32 v77, v239, 0, 8
	v_bfe_i32 v78, v239, 8, 8
	v_add3_u32 v25, v25, v86, v87
	v_mul_i32_i24_e32 v86, v1, v192
	v_mul_i32_i24_e32 v87, v20, v196
	s_delay_alu instid0(VALU_DEP_1) | instskip(SKIP_4) | instid1(VALU_DEP_3)
	v_add3_u32 v44, v44, v86, v87
	v_mul_i32_i24_e32 v86, v79, v135
	v_mul_i32_i24_e32 v87, v80, v132
	;; [unrolled: 1-line block ×4, first 2 shown]
	v_add3_u32 v68, v68, v86, v87
	v_mul_i32_i24_e32 v86, v72, v189
	v_mul_i32_i24_e32 v87, v73, v193
	s_delay_alu instid0(VALU_DEP_4) | instskip(SKIP_2) | instid1(VALU_DEP_4)
	v_add3_u32 v71, v71, v79, v80
	v_bfe_i32 v79, v241, 0, 8
	v_bfe_i32 v80, v241, 8, 8
	v_add3_u32 v74, v74, v86, v87
	v_mul_i32_i24_e32 v86, v72, v192
	v_mul_i32_i24_e32 v87, v73, v196
	s_delay_alu instid0(VALU_DEP_1) | instskip(SKIP_4) | instid1(VALU_DEP_3)
	v_add3_u32 v75, v75, v86, v87
	v_mul_i32_i24_e32 v86, v81, v129
	v_mul_i32_i24_e32 v87, v82, v128
	;; [unrolled: 1-line block ×4, first 2 shown]
	v_add3_u32 v76, v76, v87, v86
	v_mul_i32_i24_e32 v86, v77, v115
	v_mul_i32_i24_e32 v87, v78, v114
	s_delay_alu instid0(VALU_DEP_4) | instskip(SKIP_2) | instid1(VALU_DEP_4)
	v_add3_u32 v0, v0, v82, v81
	v_bfe_i32 v81, v239, 16, 8
	v_ashrrev_i32_e32 v82, 24, v239
	v_add3_u32 v25, v25, v86, v87
	v_mul_i32_i24_e32 v86, v77, v118
	v_mul_i32_i24_e32 v87, v78, v119
	s_delay_alu instid0(VALU_DEP_1) | instskip(SKIP_4) | instid1(VALU_DEP_3)
	v_add3_u32 v44, v44, v86, v87
	v_mul_i32_i24_e32 v86, v83, v129
	v_mul_i32_i24_e32 v87, v85, v128
	v_mul_i32_i24_e32 v83, v83, v146
	v_mul_i32_i24_e32 v85, v85, v147
	v_add3_u32 v68, v68, v87, v86
	v_mul_i32_i24_e32 v86, v79, v115
	v_mul_i32_i24_e32 v87, v80, v114
	s_delay_alu instid0(VALU_DEP_4) | instskip(SKIP_2) | instid1(VALU_DEP_4)
	v_add3_u32 v71, v71, v85, v83
	v_bfe_i32 v83, v241, 16, 8
	v_ashrrev_i32_e32 v85, 24, v241
	v_add3_u32 v74, v74, v86, v87
	v_mul_i32_i24_e32 v86, v79, v118
	v_mul_i32_i24_e32 v87, v80, v119
	s_delay_alu instid0(VALU_DEP_1) | instskip(SKIP_4) | instid1(VALU_DEP_3)
	v_add3_u32 v75, v75, v86, v87
	v_mul_i32_i24_e32 v86, v20, v125
	v_mul_i32_i24_e32 v87, v1, v161
	;; [unrolled: 1-line block ×4, first 2 shown]
	v_add3_u32 v76, v76, v87, v86
	v_mul_i32_i24_e32 v86, v81, v112
	v_mul_i32_i24_e32 v87, v82, v113
	s_delay_alu instid0(VALU_DEP_4) | instskip(SKIP_2) | instid1(VALU_DEP_4)
	v_add3_u32 v0, v0, v1, v20
	v_mul_i32_i24_e32 v1, v111, v79
	v_mul_i32_i24_e32 v20, v4, v80
	v_add3_u32 v25, v25, v86, v87
	v_mul_i32_i24_e32 v86, v81, v116
	v_mul_i32_i24_e32 v87, v82, v117
	s_delay_alu instid0(VALU_DEP_3) | instskip(NEXT) | instid1(VALU_DEP_2)
	v_cvt_f32_i32_e32 v25, v25
	v_add3_u32 v44, v44, v86, v87
	v_mul_i32_i24_e32 v86, v73, v125
	v_mul_i32_i24_e32 v87, v72, v161
	s_delay_alu instid0(VALU_DEP_3) | instskip(NEXT) | instid1(VALU_DEP_2)
	v_cvt_f32_i32_e32 v44, v44
	v_add3_u32 v68, v68, v87, v86
	v_mul_i32_i24_e32 v86, v83, v112
	v_mul_i32_i24_e32 v87, v85, v113
	s_delay_alu instid0(VALU_DEP_3) | instskip(SKIP_1) | instid1(VALU_DEP_3)
	v_add3_u32 v1, v68, v1, v20
	v_mul_i32_i24_e32 v20, v73, v141
	v_add3_u32 v74, v74, v86, v87
	v_mul_i32_i24_e32 v86, v83, v116
	v_mul_i32_i24_e32 v87, v85, v117
	;; [unrolled: 1-line block ×4, first 2 shown]
	s_delay_alu instid0(VALU_DEP_3)
	v_add3_u32 v75, v75, v86, v87
	v_mul_i32_i24_e32 v86, v111, v77
	v_mul_i32_i24_e32 v87, v4, v78
	v_add3_u32 v20, v71, v68, v20
	v_mul_i32_i24_e32 v68, v109, v81
	v_mul_i32_i24_e32 v71, v110, v82
	s_delay_alu instid0(VALU_DEP_4) | instskip(NEXT) | instid1(VALU_DEP_1)
	v_add3_u32 v76, v76, v86, v87
	v_add3_u32 v68, v76, v68, v71
	v_mul_i32_i24_e32 v71, v123, v77
	s_delay_alu instid0(VALU_DEP_1) | instskip(SKIP_2) | instid1(VALU_DEP_1)
	v_add3_u32 v0, v0, v71, v72
	v_mul_i32_i24_e32 v71, v109, v83
	v_mul_i32_i24_e32 v72, v110, v85
	v_add3_u32 v1, v1, v71, v72
	v_mul_i32_i24_e32 v71, v123, v79
	v_mul_i32_i24_e32 v72, v124, v80
	s_delay_alu instid0(VALU_DEP_3) | instskip(NEXT) | instid1(VALU_DEP_2)
	v_cvt_f32_i32_e32 v1, v1
	v_add3_u32 v20, v20, v71, v72
	v_mul_i32_i24_e32 v71, v121, v81
	v_mul_i32_i24_e32 v72, v122, v82
	v_add_nc_u32_e32 v81, 0x1404, v102
	s_delay_alu instid0(VALU_DEP_2) | instskip(SKIP_4) | instid1(VALU_DEP_2)
	v_add3_u32 v0, v0, v71, v72
	v_mul_i32_i24_e32 v72, v122, v85
	ds_load_2addr_b32 v[85:86], v101 offset0:64 offset1:96
	v_mul_i32_i24_e32 v71, v121, v83
	v_cvt_f32_i32_e32 v0, v0
	v_add3_u32 v20, v20, v71, v72
	s_delay_alu instid0(VALU_DEP_1) | instskip(SKIP_2) | instid1(VALU_DEP_1)
	v_cvt_f32_i32_e32 v20, v20
	s_wait_dscnt 0x0
	v_lshrrev_b32_e32 v71, 16, v85
	v_cvt_f32_f16_e32 v71, v71
	s_delay_alu instid0(VALU_DEP_1) | instskip(NEXT) | instid1(VALU_DEP_1)
	v_mul_f32_e32 v71, 0x41000000, v71
	v_fma_mix_f32 v239, v85, v0, -v71 op_sel_hi:[1,0,0]
	v_lshrrev_b32_e32 v0, 16, v86
	v_fma_mix_f32 v244, v85, v25, -v71 op_sel_hi:[1,0,0]
	v_cvt_f32_i32_e32 v25, v68
	v_fma_mix_f32 v242, v85, v44, -v71 op_sel_hi:[1,0,0]
	v_cvt_f32_i32_e32 v44, v75
	v_cvt_f32_f16_e32 v0, v0
	v_fmac_f32_e32 v36, v108, v239
	v_fma_mix_f32 v240, v85, v25, -v71 op_sel_hi:[1,0,0]
	v_cvt_f32_i32_e32 v25, v74
	s_delay_alu instid0(VALU_DEP_4) | instskip(NEXT) | instid1(VALU_DEP_1)
	v_mul_f32_e32 v0, 0x41000000, v0
	v_fma_mix_f32 v246, v86, v25, -v0 op_sel_hi:[1,0,0]
	v_fma_mix_f32 v245, v86, v44, -v0 op_sel_hi:[1,0,0]
	;; [unrolled: 1-line block ×4, first 2 shown]
	s_delay_alu instid0(VALU_DEP_1)
	v_dual_fmac_f32 v31, v108, v241 :: v_dual_add_nc_u32 v0, 0x1000, v102
	ds_load_2addr_b32 v[85:86], v0 offset0:4 offset1:7
	s_wait_dscnt 0x0
	v_bfe_i32 v1, v85, 8, 8
	v_bfe_i32 v20, v85, 0, 8
	;; [unrolled: 1-line block ×3, first 2 shown]
	v_ashrrev_i32_e32 v68, 24, v85
	s_delay_alu instid0(VALU_DEP_4) | instskip(NEXT) | instid1(VALU_DEP_3)
	v_mul_i32_i24_e32 v25, v1, v185
	v_mul_i32_i24_e32 v71, v44, v188
	s_delay_alu instid0(VALU_DEP_3) | instskip(SKIP_1) | instid1(VALU_DEP_4)
	v_mul_i32_i24_e32 v72, v68, v187
	v_mul_i32_i24_e32 v73, v68, v191
	v_mad_i32_i24 v25, v20, v183, v25
	s_delay_alu instid0(VALU_DEP_1) | instskip(SKIP_2) | instid1(VALU_DEP_2)
	v_add3_u32 v25, v25, v71, v72
	v_mul_i32_i24_e32 v71, v1, v184
	v_mul_i32_i24_e32 v72, v44, v190
	v_mad_i32_i24 v71, v20, v181, v71
	s_delay_alu instid0(VALU_DEP_1)
	v_add3_u32 v71, v71, v72, v73
	v_add_nc_u32_e32 v72, 0x1400, v102
	ds_load_2addr_b32 v[87:88], v72 offset0:4 offset1:7
	s_wait_dscnt 0x0
	v_bfe_i32 v73, v87, 8, 8
	v_bfe_i32 v74, v87, 0, 8
	;; [unrolled: 1-line block ×3, first 2 shown]
	v_ashrrev_i32_e32 v77, 24, v87
	v_mul_i32_i24_e32 v87, v156, v68
	v_mul_i32_i24_e32 v75, v73, v185
	s_delay_alu instid0(VALU_DEP_4) | instskip(NEXT) | instid1(VALU_DEP_4)
	v_mul_i32_i24_e32 v78, v76, v188
	v_mul_i32_i24_e32 v79, v77, v187
	;; [unrolled: 1-line block ×3, first 2 shown]
	s_delay_alu instid0(VALU_DEP_4) | instskip(SKIP_1) | instid1(VALU_DEP_2)
	v_mad_i32_i24 v75, v74, v183, v75
	v_mul_i32_i24_e32 v253, v156, v77
	v_add3_u32 v75, v75, v78, v79
	v_mul_i32_i24_e32 v78, v73, v184
	v_mul_i32_i24_e32 v79, v76, v190
	s_delay_alu instid0(VALU_DEP_2) | instskip(NEXT) | instid1(VALU_DEP_1)
	v_mad_i32_i24 v78, v74, v181, v78
	v_add3_u32 v78, v78, v79, v80
	v_add_nc_u32_e32 v79, 0x1004, v102
	v_add_nc_u32_e32 v80, 0x1014, v102
	ds_load_2addr_b32 v[247:248], v79 offset1:1
	ds_load_2addr_b32 v[249:250], v80 offset1:1
	;; [unrolled: 1-line block ×3, first 2 shown]
	s_wait_dscnt 0x2
	v_bfe_i32 v79, v247, 8, 8
	v_ashrrev_i32_e32 v80, 24, v247
	s_delay_alu instid0(VALU_DEP_2) | instskip(NEXT) | instid1(VALU_DEP_2)
	v_mul_i32_i24_e32 v81, v79, v212
	v_mul_i32_i24_e32 v82, v80, v211
	s_delay_alu instid0(VALU_DEP_1) | instskip(SKIP_2) | instid1(VALU_DEP_1)
	v_add3_u32 v25, v25, v82, v81
	v_mul_i32_i24_e32 v81, v79, v213
	v_mul_i32_i24_e32 v82, v80, v214
	v_add3_u32 v71, v71, v82, v81
	s_wait_dscnt 0x0
	v_bfe_i32 v81, v251, 8, 8
	v_ashrrev_i32_e32 v82, 24, v251
	s_delay_alu instid0(VALU_DEP_2) | instskip(NEXT) | instid1(VALU_DEP_2)
	v_mul_i32_i24_e32 v83, v81, v212
	v_mul_i32_i24_e32 v85, v82, v211
	s_delay_alu instid0(VALU_DEP_1) | instskip(SKIP_2) | instid1(VALU_DEP_1)
	v_add3_u32 v75, v75, v85, v83
	v_mul_i32_i24_e32 v83, v81, v213
	v_mul_i32_i24_e32 v85, v82, v214
	v_add3_u32 v78, v78, v85, v83
	v_mul_i32_i24_e32 v83, v175, v1
	v_mul_i32_i24_e32 v85, v152, v44
	;; [unrolled: 1-line block ×3, first 2 shown]
	s_delay_alu instid0(VALU_DEP_3) | instskip(NEXT) | instid1(VALU_DEP_2)
	v_mad_i32_i24 v83, v159, v20, v83
	v_mad_i32_i24 v1, v171, v20, v1
	v_mul_i32_i24_e32 v20, v165, v44
	v_mul_i32_i24_e32 v44, v169, v68
	s_delay_alu instid0(VALU_DEP_4) | instskip(SKIP_2) | instid1(VALU_DEP_4)
	v_add3_u32 v83, v83, v85, v87
	v_bfe_i32 v85, v247, 0, 8
	v_bfe_i32 v87, v247, 16, 8
	v_add3_u32 v1, v1, v20, v44
	v_bfe_i32 v20, v249, 0, 8
	s_delay_alu instid0(VALU_DEP_4) | instskip(NEXT) | instid1(VALU_DEP_4)
	v_mul_i32_i24_e32 v93, v85, v205
	v_mul_i32_i24_e32 v247, v87, v226
	v_ashrrev_i32_e32 v44, 24, v249
	s_delay_alu instid0(VALU_DEP_4) | instskip(NEXT) | instid1(VALU_DEP_3)
	v_mul_i32_i24_e32 v68, v20, v235
	v_add3_u32 v25, v25, v93, v247
	v_mul_i32_i24_e32 v93, v85, v206
	v_mul_i32_i24_e32 v247, v87, v228
	s_delay_alu instid0(VALU_DEP_1) | instskip(SKIP_3) | instid1(VALU_DEP_3)
	v_add3_u32 v71, v71, v93, v247
	v_mul_i32_i24_e32 v93, v175, v73
	v_mul_i32_i24_e32 v247, v152, v76
	;; [unrolled: 1-line block ×3, first 2 shown]
	v_mad_i32_i24 v93, v159, v74, v93
	s_delay_alu instid0(VALU_DEP_2) | instskip(SKIP_2) | instid1(VALU_DEP_4)
	v_mad_i32_i24 v73, v171, v74, v73
	v_mul_i32_i24_e32 v74, v165, v76
	v_mul_i32_i24_e32 v76, v169, v77
	v_add3_u32 v93, v93, v247, v253
	v_bfe_i32 v247, v251, 0, 8
	v_bfe_i32 v251, v251, 16, 8
	s_delay_alu instid0(VALU_DEP_4) | instskip(SKIP_1) | instid1(VALU_DEP_4)
	v_add3_u32 v73, v73, v74, v76
	v_add_nc_u32_e32 v74, 0x1414, v102
	v_mul_i32_i24_e32 v253, v247, v205
	s_delay_alu instid0(VALU_DEP_4) | instskip(NEXT) | instid1(VALU_DEP_1)
	v_mul_i32_i24_e32 v254, v251, v226
	v_add3_u32 v75, v75, v253, v254
	v_mul_i32_i24_e32 v253, v247, v206
	v_mul_i32_i24_e32 v254, v251, v228
	s_delay_alu instid0(VALU_DEP_1) | instskip(SKIP_4) | instid1(VALU_DEP_3)
	v_add3_u32 v78, v78, v253, v254
	v_mul_i32_i24_e32 v253, v80, v155
	v_mul_i32_i24_e32 v254, v79, v172
	;; [unrolled: 1-line block ×4, first 2 shown]
	v_add3_u32 v83, v83, v253, v254
	v_mul_i32_i24_e32 v253, v44, v234
	s_delay_alu instid0(VALU_DEP_3) | instskip(SKIP_2) | instid1(VALU_DEP_4)
	v_add3_u32 v1, v1, v80, v79
	v_bfe_i32 v79, v249, 8, 8
	v_bfe_i32 v80, v249, 16, 8
	v_add3_u32 v25, v25, v253, v68
	v_mul_i32_i24_e32 v68, v20, v237
	v_mul_i32_i24_e32 v253, v44, v238
	s_delay_alu instid0(VALU_DEP_1) | instskip(SKIP_4) | instid1(VALU_DEP_3)
	v_add3_u32 v68, v71, v253, v68
	v_mul_i32_i24_e32 v71, v82, v155
	v_mul_i32_i24_e32 v253, v81, v172
	;; [unrolled: 1-line block ×4, first 2 shown]
	v_add3_u32 v71, v93, v71, v253
	ds_load_2addr_b32 v[253:254], v74 offset1:1
	v_add3_u32 v73, v73, v82, v81
	s_wait_dscnt 0x0
	v_bfe_i32 v74, v253, 0, 8
	v_ashrrev_i32_e32 v76, 24, v253
	v_bfe_i32 v81, v253, 8, 8
	v_bfe_i32 v82, v253, 16, 8
	s_delay_alu instid0(VALU_DEP_4) | instskip(NEXT) | instid1(VALU_DEP_4)
	v_mul_i32_i24_e32 v77, v74, v235
	v_mul_i32_i24_e32 v93, v76, v234
	s_delay_alu instid0(VALU_DEP_1) | instskip(SKIP_2) | instid1(VALU_DEP_1)
	v_add3_u32 v75, v75, v93, v77
	v_mul_i32_i24_e32 v77, v74, v237
	v_mul_i32_i24_e32 v93, v76, v238
	v_add3_u32 v77, v78, v93, v77
	v_mul_i32_i24_e32 v78, v85, v149
	v_mul_i32_i24_e32 v93, v87, v144
	s_delay_alu instid0(VALU_DEP_1) | instskip(SKIP_2) | instid1(VALU_DEP_1)
	v_add3_u32 v78, v83, v78, v93
	v_mul_i32_i24_e32 v83, v79, v221
	v_mul_i32_i24_e32 v93, v80, v233
	v_add3_u32 v25, v25, v83, v93
	;; [unrolled: 7-line block ×4, first 2 shown]
	v_mul_i32_i24_e32 v83, v20, v145
	v_mul_i32_i24_e32 v93, v44, v142
	;; [unrolled: 1-line block ×4, first 2 shown]
	s_delay_alu instid0(VALU_DEP_3) | instskip(SKIP_2) | instid1(VALU_DEP_1)
	v_add3_u32 v78, v78, v93, v83
	v_mul_i32_i24_e32 v83, v85, v162
	v_mul_i32_i24_e32 v85, v87, v158
	v_add3_u32 v1, v1, v83, v85
	v_bfe_i32 v83, v248, 8, 8
	v_ashrrev_i32_e32 v85, 24, v248
	s_delay_alu instid0(VALU_DEP_3) | instskip(NEXT) | instid1(VALU_DEP_3)
	v_add3_u32 v1, v1, v44, v20
	v_mul_i32_i24_e32 v87, v83, v230
	s_delay_alu instid0(VALU_DEP_3) | instskip(SKIP_2) | instid1(VALU_DEP_3)
	v_mul_i32_i24_e32 v93, v85, v229
	v_bfe_i32 v20, v248, 0, 8
	v_bfe_i32 v44, v248, 16, 8
	v_add3_u32 v25, v25, v93, v87
	v_mul_i32_i24_e32 v87, v83, v231
	v_mul_i32_i24_e32 v93, v85, v232
	s_delay_alu instid0(VALU_DEP_4) | instskip(NEXT) | instid1(VALU_DEP_2)
	v_mul_i32_i24_e32 v248, v44, v225
	v_add3_u32 v68, v68, v93, v87
	v_mul_i32_i24_e32 v87, v74, v145
	v_mul_i32_i24_e32 v93, v76, v142
	;; [unrolled: 1-line block ×4, first 2 shown]
	s_delay_alu instid0(VALU_DEP_3) | instskip(SKIP_2) | instid1(VALU_DEP_1)
	v_add3_u32 v71, v71, v93, v87
	v_mul_i32_i24_e32 v87, v247, v162
	v_mul_i32_i24_e32 v93, v251, v158
	v_add3_u32 v73, v73, v87, v93
	v_bfe_i32 v87, v252, 8, 8
	v_ashrrev_i32_e32 v93, 24, v252
	s_delay_alu instid0(VALU_DEP_3) | instskip(NEXT) | instid1(VALU_DEP_3)
	v_add3_u32 v73, v73, v76, v74
	v_mul_i32_i24_e32 v247, v87, v230
	s_delay_alu instid0(VALU_DEP_3) | instskip(SKIP_2) | instid1(VALU_DEP_3)
	v_mul_i32_i24_e32 v249, v93, v229
	v_bfe_i32 v74, v252, 0, 8
	v_bfe_i32 v76, v252, 16, 8
	v_add3_u32 v75, v75, v249, v247
	v_mul_i32_i24_e32 v247, v87, v231
	v_mul_i32_i24_e32 v249, v93, v232
	s_delay_alu instid0(VALU_DEP_1) | instskip(SKIP_4) | instid1(VALU_DEP_3)
	v_add3_u32 v77, v77, v249, v247
	v_mul_i32_i24_e32 v247, v80, v133
	v_mul_i32_i24_e32 v249, v79, v174
	;; [unrolled: 1-line block ×4, first 2 shown]
	v_add3_u32 v78, v78, v249, v247
	v_mul_i32_i24_e32 v247, v20, v215
	s_delay_alu instid0(VALU_DEP_3) | instskip(SKIP_2) | instid1(VALU_DEP_4)
	v_add3_u32 v1, v1, v79, v80
	v_bfe_i32 v79, v250, 0, 8
	v_ashrrev_i32_e32 v80, 24, v250
	v_add3_u32 v25, v25, v247, v248
	v_mul_i32_i24_e32 v247, v20, v217
	v_mul_i32_i24_e32 v248, v44, v227
	s_delay_alu instid0(VALU_DEP_1) | instskip(SKIP_4) | instid1(VALU_DEP_3)
	v_add3_u32 v68, v68, v247, v248
	v_mul_i32_i24_e32 v247, v82, v133
	v_mul_i32_i24_e32 v248, v81, v174
	;; [unrolled: 1-line block ×4, first 2 shown]
	v_add3_u32 v71, v71, v248, v247
	v_mul_i32_i24_e32 v247, v74, v215
	v_mul_i32_i24_e32 v248, v76, v225
	s_delay_alu instid0(VALU_DEP_4) | instskip(SKIP_2) | instid1(VALU_DEP_4)
	v_add3_u32 v73, v73, v81, v82
	v_bfe_i32 v81, v254, 0, 8
	v_ashrrev_i32_e32 v82, 24, v254
	v_add3_u32 v75, v75, v247, v248
	v_mul_i32_i24_e32 v247, v74, v217
	v_mul_i32_i24_e32 v248, v76, v227
	s_delay_alu instid0(VALU_DEP_1) | instskip(SKIP_4) | instid1(VALU_DEP_3)
	v_add3_u32 v77, v77, v247, v248
	v_mul_i32_i24_e32 v247, v85, v134
	v_mul_i32_i24_e32 v248, v83, v170
	;; [unrolled: 1-line block ×4, first 2 shown]
	v_add3_u32 v78, v78, v247, v248
	v_mul_i32_i24_e32 v247, v79, v220
	v_mul_i32_i24_e32 v248, v80, v219
	s_delay_alu instid0(VALU_DEP_4) | instskip(SKIP_2) | instid1(VALU_DEP_4)
	v_add3_u32 v1, v1, v85, v83
	v_bfe_i32 v83, v250, 8, 8
	v_bfe_i32 v85, v250, 16, 8
	v_add3_u32 v25, v25, v248, v247
	v_mul_i32_i24_e32 v247, v79, v223
	v_mul_i32_i24_e32 v248, v80, v224
	s_delay_alu instid0(VALU_DEP_1) | instskip(SKIP_4) | instid1(VALU_DEP_3)
	v_add3_u32 v68, v68, v248, v247
	v_mul_i32_i24_e32 v247, v93, v134
	v_mul_i32_i24_e32 v248, v87, v170
	v_mul_i32_i24_e32 v93, v93, v150
	v_mul_i32_i24_e32 v87, v87, v176
	v_add3_u32 v71, v71, v247, v248
	v_mul_i32_i24_e32 v247, v81, v220
	v_mul_i32_i24_e32 v248, v82, v219
	s_delay_alu instid0(VALU_DEP_4) | instskip(SKIP_2) | instid1(VALU_DEP_4)
	v_add3_u32 v73, v73, v93, v87
	v_bfe_i32 v87, v254, 8, 8
	v_bfe_i32 v93, v254, 16, 8
	v_add3_u32 v75, v75, v248, v247
	v_mul_i32_i24_e32 v247, v81, v223
	v_mul_i32_i24_e32 v248, v82, v224
	s_delay_alu instid0(VALU_DEP_1) | instskip(SKIP_4) | instid1(VALU_DEP_3)
	v_add3_u32 v77, v77, v248, v247
	v_mul_i32_i24_e32 v247, v20, v131
	v_mul_i32_i24_e32 v248, v44, v130
	;; [unrolled: 1-line block ×4, first 2 shown]
	v_add3_u32 v78, v78, v247, v248
	v_mul_i32_i24_e32 v247, v83, v202
	v_mul_i32_i24_e32 v248, v85, v216
	s_delay_alu instid0(VALU_DEP_4) | instskip(NEXT) | instid1(VALU_DEP_2)
	v_add3_u32 v1, v1, v20, v44
	v_add3_u32 v25, v25, v247, v248
	v_mul_i32_i24_e32 v247, v83, v204
	v_mul_i32_i24_e32 v248, v85, v218
	s_delay_alu instid0(VALU_DEP_1) | instskip(SKIP_2) | instid1(VALU_DEP_1)
	v_add3_u32 v68, v68, v247, v248
	v_mul_i32_i24_e32 v247, v74, v131
	v_mul_i32_i24_e32 v248, v76, v130
	v_add3_u32 v71, v71, v247, v248
	v_mul_i32_i24_e32 v247, v87, v202
	v_mul_i32_i24_e32 v248, v93, v216
	s_delay_alu instid0(VALU_DEP_1) | instskip(SKIP_2) | instid1(VALU_DEP_1)
	v_add3_u32 v75, v75, v247, v248
	v_mul_i32_i24_e32 v247, v87, v204
	v_mul_i32_i24_e32 v248, v93, v218
	v_add3_u32 v77, v77, v247, v248
	v_mul_i32_i24_e32 v247, v79, v127
	v_mul_i32_i24_e32 v248, v80, v126
	s_delay_alu instid0(VALU_DEP_1) | instskip(SKIP_4) | instid1(VALU_DEP_2)
	v_add3_u32 v78, v78, v248, v247
	ds_load_2addr_b32 v[247:248], v0 offset1:3
	s_wait_dscnt 0x0
	v_bfe_i32 v0, v248, 8, 8
	v_ashrrev_i32_e32 v20, 24, v248
	v_mul_i32_i24_e32 v44, v0, v208
	s_delay_alu instid0(VALU_DEP_2) | instskip(NEXT) | instid1(VALU_DEP_1)
	v_mul_i32_i24_e32 v249, v20, v207
	v_add3_u32 v25, v25, v249, v44
	v_mul_i32_i24_e32 v44, v0, v209
	v_mul_i32_i24_e32 v249, v20, v210
	s_delay_alu instid0(VALU_DEP_1) | instskip(SKIP_2) | instid1(VALU_DEP_1)
	v_add3_u32 v44, v68, v249, v44
	v_mul_i32_i24_e32 v68, v81, v127
	v_mul_i32_i24_e32 v249, v82, v126
	v_add3_u32 v68, v71, v249, v68
	ds_load_2addr_b32 v[249:250], v72 offset1:3
	v_mul_i32_i24_e32 v71, v74, v143
	v_mul_i32_i24_e32 v74, v76, v138
	s_delay_alu instid0(VALU_DEP_1) | instskip(SKIP_3) | instid1(VALU_DEP_2)
	v_add3_u32 v71, v73, v71, v74
	s_wait_dscnt 0x0
	v_bfe_i32 v72, v250, 8, 8
	v_ashrrev_i32_e32 v73, 24, v250
	v_mul_i32_i24_e32 v74, v72, v208
	s_delay_alu instid0(VALU_DEP_2) | instskip(NEXT) | instid1(VALU_DEP_1)
	v_mul_i32_i24_e32 v76, v73, v207
	v_add3_u32 v74, v75, v76, v74
	v_mul_i32_i24_e32 v75, v72, v209
	v_mul_i32_i24_e32 v76, v73, v210
	s_delay_alu instid0(VALU_DEP_1) | instskip(SKIP_2) | instid1(VALU_DEP_1)
	v_add3_u32 v75, v77, v76, v75
	v_mul_i32_i24_e32 v76, v85, v120
	v_mul_i32_i24_e32 v77, v83, v167
	v_add3_u32 v76, v78, v77, v76
	v_mul_i32_i24_e32 v77, v79, v154
	v_mul_i32_i24_e32 v78, v80, v153
	s_delay_alu instid0(VALU_DEP_1) | instskip(SKIP_2) | instid1(VALU_DEP_2)
	v_add3_u32 v1, v1, v78, v77
	v_bfe_i32 v77, v248, 0, 8
	v_bfe_i32 v78, v248, 16, 8
	v_mul_i32_i24_e32 v79, v77, v194
	s_delay_alu instid0(VALU_DEP_2) | instskip(NEXT) | instid1(VALU_DEP_1)
	v_mul_i32_i24_e32 v80, v78, v201
	v_add3_u32 v25, v25, v79, v80
	v_mul_i32_i24_e32 v79, v77, v195
	v_mul_i32_i24_e32 v80, v78, v203
	s_delay_alu instid0(VALU_DEP_1) | instskip(SKIP_2) | instid1(VALU_DEP_1)
	v_add3_u32 v44, v44, v79, v80
	v_mul_i32_i24_e32 v79, v93, v120
	v_mul_i32_i24_e32 v80, v87, v167
	v_add3_u32 v68, v68, v80, v79
	v_mul_i32_i24_e32 v79, v81, v154
	v_mul_i32_i24_e32 v80, v82, v153
	s_delay_alu instid0(VALU_DEP_1) | instskip(SKIP_2) | instid1(VALU_DEP_2)
	v_add3_u32 v71, v71, v80, v79
	v_bfe_i32 v79, v250, 0, 8
	v_bfe_i32 v80, v250, 16, 8
	v_mul_i32_i24_e32 v81, v79, v194
	s_delay_alu instid0(VALU_DEP_2) | instskip(NEXT) | instid1(VALU_DEP_1)
	v_mul_i32_i24_e32 v82, v80, v201
	v_add3_u32 v74, v74, v81, v82
	v_mul_i32_i24_e32 v81, v79, v195
	v_mul_i32_i24_e32 v82, v80, v203
	s_delay_alu instid0(VALU_DEP_1) | instskip(SKIP_4) | instid1(VALU_DEP_3)
	v_add3_u32 v75, v75, v81, v82
	v_mul_i32_i24_e32 v81, v20, v139
	v_mul_i32_i24_e32 v82, v0, v163
	v_mul_i32_i24_e32 v20, v20, v140
	v_mul_i32_i24_e32 v0, v0, v168
	v_add3_u32 v76, v76, v81, v82
	v_mul_i32_i24_e32 v81, v85, v148
	v_mul_i32_i24_e32 v82, v83, v166
	s_delay_alu instid0(VALU_DEP_1) | instskip(SKIP_2) | instid1(VALU_DEP_3)
	v_add3_u32 v1, v1, v82, v81
	v_bfe_i32 v81, v86, 0, 8
	v_ashrrev_i32_e32 v82, 24, v86
	v_add3_u32 v0, v1, v20, v0
	s_delay_alu instid0(VALU_DEP_3) | instskip(NEXT) | instid1(VALU_DEP_3)
	v_mul_i32_i24_e32 v83, v81, v198
	v_mul_i32_i24_e32 v85, v82, v197
	v_bfe_i32 v1, v86, 8, 8
	v_bfe_i32 v20, v86, 16, 8
	s_delay_alu instid0(VALU_DEP_3) | instskip(SKIP_3) | instid1(VALU_DEP_2)
	v_add3_u32 v25, v25, v85, v83
	v_mul_i32_i24_e32 v83, v81, v199
	v_mul_i32_i24_e32 v85, v82, v200
	;; [unrolled: 1-line block ×3, first 2 shown]
	v_add3_u32 v44, v44, v85, v83
	v_mul_i32_i24_e32 v83, v73, v139
	v_mul_i32_i24_e32 v85, v72, v163
	;; [unrolled: 1-line block ×4, first 2 shown]
	s_delay_alu instid0(VALU_DEP_3) | instskip(SKIP_2) | instid1(VALU_DEP_1)
	v_add3_u32 v68, v68, v83, v85
	v_mul_i32_i24_e32 v83, v93, v148
	v_mul_i32_i24_e32 v85, v87, v166
	v_add3_u32 v71, v71, v85, v83
	v_bfe_i32 v83, v88, 0, 8
	v_ashrrev_i32_e32 v85, 24, v88
	s_delay_alu instid0(VALU_DEP_3) | instskip(NEXT) | instid1(VALU_DEP_3)
	v_add3_u32 v71, v71, v73, v72
	v_mul_i32_i24_e32 v87, v83, v198
	s_delay_alu instid0(VALU_DEP_3) | instskip(SKIP_2) | instid1(VALU_DEP_3)
	v_mul_i32_i24_e32 v93, v85, v197
	v_bfe_i32 v72, v88, 8, 8
	v_bfe_i32 v73, v88, 16, 8
	v_add3_u32 v74, v74, v93, v87
	v_mul_i32_i24_e32 v87, v83, v199
	v_mul_i32_i24_e32 v93, v85, v200
	s_delay_alu instid0(VALU_DEP_1) | instskip(SKIP_4) | instid1(VALU_DEP_3)
	v_add3_u32 v75, v75, v93, v87
	v_mul_i32_i24_e32 v87, v77, v135
	v_mul_i32_i24_e32 v93, v78, v132
	;; [unrolled: 1-line block ×4, first 2 shown]
	v_add3_u32 v76, v76, v87, v93
	v_mul_i32_i24_e32 v87, v20, v193
	s_delay_alu instid0(VALU_DEP_3) | instskip(SKIP_2) | instid1(VALU_DEP_4)
	v_add3_u32 v0, v0, v77, v78
	v_bfe_i32 v77, v247, 0, 8
	v_bfe_i32 v78, v247, 8, 8
	v_add3_u32 v25, v25, v86, v87
	v_mul_i32_i24_e32 v86, v1, v192
	v_mul_i32_i24_e32 v87, v20, v196
	s_delay_alu instid0(VALU_DEP_1) | instskip(SKIP_4) | instid1(VALU_DEP_3)
	v_add3_u32 v44, v44, v86, v87
	v_mul_i32_i24_e32 v86, v79, v135
	v_mul_i32_i24_e32 v87, v80, v132
	;; [unrolled: 1-line block ×4, first 2 shown]
	v_add3_u32 v68, v68, v86, v87
	v_mul_i32_i24_e32 v86, v72, v189
	v_mul_i32_i24_e32 v87, v73, v193
	s_delay_alu instid0(VALU_DEP_4) | instskip(SKIP_2) | instid1(VALU_DEP_4)
	v_add3_u32 v71, v71, v79, v80
	v_bfe_i32 v79, v249, 0, 8
	v_bfe_i32 v80, v249, 8, 8
	v_add3_u32 v74, v74, v86, v87
	v_mul_i32_i24_e32 v86, v72, v192
	v_mul_i32_i24_e32 v87, v73, v196
	s_delay_alu instid0(VALU_DEP_1) | instskip(SKIP_4) | instid1(VALU_DEP_3)
	v_add3_u32 v75, v75, v86, v87
	v_mul_i32_i24_e32 v86, v81, v129
	v_mul_i32_i24_e32 v87, v82, v128
	;; [unrolled: 1-line block ×4, first 2 shown]
	v_add3_u32 v76, v76, v87, v86
	v_mul_i32_i24_e32 v86, v77, v115
	v_mul_i32_i24_e32 v87, v78, v114
	s_delay_alu instid0(VALU_DEP_4) | instskip(SKIP_2) | instid1(VALU_DEP_4)
	v_add3_u32 v0, v0, v82, v81
	v_bfe_i32 v81, v247, 16, 8
	v_ashrrev_i32_e32 v82, 24, v247
	v_add3_u32 v25, v25, v86, v87
	v_mul_i32_i24_e32 v86, v77, v118
	v_mul_i32_i24_e32 v87, v78, v119
	s_delay_alu instid0(VALU_DEP_1) | instskip(SKIP_4) | instid1(VALU_DEP_3)
	v_add3_u32 v44, v44, v86, v87
	v_mul_i32_i24_e32 v86, v83, v129
	v_mul_i32_i24_e32 v87, v85, v128
	;; [unrolled: 1-line block ×4, first 2 shown]
	v_add3_u32 v68, v68, v87, v86
	v_mul_i32_i24_e32 v86, v79, v115
	v_mul_i32_i24_e32 v87, v80, v114
	s_delay_alu instid0(VALU_DEP_4) | instskip(SKIP_2) | instid1(VALU_DEP_4)
	v_add3_u32 v71, v71, v85, v83
	v_bfe_i32 v83, v249, 16, 8
	v_ashrrev_i32_e32 v85, 24, v249
	v_add3_u32 v74, v74, v86, v87
	v_mul_i32_i24_e32 v86, v79, v118
	v_mul_i32_i24_e32 v87, v80, v119
	s_delay_alu instid0(VALU_DEP_1) | instskip(SKIP_4) | instid1(VALU_DEP_3)
	v_add3_u32 v75, v75, v86, v87
	v_mul_i32_i24_e32 v86, v20, v125
	v_mul_i32_i24_e32 v87, v1, v161
	;; [unrolled: 1-line block ×4, first 2 shown]
	v_add3_u32 v76, v76, v87, v86
	v_mul_i32_i24_e32 v86, v81, v112
	v_mul_i32_i24_e32 v87, v82, v113
	s_delay_alu instid0(VALU_DEP_4) | instskip(SKIP_2) | instid1(VALU_DEP_4)
	v_add3_u32 v0, v0, v1, v20
	v_mul_i32_i24_e32 v1, v111, v79
	v_mul_i32_i24_e32 v20, v4, v80
	v_add3_u32 v25, v25, v86, v87
	v_mul_i32_i24_e32 v86, v81, v116
	v_mul_i32_i24_e32 v87, v82, v117
	s_delay_alu instid0(VALU_DEP_3) | instskip(NEXT) | instid1(VALU_DEP_2)
	v_cvt_f32_i32_e32 v25, v25
	v_add3_u32 v44, v44, v86, v87
	v_mul_i32_i24_e32 v86, v73, v125
	v_mul_i32_i24_e32 v87, v72, v161
	s_delay_alu instid0(VALU_DEP_3) | instskip(NEXT) | instid1(VALU_DEP_2)
	v_cvt_f32_i32_e32 v44, v44
	v_add3_u32 v68, v68, v87, v86
	v_mul_i32_i24_e32 v86, v83, v112
	v_mul_i32_i24_e32 v87, v85, v113
	s_delay_alu instid0(VALU_DEP_3) | instskip(SKIP_1) | instid1(VALU_DEP_3)
	v_add3_u32 v1, v68, v1, v20
	v_mul_i32_i24_e32 v20, v73, v141
	v_add3_u32 v74, v74, v86, v87
	v_mul_i32_i24_e32 v86, v83, v116
	v_mul_i32_i24_e32 v87, v85, v117
	;; [unrolled: 1-line block ×4, first 2 shown]
	s_delay_alu instid0(VALU_DEP_3)
	v_add3_u32 v75, v75, v86, v87
	v_mul_i32_i24_e32 v86, v111, v77
	v_mul_i32_i24_e32 v87, v4, v78
	v_add3_u32 v20, v71, v68, v20
	v_mul_i32_i24_e32 v68, v109, v81
	v_mul_i32_i24_e32 v71, v110, v82
	s_delay_alu instid0(VALU_DEP_4) | instskip(NEXT) | instid1(VALU_DEP_1)
	v_add3_u32 v76, v76, v86, v87
	v_add3_u32 v68, v76, v68, v71
	v_mul_i32_i24_e32 v71, v123, v77
	s_delay_alu instid0(VALU_DEP_1) | instskip(SKIP_2) | instid1(VALU_DEP_1)
	v_add3_u32 v0, v0, v71, v72
	v_mul_i32_i24_e32 v71, v109, v83
	v_mul_i32_i24_e32 v72, v110, v85
	v_add3_u32 v1, v1, v71, v72
	v_mul_i32_i24_e32 v71, v123, v79
	v_mul_i32_i24_e32 v72, v124, v80
	s_delay_alu instid0(VALU_DEP_3) | instskip(NEXT) | instid1(VALU_DEP_2)
	v_cvt_f32_i32_e32 v1, v1
	v_add3_u32 v20, v20, v71, v72
	v_mul_i32_i24_e32 v71, v121, v81
	v_mul_i32_i24_e32 v72, v122, v82
	s_delay_alu instid0(VALU_DEP_1) | instskip(SKIP_4) | instid1(VALU_DEP_2)
	v_add3_u32 v0, v0, v71, v72
	v_mul_i32_i24_e32 v72, v122, v85
	ds_load_2addr_b32 v[85:86], v101 offset0:128 offset1:160
	v_mul_i32_i24_e32 v71, v121, v83
	v_cvt_f32_i32_e32 v0, v0
	v_add3_u32 v20, v20, v71, v72
	s_delay_alu instid0(VALU_DEP_1) | instskip(SKIP_2) | instid1(VALU_DEP_1)
	v_cvt_f32_i32_e32 v20, v20
	s_wait_dscnt 0x0
	v_lshrrev_b32_e32 v71, 16, v85
	v_cvt_f32_f16_e32 v71, v71
	s_delay_alu instid0(VALU_DEP_1) | instskip(NEXT) | instid1(VALU_DEP_1)
	v_mul_f32_e32 v71, 0x41000000, v71
	v_fma_mix_f32 v247, v85, v0, -v71 op_sel_hi:[1,0,0]
	v_lshrrev_b32_e32 v0, 16, v86
	v_fma_mix_f32 v250, v85, v44, -v71 op_sel_hi:[1,0,0]
	v_cvt_f32_i32_e32 v44, v68
	v_cvt_f32_i32_e32 v68, v75
	v_fma_mix_f32 v25, v85, v25, -v71 op_sel_hi:[1,0,0]
	v_cvt_f32_f16_e32 v0, v0
	v_fmac_f32_e32 v27, v108, v247
	v_fma_mix_f32 v249, v85, v44, -v71 op_sel_hi:[1,0,0]
	v_cvt_f32_i32_e32 v44, v74
	s_delay_alu instid0(VALU_DEP_4) | instskip(NEXT) | instid1(VALU_DEP_1)
	v_mul_f32_e32 v0, 0x41000000, v0
	v_fma_mix_f32 v44, v86, v44, -v0 op_sel_hi:[1,0,0]
	v_fma_mix_f32 v68, v86, v68, -v0 op_sel_hi:[1,0,0]
	v_fma_mix_f32 v251, v86, v1, -v0 op_sel_hi:[1,0,0]
	v_fma_mix_f32 v248, v86, v20, -v0 op_sel_hi:[1,0,0]
	v_add_nc_u32_e32 v0, 0x1800, v102
	s_delay_alu instid0(VALU_DEP_2)
	v_fmac_f32_e32 v22, v108, v248
	ds_load_2addr_b32 v[85:86], v0 offset0:4 offset1:7
	s_wait_dscnt 0x0
	v_bfe_i32 v1, v85, 8, 8
	v_bfe_i32 v20, v85, 0, 8
	;; [unrolled: 1-line block ×3, first 2 shown]
	v_ashrrev_i32_e32 v73, 24, v85
	v_add_nc_u32_e32 v85, 0x1c04, v102
	v_mul_i32_i24_e32 v71, v1, v185
	s_delay_alu instid0(VALU_DEP_4) | instskip(NEXT) | instid1(VALU_DEP_4)
	v_mul_i32_i24_e32 v74, v72, v188
	v_mul_i32_i24_e32 v75, v73, v187
	;; [unrolled: 1-line block ×3, first 2 shown]
	s_delay_alu instid0(VALU_DEP_4) | instskip(NEXT) | instid1(VALU_DEP_1)
	v_mad_i32_i24 v71, v20, v183, v71
	v_add3_u32 v71, v71, v74, v75
	v_mul_i32_i24_e32 v74, v1, v184
	v_mul_i32_i24_e32 v75, v72, v190
	s_delay_alu instid0(VALU_DEP_2) | instskip(NEXT) | instid1(VALU_DEP_1)
	v_mad_i32_i24 v74, v20, v181, v74
	v_add3_u32 v74, v74, v75, v76
	v_add_nc_u32_e32 v75, 0x1c00, v102
	ds_load_2addr_b32 v[87:88], v75 offset0:4 offset1:7
	s_wait_dscnt 0x0
	v_bfe_i32 v76, v87, 8, 8
	v_bfe_i32 v78, v87, 0, 8
	v_bfe_i32 v79, v87, 16, 8
	v_ashrrev_i32_e32 v81, 24, v87
	s_delay_alu instid0(VALU_DEP_4) | instskip(SKIP_1) | instid1(VALU_DEP_4)
	v_mul_i32_i24_e32 v77, v76, v185
	v_mul_i32_i24_e32 v185, v156, v73
	;; [unrolled: 1-line block ×3, first 2 shown]
	s_delay_alu instid0(VALU_DEP_4)
	v_mul_i32_i24_e32 v82, v81, v187
	v_mul_i32_i24_e32 v83, v81, v191
	v_mad_i32_i24 v77, v78, v183, v77
	v_mul_i32_i24_e32 v156, v156, v81
	v_mul_i32_i24_e32 v73, v169, v73
	v_mul_i32_i24_e32 v81, v169, v81
	s_delay_alu instid0(VALU_DEP_4) | instskip(SKIP_2) | instid1(VALU_DEP_2)
	v_add3_u32 v77, v77, v80, v82
	v_mul_i32_i24_e32 v80, v76, v184
	v_mul_i32_i24_e32 v82, v79, v190
	v_mad_i32_i24 v80, v78, v181, v80
	s_delay_alu instid0(VALU_DEP_1)
	v_add3_u32 v80, v80, v82, v83
	v_add_nc_u32_e32 v82, 0x1804, v102
	v_add_nc_u32_e32 v83, 0x1814, v102
	ds_load_2addr_b32 v[183:184], v82 offset1:1
	ds_load_2addr_b32 v[187:188], v83 offset1:1
	;; [unrolled: 1-line block ×3, first 2 shown]
	s_wait_dscnt 0x2
	v_bfe_i32 v82, v183, 8, 8
	v_ashrrev_i32_e32 v83, 24, v183
	s_wait_dscnt 0x0
	v_ashrrev_i32_e32 v93, 24, v190
	s_delay_alu instid0(VALU_DEP_3) | instskip(NEXT) | instid1(VALU_DEP_3)
	v_mul_i32_i24_e32 v85, v82, v212
	v_mul_i32_i24_e32 v87, v83, v211
	s_delay_alu instid0(VALU_DEP_3) | instskip(NEXT) | instid1(VALU_DEP_2)
	v_mul_i32_i24_e32 v181, v93, v211
	v_add3_u32 v71, v71, v87, v85
	v_mul_i32_i24_e32 v85, v82, v213
	v_mul_i32_i24_e32 v87, v83, v214
	s_delay_alu instid0(VALU_DEP_1) | instskip(SKIP_1) | instid1(VALU_DEP_1)
	v_add3_u32 v74, v74, v87, v85
	v_bfe_i32 v85, v190, 8, 8
	v_mul_i32_i24_e32 v87, v85, v212
	s_delay_alu instid0(VALU_DEP_1) | instskip(SKIP_2) | instid1(VALU_DEP_1)
	v_add3_u32 v77, v77, v181, v87
	v_mul_i32_i24_e32 v87, v85, v213
	v_mul_i32_i24_e32 v181, v93, v214
	v_add3_u32 v80, v80, v181, v87
	v_mul_i32_i24_e32 v87, v175, v1
	v_mul_i32_i24_e32 v175, v175, v76
	v_mul_i32_i24_e32 v181, v152, v72
	v_mul_i32_i24_e32 v152, v152, v79
	v_mul_i32_i24_e32 v1, v186, v1
	v_mad_i32_i24 v87, v159, v20, v87
	v_mad_i32_i24 v159, v159, v78, v175
	v_mul_i32_i24_e32 v76, v186, v76
	v_mul_i32_i24_e32 v72, v165, v72
	v_mad_i32_i24 v1, v171, v20, v1
	v_add3_u32 v87, v87, v181, v185
	v_add3_u32 v152, v159, v152, v156
	v_mad_i32_i24 v20, v171, v78, v76
	v_bfe_i32 v76, v190, 0, 8
	v_bfe_i32 v159, v190, 16, 8
	;; [unrolled: 1-line block ×4, first 2 shown]
	v_add3_u32 v1, v1, v72, v73
	v_mul_i32_i24_e32 v78, v76, v205
	v_mul_i32_i24_e32 v156, v159, v226
	;; [unrolled: 1-line block ×4, first 2 shown]
	v_bfe_i32 v72, v187, 0, 8
	v_ashrrev_i32_e32 v73, 24, v187
	v_add3_u32 v77, v77, v78, v156
	v_mul_i32_i24_e32 v78, v76, v206
	v_mul_i32_i24_e32 v156, v159, v228
	v_add3_u32 v71, v71, v185, v211
	v_mul_i32_i24_e32 v185, v181, v206
	v_mul_i32_i24_e32 v211, v183, v228
	;; [unrolled: 1-line block ×3, first 2 shown]
	v_add3_u32 v78, v80, v78, v156
	v_mul_i32_i24_e32 v80, v83, v155
	v_mul_i32_i24_e32 v156, v82, v172
	v_add3_u32 v74, v74, v185, v211
	v_add3_u32 v20, v20, v79, v81
	v_add_nc_u32_e32 v79, 0x1c14, v102
	v_mul_i32_i24_e32 v82, v82, v177
	v_add3_u32 v80, v87, v80, v156
	v_mul_i32_i24_e32 v87, v72, v235
	v_mul_i32_i24_e32 v156, v73, v234
	v_add_nc_u32_e32 v102, 32, v102
	s_delay_alu instid0(VALU_DEP_2) | instskip(SKIP_2) | instid1(VALU_DEP_1)
	v_add3_u32 v71, v71, v156, v87
	v_mul_i32_i24_e32 v87, v72, v237
	v_mul_i32_i24_e32 v156, v73, v238
	v_add3_u32 v74, v74, v156, v87
	v_mul_i32_i24_e32 v87, v93, v155
	v_mul_i32_i24_e32 v155, v85, v172
	;; [unrolled: 1-line block ×3, first 2 shown]
	s_delay_alu instid0(VALU_DEP_2) | instskip(SKIP_4) | instid1(VALU_DEP_2)
	v_add3_u32 v87, v152, v87, v155
	ds_load_2addr_b32 v[155:156], v79 offset1:1
	s_wait_dscnt 0x0
	v_bfe_i32 v79, v155, 0, 8
	v_ashrrev_i32_e32 v152, 24, v155
	v_mul_i32_i24_e32 v81, v79, v235
	s_delay_alu instid0(VALU_DEP_2) | instskip(NEXT) | instid1(VALU_DEP_1)
	v_mul_i32_i24_e32 v165, v152, v234
	v_add3_u32 v77, v77, v165, v81
	v_mul_i32_i24_e32 v81, v79, v237
	v_mul_i32_i24_e32 v165, v152, v238
	s_delay_alu instid0(VALU_DEP_1) | instskip(SKIP_3) | instid1(VALU_DEP_2)
	v_add3_u32 v78, v78, v165, v81
	v_mul_i32_i24_e32 v81, v181, v149
	v_mul_i32_i24_e32 v165, v183, v144
	;; [unrolled: 1-line block ×3, first 2 shown]
	v_add3_u32 v80, v80, v81, v165
	v_mul_i32_i24_e32 v81, v83, v164
	s_delay_alu instid0(VALU_DEP_1) | instskip(SKIP_2) | instid1(VALU_DEP_2)
	v_add3_u32 v1, v1, v81, v82
	v_bfe_i32 v81, v187, 8, 8
	v_bfe_i32 v82, v187, 16, 8
	v_mul_i32_i24_e32 v83, v81, v221
	s_delay_alu instid0(VALU_DEP_2) | instskip(NEXT) | instid1(VALU_DEP_1)
	v_mul_i32_i24_e32 v165, v82, v233
	v_add3_u32 v71, v71, v83, v165
	v_mul_i32_i24_e32 v83, v81, v222
	v_mul_i32_i24_e32 v165, v82, v236
	s_delay_alu instid0(VALU_DEP_1) | instskip(SKIP_2) | instid1(VALU_DEP_2)
	v_add3_u32 v74, v74, v83, v165
	v_mul_i32_i24_e32 v83, v76, v149
	v_mul_i32_i24_e32 v76, v76, v162
	v_add3_u32 v83, v87, v83, v144
	v_mul_i32_i24_e32 v87, v93, v164
	v_bfe_i32 v93, v155, 16, 8
	s_delay_alu instid0(VALU_DEP_2) | instskip(SKIP_1) | instid1(VALU_DEP_3)
	v_add3_u32 v20, v20, v87, v85
	v_bfe_i32 v85, v155, 8, 8
	v_mul_i32_i24_e32 v144, v93, v233
	s_delay_alu instid0(VALU_DEP_2) | instskip(NEXT) | instid1(VALU_DEP_1)
	v_mul_i32_i24_e32 v87, v85, v221
	v_add3_u32 v77, v77, v87, v144
	v_mul_i32_i24_e32 v87, v85, v222
	v_mul_i32_i24_e32 v144, v93, v236
	s_delay_alu instid0(VALU_DEP_1)
	v_add3_u32 v78, v78, v87, v144
	v_mul_i32_i24_e32 v87, v72, v145
	v_mul_i32_i24_e32 v144, v73, v142
	;; [unrolled: 1-line block ×6, first 2 shown]
	v_add3_u32 v80, v80, v144, v87
	v_mul_i32_i24_e32 v87, v181, v162
	v_mul_i32_i24_e32 v144, v183, v158
	v_add3_u32 v83, v83, v142, v145
	v_mul_i32_i24_e32 v142, v159, v158
	v_ashrrev_i32_e32 v145, 24, v191
	v_mul_i32_i24_e32 v79, v79, v157
	v_add3_u32 v1, v1, v87, v144
	v_bfe_i32 v87, v184, 8, 8
	v_ashrrev_i32_e32 v144, 24, v184
	v_add3_u32 v20, v20, v76, v142
	v_bfe_i32 v76, v191, 8, 8
	v_add3_u32 v1, v1, v73, v72
	v_mul_i32_i24_e32 v149, v87, v230
	v_mul_i32_i24_e32 v155, v144, v229
	v_bfe_i32 v72, v184, 0, 8
	v_mul_i32_i24_e32 v142, v76, v230
	v_bfe_i32 v73, v184, 16, 8
	s_delay_alu instid0(VALU_DEP_4) | instskip(SKIP_2) | instid1(VALU_DEP_1)
	v_add3_u32 v71, v71, v155, v149
	v_mul_i32_i24_e32 v149, v87, v231
	v_mul_i32_i24_e32 v155, v144, v232
	v_add3_u32 v74, v74, v155, v149
	v_mul_i32_i24_e32 v149, v145, v229
	s_delay_alu instid0(VALU_DEP_1) | instskip(SKIP_2) | instid1(VALU_DEP_1)
	v_add3_u32 v77, v77, v149, v142
	v_mul_i32_i24_e32 v142, v76, v231
	v_mul_i32_i24_e32 v149, v145, v232
	v_add3_u32 v78, v78, v149, v142
	v_mul_i32_i24_e32 v142, v82, v133
	v_mul_i32_i24_e32 v149, v81, v174
	v_mul_i32_i24_e32 v133, v93, v133
	v_mul_i32_i24_e32 v82, v82, v151
	v_mul_i32_i24_e32 v81, v81, v173
	v_mul_i32_i24_e32 v93, v93, v151
	v_add3_u32 v80, v80, v149, v142
	v_mul_i32_i24_e32 v142, v72, v215
	v_mul_i32_i24_e32 v149, v73, v225
	v_add3_u32 v1, v1, v81, v82
	v_bfe_i32 v81, v188, 0, 8
	v_ashrrev_i32_e32 v82, 24, v188
	s_delay_alu instid0(VALU_DEP_4) | instskip(SKIP_2) | instid1(VALU_DEP_1)
	v_add3_u32 v71, v71, v142, v149
	v_mul_i32_i24_e32 v142, v72, v217
	v_mul_i32_i24_e32 v149, v73, v227
	v_add3_u32 v74, v74, v142, v149
	v_mul_i32_i24_e32 v142, v85, v174
	v_mul_i32_i24_e32 v85, v85, v173
	s_delay_alu instid0(VALU_DEP_2) | instskip(SKIP_1) | instid1(VALU_DEP_1)
	v_add3_u32 v83, v83, v142, v133
	v_mul_i32_i24_e32 v133, v152, v160
	v_add3_u32 v20, v20, v133, v79
	v_bfe_i32 v79, v191, 0, 8
	v_bfe_i32 v133, v191, 16, 8
	s_delay_alu instid0(VALU_DEP_3) | instskip(NEXT) | instid1(VALU_DEP_3)
	v_add3_u32 v20, v20, v85, v93
	v_mul_i32_i24_e32 v142, v79, v215
	s_delay_alu instid0(VALU_DEP_3) | instskip(SKIP_1) | instid1(VALU_DEP_2)
	v_mul_i32_i24_e32 v149, v133, v225
	v_bfe_i32 v85, v156, 0, 8
	v_add3_u32 v77, v77, v142, v149
	v_mul_i32_i24_e32 v142, v79, v217
	v_mul_i32_i24_e32 v149, v133, v227
	s_delay_alu instid0(VALU_DEP_4) | instskip(NEXT) | instid1(VALU_DEP_2)
	v_mul_i32_i24_e32 v93, v85, v220
	v_add3_u32 v78, v78, v142, v149
	v_mul_i32_i24_e32 v142, v144, v134
	v_mul_i32_i24_e32 v149, v87, v170
	;; [unrolled: 1-line block ×4, first 2 shown]
	s_delay_alu instid0(VALU_DEP_3) | instskip(SKIP_2) | instid1(VALU_DEP_1)
	v_add3_u32 v80, v80, v142, v149
	v_mul_i32_i24_e32 v142, v81, v220
	v_mul_i32_i24_e32 v149, v82, v219
	v_add3_u32 v71, v71, v149, v142
	v_mul_i32_i24_e32 v142, v81, v223
	v_mul_i32_i24_e32 v149, v82, v224
	s_delay_alu instid0(VALU_DEP_1) | instskip(SKIP_2) | instid1(VALU_DEP_2)
	v_add3_u32 v74, v74, v149, v142
	v_mul_i32_i24_e32 v142, v76, v170
	v_mul_i32_i24_e32 v76, v76, v176
	v_add3_u32 v83, v83, v134, v142
	v_ashrrev_i32_e32 v134, 24, v156
	s_delay_alu instid0(VALU_DEP_1) | instskip(NEXT) | instid1(VALU_DEP_1)
	v_mul_i32_i24_e32 v142, v134, v219
	v_add3_u32 v77, v77, v142, v93
	v_mul_i32_i24_e32 v93, v85, v223
	v_mul_i32_i24_e32 v142, v134, v224
	s_delay_alu instid0(VALU_DEP_1)
	v_add3_u32 v78, v78, v142, v93
	v_mul_i32_i24_e32 v93, v72, v131
	v_mul_i32_i24_e32 v142, v73, v130
	;; [unrolled: 1-line block ×6, first 2 shown]
	v_add3_u32 v80, v80, v93, v142
	v_mul_i32_i24_e32 v93, v144, v150
	v_add3_u32 v83, v83, v131, v130
	v_mul_i32_i24_e32 v130, v145, v150
	v_mul_i32_i24_e32 v79, v79, v143
	s_delay_alu instid0(VALU_DEP_4)
	v_add3_u32 v1, v1, v93, v87
	v_bfe_i32 v87, v188, 8, 8
	v_bfe_i32 v93, v188, 16, 8
	v_add3_u32 v20, v20, v130, v76
	v_bfe_i32 v76, v156, 8, 8
	v_add3_u32 v1, v1, v72, v73
	v_mul_i32_i24_e32 v142, v87, v202
	v_mul_i32_i24_e32 v144, v93, v216
	s_delay_alu instid0(VALU_DEP_4) | instskip(NEXT) | instid1(VALU_DEP_2)
	v_mul_i32_i24_e32 v130, v76, v202
	v_add3_u32 v71, v71, v142, v144
	v_mul_i32_i24_e32 v142, v87, v204
	v_mul_i32_i24_e32 v144, v93, v218
	s_delay_alu instid0(VALU_DEP_1) | instskip(SKIP_1) | instid1(VALU_DEP_1)
	v_add3_u32 v74, v74, v142, v144
	v_bfe_i32 v142, v156, 16, 8
	v_mul_i32_i24_e32 v131, v142, v216
	s_delay_alu instid0(VALU_DEP_1) | instskip(SKIP_2) | instid1(VALU_DEP_1)
	v_add3_u32 v77, v77, v130, v131
	v_mul_i32_i24_e32 v130, v76, v204
	v_mul_i32_i24_e32 v131, v142, v218
	v_add3_u32 v78, v78, v130, v131
	v_mul_i32_i24_e32 v130, v81, v127
	v_mul_i32_i24_e32 v131, v82, v126
	;; [unrolled: 1-line block ×3, first 2 shown]
	s_delay_alu instid0(VALU_DEP_2) | instskip(SKIP_4) | instid1(VALU_DEP_2)
	v_add3_u32 v80, v80, v131, v130
	ds_load_2addr_b32 v[130:131], v0 offset1:3
	s_wait_dscnt 0x0
	v_bfe_i32 v0, v131, 8, 8
	v_ashrrev_i32_e32 v72, 24, v131
	v_mul_i32_i24_e32 v73, v0, v208
	s_delay_alu instid0(VALU_DEP_2) | instskip(NEXT) | instid1(VALU_DEP_1)
	v_mul_i32_i24_e32 v144, v72, v207
	v_add3_u32 v71, v71, v144, v73
	v_mul_i32_i24_e32 v73, v0, v209
	v_mul_i32_i24_e32 v144, v72, v210
	s_delay_alu instid0(VALU_DEP_1) | instskip(SKIP_1) | instid1(VALU_DEP_1)
	v_add3_u32 v73, v74, v144, v73
	v_mul_i32_i24_e32 v74, v85, v127
	v_add3_u32 v74, v83, v126, v74
	ds_load_2addr_b32 v[126:127], v75 offset1:3
	v_mul_i32_i24_e32 v83, v133, v138
	s_delay_alu instid0(VALU_DEP_1) | instskip(SKIP_3) | instid1(VALU_DEP_2)
	v_add3_u32 v20, v20, v79, v83
	s_wait_dscnt 0x0
	v_bfe_i32 v75, v127, 8, 8
	v_ashrrev_i32_e32 v83, 24, v127
	v_mul_i32_i24_e32 v79, v75, v208
	s_delay_alu instid0(VALU_DEP_2) | instskip(NEXT) | instid1(VALU_DEP_1)
	v_mul_i32_i24_e32 v133, v83, v207
	v_add3_u32 v77, v77, v133, v79
	v_mul_i32_i24_e32 v79, v75, v209
	v_mul_i32_i24_e32 v133, v83, v210
	s_delay_alu instid0(VALU_DEP_1) | instskip(SKIP_3) | instid1(VALU_DEP_2)
	v_add3_u32 v78, v78, v133, v79
	v_mul_i32_i24_e32 v79, v93, v120
	v_mul_i32_i24_e32 v133, v87, v167
	;; [unrolled: 1-line block ×3, first 2 shown]
	v_add3_u32 v79, v80, v133, v79
	v_mul_i32_i24_e32 v80, v81, v154
	v_mul_i32_i24_e32 v81, v82, v153
	s_delay_alu instid0(VALU_DEP_1) | instskip(SKIP_2) | instid1(VALU_DEP_2)
	v_add3_u32 v1, v1, v81, v80
	v_bfe_i32 v80, v131, 0, 8
	v_bfe_i32 v81, v131, 16, 8
	v_mul_i32_i24_e32 v82, v80, v194
	s_delay_alu instid0(VALU_DEP_2) | instskip(NEXT) | instid1(VALU_DEP_1)
	v_mul_i32_i24_e32 v131, v81, v201
	v_add3_u32 v71, v71, v82, v131
	v_mul_i32_i24_e32 v82, v80, v195
	v_mul_i32_i24_e32 v131, v81, v203
	s_delay_alu instid0(VALU_DEP_1) | instskip(SKIP_3) | instid1(VALU_DEP_2)
	v_add3_u32 v73, v73, v82, v131
	v_mul_i32_i24_e32 v82, v142, v120
	v_mul_i32_i24_e32 v120, v76, v167
	;; [unrolled: 1-line block ×3, first 2 shown]
	v_add3_u32 v74, v74, v120, v82
	v_mul_i32_i24_e32 v82, v85, v154
	v_mul_i32_i24_e32 v85, v134, v153
	v_bfe_i32 v120, v127, 16, 8
	s_delay_alu instid0(VALU_DEP_2) | instskip(SKIP_1) | instid1(VALU_DEP_3)
	v_add3_u32 v20, v20, v85, v82
	v_bfe_i32 v82, v127, 0, 8
	v_mul_i32_i24_e32 v127, v120, v201
	s_delay_alu instid0(VALU_DEP_2) | instskip(NEXT) | instid1(VALU_DEP_1)
	v_mul_i32_i24_e32 v85, v82, v194
	v_add3_u32 v77, v77, v85, v127
	v_mul_i32_i24_e32 v85, v82, v195
	v_mul_i32_i24_e32 v127, v120, v203
	s_delay_alu instid0(VALU_DEP_1) | instskip(SKIP_4) | instid1(VALU_DEP_3)
	v_add3_u32 v78, v78, v85, v127
	v_mul_i32_i24_e32 v85, v72, v139
	v_mul_i32_i24_e32 v127, v0, v163
	;; [unrolled: 1-line block ×4, first 2 shown]
	v_add3_u32 v79, v79, v85, v127
	v_mul_i32_i24_e32 v85, v93, v148
	s_delay_alu instid0(VALU_DEP_1) | instskip(SKIP_2) | instid1(VALU_DEP_3)
	v_add3_u32 v1, v1, v87, v85
	v_bfe_i32 v85, v86, 0, 8
	v_ashrrev_i32_e32 v87, 24, v86
	v_add3_u32 v0, v1, v72, v0
	s_delay_alu instid0(VALU_DEP_3) | instskip(NEXT) | instid1(VALU_DEP_3)
	v_mul_i32_i24_e32 v93, v85, v198
	v_mul_i32_i24_e32 v127, v87, v197
	v_bfe_i32 v1, v86, 8, 8
	v_bfe_i32 v72, v86, 16, 8
	s_delay_alu instid0(VALU_DEP_3) | instskip(SKIP_3) | instid1(VALU_DEP_2)
	v_add3_u32 v71, v71, v127, v93
	v_mul_i32_i24_e32 v93, v85, v199
	v_mul_i32_i24_e32 v127, v87, v200
	;; [unrolled: 1-line block ×3, first 2 shown]
	v_add3_u32 v73, v73, v127, v93
	v_mul_i32_i24_e32 v93, v83, v139
	v_mul_i32_i24_e32 v127, v75, v163
	;; [unrolled: 1-line block ×4, first 2 shown]
	s_delay_alu instid0(VALU_DEP_3) | instskip(SKIP_2) | instid1(VALU_DEP_2)
	v_add3_u32 v74, v74, v93, v127
	v_mul_i32_i24_e32 v93, v142, v148
	v_ashrrev_i32_e32 v127, 24, v88
	v_add3_u32 v20, v20, v76, v93
	v_bfe_i32 v76, v88, 0, 8
	s_delay_alu instid0(VALU_DEP_3) | instskip(NEXT) | instid1(VALU_DEP_3)
	v_mul_i32_i24_e32 v131, v127, v197
	v_add3_u32 v20, v20, v83, v75
	s_delay_alu instid0(VALU_DEP_3) | instskip(SKIP_2) | instid1(VALU_DEP_3)
	v_mul_i32_i24_e32 v93, v76, v198
	v_bfe_i32 v75, v88, 8, 8
	v_bfe_i32 v83, v88, 16, 8
	v_add3_u32 v77, v77, v131, v93
	v_mul_i32_i24_e32 v93, v76, v199
	v_mul_i32_i24_e32 v131, v127, v200
	s_delay_alu instid0(VALU_DEP_4) | instskip(NEXT) | instid1(VALU_DEP_2)
	v_mul_i32_i24_e32 v88, v83, v193
	v_add3_u32 v78, v78, v131, v93
	v_mul_i32_i24_e32 v93, v80, v135
	v_mul_i32_i24_e32 v131, v81, v132
	;; [unrolled: 1-line block ×4, first 2 shown]
	s_delay_alu instid0(VALU_DEP_3) | instskip(SKIP_1) | instid1(VALU_DEP_3)
	v_add3_u32 v79, v79, v93, v131
	v_mul_i32_i24_e32 v93, v72, v193
	v_add3_u32 v0, v0, v80, v81
	v_bfe_i32 v80, v130, 0, 8
	v_bfe_i32 v81, v130, 8, 8
	s_delay_alu instid0(VALU_DEP_4) | instskip(SKIP_2) | instid1(VALU_DEP_1)
	v_add3_u32 v71, v71, v86, v93
	v_mul_i32_i24_e32 v86, v1, v192
	v_mul_i32_i24_e32 v93, v72, v196
	v_add3_u32 v73, v73, v86, v93
	v_mul_i32_i24_e32 v86, v82, v135
	v_mul_i32_i24_e32 v93, v120, v132
	;; [unrolled: 1-line block ×3, first 2 shown]
	s_delay_alu instid0(VALU_DEP_2) | instskip(SKIP_1) | instid1(VALU_DEP_1)
	v_add3_u32 v74, v74, v86, v93
	v_mul_i32_i24_e32 v86, v75, v189
	v_add3_u32 v77, v77, v86, v88
	v_mul_i32_i24_e32 v86, v75, v192
	v_mul_i32_i24_e32 v88, v83, v196
	s_delay_alu instid0(VALU_DEP_1) | instskip(SKIP_3) | instid1(VALU_DEP_2)
	v_add3_u32 v78, v78, v86, v88
	v_mul_i32_i24_e32 v86, v85, v129
	v_mul_i32_i24_e32 v88, v87, v128
	;; [unrolled: 1-line block ×3, first 2 shown]
	v_add3_u32 v79, v79, v88, v86
	v_mul_i32_i24_e32 v86, v80, v115
	v_mul_i32_i24_e32 v88, v81, v114
	s_delay_alu instid0(VALU_DEP_1) | instskip(SKIP_2) | instid1(VALU_DEP_1)
	v_add3_u32 v71, v71, v86, v88
	v_mul_i32_i24_e32 v86, v80, v118
	v_mul_i32_i24_e32 v88, v81, v119
	v_add3_u32 v73, v73, v86, v88
	v_mul_i32_i24_e32 v86, v76, v129
	v_mul_i32_i24_e32 v88, v127, v128
	;; [unrolled: 1-line block ×3, first 2 shown]
	s_delay_alu instid0(VALU_DEP_2) | instskip(SKIP_2) | instid1(VALU_DEP_2)
	v_add3_u32 v74, v74, v88, v86
	v_mul_i32_i24_e32 v86, v120, v137
	v_bfe_i32 v88, v126, 8, 8
	v_add3_u32 v20, v20, v82, v86
	v_bfe_i32 v82, v126, 0, 8
	s_delay_alu instid0(VALU_DEP_3) | instskip(NEXT) | instid1(VALU_DEP_2)
	v_mul_i32_i24_e32 v93, v88, v114
	v_mul_i32_i24_e32 v86, v82, v115
	s_delay_alu instid0(VALU_DEP_1) | instskip(SKIP_2) | instid1(VALU_DEP_1)
	v_add3_u32 v77, v77, v86, v93
	v_mul_i32_i24_e32 v86, v82, v118
	v_mul_i32_i24_e32 v93, v88, v119
	v_add3_u32 v78, v78, v86, v93
	v_mul_i32_i24_e32 v86, v72, v125
	v_mul_i32_i24_e32 v93, v1, v161
	v_mul_i32_i24_e32 v72, v72, v141
	v_mul_i32_i24_e32 v1, v1, v5
	v_mul_i32_i24_e32 v5, v75, v5
	s_delay_alu instid0(VALU_DEP_4) | instskip(SKIP_1) | instid1(VALU_DEP_1)
	v_add3_u32 v79, v79, v93, v86
	v_mul_i32_i24_e32 v86, v87, v147
	v_add3_u32 v0, v0, v86, v85
	v_bfe_i32 v85, v130, 16, 8
	v_ashrrev_i32_e32 v86, 24, v130
	s_delay_alu instid0(VALU_DEP_3) | instskip(NEXT) | instid1(VALU_DEP_3)
	v_add3_u32 v0, v0, v1, v72
	v_mul_i32_i24_e32 v87, v85, v112
	s_delay_alu instid0(VALU_DEP_3) | instskip(SKIP_2) | instid1(VALU_DEP_3)
	v_mul_i32_i24_e32 v93, v86, v113
	v_mul_i32_i24_e32 v1, v111, v82
	;; [unrolled: 1-line block ×3, first 2 shown]
	v_add3_u32 v71, v71, v87, v93
	v_mul_i32_i24_e32 v87, v85, v116
	v_mul_i32_i24_e32 v93, v86, v117
	s_delay_alu instid0(VALU_DEP_3) | instskip(NEXT) | instid1(VALU_DEP_2)
	v_cvt_f32_i32_e32 v71, v71
	v_add3_u32 v73, v73, v87, v93
	v_mul_i32_i24_e32 v87, v83, v125
	v_mul_i32_i24_e32 v93, v75, v161
	s_delay_alu instid0(VALU_DEP_3) | instskip(NEXT) | instid1(VALU_DEP_2)
	v_cvt_f32_i32_e32 v73, v73
	v_add3_u32 v74, v74, v93, v87
	v_mul_i32_i24_e32 v87, v127, v147
	s_delay_alu instid0(VALU_DEP_1) | instskip(SKIP_2) | instid1(VALU_DEP_2)
	v_add3_u32 v20, v20, v87, v76
	v_bfe_i32 v76, v126, 16, 8
	v_ashrrev_i32_e32 v87, 24, v126
	v_mul_i32_i24_e32 v93, v76, v112
	s_delay_alu instid0(VALU_DEP_2) | instskip(NEXT) | instid1(VALU_DEP_1)
	v_mul_i32_i24_e32 v112, v87, v113
	v_add3_u32 v77, v77, v93, v112
	v_mul_i32_i24_e32 v93, v76, v116
	v_mul_i32_i24_e32 v112, v87, v117
	s_delay_alu instid0(VALU_DEP_1) | instskip(SKIP_3) | instid1(VALU_DEP_4)
	v_add3_u32 v78, v78, v93, v112
	v_mul_i32_i24_e32 v112, v4, v81
	v_mul_i32_i24_e32 v4, v4, v88
	v_mul_i32_i24_e32 v93, v111, v80
	v_cvt_f32_i32_e32 v75, v78
	s_delay_alu instid0(VALU_DEP_3) | instskip(SKIP_1) | instid1(VALU_DEP_4)
	v_add3_u32 v1, v74, v1, v4
	v_mul_i32_i24_e32 v4, v83, v141
	v_add3_u32 v79, v79, v93, v112
	s_delay_alu instid0(VALU_DEP_2) | instskip(SKIP_2) | instid1(VALU_DEP_1)
	v_add3_u32 v4, v20, v5, v4
	v_mul_i32_i24_e32 v5, v109, v85
	v_mul_i32_i24_e32 v20, v110, v86
	v_add3_u32 v20, v79, v5, v20
	v_mul_i32_i24_e32 v5, v123, v80
	s_delay_alu instid0(VALU_DEP_2) | instskip(NEXT) | instid1(VALU_DEP_2)
	v_cvt_f32_i32_e32 v20, v20
	v_add3_u32 v0, v0, v5, v72
	v_mul_i32_i24_e32 v5, v109, v76
	v_mul_i32_i24_e32 v72, v110, v87
	s_delay_alu instid0(VALU_DEP_1) | instskip(SKIP_2) | instid1(VALU_DEP_3)
	v_add3_u32 v1, v1, v5, v72
	v_mul_i32_i24_e32 v5, v123, v82
	v_mul_i32_i24_e32 v72, v124, v88
	v_cvt_f32_i32_e32 v1, v1
	s_delay_alu instid0(VALU_DEP_2) | instskip(SKIP_2) | instid1(VALU_DEP_1)
	v_add3_u32 v4, v4, v5, v72
	v_mul_i32_i24_e32 v5, v121, v85
	v_mul_i32_i24_e32 v72, v122, v86
	v_add3_u32 v0, v0, v5, v72
	v_mul_i32_i24_e32 v5, v121, v76
	v_mul_i32_i24_e32 v72, v122, v87
	s_delay_alu instid0(VALU_DEP_3) | instskip(NEXT) | instid1(VALU_DEP_2)
	v_cvt_f32_i32_e32 v0, v0
	v_add3_u32 v72, v4, v5, v72
	ds_load_2addr_b32 v[4:5], v101 offset0:192 offset1:224
	v_add_nc_u32_e32 v101, 4, v101
	v_cvt_f32_i32_e32 v72, v72
	s_wait_dscnt 0x0
	v_lshrrev_b32_e32 v74, 16, v4
	s_delay_alu instid0(VALU_DEP_1) | instskip(NEXT) | instid1(VALU_DEP_1)
	v_cvt_f32_f16_e32 v74, v74
	v_mul_f32_e32 v74, 0x41000000, v74
	s_delay_alu instid0(VALU_DEP_1)
	v_fma_mix_f32 v71, v4, v71, -v74 op_sel_hi:[1,0,0]
	v_fma_mix_f32 v73, v4, v73, -v74 op_sel_hi:[1,0,0]
	;; [unrolled: 1-line block ×4, first 2 shown]
	v_lshrrev_b32_e32 v4, 16, v5
	v_cvt_f32_i32_e32 v74, v77
	s_delay_alu instid0(VALU_DEP_3) | instskip(NEXT) | instid1(VALU_DEP_3)
	v_fmac_f32_e32 v16, v108, v0
	v_cvt_f32_f16_e32 v4, v4
	s_delay_alu instid0(VALU_DEP_1) | instskip(NEXT) | instid1(VALU_DEP_1)
	v_mul_f32_e32 v4, 0x41000000, v4
	v_fma_mix_f32 v74, v5, v74, -v4 op_sel_hi:[1,0,0]
	v_fma_mix_f32 v75, v5, v75, -v4 op_sel_hi:[1,0,0]
	;; [unrolled: 1-line block ×4, first 2 shown]
	ds_load_b32 v5, v105
	v_dual_fmac_f32 v12, v108, v4 :: v_dual_add_nc_u32 v105, 4, v105
	s_wait_dscnt 0x0
	v_fmac_f32_e32 v49, v5, v180
	v_fmac_f32_e32 v35, v5, v244
	;; [unrolled: 1-line block ×8, first 2 shown]
	ds_load_b32 v5, v106
	v_add_nc_u32_e32 v106, 4, v106
	s_wait_dscnt 0x0
	v_fmac_f32_e32 v48, v5, v9
	v_fmac_f32_e32 v34, v5, v242
	;; [unrolled: 1-line block ×8, first 2 shown]
	ds_load_b32 v5, v103
	v_add_nc_u32_e32 v103, 4, v103
	s_wait_dscnt 0x0
	v_fmac_f32_e32 v33, v5, v7
	v_fmac_f32_e32 v47, v5, v178
	;; [unrolled: 1-line block ×8, first 2 shown]
	s_cbranch_scc1 .LBB117_11
; %bb.12:                               ;   in Loop: Header=BB117_6 Depth=1
	s_wait_loadcnt 0x0
	s_barrier_signal -1
	s_barrier_wait -1
	global_inv scope:SCOPE_SE
	s_branch .LBB117_5
.LBB117_13:
	s_clause 0x1
	scratch_load_b32 v1, off, off offset:92 th:TH_LOAD_LU
	scratch_load_b32 v3, off, off offset:96
	v_mov_b32_e32 v2, v21
.LBB117_14:
	s_mov_b32 s0, exec_lo
	s_wait_loadcnt 0x0
	v_cmpx_gt_u32_e64 s4, v3
	s_cbranch_execz .LBB117_65
; %bb.15:
	v_add_nc_u32_e32 v0, s14, v2
	v_mul_lo_u32 v5, v3, s6
	s_delay_alu instid0(VALU_DEP_2)
	v_cmp_gt_u32_e32 vcc_lo, s6, v0
	s_and_saveexec_b32 s1, vcc_lo
	s_cbranch_execz .LBB117_17
; %bb.16:
	s_delay_alu instid0(VALU_DEP_2) | instskip(NEXT) | instid1(VALU_DEP_1)
	v_dual_mov_b32 v3, 0 :: v_dual_add_nc_u32 v2, v0, v5
	v_lshlrev_b64_e32 v[2:3], 2, v[2:3]
	s_wait_kmcnt 0x0
	s_delay_alu instid0(VALU_DEP_1) | instskip(NEXT) | instid1(VALU_DEP_1)
	v_add_co_u32 v2, s0, s8, v2
	v_add_co_ci_u32_e64 v3, null, s9, v3, s0
	global_store_b32 v[2:3], v33, off
.LBB117_17:
	s_or_b32 exec_lo, exec_lo, s1
	v_add_nc_u32_e32 v2, 32, v0
	s_delay_alu instid0(VALU_DEP_1)
	v_cmp_gt_u32_e64 s0, s6, v2
	s_and_saveexec_b32 s2, s0
	s_cbranch_execz .LBB117_19
; %bb.18:
	v_dual_mov_b32 v4, 0 :: v_dual_add_nc_u32 v3, v2, v5
	s_delay_alu instid0(VALU_DEP_1) | instskip(SKIP_1) | instid1(VALU_DEP_1)
	v_lshlrev_b64_e32 v[3:4], 2, v[3:4]
	s_wait_kmcnt 0x0
	v_add_co_u32 v3, s1, s8, v3
	s_wait_alu 0xf1ff
	s_delay_alu instid0(VALU_DEP_2)
	v_add_co_ci_u32_e64 v4, null, s9, v4, s1
	global_store_b32 v[3:4], v51, off
.LBB117_19:
	s_wait_alu 0xfffe
	s_or_b32 exec_lo, exec_lo, s2
	v_add_nc_u32_e32 v3, 64, v0
	s_delay_alu instid0(VALU_DEP_1)
	v_cmp_gt_u32_e64 s1, s6, v3
	s_and_saveexec_b32 s3, s1
	s_cbranch_execz .LBB117_21
; %bb.20:
	v_dual_mov_b32 v7, 0 :: v_dual_add_nc_u32 v6, v3, v5
	s_delay_alu instid0(VALU_DEP_1) | instskip(SKIP_1) | instid1(VALU_DEP_1)
	v_lshlrev_b64_e32 v[6:7], 2, v[6:7]
	s_wait_kmcnt 0x0
	v_add_co_u32 v6, s2, s8, v6
	s_wait_alu 0xf1ff
	s_delay_alu instid0(VALU_DEP_2)
	v_add_co_ci_u32_e64 v7, null, s9, v7, s2
	global_store_b32 v[6:7], v49, off
.LBB117_21:
	s_wait_alu 0xfffe
	;; [unrolled: 18-line block ×3, first 2 shown]
	s_or_b32 exec_lo, exec_lo, s5
	v_add3_u32 v5, v1, s7, 8
	s_delay_alu instid0(VALU_DEP_1)
	v_cmp_gt_u32_e64 s3, s4, v5
	s_and_b32 exec_lo, exec_lo, s3
	s_cbranch_execz .LBB117_65
; %bb.24:
	v_mul_lo_u32 v5, v5, s6
	s_and_saveexec_b32 s5, vcc_lo
	s_cbranch_execnz .LBB117_66
; %bb.25:
	s_wait_alu 0xfffe
	s_or_b32 exec_lo, exec_lo, s5
	s_and_saveexec_b32 s5, s0
	s_cbranch_execnz .LBB117_67
.LBB117_26:
	s_wait_alu 0xfffe
	s_or_b32 exec_lo, exec_lo, s5
	s_and_saveexec_b32 s5, s1
	s_cbranch_execnz .LBB117_68
.LBB117_27:
	s_wait_alu 0xfffe
	s_or_b32 exec_lo, exec_lo, s5
	s_and_saveexec_b32 s5, s2
	s_cbranch_execz .LBB117_29
.LBB117_28:
	v_dual_mov_b32 v6, 0 :: v_dual_add_nc_u32 v5, v5, v4
	s_delay_alu instid0(VALU_DEP_1) | instskip(SKIP_1) | instid1(VALU_DEP_1)
	v_lshlrev_b64_e32 v[5:6], 2, v[5:6]
	s_wait_kmcnt 0x0
	v_add_co_u32 v5, s3, s8, v5
	s_wait_alu 0xf1ff
	s_delay_alu instid0(VALU_DEP_2)
	v_add_co_ci_u32_e64 v6, null, s9, v6, s3
	global_store_b32 v[5:6], v38, off
.LBB117_29:
	s_wait_alu 0xfffe
	s_or_b32 exec_lo, exec_lo, s5
	v_add3_u32 v5, v1, s7, 16
	s_delay_alu instid0(VALU_DEP_1)
	v_cmp_gt_u32_e64 s3, s4, v5
	s_and_b32 exec_lo, exec_lo, s3
	s_cbranch_execz .LBB117_65
; %bb.30:
	v_mul_lo_u32 v5, v5, s6
	s_and_saveexec_b32 s5, vcc_lo
	s_cbranch_execnz .LBB117_69
; %bb.31:
	s_wait_alu 0xfffe
	s_or_b32 exec_lo, exec_lo, s5
	s_and_saveexec_b32 s5, s0
	s_cbranch_execnz .LBB117_70
.LBB117_32:
	s_wait_alu 0xfffe
	s_or_b32 exec_lo, exec_lo, s5
	s_and_saveexec_b32 s5, s1
	s_cbranch_execnz .LBB117_71
.LBB117_33:
	s_wait_alu 0xfffe
	s_or_b32 exec_lo, exec_lo, s5
	s_and_saveexec_b32 s5, s2
	s_cbranch_execz .LBB117_35
.LBB117_34:
	v_dual_mov_b32 v6, 0 :: v_dual_add_nc_u32 v5, v5, v4
	s_delay_alu instid0(VALU_DEP_1) | instskip(SKIP_1) | instid1(VALU_DEP_1)
	v_lshlrev_b64_e32 v[5:6], 2, v[5:6]
	s_wait_kmcnt 0x0
	v_add_co_u32 v5, s3, s8, v5
	s_wait_alu 0xf1ff
	s_delay_alu instid0(VALU_DEP_2)
	v_add_co_ci_u32_e64 v6, null, s9, v6, s3
	global_store_b32 v[5:6], v34, off
.LBB117_35:
	s_wait_alu 0xfffe
	s_or_b32 exec_lo, exec_lo, s5
	v_add3_u32 v5, v1, s7, 24
	s_delay_alu instid0(VALU_DEP_1)
	v_cmp_gt_u32_e64 s3, s4, v5
	s_and_b32 exec_lo, exec_lo, s3
	s_cbranch_execz .LBB117_65
; %bb.36:
	v_mul_lo_u32 v5, v5, s6
	s_and_saveexec_b32 s5, vcc_lo
	s_cbranch_execnz .LBB117_72
; %bb.37:
	s_wait_alu 0xfffe
	s_or_b32 exec_lo, exec_lo, s5
	s_and_saveexec_b32 s5, s0
	s_cbranch_execnz .LBB117_73
.LBB117_38:
	s_wait_alu 0xfffe
	s_or_b32 exec_lo, exec_lo, s5
	s_and_saveexec_b32 s5, s1
	s_cbranch_execnz .LBB117_74
.LBB117_39:
	s_wait_alu 0xfffe
	s_or_b32 exec_lo, exec_lo, s5
	s_and_saveexec_b32 s5, s2
	s_cbranch_execz .LBB117_41
.LBB117_40:
	v_dual_mov_b32 v6, 0 :: v_dual_add_nc_u32 v5, v5, v4
	s_delay_alu instid0(VALU_DEP_1) | instskip(SKIP_1) | instid1(VALU_DEP_1)
	v_lshlrev_b64_e32 v[5:6], 2, v[5:6]
	s_wait_kmcnt 0x0
	v_add_co_u32 v5, s3, s8, v5
	s_wait_alu 0xf1ff
	s_delay_alu instid0(VALU_DEP_2)
	v_add_co_ci_u32_e64 v6, null, s9, v6, s3
	global_store_b32 v[5:6], v29, off
.LBB117_41:
	s_wait_alu 0xfffe
	s_or_b32 exec_lo, exec_lo, s5
	v_add3_u32 v5, v1, s7, 32
	s_delay_alu instid0(VALU_DEP_1)
	v_cmp_gt_u32_e64 s3, s4, v5
	s_and_b32 exec_lo, exec_lo, s3
	s_cbranch_execz .LBB117_65
; %bb.42:
	v_mul_lo_u32 v5, v5, s6
	s_and_saveexec_b32 s5, vcc_lo
	s_cbranch_execnz .LBB117_75
; %bb.43:
	s_wait_alu 0xfffe
	s_or_b32 exec_lo, exec_lo, s5
	s_and_saveexec_b32 s5, s0
	s_cbranch_execnz .LBB117_76
.LBB117_44:
	s_wait_alu 0xfffe
	s_or_b32 exec_lo, exec_lo, s5
	s_and_saveexec_b32 s5, s1
	s_cbranch_execnz .LBB117_77
.LBB117_45:
	s_wait_alu 0xfffe
	s_or_b32 exec_lo, exec_lo, s5
	s_and_saveexec_b32 s5, s2
	s_cbranch_execz .LBB117_47
.LBB117_46:
	v_dual_mov_b32 v6, 0 :: v_dual_add_nc_u32 v5, v5, v4
	s_delay_alu instid0(VALU_DEP_1) | instskip(SKIP_1) | instid1(VALU_DEP_1)
	v_lshlrev_b64_e32 v[5:6], 2, v[5:6]
	s_wait_kmcnt 0x0
	v_add_co_u32 v5, s3, s8, v5
	s_wait_alu 0xf1ff
	s_delay_alu instid0(VALU_DEP_2)
	v_add_co_ci_u32_e64 v6, null, s9, v6, s3
	global_store_b32 v[5:6], v24, off
.LBB117_47:
	s_wait_alu 0xfffe
	s_or_b32 exec_lo, exec_lo, s5
	v_add3_u32 v5, v1, s7, 40
	s_delay_alu instid0(VALU_DEP_1)
	v_cmp_gt_u32_e64 s3, s4, v5
	s_and_b32 exec_lo, exec_lo, s3
	s_cbranch_execz .LBB117_65
; %bb.48:
	v_mul_lo_u32 v5, v5, s6
	s_and_saveexec_b32 s5, vcc_lo
	s_cbranch_execnz .LBB117_78
; %bb.49:
	s_wait_alu 0xfffe
	s_or_b32 exec_lo, exec_lo, s5
	s_and_saveexec_b32 s5, s0
	s_cbranch_execnz .LBB117_79
.LBB117_50:
	s_wait_alu 0xfffe
	s_or_b32 exec_lo, exec_lo, s5
	s_and_saveexec_b32 s5, s1
	s_cbranch_execnz .LBB117_80
.LBB117_51:
	s_wait_alu 0xfffe
	s_or_b32 exec_lo, exec_lo, s5
	s_and_saveexec_b32 s5, s2
	s_cbranch_execz .LBB117_53
.LBB117_52:
	v_dual_mov_b32 v6, 0 :: v_dual_add_nc_u32 v5, v5, v4
	s_delay_alu instid0(VALU_DEP_1) | instskip(SKIP_1) | instid1(VALU_DEP_1)
	v_lshlrev_b64_e32 v[5:6], 2, v[5:6]
	s_wait_kmcnt 0x0
	v_add_co_u32 v5, s3, s8, v5
	s_wait_alu 0xf1ff
	s_delay_alu instid0(VALU_DEP_2)
	v_add_co_ci_u32_e64 v6, null, s9, v6, s3
	global_store_b32 v[5:6], v18, off
.LBB117_53:
	s_wait_alu 0xfffe
	s_or_b32 exec_lo, exec_lo, s5
	v_add3_u32 v5, v1, s7, 48
	s_delay_alu instid0(VALU_DEP_1)
	v_cmp_gt_u32_e64 s3, s4, v5
	s_and_b32 exec_lo, exec_lo, s3
	s_cbranch_execz .LBB117_65
; %bb.54:
	v_mul_lo_u32 v5, v5, s6
	s_and_saveexec_b32 s5, vcc_lo
	s_cbranch_execnz .LBB117_81
; %bb.55:
	s_wait_alu 0xfffe
	s_or_b32 exec_lo, exec_lo, s5
	s_and_saveexec_b32 s5, s0
	s_cbranch_execnz .LBB117_82
.LBB117_56:
	s_wait_alu 0xfffe
	s_or_b32 exec_lo, exec_lo, s5
	s_and_saveexec_b32 s5, s1
	s_cbranch_execnz .LBB117_83
.LBB117_57:
	s_wait_alu 0xfffe
	s_or_b32 exec_lo, exec_lo, s5
	s_and_saveexec_b32 s5, s2
	s_cbranch_execz .LBB117_59
.LBB117_58:
	v_dual_mov_b32 v6, 0 :: v_dual_add_nc_u32 v5, v5, v4
	s_delay_alu instid0(VALU_DEP_1) | instskip(SKIP_1) | instid1(VALU_DEP_1)
	v_lshlrev_b64_e32 v[5:6], 2, v[5:6]
	s_wait_kmcnt 0x0
	v_add_co_u32 v5, s3, s8, v5
	s_wait_alu 0xf1ff
	s_delay_alu instid0(VALU_DEP_2)
	v_add_co_ci_u32_e64 v6, null, s9, v6, s3
	global_store_b32 v[5:6], v14, off
.LBB117_59:
	s_wait_alu 0xfffe
	s_or_b32 exec_lo, exec_lo, s5
	v_add3_u32 v1, v1, s7, 56
	s_delay_alu instid0(VALU_DEP_1)
	v_cmp_gt_u32_e64 s3, s4, v1
	s_and_b32 exec_lo, exec_lo, s3
	s_cbranch_execz .LBB117_65
; %bb.60:
	v_mul_lo_u32 v1, v1, s6
	s_and_saveexec_b32 s3, vcc_lo
	s_cbranch_execnz .LBB117_84
; %bb.61:
	s_wait_alu 0xfffe
	s_or_b32 exec_lo, exec_lo, s3
	s_and_saveexec_b32 s3, s0
	s_cbranch_execnz .LBB117_85
.LBB117_62:
	s_wait_alu 0xfffe
	s_or_b32 exec_lo, exec_lo, s3
	s_and_saveexec_b32 s0, s1
	s_cbranch_execnz .LBB117_86
.LBB117_63:
	s_wait_alu 0xfffe
	s_or_b32 exec_lo, exec_lo, s0
	s_delay_alu instid0(SALU_CYCLE_1)
	s_and_b32 exec_lo, exec_lo, s2
	s_cbranch_execz .LBB117_65
.LBB117_64:
	v_dual_mov_b32 v1, 0 :: v_dual_add_nc_u32 v0, v1, v4
	s_delay_alu instid0(VALU_DEP_1) | instskip(SKIP_1) | instid1(VALU_DEP_1)
	v_lshlrev_b64_e32 v[0:1], 2, v[0:1]
	s_wait_kmcnt 0x0
	v_add_co_u32 v0, vcc_lo, s8, v0
	s_wait_alu 0xfffd
	s_delay_alu instid0(VALU_DEP_2)
	v_add_co_ci_u32_e64 v1, null, s9, v1, vcc_lo
	global_store_b32 v[0:1], v10, off
.LBB117_65:
	s_nop 0
	s_sendmsg sendmsg(MSG_DEALLOC_VGPRS)
	s_endpgm
.LBB117_66:
	s_delay_alu instid0(VALU_DEP_1) | instskip(NEXT) | instid1(VALU_DEP_1)
	v_dual_mov_b32 v7, 0 :: v_dual_add_nc_u32 v6, v5, v0
	v_lshlrev_b64_e32 v[6:7], 2, v[6:7]
	s_wait_kmcnt 0x0
	s_delay_alu instid0(VALU_DEP_1) | instskip(SKIP_1) | instid1(VALU_DEP_2)
	v_add_co_u32 v6, s3, s8, v6
	s_wait_alu 0xf1ff
	v_add_co_ci_u32_e64 v7, null, s9, v7, s3
	global_store_b32 v[6:7], v47, off
	s_wait_alu 0xfffe
	s_or_b32 exec_lo, exec_lo, s5
	s_and_saveexec_b32 s5, s0
	s_cbranch_execz .LBB117_26
.LBB117_67:
	s_delay_alu instid0(VALU_DEP_1) | instskip(NEXT) | instid1(VALU_DEP_1)
	v_dual_mov_b32 v7, 0 :: v_dual_add_nc_u32 v6, v5, v2
	v_lshlrev_b64_e32 v[6:7], 2, v[6:7]
	s_wait_kmcnt 0x0
	s_delay_alu instid0(VALU_DEP_1) | instskip(SKIP_1) | instid1(VALU_DEP_2)
	v_add_co_u32 v6, s3, s8, v6
	s_wait_alu 0xf1ff
	v_add_co_ci_u32_e64 v7, null, s9, v7, s3
	global_store_b32 v[6:7], v46, off
	s_wait_alu 0xfffe
	s_or_b32 exec_lo, exec_lo, s5
	s_and_saveexec_b32 s5, s1
	s_cbranch_execz .LBB117_27
.LBB117_68:
	v_dual_mov_b32 v7, 0 :: v_dual_add_nc_u32 v6, v5, v3
	s_delay_alu instid0(VALU_DEP_1) | instskip(SKIP_1) | instid1(VALU_DEP_1)
	v_lshlrev_b64_e32 v[6:7], 2, v[6:7]
	s_wait_kmcnt 0x0
	v_add_co_u32 v6, s3, s8, v6
	s_wait_alu 0xf1ff
	s_delay_alu instid0(VALU_DEP_2)
	v_add_co_ci_u32_e64 v7, null, s9, v7, s3
	global_store_b32 v[6:7], v42, off
	s_wait_alu 0xfffe
	s_or_b32 exec_lo, exec_lo, s5
	s_and_saveexec_b32 s5, s2
	s_cbranch_execnz .LBB117_28
	s_branch .LBB117_29
.LBB117_69:
	s_delay_alu instid0(VALU_DEP_1) | instskip(NEXT) | instid1(VALU_DEP_1)
	v_dual_mov_b32 v7, 0 :: v_dual_add_nc_u32 v6, v5, v0
	v_lshlrev_b64_e32 v[6:7], 2, v[6:7]
	s_wait_kmcnt 0x0
	s_delay_alu instid0(VALU_DEP_1) | instskip(SKIP_1) | instid1(VALU_DEP_2)
	v_add_co_u32 v6, s3, s8, v6
	s_wait_alu 0xf1ff
	v_add_co_ci_u32_e64 v7, null, s9, v7, s3
	global_store_b32 v[6:7], v37, off
	s_wait_alu 0xfffe
	s_or_b32 exec_lo, exec_lo, s5
	s_and_saveexec_b32 s5, s0
	s_cbranch_execz .LBB117_32
.LBB117_70:
	s_delay_alu instid0(VALU_DEP_1) | instskip(NEXT) | instid1(VALU_DEP_1)
	v_dual_mov_b32 v7, 0 :: v_dual_add_nc_u32 v6, v5, v2
	v_lshlrev_b64_e32 v[6:7], 2, v[6:7]
	s_wait_kmcnt 0x0
	s_delay_alu instid0(VALU_DEP_1) | instskip(SKIP_1) | instid1(VALU_DEP_2)
	v_add_co_u32 v6, s3, s8, v6
	s_wait_alu 0xf1ff
	v_add_co_ci_u32_e64 v7, null, s9, v7, s3
	global_store_b32 v[6:7], v36, off
	s_wait_alu 0xfffe
	s_or_b32 exec_lo, exec_lo, s5
	s_and_saveexec_b32 s5, s1
	s_cbranch_execz .LBB117_33
.LBB117_71:
	v_dual_mov_b32 v7, 0 :: v_dual_add_nc_u32 v6, v5, v3
	s_delay_alu instid0(VALU_DEP_1) | instskip(SKIP_1) | instid1(VALU_DEP_1)
	v_lshlrev_b64_e32 v[6:7], 2, v[6:7]
	s_wait_kmcnt 0x0
	v_add_co_u32 v6, s3, s8, v6
	s_wait_alu 0xf1ff
	s_delay_alu instid0(VALU_DEP_2)
	v_add_co_ci_u32_e64 v7, null, s9, v7, s3
	global_store_b32 v[6:7], v35, off
	s_wait_alu 0xfffe
	s_or_b32 exec_lo, exec_lo, s5
	s_and_saveexec_b32 s5, s2
	s_cbranch_execnz .LBB117_34
	s_branch .LBB117_35
.LBB117_72:
	s_delay_alu instid0(VALU_DEP_1) | instskip(NEXT) | instid1(VALU_DEP_1)
	v_dual_mov_b32 v7, 0 :: v_dual_add_nc_u32 v6, v5, v0
	v_lshlrev_b64_e32 v[6:7], 2, v[6:7]
	s_wait_kmcnt 0x0
	s_delay_alu instid0(VALU_DEP_1) | instskip(SKIP_1) | instid1(VALU_DEP_2)
	v_add_co_u32 v6, s3, s8, v6
	s_wait_alu 0xf1ff
	v_add_co_ci_u32_e64 v7, null, s9, v7, s3
	global_store_b32 v[6:7], v32, off
	s_wait_alu 0xfffe
	s_or_b32 exec_lo, exec_lo, s5
	s_and_saveexec_b32 s5, s0
	s_cbranch_execz .LBB117_38
.LBB117_73:
	s_delay_alu instid0(VALU_DEP_1) | instskip(NEXT) | instid1(VALU_DEP_1)
	v_dual_mov_b32 v7, 0 :: v_dual_add_nc_u32 v6, v5, v2
	v_lshlrev_b64_e32 v[6:7], 2, v[6:7]
	s_wait_kmcnt 0x0
	s_delay_alu instid0(VALU_DEP_1) | instskip(SKIP_1) | instid1(VALU_DEP_2)
	v_add_co_u32 v6, s3, s8, v6
	s_wait_alu 0xf1ff
	v_add_co_ci_u32_e64 v7, null, s9, v7, s3
	global_store_b32 v[6:7], v31, off
	s_wait_alu 0xfffe
	s_or_b32 exec_lo, exec_lo, s5
	s_and_saveexec_b32 s5, s1
	s_cbranch_execz .LBB117_39
.LBB117_74:
	v_dual_mov_b32 v7, 0 :: v_dual_add_nc_u32 v6, v5, v3
	s_delay_alu instid0(VALU_DEP_1) | instskip(SKIP_1) | instid1(VALU_DEP_1)
	v_lshlrev_b64_e32 v[6:7], 2, v[6:7]
	s_wait_kmcnt 0x0
	v_add_co_u32 v6, s3, s8, v6
	s_wait_alu 0xf1ff
	s_delay_alu instid0(VALU_DEP_2)
	v_add_co_ci_u32_e64 v7, null, s9, v7, s3
	global_store_b32 v[6:7], v30, off
	s_wait_alu 0xfffe
	s_or_b32 exec_lo, exec_lo, s5
	s_and_saveexec_b32 s5, s2
	s_cbranch_execnz .LBB117_40
	s_branch .LBB117_41
.LBB117_75:
	s_delay_alu instid0(VALU_DEP_1) | instskip(NEXT) | instid1(VALU_DEP_1)
	v_dual_mov_b32 v7, 0 :: v_dual_add_nc_u32 v6, v5, v0
	v_lshlrev_b64_e32 v[6:7], 2, v[6:7]
	s_wait_kmcnt 0x0
	s_delay_alu instid0(VALU_DEP_1) | instskip(SKIP_1) | instid1(VALU_DEP_2)
	v_add_co_u32 v6, s3, s8, v6
	s_wait_alu 0xf1ff
	v_add_co_ci_u32_e64 v7, null, s9, v7, s3
	global_store_b32 v[6:7], v28, off
	s_wait_alu 0xfffe
	s_or_b32 exec_lo, exec_lo, s5
	s_and_saveexec_b32 s5, s0
	s_cbranch_execz .LBB117_44
.LBB117_76:
	s_delay_alu instid0(VALU_DEP_1) | instskip(NEXT) | instid1(VALU_DEP_1)
	v_dual_mov_b32 v7, 0 :: v_dual_add_nc_u32 v6, v5, v2
	v_lshlrev_b64_e32 v[6:7], 2, v[6:7]
	s_wait_kmcnt 0x0
	s_delay_alu instid0(VALU_DEP_1) | instskip(SKIP_1) | instid1(VALU_DEP_2)
	v_add_co_u32 v6, s3, s8, v6
	s_wait_alu 0xf1ff
	v_add_co_ci_u32_e64 v7, null, s9, v7, s3
	global_store_b32 v[6:7], v27, off
	s_wait_alu 0xfffe
	s_or_b32 exec_lo, exec_lo, s5
	s_and_saveexec_b32 s5, s1
	s_cbranch_execz .LBB117_45
.LBB117_77:
	v_dual_mov_b32 v7, 0 :: v_dual_add_nc_u32 v6, v5, v3
	s_delay_alu instid0(VALU_DEP_1) | instskip(SKIP_1) | instid1(VALU_DEP_1)
	v_lshlrev_b64_e32 v[6:7], 2, v[6:7]
	s_wait_kmcnt 0x0
	v_add_co_u32 v6, s3, s8, v6
	s_wait_alu 0xf1ff
	s_delay_alu instid0(VALU_DEP_2)
	v_add_co_ci_u32_e64 v7, null, s9, v7, s3
	global_store_b32 v[6:7], v26, off
	s_wait_alu 0xfffe
	s_or_b32 exec_lo, exec_lo, s5
	s_and_saveexec_b32 s5, s2
	s_cbranch_execnz .LBB117_46
	s_branch .LBB117_47
.LBB117_78:
	s_delay_alu instid0(VALU_DEP_1) | instskip(NEXT) | instid1(VALU_DEP_1)
	v_dual_mov_b32 v7, 0 :: v_dual_add_nc_u32 v6, v5, v0
	v_lshlrev_b64_e32 v[6:7], 2, v[6:7]
	s_wait_kmcnt 0x0
	s_delay_alu instid0(VALU_DEP_1) | instskip(SKIP_1) | instid1(VALU_DEP_2)
	v_add_co_u32 v6, s3, s8, v6
	s_wait_alu 0xf1ff
	v_add_co_ci_u32_e64 v7, null, s9, v7, s3
	global_store_b32 v[6:7], v23, off
	s_wait_alu 0xfffe
	s_or_b32 exec_lo, exec_lo, s5
	s_and_saveexec_b32 s5, s0
	s_cbranch_execz .LBB117_50
.LBB117_79:
	s_delay_alu instid0(VALU_DEP_1) | instskip(NEXT) | instid1(VALU_DEP_1)
	v_dual_mov_b32 v7, 0 :: v_dual_add_nc_u32 v6, v5, v2
	v_lshlrev_b64_e32 v[6:7], 2, v[6:7]
	s_wait_kmcnt 0x0
	s_delay_alu instid0(VALU_DEP_1) | instskip(SKIP_1) | instid1(VALU_DEP_2)
	v_add_co_u32 v6, s3, s8, v6
	s_wait_alu 0xf1ff
	v_add_co_ci_u32_e64 v7, null, s9, v7, s3
	global_store_b32 v[6:7], v22, off
	s_wait_alu 0xfffe
	s_or_b32 exec_lo, exec_lo, s5
	s_and_saveexec_b32 s5, s1
	s_cbranch_execz .LBB117_51
.LBB117_80:
	v_dual_mov_b32 v7, 0 :: v_dual_add_nc_u32 v6, v5, v3
	s_delay_alu instid0(VALU_DEP_1) | instskip(SKIP_1) | instid1(VALU_DEP_1)
	v_lshlrev_b64_e32 v[6:7], 2, v[6:7]
	s_wait_kmcnt 0x0
	v_add_co_u32 v6, s3, s8, v6
	s_wait_alu 0xf1ff
	s_delay_alu instid0(VALU_DEP_2)
	v_add_co_ci_u32_e64 v7, null, s9, v7, s3
	global_store_b32 v[6:7], v19, off
	s_wait_alu 0xfffe
	s_or_b32 exec_lo, exec_lo, s5
	s_and_saveexec_b32 s5, s2
	s_cbranch_execnz .LBB117_52
	s_branch .LBB117_53
.LBB117_81:
	s_delay_alu instid0(VALU_DEP_1) | instskip(NEXT) | instid1(VALU_DEP_1)
	v_dual_mov_b32 v7, 0 :: v_dual_add_nc_u32 v6, v5, v0
	v_lshlrev_b64_e32 v[6:7], 2, v[6:7]
	s_wait_kmcnt 0x0
	s_delay_alu instid0(VALU_DEP_1) | instskip(SKIP_1) | instid1(VALU_DEP_2)
	v_add_co_u32 v6, s3, s8, v6
	s_wait_alu 0xf1ff
	v_add_co_ci_u32_e64 v7, null, s9, v7, s3
	global_store_b32 v[6:7], v17, off
	s_wait_alu 0xfffe
	s_or_b32 exec_lo, exec_lo, s5
	s_and_saveexec_b32 s5, s0
	s_cbranch_execz .LBB117_56
.LBB117_82:
	s_delay_alu instid0(VALU_DEP_1) | instskip(NEXT) | instid1(VALU_DEP_1)
	v_dual_mov_b32 v7, 0 :: v_dual_add_nc_u32 v6, v5, v2
	v_lshlrev_b64_e32 v[6:7], 2, v[6:7]
	s_wait_kmcnt 0x0
	s_delay_alu instid0(VALU_DEP_1) | instskip(SKIP_1) | instid1(VALU_DEP_2)
	v_add_co_u32 v6, s3, s8, v6
	s_wait_alu 0xf1ff
	v_add_co_ci_u32_e64 v7, null, s9, v7, s3
	global_store_b32 v[6:7], v16, off
	s_wait_alu 0xfffe
	s_or_b32 exec_lo, exec_lo, s5
	s_and_saveexec_b32 s5, s1
	s_cbranch_execz .LBB117_57
.LBB117_83:
	v_dual_mov_b32 v7, 0 :: v_dual_add_nc_u32 v6, v5, v3
	s_delay_alu instid0(VALU_DEP_1) | instskip(SKIP_1) | instid1(VALU_DEP_1)
	v_lshlrev_b64_e32 v[6:7], 2, v[6:7]
	s_wait_kmcnt 0x0
	v_add_co_u32 v6, s3, s8, v6
	s_wait_alu 0xf1ff
	s_delay_alu instid0(VALU_DEP_2)
	v_add_co_ci_u32_e64 v7, null, s9, v7, s3
	global_store_b32 v[6:7], v15, off
	s_wait_alu 0xfffe
	s_or_b32 exec_lo, exec_lo, s5
	s_and_saveexec_b32 s5, s2
	s_cbranch_execnz .LBB117_58
	s_branch .LBB117_59
.LBB117_84:
	s_delay_alu instid0(VALU_DEP_1) | instskip(NEXT) | instid1(VALU_DEP_1)
	v_dual_mov_b32 v6, 0 :: v_dual_add_nc_u32 v5, v1, v0
	v_lshlrev_b64_e32 v[5:6], 2, v[5:6]
	s_wait_kmcnt 0x0
	s_delay_alu instid0(VALU_DEP_1) | instskip(SKIP_1) | instid1(VALU_DEP_2)
	v_add_co_u32 v5, vcc_lo, s8, v5
	s_wait_alu 0xfffd
	v_add_co_ci_u32_e64 v6, null, s9, v6, vcc_lo
	global_store_b32 v[5:6], v13, off
	s_wait_alu 0xfffe
	s_or_b32 exec_lo, exec_lo, s3
	s_and_saveexec_b32 s3, s0
	s_cbranch_execz .LBB117_62
.LBB117_85:
	s_delay_alu instid0(VALU_DEP_1) | instskip(NEXT) | instid1(VALU_DEP_1)
	v_dual_mov_b32 v6, 0 :: v_dual_add_nc_u32 v5, v1, v2
	v_lshlrev_b64_e32 v[5:6], 2, v[5:6]
	s_wait_kmcnt 0x0
	s_delay_alu instid0(VALU_DEP_1) | instskip(SKIP_1) | instid1(VALU_DEP_2)
	v_add_co_u32 v5, vcc_lo, s8, v5
	s_wait_alu 0xfffd
	v_add_co_ci_u32_e64 v6, null, s9, v6, vcc_lo
	global_store_b32 v[5:6], v12, off
	s_wait_alu 0xfffe
	s_or_b32 exec_lo, exec_lo, s3
	s_and_saveexec_b32 s0, s1
	s_cbranch_execz .LBB117_63
.LBB117_86:
	v_dual_mov_b32 v3, 0 :: v_dual_add_nc_u32 v2, v1, v3
	s_delay_alu instid0(VALU_DEP_1) | instskip(SKIP_1) | instid1(VALU_DEP_1)
	v_lshlrev_b64_e32 v[2:3], 2, v[2:3]
	s_wait_kmcnt 0x0
	v_add_co_u32 v2, vcc_lo, s8, v2
	s_wait_alu 0xfffd
	s_delay_alu instid0(VALU_DEP_2) | instskip(SKIP_3) | instid1(SALU_CYCLE_1)
	v_add_co_ci_u32_e64 v3, null, s9, v3, vcc_lo
	global_store_b32 v[2:3], v11, off
	s_wait_alu 0xfffe
	s_or_b32 exec_lo, exec_lo, s0
	s_and_b32 exec_lo, exec_lo, s2
	s_cbranch_execnz .LBB117_64
	s_branch .LBB117_65
	.section	.rodata,"a",@progbits
	.p2align	6, 0x0
	.amdhsa_kernel _ZL12mul_mat_q4_0IfLb0EEvPKvS1_PT_iiiii
		.amdhsa_group_segment_fixed_size 30336
		.amdhsa_private_segment_fixed_size 104
		.amdhsa_kernarg_size 44
		.amdhsa_user_sgpr_count 2
		.amdhsa_user_sgpr_dispatch_ptr 0
		.amdhsa_user_sgpr_queue_ptr 0
		.amdhsa_user_sgpr_kernarg_segment_ptr 1
		.amdhsa_user_sgpr_dispatch_id 0
		.amdhsa_user_sgpr_private_segment_size 0
		.amdhsa_wavefront_size32 1
		.amdhsa_uses_dynamic_stack 0
		.amdhsa_enable_private_segment 1
		.amdhsa_system_sgpr_workgroup_id_x 1
		.amdhsa_system_sgpr_workgroup_id_y 1
		.amdhsa_system_sgpr_workgroup_id_z 0
		.amdhsa_system_sgpr_workgroup_info 0
		.amdhsa_system_vgpr_workitem_id 1
		.amdhsa_next_free_vgpr 256
		.amdhsa_next_free_sgpr 17
		.amdhsa_reserve_vcc 1
		.amdhsa_float_round_mode_32 0
		.amdhsa_float_round_mode_16_64 0
		.amdhsa_float_denorm_mode_32 3
		.amdhsa_float_denorm_mode_16_64 3
		.amdhsa_fp16_overflow 0
		.amdhsa_workgroup_processor_mode 1
		.amdhsa_memory_ordered 1
		.amdhsa_forward_progress 1
		.amdhsa_inst_pref_size 255
		.amdhsa_round_robin_scheduling 0
		.amdhsa_exception_fp_ieee_invalid_op 0
		.amdhsa_exception_fp_denorm_src 0
		.amdhsa_exception_fp_ieee_div_zero 0
		.amdhsa_exception_fp_ieee_overflow 0
		.amdhsa_exception_fp_ieee_underflow 0
		.amdhsa_exception_fp_ieee_inexact 0
		.amdhsa_exception_int_div_zero 0
	.end_amdhsa_kernel
	.section	.text._ZL12mul_mat_q4_0IfLb0EEvPKvS1_PT_iiiii,"axG",@progbits,_ZL12mul_mat_q4_0IfLb0EEvPKvS1_PT_iiiii,comdat
.Lfunc_end117:
	.size	_ZL12mul_mat_q4_0IfLb0EEvPKvS1_PT_iiiii, .Lfunc_end117-_ZL12mul_mat_q4_0IfLb0EEvPKvS1_PT_iiiii
                                        ; -- End function
	.set _ZL12mul_mat_q4_0IfLb0EEvPKvS1_PT_iiiii.num_vgpr, 256
	.set _ZL12mul_mat_q4_0IfLb0EEvPKvS1_PT_iiiii.num_agpr, 0
	.set _ZL12mul_mat_q4_0IfLb0EEvPKvS1_PT_iiiii.numbered_sgpr, 17
	.set _ZL12mul_mat_q4_0IfLb0EEvPKvS1_PT_iiiii.num_named_barrier, 0
	.set _ZL12mul_mat_q4_0IfLb0EEvPKvS1_PT_iiiii.private_seg_size, 104
	.set _ZL12mul_mat_q4_0IfLb0EEvPKvS1_PT_iiiii.uses_vcc, 1
	.set _ZL12mul_mat_q4_0IfLb0EEvPKvS1_PT_iiiii.uses_flat_scratch, 1
	.set _ZL12mul_mat_q4_0IfLb0EEvPKvS1_PT_iiiii.has_dyn_sized_stack, 0
	.set _ZL12mul_mat_q4_0IfLb0EEvPKvS1_PT_iiiii.has_recursion, 0
	.set _ZL12mul_mat_q4_0IfLb0EEvPKvS1_PT_iiiii.has_indirect_call, 0
	.section	.AMDGPU.csdata,"",@progbits
; Kernel info:
; codeLenInByte = 34732
; TotalNumSgprs: 19
; NumVgprs: 256
; ScratchSize: 104
; MemoryBound: 0
; FloatMode: 240
; IeeeMode: 1
; LDSByteSize: 30336 bytes/workgroup (compile time only)
; SGPRBlocks: 0
; VGPRBlocks: 31
; NumSGPRsForWavesPerEU: 19
; NumVGPRsForWavesPerEU: 256
; Occupancy: 5
; WaveLimiterHint : 0
; COMPUTE_PGM_RSRC2:SCRATCH_EN: 1
; COMPUTE_PGM_RSRC2:USER_SGPR: 2
; COMPUTE_PGM_RSRC2:TRAP_HANDLER: 0
; COMPUTE_PGM_RSRC2:TGID_X_EN: 1
; COMPUTE_PGM_RSRC2:TGID_Y_EN: 1
; COMPUTE_PGM_RSRC2:TGID_Z_EN: 0
; COMPUTE_PGM_RSRC2:TIDIG_COMP_CNT: 1
	.section	.text._ZL12mul_mat_q4_0IfLb1EEvPKvS1_PT_iiiii,"axG",@progbits,_ZL12mul_mat_q4_0IfLb1EEvPKvS1_PT_iiiii,comdat
	.globl	_ZL12mul_mat_q4_0IfLb1EEvPKvS1_PT_iiiii ; -- Begin function _ZL12mul_mat_q4_0IfLb1EEvPKvS1_PT_iiiii
	.p2align	8
	.type	_ZL12mul_mat_q4_0IfLb1EEvPKvS1_PT_iiiii,@function
_ZL12mul_mat_q4_0IfLb1EEvPKvS1_PT_iiiii: ; @_ZL12mul_mat_q4_0IfLb1EEvPKvS1_PT_iiiii
; %bb.0:
	s_clause 0x1
	s_load_b128 s[4:7], s[0:1], 0x18
	s_load_b32 s12, s[0:1], 0x28
	v_bfe_u32 v38, v0, 10, 10
	v_and_b32_e32 v55, 0x3ff, v0
	s_lshl_b32 s13, ttmp7, 6
	s_wait_kmcnt 0x0
	s_cmp_gt_i32 s4, 31
	s_cbranch_scc1 .LBB118_2
; %bb.1:
	v_bfe_u32 v1, v0, 10, 10
	v_and_b32_e32 v2, 0x3ff, v0
	s_mov_b32 s2, 0
	s_delay_alu instid0(VALU_DEP_2)
	v_add_nc_u32_e32 v3, s13, v1
	s_branch .LBB118_3
.LBB118_2:
	s_mov_b32 s2, -1
                                        ; implicit-def: $vgpr1
                                        ; implicit-def: $vgpr2
                                        ; implicit-def: $vgpr3
.LBB118_3:
	s_load_b64 s[8:9], s[0:1], 0x10
	v_dual_mov_b32 v26, 0 :: v_dual_mov_b32 v41, 0
	v_dual_mov_b32 v30, 0 :: v_dual_mov_b32 v45, 0
	;; [unrolled: 1-line block ×15, first 2 shown]
	v_mov_b32_e32 v53, 0
	v_mov_b32_e32 v63, 0
	s_and_not1_b32 vcc_lo, exec_lo, s2
	s_lshl_b32 s14, ttmp9, 7
	s_cbranch_vccnz .LBB118_15
; %bb.4:
	v_dual_mov_b32 v62, 0 :: v_dual_add_nc_u32 v41, 40, v38
	s_not_b32 s16, s14
	s_ashr_i32 s10, s4, 31
	s_add_co_i32 s5, s5, s16
	s_lshr_b32 s10, s10, 27
	v_lshlrev_b32_e32 v18, 2, v55
	v_min_i32_e32 v1, s5, v38
	v_min_i32_e32 v7, s5, v41
	s_add_co_i32 s4, s4, s10
	v_dual_mov_b32 v63, 0 :: v_dual_add_nc_u32 v36, 16, v38
	s_wait_alu 0xfffe
	s_ashr_i32 s15, s4, 5
	v_dual_mov_b32 v68, 0 :: v_dual_add_nc_u32 v37, 24, v38
	v_add_nc_u32_e32 v39, 32, v38
	v_mul_lo_u32 v56, v1, s15
	v_mad_co_u64_u32 v[57:58], null, 0x84, v1, v[18:19]
	v_mad_co_u64_u32 v[1:2], null, 0x84, v7, v[18:19]
	v_min_i32_e32 v4, s5, v36
	v_dual_mov_b32 v40, 0 :: v_dual_add_nc_u32 v35, 8, v38
	v_min_i32_e32 v5, s5, v37
	v_min_i32_e32 v6, s5, v39
	v_add_nc_u32_e32 v42, 48, v38
	v_add_nc_u32_e32 v43, 56, v38
	;; [unrolled: 1-line block ×3, first 2 shown]
	s_ashr_i32 s11, s7, 31
	v_mad_co_u64_u32 v[70:71], null, 0x84, v4, v[18:19]
	v_min_i32_e32 v3, s5, v35
	v_mul_lo_u32 v65, v4, s15
	v_mul_lo_u32 v4, v5, s15
	v_mad_co_u64_u32 v[71:72], null, 0x84, v5, v[18:19]
	v_mul_lo_u32 v5, v6, s15
	v_mad_co_u64_u32 v[75:76], null, 0x84, v6, v[18:19]
	v_mul_lo_u32 v6, v7, s15
	v_min_i32_e32 v8, s5, v42
	v_min_i32_e32 v10, s5, v43
	v_mov_b32_e32 v7, v1
	v_min_i32_e32 v11, s5, v9
	v_add_nc_u32_e32 v1, s13, v38
	s_lshr_b32 s4, s11, 27
	v_mad_co_u64_u32 v[60:61], null, 0x84, v3, v[18:19]
	s_wait_alu 0xfffe
	s_add_co_i32 s4, s7, s4
	s_add_co_i32 s7, s6, -1
	v_mul_lo_u32 v72, v8, s15
	v_mad_co_u64_u32 v[76:77], null, 0x84, v8, v[18:19]
	v_mul_lo_u32 v8, v10, s15
	v_mad_co_u64_u32 v[9:10], null, 0x84, v10, v[18:19]
	v_mad_co_u64_u32 v[80:81], null, 0x84, v11, v[18:19]
	v_cvt_f64_i32_e32 v[16:17], s7
	v_cvt_f64_u32_e32 v[19:20], v1
	v_add_nc_u32_e32 v10, 8, v1
	v_add_nc_u32_e32 v12, 16, v1
	v_dual_mov_b32 v77, 0 :: v_dual_add_nc_u32 v14, 32, v1
	v_mov_b32_e32 v67, 0
	s_delay_alu instid0(VALU_DEP_4)
	v_cvt_f64_u32_e32 v[21:22], v10
	v_add_nc_u32_e32 v10, 24, v1
	v_cvt_f64_u32_e32 v[23:24], v12
	v_add_nc_u32_e32 v12, 40, v1
	;; [unrolled: 2-line block ×4, first 2 shown]
	v_cvt_f64_u32_e32 v[29:30], v12
	v_mul_lo_u32 v78, v11, s15
	v_dual_mov_b32 v74, 0 :: v_dual_add_nc_u32 v11, 0x48, v38
	v_dual_mov_b32 v66, 0 :: v_dual_add_nc_u32 v13, 0x50, v38
	;; [unrolled: 1-line block ×3, first 2 shown]
	v_add_nc_u32_e32 v15, 0x60, v38
	v_cvt_f64_u32_e32 v[31:32], v10
	v_cvt_f64_u32_e32 v[33:34], v14
	v_min_i32_e32 v11, s5, v11
	v_min_i32_e32 v13, s5, v13
	;; [unrolled: 1-line block ×4, first 2 shown]
	scratch_store_b32 off, v1, off offset:224 ; 4-byte Folded Spill
	v_mul_lo_u32 v10, v11, s15
	v_add_nc_u32_e32 v44, 0x68, v38
	v_dual_mov_b32 v64, 0 :: v_dual_add_nc_u32 v47, 0x70, v38
	v_and_b32_e32 v79, 7, v0
	v_bfe_u32 v46, v0, 2, 8
	s_delay_alu instid0(VALU_DEP_4)
	v_min_i32_e32 v44, s5, v44
	s_wait_alu 0xfffe
	s_ashr_i32 s4, s4, 5
	v_mad_co_u64_u32 v[81:82], null, 0x84, v11, v[18:19]
	v_mul_lo_u32 v11, v13, s15
	v_mad_co_u64_u32 v[12:13], null, 0x84, v13, v[18:19]
	v_mad_co_u64_u32 v[83:84], null, 0x84, v14, v[18:19]
	;; [unrolled: 1-line block ×3, first 2 shown]
	v_min_num_f64_e32 v[19:20], v[19:20], v[16:17]
	v_min_num_f64_e32 v[21:22], v[21:22], v[16:17]
	;; [unrolled: 1-line block ×6, first 2 shown]
	v_bfe_u32 v82, v0, 3, 7
	v_mul_lo_u32 v13, v14, s15
	v_mul_lo_u32 v14, v15, s15
	;; [unrolled: 1-line block ×3, first 2 shown]
	v_and_b32_e32 v50, 12, v18
	v_lshl_add_u32 v45, v38, 2, v82
	v_mov_b32_e32 v69, 0
	s_load_b128 s[0:3], s[0:1], 0x0
	v_min_num_f64_e32 v[31:32], v[31:32], v[16:17]
	v_min_num_f64_e32 v[33:34], v[33:34], v[16:17]
	v_min_i32_e32 v48, s5, v45
	v_add_nc_u32_e32 v49, 32, v45
	v_add_nc_u32_e32 v58, 64, v45
	;; [unrolled: 1-line block ×3, first 2 shown]
	s_mul_i32 s10, s15, s14
	v_ashrrev_i32_e32 v15, 31, v48
	v_min_i32_e32 v49, s5, v49
	v_min_i32_e32 v58, s5, v58
	v_mul_lo_u32 v107, v48, s15
	v_mul_lo_u32 v59, v3, s15
	v_lshrrev_b32_e32 v15, 30, v15
	v_ashrrev_i32_e32 v53, 31, v49
	v_mul_lo_u32 v3, v58, s15
	s_ashr_i32 s11, s10, 31
	s_delay_alu instid0(SALU_CYCLE_1)
	s_mul_u64 s[10:11], s[10:11], 18
	s_wait_kmcnt 0x0
	s_add_nc_u64 s[0:1], s[0:1], s[10:11]
	v_mad_co_u64_u32 v[104:105], null, 0x84, v44, v[18:19]
	v_min_i32_e32 v44, s5, v47
	v_add_nc_u32_e32 v47, 0x78, v38
	v_cvt_i32_f64_e32 v21, v[21:22]
	v_cvt_i32_f64_e32 v23, v[23:24]
	;; [unrolled: 1-line block ×3, first 2 shown]
	v_mad_co_u64_u32 v[105:106], null, 0x84, v44, v[18:19]
	v_min_i32_e32 v17, s5, v47
	v_add_nc_u32_e32 v47, v48, v15
	v_mov_b32_e32 v15, v1
	v_mul_lo_u32 v16, v44, s15
	v_cvt_i32_f64_e32 v26, v[27:28]
	v_mul_lo_u32 v106, v17, s15
	v_mad_co_u64_u32 v[1:2], null, 0x84, v17, v[18:19]
	v_lshrrev_b32_e32 v17, 30, v53
	v_cvt_i32_f64_e32 v19, v[19:20]
	v_min_i32_e32 v20, s5, v45
	v_and_b32_e32 v44, -4, v47
	v_lshlrev_b32_e32 v47, 2, v79
	v_add_nc_u32_e32 v17, v49, v17
	v_cvt_i32_f64_e32 v27, v[29:30]
	v_ashrrev_i32_e32 v25, 31, v20
	v_lshl_add_u32 v30, v38, 3, v46
	v_cvt_i32_f64_e32 v29, v[31:32]
	v_and_b32_e32 v17, -4, v17
	v_ashrrev_i32_e32 v53, 31, v58
	v_and_b32_e32 v18, 28, v18
	v_and_b32_e32 v30, 63, v30
	v_add3_u32 v44, v44, v47, 0x6200
	v_add3_u32 v28, v17, v47, 0x6200
	v_lshrrev_b32_e32 v17, 30, v25
	v_cvt_i32_f64_e32 v25, v[33:34]
	v_or_b32_e32 v34, s13, v30
	v_lshrrev_b32_e32 v22, 30, v53
	v_lshlrev_b32_e32 v48, 5, v48
	v_add_nc_u32_e32 v32, v20, v17
	v_and_b32_e32 v17, 3, v0
	v_min_i32_e32 v34, s7, v34
	v_add_nc_u32_e32 v22, v58, v22
	v_lshlrev_b32_e32 v31, 5, v49
	v_lshlrev_b32_e32 v33, 5, v58
	;; [unrolled: 1-line block ×3, first 2 shown]
	v_mad_co_u64_u32 v[52:53], null, v34, s4, v[17:18]
	v_and_b32_e32 v22, -4, v22
	v_mul_lo_u32 v51, v20, s15
	s_delay_alu instid0(VALU_DEP_4)
	v_lshl_or_b32 v30, v30, 4, v45
	v_lshlrev_b32_e32 v20, 5, v20
	v_mul_lo_u32 v2, v49, s15
	v_add3_u32 v22, v22, v47, 0x6200
	v_mov_b32_e32 v49, 0
	v_add_nc_u32_e32 v17, 0x7280, v30
	scratch_store_b64 off, v[52:53], off offset:96 ; 8-byte Folded Spill
	v_dual_mov_b32 v53, 0 :: v_dual_add_nc_u32 v30, 32, v55
	v_add_nc_u32_e32 v52, v22, v33
	scratch_store_b32 off, v17, off         ; 4-byte Folded Spill
	v_mul_lo_u32 v17, s4, v19
	v_mul_lo_u32 v19, s4, v21
	v_lshlrev_b32_e32 v21, 7, v35
	v_lshlrev_b32_e32 v35, 5, v55
	v_dual_mov_b32 v33, 0 :: v_dual_mov_b32 v58, 0
	s_mov_b32 s5, 0
	s_add_co_i32 s7, s15, 3
	s_clause 0x1
	scratch_store_b32 off, v17, off offset:4
	scratch_store_b32 off, v19, off offset:8
	v_mul_lo_u32 v19, s4, v23
	v_lshlrev_b32_e32 v23, 7, v36
	v_and_b32_e32 v36, 0x1fc, v30
	v_lshrrev_b32_e32 v30, 3, v30
	v_lshlrev_b32_e32 v17, 7, v38
	s_delay_alu instid0(VALU_DEP_3)
	v_add_nc_u32_e32 v36, v35, v36
	s_clause 0x1
	scratch_store_b32 off, v19, off offset:12
	scratch_store_b32 off, v30, off offset:200
	v_mul_lo_u32 v19, s4, v24
	v_lshlrev_b32_e32 v24, 7, v37
	v_dual_mov_b32 v44, 0 :: v_dual_add_nc_u32 v37, v44, v48
	scratch_store_b32 off, v19, off offset:16 ; 4-byte Folded Spill
	v_mul_lo_u32 v19, s4, v26
	v_dual_mov_b32 v39, 0 :: v_dual_lshlrev_b32 v26, 7, v39
	scratch_store_b32 off, v19, off offset:20 ; 4-byte Folded Spill
	v_mul_lo_u32 v19, s4, v27
	v_lshlrev_b32_e32 v27, 7, v41
	v_dual_mov_b32 v41, 0 :: v_dual_and_b32 v32, -4, v32
	scratch_store_b32 off, v19, off offset:24 ; 4-byte Folded Spill
	v_mul_lo_u32 v19, s4, v29
	v_add3_u32 v32, v32, v47, 0x6200
	v_and_b32_e32 v47, 31, v0
	v_and_b32_e32 v0, 0xfc, v0
	v_dual_mov_b32 v42, 0 :: v_dual_lshlrev_b32 v29, 7, v42
	s_delay_alu instid0(VALU_DEP_4) | instskip(NEXT) | instid1(VALU_DEP_4)
	v_add_nc_u32_e32 v54, v32, v20
	v_lshl_or_b32 v45, v47, 2, 0x4200
	scratch_store_b32 off, v19, off offset:28 ; 4-byte Folded Spill
	v_mul_lo_u32 v19, s4, v25
	v_add_nc_u32_e32 v25, 64, v55
	v_add_nc_u32_e32 v0, v35, v0
	v_add_co_u32 v18, s4, s2, v18
	s_delay_alu instid0(VALU_DEP_3) | instskip(SKIP_4) | instid1(VALU_DEP_2)
	v_dual_mov_b32 v32, 0 :: v_dual_and_b32 v25, 0x1fc, v25
	v_mov_b32_e32 v47, 0
	scratch_store_b32 off, v19, off offset:32 ; 4-byte Folded Spill
	v_add_nc_u32_e32 v19, 0x60, v55
	v_add_nc_u32_e32 v25, v35, v25
	v_and_b32_e32 v19, 0x1fc, v19
	s_delay_alu instid0(VALU_DEP_1)
	v_add_nc_u32_e32 v30, v35, v19
	s_wait_alu 0xf1ff
	v_add_co_ci_u32_e64 v19, null, s3, 0, s4
	s_wait_alu 0xfffe
	s_mov_b32 s4, s5
	v_add_nc_u32_e32 v35, 0x6e00, v30
	v_add_nc_u32_e32 v30, 0x6e10, v30
	scratch_store_b32 off, v35, off offset:104 ; 4-byte Folded Spill
	v_add_nc_u32_e32 v35, 0x6a00, v25
	v_add_nc_u32_e32 v25, 0x6a10, v25
	scratch_store_b32 off, v35, off offset:112 ; 4-byte Folded Spill
	v_add_nc_u32_e32 v35, 0x6600, v36
	scratch_store_b32 off, v35, off offset:116 ; 4-byte Folded Spill
	v_add_nc_u32_e32 v35, 0x6200, v0
	v_add_nc_u32_e32 v0, 0x6210, v0
	s_clause 0x1
	scratch_store_b32 off, v35, off offset:132
	scratch_store_b32 off, v38, off offset:220
	v_lshl_add_u32 v35, v38, 4, 0x7280
	scratch_store_b32 off, v0, off offset:216 ; 4-byte Folded Spill
	v_add_nc_u32_e32 v0, v45, v17
	v_add_nc_u32_e32 v38, v28, v31
	v_mov_b32_e32 v28, 0
	s_clause 0x2
	scratch_store_b32 off, v35, off offset:36
	scratch_store_b32 off, v30, off offset:204
	;; [unrolled: 1-line block ×3, first 2 shown]
	v_add_nc_u32_e32 v35, 0x4200, v17
	v_dual_mov_b32 v31, 0 :: v_dual_add_nc_u32 v0, v45, v21
	v_mov_b32_e32 v30, 0
	s_clause 0x2
	scratch_store_b32 off, v35, off offset:40
	scratch_store_b32 off, v25, off offset:208
	;; [unrolled: 1-line block ×3, first 2 shown]
	v_add_nc_u32_e32 v25, 0x6610, v36
	v_add_nc_u32_e32 v0, v45, v23
	v_mov_b32_e32 v36, 0
	v_dual_mov_b32 v43, 0 :: v_dual_lshlrev_b32 v34, 7, v43
	s_clause 0x1
	scratch_store_b32 off, v25, off offset:212
	scratch_store_b32 off, v0, off offset:52
	v_dual_mov_b32 v35, 0 :: v_dual_add_nc_u32 v0, v45, v24
	scratch_store_b32 off, v0, off offset:56 ; 4-byte Folded Spill
	v_add_nc_u32_e32 v0, v45, v26
	v_mov_b32_e32 v26, 0
	scratch_store_b32 off, v0, off offset:60 ; 4-byte Folded Spill
	v_dual_mov_b32 v27, 0 :: v_dual_add_nc_u32 v0, v45, v27
	scratch_store_b32 off, v0, off offset:64 ; 4-byte Folded Spill
	v_dual_mov_b32 v29, 0 :: v_dual_add_nc_u32 v0, v45, v29
	;; [unrolled: 2-line block ×3, first 2 shown]
	v_mov_b32_e32 v34, 0
	s_clause 0x13
	scratch_store_b32 off, v0, off offset:72
	scratch_store_b64 off, v[80:81], off offset:136
	scratch_store_b64 off, v[81:82], off offset:144
	scratch_store_b32 off, v11, off offset:152
	scratch_store_b64 off, v[12:13], off offset:156
	scratch_store_b32 off, v13, off offset:164
	scratch_store_b32 off, v82, off offset:168
	scratch_store_b64 off, v[83:84], off offset:172
	scratch_store_b32 off, v14, off offset:180
	scratch_store_b64 off, v[15:16], off offset:184
	scratch_store_b32 off, v84, off offset:192
	scratch_store_b32 off, v16, off offset:196
	scratch_store_b64 off, v[1:2], off offset:76
	scratch_store_b32 off, v2, off offset:84
	scratch_store_b32 off, v3, off offset:88
	scratch_store_b32 off, v51, off offset:92
	scratch_store_b32 off, v37, off offset:108
	scratch_store_b32 off, v38, off offset:120
	scratch_store_b32 off, v52, off offset:124
	scratch_store_b32 off, v54, off offset:128
	s_branch .LBB118_7
.LBB118_5:                              ;   in Loop: Header=BB118_7 Depth=1
	s_clause 0x6
	scratch_load_b64 v[1:2], off, off offset:76
	scratch_load_b32 v3, off, off offset:88
	scratch_load_b32 v51, off, off offset:92
	;; [unrolled: 1-line block ×6, first 2 shown]
	s_wait_loadcnt 0x6
	scratch_load_b32 v2, off, off offset:84 ; 4-byte Folded Reload
.LBB118_6:                              ;   in Loop: Header=BB118_7 Depth=1
	s_add_co_i32 s4, s4, 8
	s_add_co_i32 s7, s7, -8
	s_wait_alu 0xfffe
	s_cmp_ge_i32 s4, s15
	s_cbranch_scc1 .LBB118_14
.LBB118_7:                              ; =>This Loop Header: Depth=1
                                        ;     Child Loop BB118_9 Depth 2
                                        ;     Child Loop BB118_12 Depth 2
	s_wait_alu 0xfffe
	s_mul_u64 s[10:11], s[4:5], 18
	s_cmp_gt_u32 s7, 3
	s_wait_alu 0xfffe
	s_add_nc_u64 s[10:11], s[0:1], s[10:11]
	s_wait_alu 0xfffe
	v_mad_co_u64_u32 v[20:21], null, v46, 18, s[10:11]
	s_delay_alu instid0(VALU_DEP_1) | instskip(SKIP_3) | instid1(VALU_DEP_4)
	v_mad_co_i64_i32 v[22:23], null, v56, 18, v[20:21]
	v_mad_co_i64_i32 v[24:25], null, v59, 18, v[20:21]
	;; [unrolled: 1-line block ×4, first 2 shown]
	v_add_co_u32 v22, vcc_lo, v22, v50
	v_mad_co_i64_i32 v[100:101], null, v5, 18, v[20:21]
	s_wait_alu 0xfffd
	v_add_co_ci_u32_e64 v23, null, 0, v23, vcc_lo
	v_add_co_u32 v24, vcc_lo, v24, v50
	v_mad_co_i64_i32 v[102:103], null, v6, 18, v[20:21]
	s_wait_alu 0xfffd
	v_add_co_ci_u32_e64 v25, null, 0, v25, vcc_lo
	v_add_co_u32 v94, vcc_lo, v94, v50
	v_mad_co_i64_i32 v[116:117], null, v72, 18, v[20:21]
	s_wait_alu 0xfffd
	v_add_co_ci_u32_e64 v95, null, 0, v95, vcc_lo
	v_add_co_u32 v96, vcc_lo, v96, v50
	v_mad_co_i64_i32 v[118:119], null, v8, 18, v[20:21]
	s_wait_alu 0xfffd
	v_add_co_ci_u32_e64 v97, null, 0, v97, vcc_lo
	v_add_co_u32 v100, vcc_lo, v100, v50
	s_wait_alu 0xfffd
	v_add_co_ci_u32_e64 v101, null, 0, v101, vcc_lo
	v_add_co_u32 v102, vcc_lo, v102, v50
	s_wait_alu 0xfffd
	v_add_co_ci_u32_e64 v103, null, 0, v103, vcc_lo
	;; [unrolled: 3-line block ×3, first 2 shown]
	v_add_co_u32 v118, vcc_lo, v118, v50
	v_mad_co_i64_i32 v[120:121], null, v78, 18, v[20:21]
	s_wait_alu 0xfffd
	v_add_co_ci_u32_e64 v119, null, 0, v119, vcc_lo
	s_clause 0x7
	global_load_b32 v0, v[22:23], off offset:2
	global_load_b32 v17, v[24:25], off offset:2
	;; [unrolled: 1-line block ×8, first 2 shown]
	v_mad_co_i64_i32 v[22:23], null, v10, 18, v[20:21]
	v_mad_co_u64_u32 v[102:103], null, v79, 18, s[10:11]
	v_mad_co_i64_i32 v[94:95], null, v11, 18, v[20:21]
	v_mad_co_i64_i32 v[96:97], null, v13, 18, v[20:21]
	v_add_co_u32 v24, vcc_lo, v120, v50
	v_mad_co_i64_i32 v[100:101], null, v14, 18, v[20:21]
	s_wait_alu 0xfffd
	v_add_co_ci_u32_e64 v25, null, 0, v121, vcc_lo
	v_add_co_u32 v22, vcc_lo, v22, v50
	v_mad_co_i64_i32 v[116:117], null, v84, 18, v[20:21]
	v_mad_co_i64_i32 v[118:119], null, v107, 18, v[102:103]
	s_wait_loadcnt 0x8
	v_mad_co_i64_i32 v[120:121], null, v2, 18, v[102:103]
	s_wait_alu 0xfffd
	v_add_co_ci_u32_e64 v23, null, 0, v23, vcc_lo
	v_add_co_u32 v94, vcc_lo, v94, v50
	v_mad_co_i64_i32 v[122:123], null, v3, 18, v[102:103]
	v_mad_co_i64_i32 v[124:125], null, v16, 18, v[20:21]
	;; [unrolled: 1-line block ×3, first 2 shown]
	s_wait_alu 0xfffd
	v_add_co_ci_u32_e64 v95, null, 0, v95, vcc_lo
	v_add_co_u32 v96, vcc_lo, v96, v50
	v_mad_co_i64_i32 v[20:21], null, v106, 18, v[20:21]
	s_wait_alu 0xfffd
	v_add_co_ci_u32_e64 v97, null, 0, v97, vcc_lo
	v_add_co_u32 v100, vcc_lo, v100, v50
	s_wait_alu 0xfffd
	v_add_co_ci_u32_e64 v101, null, 0, v101, vcc_lo
	s_clause 0x3
	global_load_u16 v90, v[118:119], off
	global_load_u16 v91, v[120:121], off
	;; [unrolled: 1-line block ×4, first 2 shown]
	v_add_co_u32 v102, vcc_lo, v116, v50
	s_wait_alu 0xfffd
	v_add_co_ci_u32_e64 v103, null, 0, v117, vcc_lo
	v_add_co_u32 v116, vcc_lo, v124, v50
	s_wait_alu 0xfffd
	v_add_co_ci_u32_e64 v117, null, 0, v125, vcc_lo
	;; [unrolled: 3-line block ×3, first 2 shown]
	s_clause 0x7
	global_load_b32 v24, v[24:25], off offset:2
	global_load_b32 v22, v[22:23], off offset:2
	global_load_b32 v23, v[94:95], off offset:2
	global_load_b32 v25, v[96:97], off offset:2
	global_load_b32 v94, v[100:101], off offset:2
	global_load_b32 v95, v[102:103], off offset:2
	global_load_b32 v96, v[116:117], off offset:2
	global_load_b32 v20, v[20:21], off offset:2
	s_wait_loadcnt 0xb
	v_cvt_f32_f16_e32 v21, v90
	s_wait_loadcnt 0xa
	v_cvt_f32_f16_e32 v90, v91
	;; [unrolled: 2-line block ×4, first 2 shown]
	ds_store_b32 v57, v0
	ds_store_b32 v37, v21
	;; [unrolled: 1-line block ×11, first 2 shown]
	s_wait_loadcnt 0x7
	ds_store_b32 v80, v24
	s_wait_loadcnt 0x6
	ds_store_b32 v81, v22
	;; [unrolled: 2-line block ×8, first 2 shown]
	ds_store_b32 v54, v92
	s_cbranch_scc0 .LBB118_6
; %bb.8:                                ;   in Loop: Header=BB118_7 Depth=1
	scratch_load_b64 v[1:2], off, off offset:96 ; 8-byte Folded Reload
	v_add_nc_u32_e32 v0, s4, v82
	v_mul_u32_u24_e32 v123, 0x84, v55
	s_mov_b32 s10, -4
	s_wait_loadcnt 0x0
	v_add_nc_u32_e32 v116, s4, v1
	scratch_load_b32 v1, off, off offset:4  ; 4-byte Folded Reload
	v_mad_co_u64_u32 v[119:120], null, v116, 36, s[2:3]
	s_wait_loadcnt 0x0
	v_add_nc_u32_e32 v17, v0, v1
	scratch_load_b32 v1, off, off offset:8  ; 4-byte Folded Reload
	v_mad_co_i64_i32 v[20:21], null, v17, 36, v[18:19]
	s_wait_loadcnt 0x0
	v_add_nc_u32_e32 v22, v0, v1
	scratch_load_b32 v1, off, off offset:12 ; 4-byte Folded Reload
	v_mad_co_i64_i32 v[22:23], null, v22, 36, v[18:19]
	s_wait_loadcnt 0x0
	v_add_nc_u32_e32 v24, v0, v1
	scratch_load_b32 v1, off, off offset:16 ; 4-byte Folded Reload
	;; [unrolled: 4-line block ×6, first 2 shown]
	v_mad_co_i64_i32 v[102:103], null, v85, 36, v[18:19]
	s_wait_loadcnt 0x0
	v_add_nc_u32_e32 v0, v0, v1
	s_delay_alu instid0(VALU_DEP_1)
	v_mad_co_i64_i32 v[117:118], null, v0, 36, v[18:19]
	s_clause 0x8
	global_load_b32 v0, v[96:97], off offset:4
	global_load_b32 v17, v[20:21], off offset:4
	;; [unrolled: 1-line block ×8, first 2 shown]
	global_load_b32 v48, v[119:120], off
	s_clause 0x6
	scratch_load_b32 v117, off, off offset:40
	scratch_load_b32 v118, off, off offset:36
	;; [unrolled: 1-line block ×7, first 2 shown]
	s_wait_loadcnt 0x0
	ds_store_b32 v1, v0
	scratch_load_b32 v0, off, off offset:44 ; 4-byte Folded Reload
	s_wait_loadcnt 0x0
	ds_store_b32 v0, v17
	scratch_load_b32 v0, off, off offset:48 ; 4-byte Folded Reload
	;; [unrolled: 3-line block ×7, first 2 shown]
	s_wait_loadcnt 0x0
	ds_store_b32 v0, v25
	scratch_load_b32 v0, off, off           ; 4-byte Folded Reload
	s_wait_loadcnt 0x0
	ds_store_b32 v0, v48
	s_wait_storecnt_dscnt 0x0
	s_barrier_signal -1
	s_barrier_wait -1
	global_inv scope:SCOPE_SE
.LBB118_9:                              ;   Parent Loop BB118_7 Depth=1
                                        ; =>  This Inner Loop Header: Depth=2
	ds_load_2addr_b32 v[20:21], v117 offset0:4 offset1:7
	ds_load_2addr_b32 v[94:95], v123 offset1:1
	ds_load_2addr_b32 v[96:97], v117 offset1:3
	ds_load_b32 v124, v120
	ds_load_2addr_b32 v[100:101], v117 offset0:1 offset1:2
	ds_load_2addr_b32 v[102:103], v117 offset0:5 offset1:6
	;; [unrolled: 1-line block ×3, first 2 shown]
	v_add_nc_u32_e32 v153, 0x400, v117
	v_add_nc_u32_e32 v120, 4, v120
	s_wait_alu 0xfffe
	s_add_co_i32 s10, s10, 4
	s_wait_alu 0xfffe
	s_cmp_lt_u32 s10, 12
	s_wait_dscnt 0x6
	v_bfe_i32 v0, v20, 16, 8
	s_wait_dscnt 0x5
	v_bfe_u32 v168, v94, 20, 4
	s_wait_dscnt 0x4
	v_bfe_i32 v17, v96, 16, 8
	v_bfe_u32 v125, v94, 16, 4
	s_wait_dscnt 0x2
	v_bfe_i32 v48, v100, 16, 8
	v_bfe_u32 v160, v95, 16, 4
	v_mul_i32_i24_e32 v22, v168, v0
	s_wait_dscnt 0x1
	v_bfe_i32 v85, v102, 16, 8
	v_bfe_u32 v149, v95, 20, 4
	v_lshrrev_b32_e32 v172, 28, v94
	v_mul_i32_i24_e32 v23, v48, v160
	v_mad_i32_i24 v22, v125, v17, v22
	v_ashrrev_i32_e32 v86, 24, v20
	v_mul_i32_i24_e32 v24, v85, v149
	v_bfe_u32 v126, v94, 24, 4
	v_ashrrev_i32_e32 v87, 24, v96
	v_bfe_u32 v171, v95, 24, 4
	v_lshrrev_b32_e32 v158, 28, v95
	v_add3_u32 v22, v22, v23, v24
	v_mul_i32_i24_e32 v23, v172, v86
	v_ashrrev_i32_e32 v88, 24, v100
	v_ashrrev_i32_e32 v89, 24, v102
	v_bfe_i32 v90, v20, 0, 8
	v_bfe_u32 v175, v94, 4, 4
	v_mad_i32_i24 v23, v126, v87, v23
	v_mul_i32_i24_e32 v24, v88, v171
	v_mul_i32_i24_e32 v25, v89, v158
	v_bfe_i32 v91, v96, 0, 8
	v_and_b32_e32 v127, 15, v94
	v_bfe_i32 v92, v100, 0, 8
	v_and_b32_e32 v165, 15, v95
	v_add3_u32 v23, v23, v24, v25
	v_mul_i32_i24_e32 v24, v175, v90
	v_bfe_i32 v98, v102, 0, 8
	v_bfe_u32 v161, v95, 4, 4
	v_mul_i32_i24_e32 v25, v92, v165
	s_wait_dscnt 0x0
	v_bfe_u32 v150, v183, 24, 4
	v_mad_i32_i24 v24, v127, v91, v24
	v_lshrrev_b32_e32 v142, 28, v183
	v_mul_i32_i24_e32 v128, v98, v161
	v_ashrrev_i32_e32 v198, 24, v101
	v_ashrrev_i32_e32 v215, 24, v103
	v_bfe_i32 v216, v101, 16, 8
	v_bfe_u32 v146, v183, 16, 4
	v_add3_u32 v24, v24, v25, v128
	v_mul_i32_i24_e32 v25, v198, v150
	v_mul_i32_i24_e32 v128, v215, v142
	v_bfe_i32 v217, v103, 16, 8
	v_bfe_u32 v136, v183, 20, 4
	v_bfe_i32 v218, v101, 0, 8
	v_and_b32_e32 v147, 15, v183
	v_add3_u32 v137, v23, v25, v128
	v_mul_i32_i24_e32 v23, v216, v146
	v_mul_i32_i24_e32 v25, v217, v136
	v_bfe_i32 v219, v103, 0, 8
	v_bfe_u32 v143, v183, 4, 4
	v_lshrrev_b16 v20, 8, v20
	v_bfe_i32 v255, v97, 16, 8
	v_add3_u32 v138, v22, v23, v25
	v_mul_i32_i24_e32 v22, v218, v147
	v_mul_i32_i24_e32 v23, v219, v143
	v_bfe_i32 v192, v20, 0, 8
	v_and_b32_e32 v20, 0xf0f0f0f, v95
	v_bfe_u32 v148, v184, 16, 4
	v_bfe_i32 v73, v21, 16, 8
	v_add3_u32 v139, v24, v22, v23
	v_lshrrev_b16 v22, 8, v96
	v_add_nc_u32_e32 v23, 0x2108, v123
	v_add_nc_u32_e32 v24, 0x1088, v123
	v_bfe_u32 v155, v184, 24, 4
	v_ashrrev_i32_e32 v37, 24, v97
	v_bfe_i32 v96, v22, 0, 8
	v_add_nc_u32_e32 v22, 0x2100, v123
	ds_load_2addr_b32 v[193:194], v22 offset1:1
	ds_load_2addr_b32 v[22:23], v23 offset1:1
	;; [unrolled: 1-line block ×3, first 2 shown]
	v_ashrrev_i32_e32 v93, 24, v21
	v_bfe_i32 v108, v97, 0, 8
	v_and_b32_e32 v151, 15, v184
	v_bfe_i32 v109, v21, 0, 8
	v_lshrrev_b32_e32 v95, 4, v95
	v_bfe_i32 v101, v101, 8, 8
	v_bfe_i32 v103, v103, 8, 8
	;; [unrolled: 1-line block ×4, first 2 shown]
	v_lshrrev_b16 v95, 8, v95
	s_delay_alu instid0(VALU_DEP_1)
	v_and_b32_e32 v95, 15, v95
	s_wait_dscnt 0x2
	v_and_b32_e32 v131, 15, v193
	v_bfe_u32 v130, v193, 8, 4
	v_bfe_u32 v128, v193, 16, 4
	;; [unrolled: 1-line block ×3, first 2 shown]
	s_wait_dscnt 0x0
	v_bfe_u32 v154, v195, 16, 4
	v_mul_i32_i24_e32 v24, v91, v131
	v_and_b32_e32 v159, 15, v195
	v_mul_i32_i24_e32 v25, v17, v128
	v_mul_i32_i24_e32 v132, v87, v129
	v_bfe_u32 v166, v195, 24, 4
	v_mad_i32_i24 v24, v96, v130, v24
	v_bfe_u32 v199, v193, 4, 4
	v_bfe_u32 v201, v193, 12, 4
	v_lshrrev_b32_e32 v169, 28, v195
	v_bfe_u32 v156, v196, 24, 4
	v_add3_u32 v140, v24, v25, v132
	v_add_nc_u32_e32 v24, 0x3180, v123
	v_add_nc_u32_e32 v25, 0x3188, v123
	;; [unrolled: 1-line block ×3, first 2 shown]
	ds_load_2addr_b32 v[207:208], v24 offset1:1
	ds_load_2addr_b32 v[24:25], v25 offset1:1
	ds_load_2addr_b32 v[209:210], v132 offset1:1
	ds_load_2addr_b32 v[204:205], v153 offset0:4 offset1:7
	ds_load_2addr_b32 v[213:214], v153 offset1:3
	v_lshrrev_b32_e32 v203, 28, v193
	v_bfe_u32 v228, v194, 8, 4
	v_bfe_u32 v251, v194, 4, 4
	v_lshrrev_b32_e32 v250, 28, v194
	v_bfe_u32 v249, v194, 20, 4
	v_bfe_u32 v246, v22, 8, 4
	;; [unrolled: 1-line block ×3, first 2 shown]
	s_wait_dscnt 0x4
	v_and_b32_e32 v134, 15, v207
	v_bfe_u32 v135, v207, 8, 4
	v_bfe_u32 v133, v207, 24, 4
	s_wait_dscnt 0x2
	v_bfe_i32 v220, v209, 16, 8
	s_wait_dscnt 0x1
	v_bfe_i32 v157, v204, 16, 8
	v_mul_i32_i24_e32 v132, v91, v134
	v_bfe_i32 v224, v210, 16, 8
	v_mul_i32_i24_e32 v145, v87, v133
	v_bfe_i32 v225, v209, 0, 8
	v_bfe_i32 v179, v204, 0, 8
	v_mad_i32_i24 v141, v96, v135, v132
	v_bfe_u32 v132, v207, 16, 4
	v_bfe_i32 v232, v210, 0, 8
	v_ashrrev_i32_e32 v182, 24, v209
	v_ashrrev_i32_e32 v189, 24, v204
	v_ashrrev_i32_e32 v234, 24, v210
	v_mul_i32_i24_e32 v144, v17, v132
	v_bfe_u32 v197, v207, 4, 4
	v_bfe_u32 v200, v207, 12, 4
	s_wait_dscnt 0x0
	v_bfe_i32 v111, v214, 0, 8
	v_bfe_i32 v113, v214, 16, 8
	v_add3_u32 v152, v141, v144, v145
	v_add_nc_u32_e32 v141, 0x1080, v123
	v_add_nc_u32_e32 v144, 0x414, v117
	v_mul_i32_i24_e32 v145, v224, v154
	v_bfe_u32 v206, v207, 20, 4
	v_lshrrev_b32_e32 v207, 28, v207
	ds_load_2addr_b32 v[162:163], v141 offset1:1
	ds_load_2addr_b32 v[211:212], v144 offset1:1
	v_bfe_i32 v114, v213, 16, 8
	v_bfe_i32 v115, v205, 16, 8
	;; [unrolled: 1-line block ×4, first 2 shown]
	v_ashrrev_i32_e32 v51, 24, v213
	v_ashrrev_i32_e32 v1, 24, v205
	v_bfe_u32 v230, v208, 24, 4
	v_bfe_u32 v244, v208, 16, 4
	;; [unrolled: 1-line block ×3, first 2 shown]
	v_lshrrev_b32_e32 v254, 28, v208
	v_bfe_u32 v252, v208, 20, 4
	v_bfe_u32 v247, v24, 8, 4
	;; [unrolled: 1-line block ×4, first 2 shown]
	v_add_nc_u32_e32 v123, 16, v123
	s_wait_dscnt 0x1
	v_bfe_u32 v174, v163, 16, 4
	v_bfe_u32 v181, v162, 20, 4
	v_bfe_u32 v167, v163, 20, 4
	s_wait_dscnt 0x0
	v_bfe_i32 v223, v211, 16, 8
	v_and_b32_e32 v178, 15, v163
	v_mul_i32_i24_e32 v141, v220, v174
	v_bfe_u32 v187, v162, 4, 4
	v_bfe_u32 v173, v163, 4, 4
	v_mul_i32_i24_e32 v144, v223, v167
	v_bfe_i32 v226, v211, 0, 8
	v_mad_i32_i24 v141, v157, v181, v141
	v_bfe_u32 v180, v163, 24, 4
	v_lshrrev_b32_e32 v185, 28, v162
	v_lshrrev_b32_e32 v176, 28, v163
	v_ashrrev_i32_e32 v231, 24, v211
	v_add3_u32 v177, v141, v144, v145
	v_mul_i32_i24_e32 v141, v225, v178
	v_mul_i32_i24_e32 v144, v226, v173
	;; [unrolled: 1-line block ×3, first 2 shown]
	v_bfe_i32 v110, v212, 0, 8
	v_bfe_i32 v112, v212, 16, 8
	v_mad_i32_i24 v141, v179, v187, v141
	s_delay_alu instid0(VALU_DEP_1) | instskip(SKIP_3) | instid1(VALU_DEP_3)
	v_add3_u32 v164, v141, v144, v145
	v_mul_i32_i24_e32 v141, v182, v180
	v_mul_i32_i24_e32 v144, v231, v176
	;; [unrolled: 1-line block ×3, first 2 shown]
	v_mad_i32_i24 v141, v189, v185, v141
	s_delay_alu instid0(VALU_DEP_1) | instskip(SKIP_3) | instid1(VALU_DEP_3)
	v_add3_u32 v170, v141, v144, v145
	v_and_b32_e32 v141, 0xf0f0f0f, v94
	v_lshrrev_b32_e32 v94, 4, v94
	v_lshrrev_b16 v144, 8, v20
	v_lshrrev_b16 v141, 8, v141
	s_delay_alu instid0(VALU_DEP_3) | instskip(NEXT) | instid1(VALU_DEP_3)
	v_lshrrev_b16 v94, 8, v94
	v_and_b32_e32 v188, 0xffff, v144
	s_delay_alu instid0(VALU_DEP_3) | instskip(NEXT) | instid1(VALU_DEP_3)
	v_and_b32_e32 v20, 0xffff, v141
	v_and_b32_e32 v94, 15, v94
	s_delay_alu instid0(VALU_DEP_1) | instskip(SKIP_1) | instid1(VALU_DEP_4)
	v_and_b32_e32 v191, 0xffff, v94
	v_bfe_i32 v94, v100, 8, 8
	v_mul_i32_i24_e32 v100, v20, v96
	s_delay_alu instid0(VALU_DEP_3) | instskip(NEXT) | instid1(VALU_DEP_3)
	v_mul_i32_i24_e32 v144, v191, v192
	v_mul_i32_i24_e32 v141, v94, v188
	s_delay_alu instid0(VALU_DEP_1) | instskip(SKIP_2) | instid1(VALU_DEP_2)
	v_add3_u32 v100, v100, v144, v141
	v_bfe_u32 v141, v184, 20, 4
	v_mul_i32_i24_e32 v144, v255, v148
	v_mul_i32_i24_e32 v145, v73, v141
	s_delay_alu instid0(VALU_DEP_1) | instskip(SKIP_2) | instid1(VALU_DEP_2)
	v_add3_u32 v233, v138, v144, v145
	v_lshrrev_b32_e32 v144, 28, v184
	v_mul_i32_i24_e32 v138, v37, v155
	v_mul_i32_i24_e32 v145, v93, v144
	s_delay_alu instid0(VALU_DEP_1) | instskip(SKIP_2) | instid1(VALU_DEP_2)
	v_add3_u32 v235, v137, v138, v145
	v_bfe_u32 v145, v184, 4, 4
	v_mul_i32_i24_e32 v137, v108, v151
	v_mul_i32_i24_e32 v138, v109, v145
	s_delay_alu instid0(VALU_DEP_1) | instskip(SKIP_3) | instid1(VALU_DEP_2)
	v_add3_u32 v236, v139, v137, v138
	v_mul_i32_i24_e32 v137, v90, v199
	v_mul_i32_i24_e32 v138, v192, v201
	v_and_b32_e32 v139, 15, v162
	v_add3_u32 v202, v140, v138, v137
	v_mul_i32_i24_e32 v137, v90, v197
	v_mul_i32_i24_e32 v138, v192, v200
	s_delay_alu instid0(VALU_DEP_4) | instskip(SKIP_1) | instid1(VALU_DEP_3)
	v_mul_i32_i24_e32 v91, v139, v91
	v_mul_i32_i24_e32 v90, v187, v90
	v_add3_u32 v221, v152, v138, v137
	v_and_b32_e32 v137, 0xf0f0f0f, v162
	v_bfe_u32 v138, v162, 24, 4
	s_delay_alu instid0(VALU_DEP_2) | instskip(NEXT) | instid1(VALU_DEP_2)
	v_lshrrev_b16 v137, 8, v137
	v_mul_i32_i24_e32 v87, v138, v87
	s_delay_alu instid0(VALU_DEP_2) | instskip(SKIP_2) | instid1(VALU_DEP_3)
	v_and_b32_e32 v140, 0xffff, v137
	v_bfe_u32 v137, v162, 16, 4
	v_lshrrev_b32_e32 v162, 4, v162
	v_mad_i32_i24 v91, v140, v96, v91
	s_delay_alu instid0(VALU_DEP_3) | instskip(NEXT) | instid1(VALU_DEP_3)
	v_mul_i32_i24_e32 v17, v137, v17
	v_lshrrev_b16 v162, 8, v162
	s_delay_alu instid0(VALU_DEP_2) | instskip(SKIP_2) | instid1(VALU_DEP_4)
	v_add3_u32 v17, v91, v17, v87
	v_ashrrev_i32_e32 v87, 24, v212
	v_ashrrev_i32_e32 v91, 24, v214
	v_and_b32_e32 v162, 15, v162
	s_delay_alu instid0(VALU_DEP_3) | instskip(NEXT) | instid1(VALU_DEP_3)
	v_mul_i32_i24_e32 v96, v87, v169
	v_mul_i32_i24_e32 v152, v91, v156
	s_delay_alu instid0(VALU_DEP_1) | instskip(SKIP_2) | instid1(VALU_DEP_2)
	v_add3_u32 v96, v170, v96, v152
	v_bfe_u32 v170, v195, 4, 4
	v_and_b32_e32 v152, 15, v196
	v_mul_i32_i24_e32 v153, v110, v170
	s_delay_alu instid0(VALU_DEP_2) | instskip(NEXT) | instid1(VALU_DEP_1)
	v_mul_i32_i24_e32 v186, v111, v152
	v_add3_u32 v222, v164, v153, v186
	v_bfe_u32 v164, v195, 20, 4
	v_bfe_u32 v153, v196, 16, 4
	s_delay_alu instid0(VALU_DEP_2) | instskip(NEXT) | instid1(VALU_DEP_2)
	v_mul_i32_i24_e32 v186, v112, v164
	v_mul_i32_i24_e32 v190, v113, v153
	s_delay_alu instid0(VALU_DEP_1) | instskip(SKIP_3) | instid1(VALU_DEP_3)
	v_add3_u32 v177, v177, v186, v190
	v_lshrrev_b16 v186, 8, v204
	v_bfe_u32 v204, v193, 20, 4
	v_mul_i32_i24_e32 v193, v189, v203
	v_bfe_i32 v227, v186, 0, 8
	s_delay_alu instid0(VALU_DEP_3) | instskip(NEXT) | instid1(VALU_DEP_2)
	v_mul_i32_i24_e32 v190, v157, v204
	v_mul_i32_i24_e32 v186, v227, v201
	s_delay_alu instid0(VALU_DEP_1) | instskip(NEXT) | instid1(VALU_DEP_1)
	v_mad_i32_i24 v186, v179, v199, v186
	v_add3_u32 v229, v186, v190, v193
	v_mul_i32_i24_e32 v186, v227, v200
	v_mul_i32_i24_e32 v190, v157, v206
	;; [unrolled: 1-line block ×4, first 2 shown]
	s_delay_alu instid0(VALU_DEP_4) | instskip(NEXT) | instid1(VALU_DEP_1)
	v_mad_i32_i24 v186, v179, v197, v186
	v_add3_u32 v237, v186, v190, v193
	v_and_b32_e32 v186, 0xf0f0f0f, v183
	v_and_b32_e32 v190, 0xffff, v95
	v_bfe_i32 v95, v102, 8, 8
	s_delay_alu instid0(VALU_DEP_3) | instskip(NEXT) | instid1(VALU_DEP_2)
	v_lshrrev_b16 v186, 8, v186
	v_mul_i32_i24_e32 v193, v95, v190
	s_delay_alu instid0(VALU_DEP_2) | instskip(NEXT) | instid1(VALU_DEP_1)
	v_and_b32_e32 v186, 0xffff, v186
	v_mul_i32_i24_e32 v102, v101, v186
	s_delay_alu instid0(VALU_DEP_1) | instskip(SKIP_2) | instid1(VALU_DEP_1)
	v_add3_u32 v100, v100, v193, v102
	v_mul_i32_i24_e32 v102, v0, v204
	v_mul_i32_i24_e32 v193, v86, v203
	v_add3_u32 v102, v202, v102, v193
	v_mul_i32_i24_e32 v193, v0, v206
	v_mul_i32_i24_e32 v202, v86, v207
	;; [unrolled: 1-line block ×4, first 2 shown]
	s_delay_alu instid0(VALU_DEP_3) | instskip(SKIP_2) | instid1(VALU_DEP_2)
	v_add3_u32 v238, v221, v193, v202
	v_and_b32_e32 v202, 0xffff, v162
	v_mul_i32_i24_e32 v221, v182, v230
	v_mul_i32_i24_e32 v162, v202, v192
	v_bfe_i32 v192, v209, 8, 8
	v_bfe_i32 v209, v211, 8, 8
	s_delay_alu instid0(VALU_DEP_3) | instskip(SKIP_2) | instid1(VALU_DEP_3)
	v_add3_u32 v17, v17, v162, v90
	v_mul_i32_i24_e32 v90, v227, v191
	v_mul_i32_i24_e32 v162, v189, v172
	v_add3_u32 v0, v17, v0, v86
	s_delay_alu instid0(VALU_DEP_3) | instskip(SKIP_2) | instid1(VALU_DEP_3)
	v_mad_i32_i24 v90, v179, v175, v90
	v_mul_i32_i24_e32 v17, v182, v171
	v_mul_i32_i24_e32 v86, v192, v188
	v_add3_u32 v90, v90, v157, v162
	v_lshrrev_b32_e32 v157, 4, v163
	v_and_b32_e32 v162, 0xf0f0f0f, v163
	s_delay_alu instid0(VALU_DEP_3) | instskip(NEXT) | instid1(VALU_DEP_3)
	v_add3_u32 v17, v90, v17, v86
	v_lshrrev_b16 v157, 8, v157
	s_delay_alu instid0(VALU_DEP_3) | instskip(SKIP_2) | instid1(VALU_DEP_4)
	v_lshrrev_b16 v162, 8, v162
	v_bfe_i32 v86, v210, 8, 8
	v_bfe_i32 v90, v212, 8, 8
	v_and_b32_e32 v157, 15, v157
	s_delay_alu instid0(VALU_DEP_4) | instskip(NEXT) | instid1(VALU_DEP_2)
	v_and_b32_e32 v193, 0xffff, v162
	v_and_b32_e32 v189, 0xffff, v157
	v_mul_i32_i24_e32 v157, v227, v202
	s_delay_alu instid0(VALU_DEP_3) | instskip(SKIP_1) | instid1(VALU_DEP_4)
	v_mul_i32_i24_e32 v162, v192, v193
	v_bfe_u32 v227, v194, 24, 4
	v_mul_i32_i24_e32 v163, v209, v189
	s_delay_alu instid0(VALU_DEP_1) | instskip(SKIP_2) | instid1(VALU_DEP_2)
	v_add3_u32 v211, v157, v162, v163
	v_bfe_u32 v157, v196, 20, 4
	v_mul_i32_i24_e32 v162, v114, v137
	v_mul_i32_i24_e32 v163, v115, v157
	s_delay_alu instid0(VALU_DEP_1) | instskip(SKIP_2) | instid1(VALU_DEP_2)
	v_add3_u32 v239, v177, v163, v162
	v_bfe_u32 v162, v196, 4, 4
	v_mul_i32_i24_e32 v163, v99, v139
	v_mul_i32_i24_e32 v177, v38, v162
	s_delay_alu instid0(VALU_DEP_1) | instskip(SKIP_2) | instid1(VALU_DEP_2)
	v_add3_u32 v240, v222, v177, v163
	v_lshrrev_b32_e32 v163, 28, v196
	v_mul_i32_i24_e32 v177, v51, v138
	v_mul_i32_i24_e32 v179, v1, v163
	s_delay_alu instid0(VALU_DEP_1) | instskip(SKIP_3) | instid1(VALU_DEP_2)
	v_add3_u32 v96, v96, v179, v177
	v_mul_i32_i24_e32 v177, v192, v228
	v_mul_i32_i24_e32 v179, v182, v227
	v_lshrrev_b32_e32 v182, 4, v195
	v_add3_u32 v177, v229, v179, v177
	v_bfe_u32 v229, v208, 8, 4
	s_delay_alu instid0(VALU_DEP_3) | instskip(NEXT) | instid1(VALU_DEP_2)
	v_lshrrev_b16 v182, 8, v182
	v_mul_i32_i24_e32 v179, v192, v229
	v_and_b32_e32 v192, 0xf0f0f0f, v195
	s_delay_alu instid0(VALU_DEP_3) | instskip(NEXT) | instid1(VALU_DEP_3)
	v_and_b32_e32 v182, 15, v182
	v_add3_u32 v237, v237, v221, v179
	v_lshrrev_b32_e32 v179, 4, v183
	v_and_b32_e32 v183, 0xf0f0f0f, v184
	v_lshrrev_b16 v192, 8, v192
	v_and_b32_e32 v182, 0xffff, v182
	s_delay_alu instid0(VALU_DEP_4) | instskip(NEXT) | instid1(VALU_DEP_4)
	v_lshrrev_b16 v179, 8, v179
	v_lshrrev_b16 v183, 8, v183
	s_delay_alu instid0(VALU_DEP_4) | instskip(NEXT) | instid1(VALU_DEP_4)
	v_and_b32_e32 v192, 0xffff, v192
	v_mul_i32_i24_e32 v210, v90, v182
	s_delay_alu instid0(VALU_DEP_4) | instskip(NEXT) | instid1(VALU_DEP_4)
	v_and_b32_e32 v221, 15, v179
	v_and_b32_e32 v179, 0xffff, v183
	s_delay_alu instid0(VALU_DEP_4) | instskip(NEXT) | instid1(VALU_DEP_3)
	v_mul_i32_i24_e32 v195, v86, v192
	v_and_b32_e32 v183, 0xffff, v221
	s_delay_alu instid0(VALU_DEP_3) | instskip(NEXT) | instid1(VALU_DEP_3)
	v_mul_i32_i24_e32 v221, v97, v179
	v_add3_u32 v195, v211, v195, v210
	s_delay_alu instid0(VALU_DEP_3) | instskip(NEXT) | instid1(VALU_DEP_1)
	v_mul_i32_i24_e32 v222, v103, v183
	v_add3_u32 v100, v100, v222, v221
	v_and_b32_e32 v221, 15, v194
	v_mul_i32_i24_e32 v222, v94, v228
	s_delay_alu instid0(VALU_DEP_2) | instskip(SKIP_1) | instid1(VALU_DEP_2)
	v_mul_i32_i24_e32 v241, v92, v221
	v_mul_i32_i24_e32 v210, v225, v221
	v_add3_u32 v102, v102, v222, v241
	v_and_b32_e32 v222, 15, v208
	v_mul_i32_i24_e32 v241, v94, v229
	s_delay_alu instid0(VALU_DEP_2) | instskip(NEXT) | instid1(VALU_DEP_1)
	v_mul_i32_i24_e32 v242, v92, v222
	v_add3_u32 v238, v238, v241, v242
	v_bfe_u32 v242, v194, 16, 4
	v_bfe_u32 v241, v22, 16, 4
	s_delay_alu instid0(VALU_DEP_2) | instskip(NEXT) | instid1(VALU_DEP_1)
	v_mul_i32_i24_e32 v211, v220, v242
	v_add3_u32 v210, v177, v210, v211
	v_mul_i32_i24_e32 v177, v225, v222
	v_mul_i32_i24_e32 v211, v220, v244
	s_delay_alu instid0(VALU_DEP_1) | instskip(SKIP_4) | instid1(VALU_DEP_4)
	v_add3_u32 v211, v237, v177, v211
	v_lshrrev_b32_e32 v177, 4, v184
	v_mul_i32_i24_e32 v184, v88, v227
	v_bfe_u32 v237, v194, 12, 4
	v_mul_i32_i24_e32 v194, v223, v249
	v_lshrrev_b16 v21, 8, v177
	s_delay_alu instid0(VALU_DEP_1) | instskip(NEXT) | instid1(VALU_DEP_1)
	v_and_b32_e32 v21, 15, v21
	v_and_b32_e32 v177, 0xffff, v21
	s_delay_alu instid0(VALU_DEP_1) | instskip(NEXT) | instid1(VALU_DEP_1)
	v_mul_i32_i24_e32 v21, v52, v177
	v_add3_u32 v100, v100, v21, v235
	v_mul_i32_i24_e32 v21, v48, v242
	v_lshrrev_b32_e32 v235, 28, v22
	s_delay_alu instid0(VALU_DEP_3) | instskip(NEXT) | instid1(VALU_DEP_3)
	v_add3_u32 v100, v236, v233, v100
	v_add3_u32 v102, v102, v21, v184
	v_mul_i32_i24_e32 v21, v48, v244
	v_mul_i32_i24_e32 v184, v88, v230
	;; [unrolled: 1-line block ×4, first 2 shown]
	v_and_b32_e32 v233, 15, v24
	v_bfe_u32 v236, v22, 4, 4
	v_add3_u32 v212, v238, v21, v184
	v_mul_i32_i24_e32 v21, v92, v178
	v_mul_i32_i24_e32 v92, v94, v193
	v_bfe_i32 v94, v205, 8, 8
	v_bfe_u32 v238, v208, 12, 4
	v_bfe_u32 v208, v25, 12, 4
	s_delay_alu instid0(VALU_DEP_4)
	v_add3_u32 v0, v0, v92, v21
	v_mul_i32_i24_e32 v21, v225, v165
	v_mul_i32_i24_e32 v92, v220, v160
	v_bfe_u32 v220, v24, 12, 4
	v_bfe_u32 v225, v25, 8, 4
	v_add3_u32 v0, v0, v48, v88
	v_mul_i32_i24_e32 v48, v226, v161
	v_add3_u32 v17, v17, v21, v92
	v_lshrrev_b32_e32 v21, 4, v196
	v_and_b32_e32 v92, 0xf0f0f0f, v196
	v_mul_i32_i24_e32 v88, v231, v158
	s_delay_alu instid0(VALU_DEP_3) | instskip(NEXT) | instid1(VALU_DEP_3)
	v_lshrrev_b16 v21, 8, v21
	v_lshrrev_b16 v92, 8, v92
	s_delay_alu instid0(VALU_DEP_3)
	v_add3_u32 v17, v17, v88, v48
	v_lshrrev_b16 v48, 8, v213
	v_lshrrev_b32_e32 v213, 28, v23
	v_and_b32_e32 v21, 15, v21
	v_and_b32_e32 v184, 0xffff, v92
	v_bfe_i32 v92, v214, 8, 8
	v_bfe_i32 v48, v48, 0, 8
	v_bfe_u32 v214, v23, 4, 4
	v_and_b32_e32 v21, 0xffff, v21
	s_delay_alu instid0(VALU_DEP_4) | instskip(NEXT) | instid1(VALU_DEP_4)
	v_mul_i32_i24_e32 v196, v92, v184
	v_mul_i32_i24_e32 v88, v48, v140
	s_delay_alu instid0(VALU_DEP_3) | instskip(NEXT) | instid1(VALU_DEP_1)
	v_mul_i32_i24_e32 v205, v94, v21
	v_add3_u32 v195, v195, v196, v205
	v_mul_i32_i24_e32 v196, v226, v251
	v_mul_i32_i24_e32 v205, v231, v250
	s_delay_alu instid0(VALU_DEP_3) | instskip(SKIP_1) | instid1(VALU_DEP_3)
	v_add3_u32 v88, v195, v88, v96
	v_mul_i32_i24_e32 v96, v209, v237
	v_add3_u32 v196, v210, v205, v196
	v_mul_i32_i24_e32 v205, v226, v253
	v_mul_i32_i24_e32 v210, v231, v254
	;; [unrolled: 1-line block ×3, first 2 shown]
	v_and_b32_e32 v231, 15, v22
	v_add3_u32 v96, v196, v96, v194
	v_mul_i32_i24_e32 v194, v209, v238
	v_add3_u32 v205, v211, v210, v205
	v_mul_i32_i24_e32 v210, v98, v251
	v_mul_i32_i24_e32 v211, v95, v237
	;; [unrolled: 1-line block ×3, first 2 shown]
	v_add3_u32 v88, v240, v239, v88
	v_add3_u32 v194, v205, v194, v195
	v_mul_i32_i24_e32 v195, v85, v249
	v_add3_u32 v102, v102, v210, v211
	v_mul_i32_i24_e32 v210, v98, v253
	v_mul_i32_i24_e32 v211, v95, v238
	;; [unrolled: 1-line block ×4, first 2 shown]
	v_add3_u32 v102, v102, v195, v196
	v_mul_i32_i24_e32 v195, v85, v252
	v_mul_i32_i24_e32 v196, v89, v254
	;; [unrolled: 1-line block ×3, first 2 shown]
	v_add3_u32 v0, v0, v98, v95
	v_mul_i32_i24_e32 v95, v223, v149
	v_mul_i32_i24_e32 v98, v209, v190
	;; [unrolled: 1-line block ×3, first 2 shown]
	v_add3_u32 v210, v212, v210, v211
	v_bfe_u32 v239, v24, 4, 4
	v_lshrrev_b32_e32 v240, 28, v24
	v_add3_u32 v17, v17, v98, v95
	v_mul_i32_i24_e32 v95, v86, v246
	v_mul_i32_i24_e32 v98, v234, v245
	v_add3_u32 v0, v0, v85, v89
	v_mul_i32_i24_e32 v85, v234, v150
	v_mul_i32_i24_e32 v89, v224, v243
	v_add3_u32 v195, v210, v195, v196
	v_add3_u32 v95, v96, v98, v95
	v_mul_i32_i24_e32 v96, v86, v247
	v_mul_i32_i24_e32 v86, v86, v186
	;; [unrolled: 1-line block ×3, first 2 shown]
	v_bfe_u32 v234, v24, 20, 4
	v_mul_i32_i24_e32 v24, v90, v220
	v_bfe_u32 v223, v23, 24, 4
	v_add3_u32 v17, v17, v85, v86
	v_mul_i32_i24_e32 v85, v232, v231
	v_mul_i32_i24_e32 v86, v224, v241
	v_add3_u32 v96, v194, v98, v96
	v_mul_i32_i24_e32 v98, v101, v246
	v_mul_i32_i24_e32 v194, v218, v231
	v_bfe_u32 v226, v25, 24, 4
	v_add3_u32 v85, v95, v85, v86
	v_mul_i32_i24_e32 v86, v232, v233
	v_mul_i32_i24_e32 v95, v198, v245
	v_add3_u32 v98, v102, v98, v194
	v_mul_i32_i24_e32 v102, v101, v247
	v_mul_i32_i24_e32 v194, v218, v233
	;; [unrolled: 3-line block ×3, first 2 shown]
	v_and_b32_e32 v210, 15, v23
	v_add3_u32 v102, v195, v102, v194
	v_and_b32_e32 v211, 15, v25
	v_add3_u32 v89, v98, v89, v95
	v_mul_i32_i24_e32 v95, v216, v243
	v_mul_i32_i24_e32 v98, v101, v192
	v_bfe_u32 v205, v23, 12, 4
	v_bfe_u32 v209, v23, 20, 4
	;; [unrolled: 1-line block ×3, first 2 shown]
	v_add3_u32 v95, v102, v95, v96
	v_mul_i32_i24_e32 v96, v218, v159
	v_bfe_u32 v218, v22, 12, 4
	s_delay_alu instid0(VALU_DEP_2)
	v_add3_u32 v0, v0, v98, v96
	v_mul_i32_i24_e32 v96, v232, v147
	v_mul_i32_i24_e32 v98, v224, v146
	v_bfe_u32 v232, v22, 20, 4
	v_mul_i32_i24_e32 v22, v90, v218
	v_bfe_u32 v224, v23, 8, 4
	s_delay_alu instid0(VALU_DEP_4) | instskip(SKIP_2) | instid1(VALU_DEP_1)
	v_add3_u32 v17, v17, v96, v98
	v_mul_i32_i24_e32 v96, v110, v236
	v_mul_i32_i24_e32 v98, v87, v235
	v_add3_u32 v85, v85, v98, v96
	v_mul_i32_i24_e32 v96, v110, v239
	v_mul_i32_i24_e32 v98, v87, v240
	;; [unrolled: 1-line block ×3, first 2 shown]
	s_delay_alu instid0(VALU_DEP_2) | instskip(SKIP_2) | instid1(VALU_DEP_1)
	v_add3_u32 v86, v86, v98, v96
	v_mul_i32_i24_e32 v96, v219, v236
	v_mul_i32_i24_e32 v98, v103, v218
	v_add3_u32 v89, v89, v96, v98
	v_mul_i32_i24_e32 v96, v219, v239
	v_mul_i32_i24_e32 v98, v103, v220
	s_delay_alu instid0(VALU_DEP_1) | instskip(SKIP_3) | instid1(VALU_DEP_2)
	v_add3_u32 v95, v95, v96, v98
	v_mul_i32_i24_e32 v96, v198, v166
	v_mul_i32_i24_e32 v98, v216, v154
	v_lshrrev_b32_e32 v216, 28, v25
	v_add3_u32 v0, v0, v98, v96
	v_mul_i32_i24_e32 v96, v110, v143
	s_delay_alu instid0(VALU_DEP_1) | instskip(SKIP_1) | instid1(VALU_DEP_1)
	v_add3_u32 v17, v17, v87, v96
	v_mul_i32_i24_e32 v87, v112, v232
	v_add3_u32 v22, v85, v22, v87
	v_mul_i32_i24_e32 v85, v112, v234
	v_mul_i32_i24_e32 v87, v215, v240
	s_delay_alu instid0(VALU_DEP_2) | instskip(SKIP_2) | instid1(VALU_DEP_1)
	v_add3_u32 v24, v86, v24, v85
	v_mul_i32_i24_e32 v85, v217, v232
	v_mul_i32_i24_e32 v86, v215, v235
	v_add3_u32 v85, v89, v85, v86
	v_mul_i32_i24_e32 v86, v217, v234
	v_mul_i32_i24_e32 v89, v103, v182
	s_delay_alu instid0(VALU_DEP_2) | instskip(SKIP_2) | instid1(VALU_DEP_2)
	v_add3_u32 v86, v95, v86, v87
	v_mul_i32_i24_e32 v87, v219, v170
	v_bfe_u32 v219, v25, 16, 4
	v_add3_u32 v0, v0, v87, v89
	v_mul_i32_i24_e32 v87, v112, v136
	v_mul_i32_i24_e32 v89, v90, v183
	s_delay_alu instid0(VALU_DEP_1) | instskip(SKIP_2) | instid1(VALU_DEP_1)
	v_add3_u32 v17, v17, v89, v87
	v_mul_i32_i24_e32 v87, v92, v224
	v_mul_i32_i24_e32 v89, v91, v223
	v_add3_u32 v22, v22, v89, v87
	v_mul_i32_i24_e32 v87, v92, v225
	v_mul_i32_i24_e32 v89, v91, v226
	s_delay_alu instid0(VALU_DEP_1) | instskip(SKIP_2) | instid1(VALU_DEP_1)
	v_add3_u32 v24, v24, v89, v87
	v_mul_i32_i24_e32 v87, v97, v224
	v_mul_i32_i24_e32 v89, v108, v210
	v_add3_u32 v85, v85, v87, v89
	v_mul_i32_i24_e32 v87, v97, v225
	v_mul_i32_i24_e32 v89, v108, v211
	s_delay_alu instid0(VALU_DEP_1)
	v_add3_u32 v86, v86, v87, v89
	v_mul_i32_i24_e32 v87, v215, v169
	v_mul_i32_i24_e32 v89, v217, v164
	v_bfe_u32 v217, v23, 16, 4
	v_bfe_u32 v215, v25, 4, 4
	v_mul_i32_i24_e32 v23, v115, v209
	v_mul_i32_i24_e32 v25, v93, v216
	v_add3_u32 v0, v0, v89, v87
	v_mul_i32_i24_e32 v87, v91, v155
	v_mul_i32_i24_e32 v89, v92, v179
	v_add_nc_u32_e32 v92, 0xc04, v117
	s_delay_alu instid0(VALU_DEP_2) | instskip(SKIP_2) | instid1(VALU_DEP_1)
	v_add3_u32 v17, v17, v87, v89
	v_mul_i32_i24_e32 v87, v111, v210
	v_mul_i32_i24_e32 v89, v113, v217
	v_add3_u32 v22, v22, v87, v89
	v_mul_i32_i24_e32 v87, v111, v211
	v_mul_i32_i24_e32 v89, v113, v219
	s_delay_alu instid0(VALU_DEP_1) | instskip(SKIP_2) | instid1(VALU_DEP_1)
	v_add3_u32 v24, v24, v87, v89
	v_mul_i32_i24_e32 v87, v255, v217
	v_mul_i32_i24_e32 v89, v37, v223
	v_add3_u32 v85, v85, v87, v89
	v_mul_i32_i24_e32 v87, v255, v219
	v_mul_i32_i24_e32 v89, v37, v226
	;; [unrolled: 1-line block ×3, first 2 shown]
	s_delay_alu instid0(VALU_DEP_2) | instskip(SKIP_2) | instid1(VALU_DEP_1)
	v_add3_u32 v86, v86, v87, v89
	v_mul_i32_i24_e32 v87, v108, v152
	v_mul_i32_i24_e32 v89, v97, v184
	v_add3_u32 v0, v0, v89, v87
	v_mul_i32_i24_e32 v87, v111, v151
	v_mul_i32_i24_e32 v89, v113, v148
	s_delay_alu instid0(VALU_DEP_1) | instskip(SKIP_2) | instid1(VALU_DEP_1)
	v_add3_u32 v17, v17, v87, v89
	v_mul_i32_i24_e32 v87, v38, v214
	v_mul_i32_i24_e32 v89, v1, v213
	v_add3_u32 v22, v22, v89, v87
	v_mul_i32_i24_e32 v87, v38, v215
	v_mul_i32_i24_e32 v89, v1, v216
	;; [unrolled: 1-line block ×3, first 2 shown]
	s_delay_alu instid0(VALU_DEP_2) | instskip(SKIP_2) | instid1(VALU_DEP_1)
	v_add3_u32 v24, v24, v89, v87
	v_mul_i32_i24_e32 v87, v109, v214
	v_mul_i32_i24_e32 v89, v52, v205
	v_add3_u32 v85, v85, v87, v89
	v_mul_i32_i24_e32 v87, v109, v215
	v_mul_i32_i24_e32 v89, v52, v208
	s_delay_alu instid0(VALU_DEP_1) | instskip(SKIP_1) | instid1(VALU_DEP_1)
	v_add3_u32 v86, v86, v87, v89
	v_mul_i32_i24_e32 v87, v255, v153
	v_add3_u32 v0, v0, v87, v37
	v_mul_i32_i24_e32 v37, v38, v145
	s_delay_alu instid0(VALU_DEP_1) | instskip(SKIP_2) | instid1(VALU_DEP_2)
	v_add3_u32 v1, v17, v1, v37
	v_mul_i32_i24_e32 v17, v94, v205
	v_mul_i32_i24_e32 v37, v52, v21
	v_add3_u32 v17, v22, v17, v23
	v_mul_i32_i24_e32 v22, v94, v208
	v_mul_i32_i24_e32 v23, v115, v212
	s_delay_alu instid0(VALU_DEP_1) | instskip(SKIP_2) | instid1(VALU_DEP_1)
	v_add3_u32 v22, v24, v22, v23
	v_mul_i32_i24_e32 v23, v73, v209
	v_mul_i32_i24_e32 v24, v93, v213
	v_add3_u32 v24, v85, v23, v24
	v_mul_i32_i24_e32 v23, v73, v212
	s_delay_alu instid0(VALU_DEP_2) | instskip(NEXT) | instid1(VALU_DEP_2)
	v_cvt_f32_i32_e32 v24, v24
	v_add3_u32 v25, v86, v23, v25
	v_mul_i32_i24_e32 v23, v109, v162
	s_delay_alu instid0(VALU_DEP_2) | instskip(NEXT) | instid1(VALU_DEP_2)
	v_cvt_f32_i32_e32 v25, v25
	v_add3_u32 v0, v0, v23, v37
	v_mul_i32_i24_e32 v23, v115, v141
	v_mul_i32_i24_e32 v37, v94, v177
	ds_load_2addr_b32 v[94:95], v118 offset1:32
	v_add3_u32 v1, v1, v37, v23
	v_mul_i32_i24_e32 v23, v99, v131
	v_mul_i32_i24_e32 v37, v48, v130
	s_delay_alu instid0(VALU_DEP_1) | instskip(SKIP_2) | instid1(VALU_DEP_1)
	v_add3_u32 v17, v17, v23, v37
	v_mul_i32_i24_e32 v23, v99, v134
	v_mul_i32_i24_e32 v37, v48, v135
	v_add3_u32 v22, v22, v23, v37
	v_mul_i32_i24_e32 v23, v73, v157
	v_mul_i32_i24_e32 v37, v93, v163
	s_delay_alu instid0(VALU_DEP_1) | instskip(SKIP_2) | instid1(VALU_DEP_3)
	v_add3_u32 v0, v0, v23, v37
	v_mul_i32_i24_e32 v23, v99, v127
	v_mul_i32_i24_e32 v37, v48, v20
	v_cvt_f32_i32_e32 v0, v0
	s_delay_alu instid0(VALU_DEP_2) | instskip(SKIP_2) | instid1(VALU_DEP_1)
	v_add3_u32 v1, v1, v23, v37
	v_mul_i32_i24_e32 v23, v114, v128
	v_mul_i32_i24_e32 v37, v51, v129
	v_add3_u32 v17, v17, v23, v37
	v_mul_i32_i24_e32 v23, v114, v132
	v_mul_i32_i24_e32 v37, v51, v133
	s_delay_alu instid0(VALU_DEP_3) | instskip(NEXT) | instid1(VALU_DEP_2)
	v_cvt_f32_i32_e32 v17, v17
	v_add3_u32 v37, v22, v23, v37
	v_mul_i32_i24_e32 v22, v114, v125
	v_mul_i32_i24_e32 v23, v51, v126
	s_delay_alu instid0(VALU_DEP_3) | instskip(NEXT) | instid1(VALU_DEP_2)
	v_cvt_f32_i32_e32 v37, v37
	v_add3_u32 v1, v1, v22, v23
	s_wait_dscnt 0x0
	v_lshrrev_b32_e32 v22, 16, v94
	v_cvt_f32_i32_e32 v23, v100
	s_delay_alu instid0(VALU_DEP_3) | instskip(NEXT) | instid1(VALU_DEP_3)
	v_cvt_f32_i32_e32 v1, v1
	v_cvt_f32_f16_e32 v22, v22
	s_delay_alu instid0(VALU_DEP_1) | instskip(NEXT) | instid1(VALU_DEP_1)
	v_mul_f32_e32 v22, 0x41000000, v22
	v_fma_mix_f32 v23, v94, v23, -v22 op_sel_hi:[1,0,0]
	v_fma_mix_f32 v196, v94, v24, -v22 op_sel_hi:[1,0,0]
	;; [unrolled: 1-line block ×4, first 2 shown]
	v_lshrrev_b32_e32 v0, 16, v95
	v_cvt_f32_i32_e32 v24, v88
	s_delay_alu instid0(VALU_DEP_3) | instskip(NEXT) | instid1(VALU_DEP_3)
	v_fmac_f32_e32 v77, v124, v22
	v_cvt_f32_f16_e32 v0, v0
	s_delay_alu instid0(VALU_DEP_1) | instskip(NEXT) | instid1(VALU_DEP_1)
	v_mul_f32_e32 v0, 0x41000000, v0
	v_fma_mix_f32 v24, v95, v24, -v0 op_sel_hi:[1,0,0]
	v_fma_mix_f32 v198, v95, v17, -v0 op_sel_hi:[1,0,0]
	;; [unrolled: 1-line block ×4, first 2 shown]
	s_delay_alu instid0(VALU_DEP_4)
	v_dual_fmac_f32 v67, v124, v24 :: v_dual_add_nc_u32 v0, 0x800, v117
	ds_load_2addr_b32 v[94:95], v0 offset0:4 offset1:7
	s_wait_dscnt 0x0
	v_bfe_i32 v1, v94, 8, 8
	v_bfe_i32 v17, v94, 0, 8
	;; [unrolled: 1-line block ×3, first 2 shown]
	v_ashrrev_i32_e32 v48, 24, v94
	s_delay_alu instid0(VALU_DEP_4) | instskip(NEXT) | instid1(VALU_DEP_3)
	v_mul_i32_i24_e32 v37, v1, v201
	v_mul_i32_i24_e32 v51, v38, v204
	s_delay_alu instid0(VALU_DEP_3) | instskip(SKIP_1) | instid1(VALU_DEP_4)
	v_mul_i32_i24_e32 v52, v48, v203
	v_mul_i32_i24_e32 v73, v48, v207
	v_mad_i32_i24 v37, v17, v199, v37
	v_mul_i32_i24_e32 v108, v172, v48
	s_delay_alu instid0(VALU_DEP_2) | instskip(SKIP_2) | instid1(VALU_DEP_2)
	v_add3_u32 v37, v37, v51, v52
	v_mul_i32_i24_e32 v51, v1, v200
	v_mul_i32_i24_e32 v52, v38, v206
	v_mad_i32_i24 v51, v17, v197, v51
	s_delay_alu instid0(VALU_DEP_1)
	v_add3_u32 v51, v51, v52, v73
	v_add_nc_u32_e32 v52, 0xc00, v117
	ds_load_2addr_b32 v[96:97], v52 offset0:4 offset1:7
	s_wait_dscnt 0x0
	v_bfe_i32 v73, v96, 8, 8
	v_bfe_i32 v87, v96, 0, 8
	;; [unrolled: 1-line block ×3, first 2 shown]
	v_ashrrev_i32_e32 v89, 24, v96
	s_delay_alu instid0(VALU_DEP_4) | instskip(NEXT) | instid1(VALU_DEP_3)
	v_mul_i32_i24_e32 v85, v73, v201
	v_mul_i32_i24_e32 v86, v88, v204
	s_delay_alu instid0(VALU_DEP_3) | instskip(SKIP_1) | instid1(VALU_DEP_4)
	v_mul_i32_i24_e32 v90, v89, v203
	v_mul_i32_i24_e32 v91, v89, v207
	v_mad_i32_i24 v85, v87, v199, v85
	v_mul_i32_i24_e32 v110, v172, v89
	s_delay_alu instid0(VALU_DEP_2) | instskip(SKIP_2) | instid1(VALU_DEP_2)
	v_add3_u32 v90, v85, v86, v90
	v_mul_i32_i24_e32 v85, v73, v200
	v_mul_i32_i24_e32 v86, v88, v206
	v_mad_i32_i24 v85, v87, v197, v85
	s_delay_alu instid0(VALU_DEP_1)
	v_add3_u32 v91, v85, v86, v91
	v_add_nc_u32_e32 v85, 0x804, v117
	v_add_nc_u32_e32 v86, 0x814, v117
	ds_load_2addr_b32 v[100:101], v85 offset1:1
	ds_load_2addr_b32 v[102:103], v86 offset1:1
	;; [unrolled: 1-line block ×3, first 2 shown]
	s_wait_dscnt 0x2
	v_bfe_i32 v92, v100, 8, 8
	v_ashrrev_i32_e32 v93, 24, v100
	s_delay_alu instid0(VALU_DEP_2) | instskip(NEXT) | instid1(VALU_DEP_2)
	v_mul_i32_i24_e32 v94, v92, v228
	v_mul_i32_i24_e32 v96, v93, v227
	s_delay_alu instid0(VALU_DEP_1) | instskip(SKIP_2) | instid1(VALU_DEP_1)
	v_add3_u32 v37, v37, v96, v94
	v_mul_i32_i24_e32 v94, v92, v229
	v_mul_i32_i24_e32 v96, v93, v230
	v_add3_u32 v51, v51, v96, v94
	s_wait_dscnt 0x0
	v_bfe_i32 v94, v85, 8, 8
	v_ashrrev_i32_e32 v96, 24, v85
	s_delay_alu instid0(VALU_DEP_2) | instskip(NEXT) | instid1(VALU_DEP_2)
	v_mul_i32_i24_e32 v98, v94, v228
	v_mul_i32_i24_e32 v99, v96, v227
	s_delay_alu instid0(VALU_DEP_1) | instskip(SKIP_2) | instid1(VALU_DEP_1)
	v_add3_u32 v90, v90, v99, v98
	v_mul_i32_i24_e32 v98, v94, v229
	v_mul_i32_i24_e32 v99, v96, v230
	v_add3_u32 v91, v91, v99, v98
	v_mul_i32_i24_e32 v98, v191, v1
	v_mul_i32_i24_e32 v99, v168, v38
	;; [unrolled: 1-line block ×3, first 2 shown]
	s_delay_alu instid0(VALU_DEP_3) | instskip(NEXT) | instid1(VALU_DEP_2)
	v_mad_i32_i24 v98, v175, v17, v98
	v_mad_i32_i24 v1, v187, v17, v1
	v_mul_i32_i24_e32 v17, v181, v38
	v_mul_i32_i24_e32 v38, v185, v48
	s_delay_alu instid0(VALU_DEP_4) | instskip(SKIP_2) | instid1(VALU_DEP_4)
	v_add3_u32 v98, v98, v99, v108
	v_bfe_i32 v99, v100, 0, 8
	v_bfe_i32 v100, v100, 16, 8
	v_add3_u32 v1, v1, v17, v38
	v_bfe_i32 v17, v102, 0, 8
	s_delay_alu instid0(VALU_DEP_4) | instskip(NEXT) | instid1(VALU_DEP_4)
	v_mul_i32_i24_e32 v108, v99, v221
	v_mul_i32_i24_e32 v109, v100, v242
	v_ashrrev_i32_e32 v38, 24, v102
	s_delay_alu instid0(VALU_DEP_4) | instskip(NEXT) | instid1(VALU_DEP_3)
	v_mul_i32_i24_e32 v48, v17, v251
	v_add3_u32 v37, v37, v108, v109
	v_mul_i32_i24_e32 v108, v99, v222
	v_mul_i32_i24_e32 v109, v100, v244
	s_delay_alu instid0(VALU_DEP_1) | instskip(SKIP_3) | instid1(VALU_DEP_3)
	v_add3_u32 v51, v51, v108, v109
	v_mul_i32_i24_e32 v108, v191, v73
	v_mul_i32_i24_e32 v109, v168, v88
	;; [unrolled: 1-line block ×3, first 2 shown]
	v_mad_i32_i24 v108, v175, v87, v108
	s_delay_alu instid0(VALU_DEP_2) | instskip(SKIP_2) | instid1(VALU_DEP_4)
	v_mad_i32_i24 v73, v187, v87, v73
	v_mul_i32_i24_e32 v87, v181, v88
	v_mul_i32_i24_e32 v88, v185, v89
	v_add3_u32 v108, v108, v109, v110
	v_bfe_i32 v109, v85, 0, 8
	v_bfe_i32 v85, v85, 16, 8
	s_delay_alu instid0(VALU_DEP_4) | instskip(SKIP_1) | instid1(VALU_DEP_4)
	v_add3_u32 v73, v73, v87, v88
	v_add_nc_u32_e32 v87, 0xc14, v117
	v_mul_i32_i24_e32 v110, v109, v221
	s_delay_alu instid0(VALU_DEP_4) | instskip(SKIP_4) | instid1(VALU_DEP_1)
	v_mul_i32_i24_e32 v111, v85, v242
	ds_load_2addr_b32 v[87:88], v87 offset1:1
	v_add3_u32 v90, v90, v110, v111
	v_mul_i32_i24_e32 v110, v109, v222
	v_mul_i32_i24_e32 v111, v85, v244
	v_add3_u32 v91, v91, v110, v111
	v_mul_i32_i24_e32 v110, v93, v171
	v_mul_i32_i24_e32 v111, v92, v188
	;; [unrolled: 1-line block ×4, first 2 shown]
	s_delay_alu instid0(VALU_DEP_3) | instskip(SKIP_1) | instid1(VALU_DEP_3)
	v_add3_u32 v98, v98, v110, v111
	v_mul_i32_i24_e32 v110, v38, v250
	v_add3_u32 v1, v1, v93, v92
	v_bfe_i32 v92, v102, 8, 8
	s_wait_dscnt 0x0
	v_bfe_i32 v89, v87, 0, 8
	v_bfe_i32 v93, v102, 16, 8
	v_add3_u32 v37, v37, v110, v48
	v_mul_i32_i24_e32 v48, v17, v253
	v_mul_i32_i24_e32 v110, v38, v254
	;; [unrolled: 1-line block ×3, first 2 shown]
	s_delay_alu instid0(VALU_DEP_2) | instskip(SKIP_4) | instid1(VALU_DEP_3)
	v_add3_u32 v48, v51, v110, v48
	v_mul_i32_i24_e32 v51, v96, v171
	v_mul_i32_i24_e32 v110, v94, v188
	;; [unrolled: 1-line block ×4, first 2 shown]
	v_add3_u32 v51, v108, v51, v110
	v_ashrrev_i32_e32 v108, 24, v87
	v_mul_i32_i24_e32 v110, v89, v251
	s_delay_alu instid0(VALU_DEP_4) | instskip(SKIP_3) | instid1(VALU_DEP_3)
	v_add3_u32 v73, v73, v96, v94
	v_bfe_i32 v94, v87, 8, 8
	v_bfe_i32 v87, v87, 16, 8
	v_mul_i32_i24_e32 v111, v108, v250
	v_mul_i32_i24_e32 v96, v94, v237
	s_delay_alu instid0(VALU_DEP_2) | instskip(SKIP_2) | instid1(VALU_DEP_1)
	v_add3_u32 v90, v90, v111, v110
	v_mul_i32_i24_e32 v110, v89, v253
	v_mul_i32_i24_e32 v111, v108, v254
	v_add3_u32 v91, v91, v111, v110
	v_mul_i32_i24_e32 v110, v99, v165
	v_mul_i32_i24_e32 v111, v100, v160
	s_delay_alu instid0(VALU_DEP_1) | instskip(SKIP_1) | instid1(VALU_DEP_1)
	v_add3_u32 v98, v98, v110, v111
	v_mul_i32_i24_e32 v110, v93, v249
	v_add3_u32 v37, v37, v102, v110
	v_mul_i32_i24_e32 v102, v92, v238
	v_mul_i32_i24_e32 v110, v93, v252
	s_delay_alu instid0(VALU_DEP_1) | instskip(SKIP_3) | instid1(VALU_DEP_2)
	v_add3_u32 v48, v48, v102, v110
	v_mul_i32_i24_e32 v102, v109, v165
	v_mul_i32_i24_e32 v110, v85, v160
	;; [unrolled: 1-line block ×3, first 2 shown]
	v_add3_u32 v51, v51, v102, v110
	v_mul_i32_i24_e32 v102, v87, v249
	s_delay_alu instid0(VALU_DEP_1) | instskip(SKIP_2) | instid1(VALU_DEP_1)
	v_add3_u32 v90, v90, v96, v102
	v_mul_i32_i24_e32 v96, v94, v238
	v_mul_i32_i24_e32 v102, v87, v252
	v_add3_u32 v91, v91, v96, v102
	v_mul_i32_i24_e32 v96, v17, v161
	v_mul_i32_i24_e32 v102, v38, v158
	;; [unrolled: 1-line block ×4, first 2 shown]
	s_delay_alu instid0(VALU_DEP_3) | instskip(SKIP_2) | instid1(VALU_DEP_1)
	v_add3_u32 v96, v98, v102, v96
	v_mul_i32_i24_e32 v98, v99, v178
	v_mul_i32_i24_e32 v99, v100, v174
	v_add3_u32 v1, v1, v98, v99
	v_bfe_i32 v98, v101, 8, 8
	v_ashrrev_i32_e32 v99, 24, v101
	s_delay_alu instid0(VALU_DEP_3) | instskip(NEXT) | instid1(VALU_DEP_3)
	v_add3_u32 v1, v1, v38, v17
	v_mul_i32_i24_e32 v100, v98, v246
	s_delay_alu instid0(VALU_DEP_3) | instskip(SKIP_2) | instid1(VALU_DEP_3)
	v_mul_i32_i24_e32 v102, v99, v245
	v_bfe_i32 v17, v101, 0, 8
	v_bfe_i32 v38, v101, 16, 8
	v_add3_u32 v37, v37, v102, v100
	v_mul_i32_i24_e32 v100, v98, v247
	v_mul_i32_i24_e32 v102, v99, v248
	;; [unrolled: 1-line block ×3, first 2 shown]
	s_delay_alu instid0(VALU_DEP_2) | instskip(SKIP_3) | instid1(VALU_DEP_2)
	v_add3_u32 v48, v48, v102, v100
	v_mul_i32_i24_e32 v100, v89, v161
	v_mul_i32_i24_e32 v102, v108, v158
	;; [unrolled: 1-line block ×3, first 2 shown]
	v_add3_u32 v51, v51, v102, v100
	v_mul_i32_i24_e32 v100, v109, v178
	s_delay_alu instid0(VALU_DEP_1) | instskip(SKIP_2) | instid1(VALU_DEP_2)
	v_add3_u32 v73, v73, v100, v85
	v_bfe_i32 v85, v86, 8, 8
	v_ashrrev_i32_e32 v100, 24, v86
	v_mul_i32_i24_e32 v102, v85, v246
	s_delay_alu instid0(VALU_DEP_2) | instskip(NEXT) | instid1(VALU_DEP_1)
	v_mul_i32_i24_e32 v109, v100, v245
	v_add3_u32 v90, v90, v109, v102
	v_mul_i32_i24_e32 v102, v85, v247
	v_mul_i32_i24_e32 v109, v100, v248
	s_delay_alu instid0(VALU_DEP_1) | instskip(SKIP_4) | instid1(VALU_DEP_3)
	v_add3_u32 v91, v91, v109, v102
	v_mul_i32_i24_e32 v102, v93, v149
	v_mul_i32_i24_e32 v109, v92, v190
	;; [unrolled: 1-line block ×4, first 2 shown]
	v_add3_u32 v96, v96, v109, v102
	v_mul_i32_i24_e32 v102, v38, v241
	s_delay_alu instid0(VALU_DEP_3)
	v_add3_u32 v1, v1, v92, v93
	v_bfe_i32 v92, v103, 0, 8
	v_ashrrev_i32_e32 v93, 24, v103
	v_add_nc_u32_e32 v109, 0x1404, v117
	v_add3_u32 v37, v37, v101, v102
	v_mul_i32_i24_e32 v101, v17, v233
	v_mul_i32_i24_e32 v102, v38, v243
	s_delay_alu instid0(VALU_DEP_1) | instskip(SKIP_4) | instid1(VALU_DEP_3)
	v_add3_u32 v48, v48, v101, v102
	v_mul_i32_i24_e32 v101, v87, v149
	v_mul_i32_i24_e32 v102, v94, v190
	;; [unrolled: 1-line block ×4, first 2 shown]
	v_add3_u32 v51, v51, v102, v101
	v_mul_i32_i24_e32 v101, v108, v176
	s_delay_alu instid0(VALU_DEP_1) | instskip(SKIP_2) | instid1(VALU_DEP_3)
	v_add3_u32 v73, v73, v101, v89
	v_bfe_i32 v89, v86, 0, 8
	v_bfe_i32 v101, v86, 16, 8
	v_add3_u32 v73, v73, v94, v87
	s_delay_alu instid0(VALU_DEP_3) | instskip(NEXT) | instid1(VALU_DEP_3)
	v_mul_i32_i24_e32 v86, v89, v231
	v_mul_i32_i24_e32 v102, v101, v241
	v_bfe_i32 v94, v88, 0, 8
	s_delay_alu instid0(VALU_DEP_2) | instskip(SKIP_2) | instid1(VALU_DEP_4)
	v_add3_u32 v86, v90, v86, v102
	v_mul_i32_i24_e32 v90, v89, v233
	v_mul_i32_i24_e32 v102, v101, v243
	;; [unrolled: 1-line block ×3, first 2 shown]
	s_delay_alu instid0(VALU_DEP_2) | instskip(SKIP_3) | instid1(VALU_DEP_2)
	v_add3_u32 v90, v91, v90, v102
	v_mul_i32_i24_e32 v91, v99, v150
	v_mul_i32_i24_e32 v102, v98, v186
	v_mul_i32_i24_e32 v98, v98, v192
	v_add3_u32 v91, v96, v91, v102
	v_mul_i32_i24_e32 v96, v92, v236
	v_mul_i32_i24_e32 v102, v93, v235
	s_delay_alu instid0(VALU_DEP_1) | instskip(SKIP_2) | instid1(VALU_DEP_1)
	v_add3_u32 v37, v37, v102, v96
	v_mul_i32_i24_e32 v96, v92, v239
	v_mul_i32_i24_e32 v102, v93, v240
	v_add3_u32 v48, v48, v102, v96
	v_mul_i32_i24_e32 v96, v100, v150
	v_mul_i32_i24_e32 v102, v85, v186
	;; [unrolled: 1-line block ×3, first 2 shown]
	s_delay_alu instid0(VALU_DEP_2) | instskip(SKIP_1) | instid1(VALU_DEP_1)
	v_add3_u32 v51, v51, v96, v102
	v_ashrrev_i32_e32 v96, 24, v88
	v_mul_i32_i24_e32 v102, v96, v235
	s_delay_alu instid0(VALU_DEP_1) | instskip(SKIP_2) | instid1(VALU_DEP_1)
	v_add3_u32 v86, v86, v102, v87
	v_mul_i32_i24_e32 v87, v94, v239
	v_mul_i32_i24_e32 v102, v96, v240
	v_add3_u32 v87, v90, v102, v87
	v_mul_i32_i24_e32 v90, v17, v147
	v_mul_i32_i24_e32 v102, v38, v146
	v_mul_i32_i24_e32 v17, v17, v159
	v_mul_i32_i24_e32 v38, v38, v154
	s_delay_alu instid0(VALU_DEP_3) | instskip(SKIP_1) | instid1(VALU_DEP_1)
	v_add3_u32 v90, v91, v90, v102
	v_mul_i32_i24_e32 v91, v99, v166
	v_add3_u32 v1, v1, v91, v98
	v_bfe_i32 v91, v103, 8, 8
	v_bfe_i32 v98, v103, 16, 8
	s_delay_alu instid0(VALU_DEP_3) | instskip(NEXT) | instid1(VALU_DEP_3)
	v_add3_u32 v1, v1, v17, v38
	v_mul_i32_i24_e32 v99, v91, v218
	s_delay_alu instid0(VALU_DEP_3) | instskip(NEXT) | instid1(VALU_DEP_1)
	v_mul_i32_i24_e32 v102, v98, v232
	v_add3_u32 v37, v37, v99, v102
	v_mul_i32_i24_e32 v99, v91, v220
	v_mul_i32_i24_e32 v102, v98, v234
	s_delay_alu instid0(VALU_DEP_1) | instskip(SKIP_2) | instid1(VALU_DEP_1)
	v_add3_u32 v48, v48, v99, v102
	v_mul_i32_i24_e32 v99, v89, v147
	v_mul_i32_i24_e32 v102, v101, v146
	v_add3_u32 v51, v51, v99, v102
	v_mul_i32_i24_e32 v99, v100, v166
	v_bfe_i32 v100, v88, 16, 8
	s_delay_alu instid0(VALU_DEP_2) | instskip(SKIP_1) | instid1(VALU_DEP_3)
	v_add3_u32 v73, v73, v99, v85
	v_bfe_i32 v99, v88, 8, 8
	v_mul_i32_i24_e32 v88, v100, v232
	s_delay_alu instid0(VALU_DEP_2) | instskip(NEXT) | instid1(VALU_DEP_1)
	v_mul_i32_i24_e32 v85, v99, v218
	v_add3_u32 v102, v86, v85, v88
	v_mul_i32_i24_e32 v85, v99, v220
	v_mul_i32_i24_e32 v86, v100, v234
	s_delay_alu instid0(VALU_DEP_1) | instskip(SKIP_4) | instid1(VALU_DEP_3)
	v_add3_u32 v103, v87, v85, v86
	v_mul_i32_i24_e32 v85, v92, v143
	v_mul_i32_i24_e32 v86, v93, v142
	;; [unrolled: 1-line block ×4, first 2 shown]
	v_add3_u32 v90, v90, v86, v85
	ds_load_2addr_b32 v[85:86], v0 offset1:3
	v_add3_u32 v1, v1, v93, v92
	s_wait_dscnt 0x0
	v_bfe_i32 v0, v86, 8, 8
	v_ashrrev_i32_e32 v17, 24, v86
	v_bfe_i32 v92, v86, 0, 8
	v_bfe_i32 v86, v86, 16, 8
	s_delay_alu instid0(VALU_DEP_4) | instskip(NEXT) | instid1(VALU_DEP_4)
	v_mul_i32_i24_e32 v38, v0, v224
	v_mul_i32_i24_e32 v87, v17, v223
	s_delay_alu instid0(VALU_DEP_4) | instskip(NEXT) | instid1(VALU_DEP_2)
	v_mul_i32_i24_e32 v93, v92, v210
	v_add3_u32 v37, v37, v87, v38
	v_mul_i32_i24_e32 v38, v0, v225
	v_mul_i32_i24_e32 v87, v17, v226
	s_delay_alu instid0(VALU_DEP_1) | instskip(SKIP_2) | instid1(VALU_DEP_1)
	v_add3_u32 v38, v48, v87, v38
	v_mul_i32_i24_e32 v48, v94, v143
	v_mul_i32_i24_e32 v87, v96, v142
	v_add3_u32 v48, v51, v87, v48
	v_mul_i32_i24_e32 v51, v89, v159
	v_mul_i32_i24_e32 v87, v101, v154
	s_delay_alu instid0(VALU_DEP_1) | instskip(SKIP_4) | instid1(VALU_DEP_2)
	v_add3_u32 v51, v73, v51, v87
	ds_load_2addr_b32 v[87:88], v52 offset1:3
	s_wait_dscnt 0x0
	v_bfe_i32 v52, v88, 8, 8
	v_ashrrev_i32_e32 v73, 24, v88
	v_mul_i32_i24_e32 v89, v52, v224
	s_delay_alu instid0(VALU_DEP_2) | instskip(NEXT) | instid1(VALU_DEP_1)
	v_mul_i32_i24_e32 v101, v73, v223
	v_add3_u32 v89, v102, v101, v89
	v_mul_i32_i24_e32 v101, v52, v225
	v_mul_i32_i24_e32 v102, v73, v226
	s_delay_alu instid0(VALU_DEP_1) | instskip(SKIP_3) | instid1(VALU_DEP_2)
	v_add3_u32 v101, v103, v102, v101
	v_mul_i32_i24_e32 v102, v98, v136
	v_mul_i32_i24_e32 v103, v91, v183
	;; [unrolled: 1-line block ×3, first 2 shown]
	v_add3_u32 v90, v90, v103, v102
	v_mul_i32_i24_e32 v102, v86, v217
	s_delay_alu instid0(VALU_DEP_1) | instskip(SKIP_2) | instid1(VALU_DEP_1)
	v_add3_u32 v37, v37, v93, v102
	v_mul_i32_i24_e32 v93, v92, v211
	v_mul_i32_i24_e32 v102, v86, v219
	v_add3_u32 v38, v38, v93, v102
	v_mul_i32_i24_e32 v93, v100, v136
	v_mul_i32_i24_e32 v102, v99, v183
	;; [unrolled: 1-line block ×3, first 2 shown]
	s_delay_alu instid0(VALU_DEP_2) | instskip(SKIP_2) | instid1(VALU_DEP_1)
	v_add3_u32 v48, v48, v102, v93
	v_mul_i32_i24_e32 v93, v94, v170
	v_mul_i32_i24_e32 v94, v96, v169
	v_add3_u32 v51, v51, v94, v93
	v_bfe_i32 v93, v88, 0, 8
	v_bfe_i32 v88, v88, 16, 8
	s_delay_alu instid0(VALU_DEP_2) | instskip(NEXT) | instid1(VALU_DEP_2)
	v_mul_i32_i24_e32 v94, v93, v210
	v_mul_i32_i24_e32 v96, v88, v217
	s_delay_alu instid0(VALU_DEP_1) | instskip(SKIP_2) | instid1(VALU_DEP_1)
	v_add3_u32 v89, v89, v94, v96
	v_mul_i32_i24_e32 v94, v93, v211
	v_mul_i32_i24_e32 v96, v88, v219
	v_add3_u32 v94, v101, v94, v96
	v_mul_i32_i24_e32 v96, v17, v155
	v_mul_i32_i24_e32 v101, v0, v179
	;; [unrolled: 1-line block ×4, first 2 shown]
	s_delay_alu instid0(VALU_DEP_3) | instskip(SKIP_1) | instid1(VALU_DEP_1)
	v_add3_u32 v90, v90, v96, v101
	v_mul_i32_i24_e32 v96, v98, v164
	v_add3_u32 v1, v1, v91, v96
	v_bfe_i32 v91, v95, 0, 8
	v_ashrrev_i32_e32 v96, 24, v95
	s_delay_alu instid0(VALU_DEP_3) | instskip(NEXT) | instid1(VALU_DEP_3)
	v_add3_u32 v0, v1, v17, v0
	v_mul_i32_i24_e32 v98, v91, v214
	s_delay_alu instid0(VALU_DEP_3) | instskip(SKIP_2) | instid1(VALU_DEP_3)
	v_mul_i32_i24_e32 v101, v96, v213
	v_bfe_i32 v1, v95, 8, 8
	v_bfe_i32 v17, v95, 16, 8
	v_add3_u32 v37, v37, v101, v98
	v_mul_i32_i24_e32 v98, v91, v215
	v_mul_i32_i24_e32 v101, v96, v216
	;; [unrolled: 1-line block ×3, first 2 shown]
	s_delay_alu instid0(VALU_DEP_2) | instskip(SKIP_4) | instid1(VALU_DEP_3)
	v_add3_u32 v38, v38, v101, v98
	v_mul_i32_i24_e32 v98, v73, v155
	v_mul_i32_i24_e32 v101, v52, v179
	;; [unrolled: 1-line block ×4, first 2 shown]
	v_add3_u32 v48, v48, v98, v101
	v_mul_i32_i24_e32 v98, v100, v164
	s_delay_alu instid0(VALU_DEP_1) | instskip(SKIP_2) | instid1(VALU_DEP_3)
	v_add3_u32 v51, v51, v99, v98
	v_bfe_i32 v98, v97, 0, 8
	v_ashrrev_i32_e32 v99, 24, v97
	v_add3_u32 v51, v51, v73, v52
	s_delay_alu instid0(VALU_DEP_3) | instskip(NEXT) | instid1(VALU_DEP_3)
	v_mul_i32_i24_e32 v100, v98, v214
	v_mul_i32_i24_e32 v101, v99, v213
	v_bfe_i32 v52, v97, 8, 8
	v_bfe_i32 v73, v97, 16, 8
	s_delay_alu instid0(VALU_DEP_3) | instskip(SKIP_2) | instid1(VALU_DEP_4)
	v_add3_u32 v89, v89, v101, v100
	v_mul_i32_i24_e32 v100, v98, v215
	v_mul_i32_i24_e32 v101, v99, v216
	;; [unrolled: 1-line block ×3, first 2 shown]
	s_delay_alu instid0(VALU_DEP_2) | instskip(SKIP_4) | instid1(VALU_DEP_3)
	v_add3_u32 v94, v94, v101, v100
	v_mul_i32_i24_e32 v100, v92, v151
	v_mul_i32_i24_e32 v101, v86, v148
	;; [unrolled: 1-line block ×4, first 2 shown]
	v_add3_u32 v90, v90, v100, v101
	v_mul_i32_i24_e32 v100, v17, v209
	s_delay_alu instid0(VALU_DEP_3) | instskip(SKIP_2) | instid1(VALU_DEP_4)
	v_add3_u32 v0, v0, v92, v86
	v_bfe_i32 v86, v85, 0, 8
	v_bfe_i32 v92, v85, 8, 8
	v_add3_u32 v37, v37, v95, v100
	v_mul_i32_i24_e32 v95, v1, v208
	v_mul_i32_i24_e32 v100, v17, v212
	s_delay_alu instid0(VALU_DEP_1) | instskip(SKIP_4) | instid1(VALU_DEP_3)
	v_add3_u32 v38, v38, v95, v100
	v_mul_i32_i24_e32 v95, v93, v151
	v_mul_i32_i24_e32 v100, v88, v148
	;; [unrolled: 1-line block ×4, first 2 shown]
	v_add3_u32 v48, v48, v95, v100
	v_mul_i32_i24_e32 v95, v52, v205
	s_delay_alu instid0(VALU_DEP_3) | instskip(SKIP_2) | instid1(VALU_DEP_4)
	v_add3_u32 v51, v51, v93, v88
	v_bfe_i32 v88, v87, 0, 8
	v_bfe_i32 v93, v87, 8, 8
	v_add3_u32 v89, v89, v95, v97
	v_mul_i32_i24_e32 v95, v52, v208
	v_mul_i32_i24_e32 v97, v73, v212
	s_delay_alu instid0(VALU_DEP_1) | instskip(SKIP_3) | instid1(VALU_DEP_2)
	v_add3_u32 v94, v94, v95, v97
	v_mul_i32_i24_e32 v95, v91, v145
	v_mul_i32_i24_e32 v97, v96, v144
	;; [unrolled: 1-line block ×3, first 2 shown]
	v_add3_u32 v90, v90, v97, v95
	v_mul_i32_i24_e32 v95, v86, v131
	v_mul_i32_i24_e32 v97, v92, v130
	s_delay_alu instid0(VALU_DEP_1) | instskip(SKIP_2) | instid1(VALU_DEP_1)
	v_add3_u32 v37, v37, v95, v97
	v_mul_i32_i24_e32 v95, v86, v134
	v_mul_i32_i24_e32 v97, v92, v135
	v_add3_u32 v38, v38, v95, v97
	v_mul_i32_i24_e32 v95, v98, v145
	v_mul_i32_i24_e32 v97, v99, v144
	s_delay_alu instid0(VALU_DEP_1) | instskip(SKIP_2) | instid1(VALU_DEP_1)
	v_add3_u32 v48, v48, v97, v95
	v_mul_i32_i24_e32 v95, v88, v131
	v_mul_i32_i24_e32 v97, v93, v130
	v_add3_u32 v89, v89, v95, v97
	v_mul_i32_i24_e32 v95, v88, v134
	v_mul_i32_i24_e32 v97, v93, v135
	s_delay_alu instid0(VALU_DEP_1) | instskip(SKIP_4) | instid1(VALU_DEP_3)
	v_add3_u32 v94, v94, v95, v97
	v_mul_i32_i24_e32 v95, v17, v141
	v_mul_i32_i24_e32 v97, v1, v177
	;; [unrolled: 1-line block ×4, first 2 shown]
	v_add3_u32 v90, v90, v97, v95
	v_mul_i32_i24_e32 v95, v96, v163
	s_delay_alu instid0(VALU_DEP_1) | instskip(SKIP_2) | instid1(VALU_DEP_3)
	v_add3_u32 v0, v0, v95, v91
	v_bfe_i32 v91, v85, 16, 8
	v_ashrrev_i32_e32 v85, 24, v85
	v_add3_u32 v0, v0, v1, v17
	s_delay_alu instid0(VALU_DEP_3) | instskip(NEXT) | instid1(VALU_DEP_3)
	v_mul_i32_i24_e32 v95, v91, v128
	v_mul_i32_i24_e32 v96, v85, v129
	;; [unrolled: 1-line block ×4, first 2 shown]
	s_delay_alu instid0(VALU_DEP_3) | instskip(SKIP_2) | instid1(VALU_DEP_3)
	v_add3_u32 v37, v37, v95, v96
	v_mul_i32_i24_e32 v95, v91, v132
	v_mul_i32_i24_e32 v96, v85, v133
	v_cvt_f32_i32_e32 v37, v37
	s_delay_alu instid0(VALU_DEP_2) | instskip(SKIP_2) | instid1(VALU_DEP_3)
	v_add3_u32 v38, v38, v95, v96
	v_mul_i32_i24_e32 v95, v73, v141
	v_mul_i32_i24_e32 v96, v52, v177
	v_cvt_f32_i32_e32 v38, v38
	s_delay_alu instid0(VALU_DEP_2) | instskip(SKIP_2) | instid1(VALU_DEP_3)
	v_add3_u32 v48, v48, v96, v95
	v_mul_i32_i24_e32 v95, v98, v162
	v_mul_i32_i24_e32 v96, v99, v163
	v_add3_u32 v1, v48, v1, v17
	v_mul_i32_i24_e32 v17, v73, v157
	s_delay_alu instid0(VALU_DEP_3) | instskip(SKIP_4) | instid1(VALU_DEP_4)
	v_add3_u32 v51, v51, v96, v95
	v_bfe_i32 v95, v87, 16, 8
	v_ashrrev_i32_e32 v87, 24, v87
	v_mul_i32_i24_e32 v48, v52, v21
	v_mul_i32_i24_e32 v52, v140, v92
	;; [unrolled: 1-line block ×3, first 2 shown]
	s_delay_alu instid0(VALU_DEP_4) | instskip(NEXT) | instid1(VALU_DEP_4)
	v_mul_i32_i24_e32 v97, v87, v129
	v_add3_u32 v17, v51, v48, v17
	v_mul_i32_i24_e32 v48, v125, v91
	v_mul_i32_i24_e32 v51, v126, v85
	s_delay_alu instid0(VALU_DEP_4) | instskip(SKIP_2) | instid1(VALU_DEP_1)
	v_add3_u32 v89, v89, v96, v97
	v_mul_i32_i24_e32 v96, v95, v132
	v_mul_i32_i24_e32 v97, v87, v133
	v_add3_u32 v94, v94, v96, v97
	v_mul_i32_i24_e32 v96, v127, v86
	v_mul_i32_i24_e32 v97, v20, v92
	s_delay_alu instid0(VALU_DEP_1) | instskip(NEXT) | instid1(VALU_DEP_1)
	v_add3_u32 v90, v90, v96, v97
	v_add3_u32 v48, v90, v48, v51
	v_mul_i32_i24_e32 v51, v139, v86
	s_delay_alu instid0(VALU_DEP_1) | instskip(SKIP_2) | instid1(VALU_DEP_1)
	v_add3_u32 v0, v0, v51, v52
	v_mul_i32_i24_e32 v51, v125, v95
	v_mul_i32_i24_e32 v52, v126, v87
	v_add3_u32 v1, v1, v51, v52
	v_mul_i32_i24_e32 v51, v139, v88
	v_mul_i32_i24_e32 v52, v140, v93
	s_delay_alu instid0(VALU_DEP_3) | instskip(NEXT) | instid1(VALU_DEP_2)
	v_cvt_f32_i32_e32 v1, v1
	v_add3_u32 v17, v17, v51, v52
	v_mul_i32_i24_e32 v52, v138, v85
	ds_load_2addr_b32 v[85:86], v118 offset0:64 offset1:96
	v_mul_i32_i24_e32 v51, v137, v91
	s_delay_alu instid0(VALU_DEP_1) | instskip(SKIP_2) | instid1(VALU_DEP_1)
	v_add3_u32 v0, v0, v51, v52
	v_mul_i32_i24_e32 v51, v137, v95
	v_mul_i32_i24_e32 v52, v138, v87
	v_add3_u32 v17, v17, v51, v52
	s_delay_alu instid0(VALU_DEP_1) | instskip(SKIP_2) | instid1(VALU_DEP_1)
	v_cvt_f32_i32_e32 v17, v17
	s_wait_dscnt 0x0
	v_lshrrev_b32_e32 v51, 16, v85
	v_cvt_f32_f16_e32 v51, v51
	s_delay_alu instid0(VALU_DEP_1) | instskip(NEXT) | instid1(VALU_DEP_1)
	v_mul_f32_e32 v51, 0x41000000, v51
	v_fma_mix_f32 v103, v85, v37, -v51 op_sel_hi:[1,0,0]
	v_cvt_f32_i32_e32 v37, v48
	v_fma_mix_f32 v101, v85, v38, -v51 op_sel_hi:[1,0,0]
	v_cvt_f32_i32_e32 v38, v0
	s_delay_alu instid0(VALU_DEP_3) | instskip(SKIP_1) | instid1(VALU_DEP_3)
	v_fma_mix_f32 v0, v85, v37, -v51 op_sel_hi:[1,0,0]
	v_lshrrev_b32_e32 v37, 16, v86
	v_fma_mix_f32 v255, v85, v38, -v51 op_sel_hi:[1,0,0]
	v_cvt_f32_i32_e32 v38, v89
	v_cvt_f32_i32_e32 v51, v94
	s_delay_alu instid0(VALU_DEP_4) | instskip(NEXT) | instid1(VALU_DEP_1)
	v_cvt_f32_f16_e32 v37, v37
	v_dual_fmac_f32 v62, v124, v255 :: v_dual_mul_f32 v37, 0x41000000, v37
	s_delay_alu instid0(VALU_DEP_1)
	v_fma_mix_f32 v102, v86, v1, -v37 op_sel_hi:[1,0,0]
	v_add_nc_u32_e32 v1, 0x1000, v117
	v_fma_mix_f32 v48, v86, v38, -v37 op_sel_hi:[1,0,0]
	v_fma_mix_f32 v98, v86, v51, -v37 op_sel_hi:[1,0,0]
	v_fma_mix_f32 v100, v86, v17, -v37 op_sel_hi:[1,0,0]
	ds_load_2addr_b32 v[85:86], v1 offset0:4 offset1:7
	v_fmac_f32_e32 v49, v124, v100
	s_wait_dscnt 0x0
	v_bfe_i32 v17, v85, 8, 8
	v_bfe_i32 v37, v85, 0, 8
	;; [unrolled: 1-line block ×3, first 2 shown]
	v_ashrrev_i32_e32 v52, 24, v85
	s_delay_alu instid0(VALU_DEP_4) | instskip(NEXT) | instid1(VALU_DEP_3)
	v_mul_i32_i24_e32 v38, v17, v201
	v_mul_i32_i24_e32 v73, v51, v204
	s_delay_alu instid0(VALU_DEP_3) | instskip(SKIP_1) | instid1(VALU_DEP_4)
	v_mul_i32_i24_e32 v85, v52, v203
	v_mul_i32_i24_e32 v87, v52, v207
	v_mad_i32_i24 v38, v37, v199, v38
	v_mul_i32_i24_e32 v115, v172, v52
	s_delay_alu instid0(VALU_DEP_2) | instskip(SKIP_2) | instid1(VALU_DEP_2)
	v_add3_u32 v38, v38, v73, v85
	v_mul_i32_i24_e32 v73, v17, v200
	v_mul_i32_i24_e32 v85, v51, v206
	v_mad_i32_i24 v73, v37, v197, v73
	s_delay_alu instid0(VALU_DEP_1)
	v_add3_u32 v73, v73, v85, v87
	v_add_nc_u32_e32 v85, 0x1400, v117
	ds_load_2addr_b32 v[87:88], v85 offset0:4 offset1:7
	s_wait_dscnt 0x0
	v_bfe_i32 v91, v87, 8, 8
	v_bfe_i32 v92, v87, 0, 8
	;; [unrolled: 1-line block ×3, first 2 shown]
	v_ashrrev_i32_e32 v87, 24, v87
	s_delay_alu instid0(VALU_DEP_4) | instskip(NEXT) | instid1(VALU_DEP_3)
	v_mul_i32_i24_e32 v89, v91, v201
	v_mul_i32_i24_e32 v90, v93, v204
	s_delay_alu instid0(VALU_DEP_3) | instskip(SKIP_1) | instid1(VALU_DEP_4)
	v_mul_i32_i24_e32 v94, v87, v203
	v_mul_i32_i24_e32 v54, v172, v87
	v_mad_i32_i24 v89, v92, v199, v89
	s_delay_alu instid0(VALU_DEP_1) | instskip(SKIP_4) | instid1(VALU_DEP_4)
	v_add3_u32 v99, v89, v90, v94
	v_mul_i32_i24_e32 v89, v91, v200
	v_mul_i32_i24_e32 v90, v93, v206
	;; [unrolled: 1-line block ×4, first 2 shown]
	v_mad_i32_i24 v89, v92, v197, v89
	s_delay_alu instid0(VALU_DEP_1)
	v_add3_u32 v108, v89, v90, v94
	v_add_nc_u32_e32 v89, 0x1004, v117
	v_add_nc_u32_e32 v90, 0x1014, v117
	ds_load_2addr_b32 v[94:95], v89 offset1:1
	ds_load_2addr_b32 v[96:97], v90 offset1:1
	;; [unrolled: 1-line block ×3, first 2 shown]
	s_wait_dscnt 0x2
	v_bfe_i32 v109, v94, 8, 8
	v_ashrrev_i32_e32 v110, 24, v94
	s_delay_alu instid0(VALU_DEP_2) | instskip(NEXT) | instid1(VALU_DEP_2)
	v_mul_i32_i24_e32 v111, v109, v228
	v_mul_i32_i24_e32 v112, v110, v227
	s_delay_alu instid0(VALU_DEP_1) | instskip(SKIP_2) | instid1(VALU_DEP_1)
	v_add3_u32 v38, v38, v112, v111
	v_mul_i32_i24_e32 v111, v109, v229
	v_mul_i32_i24_e32 v112, v110, v230
	v_add3_u32 v73, v73, v112, v111
	s_wait_dscnt 0x0
	v_bfe_i32 v111, v89, 8, 8
	v_ashrrev_i32_e32 v112, 24, v89
	s_delay_alu instid0(VALU_DEP_2) | instskip(NEXT) | instid1(VALU_DEP_2)
	v_mul_i32_i24_e32 v113, v111, v228
	v_mul_i32_i24_e32 v114, v112, v227
	s_delay_alu instid0(VALU_DEP_1) | instskip(SKIP_2) | instid1(VALU_DEP_1)
	v_add3_u32 v99, v99, v114, v113
	v_mul_i32_i24_e32 v113, v111, v229
	v_mul_i32_i24_e32 v114, v112, v230
	v_add3_u32 v108, v108, v114, v113
	v_mul_i32_i24_e32 v113, v191, v17
	v_mul_i32_i24_e32 v114, v168, v51
	;; [unrolled: 1-line block ×3, first 2 shown]
	s_delay_alu instid0(VALU_DEP_3) | instskip(NEXT) | instid1(VALU_DEP_2)
	v_mad_i32_i24 v113, v175, v37, v113
	v_mad_i32_i24 v17, v187, v37, v17
	v_mul_i32_i24_e32 v37, v181, v51
	v_mul_i32_i24_e32 v51, v185, v52
	s_delay_alu instid0(VALU_DEP_4) | instskip(SKIP_2) | instid1(VALU_DEP_4)
	v_add3_u32 v113, v113, v114, v115
	v_bfe_i32 v114, v94, 0, 8
	v_bfe_i32 v94, v94, 16, 8
	v_add3_u32 v17, v17, v37, v51
	v_bfe_i32 v37, v96, 0, 8
	s_delay_alu instid0(VALU_DEP_4) | instskip(NEXT) | instid1(VALU_DEP_4)
	v_mul_i32_i24_e32 v115, v114, v221
	v_mul_i32_i24_e32 v2, v94, v242
	v_ashrrev_i32_e32 v51, 24, v96
	s_delay_alu instid0(VALU_DEP_4) | instskip(NEXT) | instid1(VALU_DEP_3)
	v_mul_i32_i24_e32 v52, v37, v251
	v_add3_u32 v2, v38, v115, v2
	v_mul_i32_i24_e32 v38, v114, v222
	v_mul_i32_i24_e32 v115, v94, v244
	s_delay_alu instid0(VALU_DEP_1) | instskip(SKIP_2) | instid1(VALU_DEP_2)
	v_add3_u32 v38, v73, v38, v115
	v_mul_i32_i24_e32 v73, v191, v91
	v_mul_i32_i24_e32 v115, v168, v93
	v_mad_i32_i24 v73, v175, v92, v73
	s_delay_alu instid0(VALU_DEP_1) | instskip(SKIP_2) | instid1(VALU_DEP_2)
	v_add3_u32 v54, v73, v115, v54
	v_bfe_i32 v73, v89, 0, 8
	v_bfe_i32 v89, v89, 16, 8
	v_mul_i32_i24_e32 v115, v73, v221
	s_delay_alu instid0(VALU_DEP_2) | instskip(NEXT) | instid1(VALU_DEP_1)
	v_mul_i32_i24_e32 v3, v89, v242
	v_add3_u32 v3, v99, v115, v3
	v_mul_i32_i24_e32 v99, v73, v222
	v_mul_i32_i24_e32 v115, v89, v244
	s_delay_alu instid0(VALU_DEP_1) | instskip(SKIP_4) | instid1(VALU_DEP_3)
	v_add3_u32 v99, v108, v99, v115
	v_mul_i32_i24_e32 v108, v110, v171
	v_mul_i32_i24_e32 v115, v109, v188
	;; [unrolled: 1-line block ×4, first 2 shown]
	v_add3_u32 v108, v113, v108, v115
	v_mul_i32_i24_e32 v113, v51, v250
	s_delay_alu instid0(VALU_DEP_3) | instskip(SKIP_2) | instid1(VALU_DEP_4)
	v_add3_u32 v17, v17, v110, v109
	v_bfe_i32 v109, v96, 8, 8
	v_bfe_i32 v96, v96, 16, 8
	v_add3_u32 v2, v2, v113, v52
	v_mul_i32_i24_e32 v52, v37, v253
	v_mul_i32_i24_e32 v113, v51, v254
	;; [unrolled: 1-line block ×3, first 2 shown]
	s_delay_alu instid0(VALU_DEP_2) | instskip(SKIP_3) | instid1(VALU_DEP_2)
	v_add3_u32 v38, v38, v113, v52
	v_mul_i32_i24_e32 v52, v112, v171
	v_mul_i32_i24_e32 v113, v111, v188
	;; [unrolled: 1-line block ×3, first 2 shown]
	v_add3_u32 v52, v54, v52, v113
	v_mul_i32_i24_e32 v54, v202, v91
	v_mul_i32_i24_e32 v91, v181, v93
	s_delay_alu instid0(VALU_DEP_2) | instskip(NEXT) | instid1(VALU_DEP_1)
	v_mad_i32_i24 v54, v187, v92, v54
	v_add3_u32 v54, v54, v91, v87
	v_add_nc_u32_e32 v87, 0x1414, v117
	ds_load_2addr_b32 v[91:92], v87 offset1:1
	s_wait_dscnt 0x0
	v_bfe_i32 v87, v91, 0, 8
	v_ashrrev_i32_e32 v93, 24, v91
	s_delay_alu instid0(VALU_DEP_2) | instskip(NEXT) | instid1(VALU_DEP_2)
	v_mul_i32_i24_e32 v113, v87, v251
	v_mul_i32_i24_e32 v115, v93, v250
	s_delay_alu instid0(VALU_DEP_1) | instskip(SKIP_2) | instid1(VALU_DEP_1)
	v_add3_u32 v3, v3, v115, v113
	v_mul_i32_i24_e32 v113, v87, v253
	v_mul_i32_i24_e32 v115, v93, v254
	v_add3_u32 v99, v99, v115, v113
	v_mul_i32_i24_e32 v113, v114, v165
	v_mul_i32_i24_e32 v115, v94, v160
	v_mul_i32_i24_e32 v94, v94, v174
	s_delay_alu instid0(VALU_DEP_2) | instskip(SKIP_1) | instid1(VALU_DEP_1)
	v_add3_u32 v108, v108, v113, v115
	v_mul_i32_i24_e32 v113, v96, v249
	v_add3_u32 v2, v2, v110, v113
	v_mul_i32_i24_e32 v110, v109, v238
	v_mul_i32_i24_e32 v113, v96, v252
	s_delay_alu instid0(VALU_DEP_1) | instskip(SKIP_4) | instid1(VALU_DEP_3)
	v_add3_u32 v38, v38, v110, v113
	v_mul_i32_i24_e32 v110, v73, v165
	v_mul_i32_i24_e32 v113, v89, v160
	;; [unrolled: 1-line block ×4, first 2 shown]
	v_add3_u32 v52, v52, v110, v113
	v_mul_i32_i24_e32 v110, v112, v180
	s_delay_alu instid0(VALU_DEP_1) | instskip(SKIP_2) | instid1(VALU_DEP_3)
	v_add3_u32 v54, v54, v110, v111
	v_bfe_i32 v110, v91, 8, 8
	v_bfe_i32 v91, v91, 16, 8
	v_add3_u32 v54, v54, v73, v89
	s_delay_alu instid0(VALU_DEP_3) | instskip(NEXT) | instid1(VALU_DEP_3)
	v_mul_i32_i24_e32 v111, v110, v237
	v_mul_i32_i24_e32 v112, v91, v249
	v_bfe_i32 v73, v90, 8, 8
	v_ashrrev_i32_e32 v89, 24, v90
	s_delay_alu instid0(VALU_DEP_3) | instskip(SKIP_2) | instid1(VALU_DEP_1)
	v_add3_u32 v3, v3, v111, v112
	v_mul_i32_i24_e32 v111, v110, v238
	v_mul_i32_i24_e32 v112, v91, v252
	v_add3_u32 v99, v99, v111, v112
	v_mul_i32_i24_e32 v111, v37, v161
	v_mul_i32_i24_e32 v112, v51, v158
	;; [unrolled: 1-line block ×4, first 2 shown]
	s_delay_alu instid0(VALU_DEP_3) | instskip(SKIP_1) | instid1(VALU_DEP_1)
	v_add3_u32 v108, v108, v112, v111
	v_mul_i32_i24_e32 v111, v114, v178
	v_add3_u32 v17, v17, v111, v94
	v_bfe_i32 v94, v95, 8, 8
	v_ashrrev_i32_e32 v111, 24, v95
	s_delay_alu instid0(VALU_DEP_3) | instskip(NEXT) | instid1(VALU_DEP_3)
	v_add3_u32 v17, v17, v51, v37
	v_mul_i32_i24_e32 v112, v94, v246
	s_delay_alu instid0(VALU_DEP_3) | instskip(SKIP_2) | instid1(VALU_DEP_3)
	v_mul_i32_i24_e32 v113, v111, v245
	v_bfe_i32 v37, v95, 0, 8
	v_bfe_i32 v51, v95, 16, 8
	v_add3_u32 v2, v2, v113, v112
	v_mul_i32_i24_e32 v112, v94, v247
	v_mul_i32_i24_e32 v113, v111, v248
	;; [unrolled: 1-line block ×3, first 2 shown]
	s_delay_alu instid0(VALU_DEP_2) | instskip(SKIP_4) | instid1(VALU_DEP_3)
	v_add3_u32 v38, v38, v113, v112
	v_mul_i32_i24_e32 v112, v87, v161
	v_mul_i32_i24_e32 v113, v93, v158
	;; [unrolled: 1-line block ×4, first 2 shown]
	v_add3_u32 v52, v52, v113, v112
	v_mul_i32_i24_e32 v112, v73, v246
	v_mul_i32_i24_e32 v113, v89, v245
	s_delay_alu instid0(VALU_DEP_4) | instskip(SKIP_2) | instid1(VALU_DEP_4)
	v_add3_u32 v54, v54, v93, v87
	v_bfe_i32 v87, v90, 0, 8
	v_bfe_i32 v93, v90, 16, 8
	v_add3_u32 v3, v3, v113, v112
	v_mul_i32_i24_e32 v112, v73, v247
	v_mul_i32_i24_e32 v113, v89, v248
	;; [unrolled: 1-line block ×3, first 2 shown]
	s_delay_alu instid0(VALU_DEP_2) | instskip(SKIP_3) | instid1(VALU_DEP_2)
	v_add3_u32 v99, v99, v113, v112
	v_mul_i32_i24_e32 v112, v96, v149
	v_mul_i32_i24_e32 v113, v109, v190
	;; [unrolled: 1-line block ×3, first 2 shown]
	v_add3_u32 v108, v108, v113, v112
	v_mul_i32_i24_e32 v112, v51, v241
	s_delay_alu instid0(VALU_DEP_1) | instskip(SKIP_2) | instid1(VALU_DEP_1)
	v_add3_u32 v2, v2, v95, v112
	v_mul_i32_i24_e32 v95, v37, v233
	v_mul_i32_i24_e32 v112, v51, v243
	v_add3_u32 v38, v38, v95, v112
	v_mul_i32_i24_e32 v95, v91, v149
	v_mul_i32_i24_e32 v112, v110, v190
	;; [unrolled: 1-line block ×3, first 2 shown]
	s_delay_alu instid0(VALU_DEP_2) | instskip(SKIP_2) | instid1(VALU_DEP_2)
	v_add3_u32 v52, v52, v112, v95
	v_mul_i32_i24_e32 v95, v93, v241
	v_add_nc_u32_e32 v112, 0x1c04, v117
	v_add3_u32 v3, v3, v90, v95
	v_mul_i32_i24_e32 v90, v87, v233
	v_mul_i32_i24_e32 v95, v93, v243
	s_delay_alu instid0(VALU_DEP_1) | instskip(SKIP_3) | instid1(VALU_DEP_2)
	v_add3_u32 v90, v99, v90, v95
	v_mul_i32_i24_e32 v95, v111, v150
	v_mul_i32_i24_e32 v99, v94, v186
	;; [unrolled: 1-line block ×3, first 2 shown]
	v_add3_u32 v95, v108, v95, v99
	v_mul_i32_i24_e32 v99, v109, v189
	s_delay_alu instid0(VALU_DEP_1) | instskip(SKIP_2) | instid1(VALU_DEP_2)
	v_add3_u32 v17, v17, v99, v96
	v_bfe_i32 v96, v97, 0, 8
	v_ashrrev_i32_e32 v99, 24, v97
	v_mul_i32_i24_e32 v108, v96, v236
	s_delay_alu instid0(VALU_DEP_2) | instskip(NEXT) | instid1(VALU_DEP_1)
	v_mul_i32_i24_e32 v109, v99, v235
	v_add3_u32 v2, v2, v109, v108
	v_mul_i32_i24_e32 v108, v96, v239
	v_mul_i32_i24_e32 v109, v99, v240
	s_delay_alu instid0(VALU_DEP_1) | instskip(SKIP_4) | instid1(VALU_DEP_3)
	v_add3_u32 v38, v38, v109, v108
	v_mul_i32_i24_e32 v108, v89, v150
	v_mul_i32_i24_e32 v109, v73, v186
	;; [unrolled: 1-line block ×4, first 2 shown]
	v_add3_u32 v52, v52, v108, v109
	v_mul_i32_i24_e32 v108, v110, v189
	v_ashrrev_i32_e32 v109, 24, v92
	s_delay_alu instid0(VALU_DEP_2) | instskip(SKIP_1) | instid1(VALU_DEP_3)
	v_add3_u32 v54, v54, v108, v91
	v_bfe_i32 v108, v92, 0, 8
	v_mul_i32_i24_e32 v110, v109, v235
	s_delay_alu instid0(VALU_DEP_3) | instskip(NEXT) | instid1(VALU_DEP_3)
	v_add3_u32 v54, v54, v89, v73
	v_mul_i32_i24_e32 v91, v108, v236
	v_bfe_i32 v73, v92, 8, 8
	s_delay_alu instid0(VALU_DEP_2) | instskip(SKIP_2) | instid1(VALU_DEP_4)
	v_add3_u32 v3, v3, v110, v91
	v_mul_i32_i24_e32 v91, v108, v239
	v_mul_i32_i24_e32 v110, v109, v240
	;; [unrolled: 1-line block ×3, first 2 shown]
	s_delay_alu instid0(VALU_DEP_2) | instskip(SKIP_4) | instid1(VALU_DEP_3)
	v_add3_u32 v90, v90, v110, v91
	v_mul_i32_i24_e32 v91, v37, v147
	v_mul_i32_i24_e32 v110, v51, v146
	;; [unrolled: 1-line block ×4, first 2 shown]
	v_add3_u32 v91, v95, v91, v110
	v_mul_i32_i24_e32 v95, v111, v166
	s_delay_alu instid0(VALU_DEP_1) | instskip(SKIP_2) | instid1(VALU_DEP_3)
	v_add3_u32 v17, v17, v95, v94
	v_bfe_i32 v94, v97, 8, 8
	v_bfe_i32 v95, v97, 16, 8
	v_add3_u32 v17, v17, v37, v51
	s_delay_alu instid0(VALU_DEP_3) | instskip(NEXT) | instid1(VALU_DEP_3)
	v_mul_i32_i24_e32 v97, v94, v218
	v_mul_i32_i24_e32 v110, v95, v232
	s_delay_alu instid0(VALU_DEP_1) | instskip(SKIP_2) | instid1(VALU_DEP_1)
	v_add3_u32 v2, v2, v97, v110
	v_mul_i32_i24_e32 v97, v94, v220
	v_mul_i32_i24_e32 v110, v95, v234
	v_add3_u32 v38, v38, v97, v110
	v_mul_i32_i24_e32 v97, v87, v147
	v_mul_i32_i24_e32 v110, v93, v146
	s_delay_alu instid0(VALU_DEP_1) | instskip(SKIP_1) | instid1(VALU_DEP_1)
	v_add3_u32 v52, v52, v97, v110
	v_bfe_i32 v97, v92, 16, 8
	v_mul_i32_i24_e32 v92, v97, v232
	s_delay_alu instid0(VALU_DEP_1) | instskip(SKIP_2) | instid1(VALU_DEP_1)
	v_add3_u32 v3, v3, v89, v92
	v_mul_i32_i24_e32 v89, v73, v220
	v_mul_i32_i24_e32 v92, v97, v234
	v_add3_u32 v110, v90, v89, v92
	v_mul_i32_i24_e32 v89, v96, v143
	v_mul_i32_i24_e32 v90, v99, v142
	;; [unrolled: 1-line block ×4, first 2 shown]
	s_delay_alu instid0(VALU_DEP_3)
	v_add3_u32 v111, v91, v90, v89
	ds_load_2addr_b32 v[89:90], v1 offset1:3
	v_add3_u32 v17, v17, v99, v96
	s_wait_dscnt 0x0
	v_bfe_i32 v1, v90, 8, 8
	v_ashrrev_i32_e32 v37, 24, v90
	v_bfe_i32 v96, v90, 0, 8
	v_bfe_i32 v90, v90, 16, 8
	s_delay_alu instid0(VALU_DEP_4) | instskip(NEXT) | instid1(VALU_DEP_4)
	v_mul_i32_i24_e32 v51, v1, v224
	v_mul_i32_i24_e32 v91, v37, v223
	s_delay_alu instid0(VALU_DEP_4) | instskip(NEXT) | instid1(VALU_DEP_2)
	v_mul_i32_i24_e32 v99, v96, v210
	v_add3_u32 v2, v2, v91, v51
	v_mul_i32_i24_e32 v51, v1, v225
	v_mul_i32_i24_e32 v91, v37, v226
	s_delay_alu instid0(VALU_DEP_1) | instskip(SKIP_2) | instid1(VALU_DEP_1)
	v_add3_u32 v38, v38, v91, v51
	v_mul_i32_i24_e32 v51, v108, v143
	v_mul_i32_i24_e32 v91, v109, v142
	v_add3_u32 v51, v52, v91, v51
	ds_load_2addr_b32 v[91:92], v85 offset1:3
	v_mul_i32_i24_e32 v52, v87, v159
	v_mul_i32_i24_e32 v87, v93, v154
	s_delay_alu instid0(VALU_DEP_1) | instskip(SKIP_3) | instid1(VALU_DEP_2)
	v_add3_u32 v52, v54, v52, v87
	s_wait_dscnt 0x0
	v_bfe_i32 v54, v92, 8, 8
	v_ashrrev_i32_e32 v85, 24, v92
	v_mul_i32_i24_e32 v87, v54, v224
	s_delay_alu instid0(VALU_DEP_2) | instskip(NEXT) | instid1(VALU_DEP_1)
	v_mul_i32_i24_e32 v93, v85, v223
	v_add3_u32 v3, v3, v93, v87
	v_mul_i32_i24_e32 v87, v54, v225
	v_mul_i32_i24_e32 v93, v85, v226
	s_delay_alu instid0(VALU_DEP_1) | instskip(SKIP_4) | instid1(VALU_DEP_3)
	v_add3_u32 v87, v110, v93, v87
	v_mul_i32_i24_e32 v93, v95, v136
	v_mul_i32_i24_e32 v110, v94, v183
	v_mul_i32_i24_e32 v95, v95, v164
	v_mul_i32_i24_e32 v94, v94, v182
	v_add3_u32 v93, v111, v110, v93
	v_mul_i32_i24_e32 v110, v90, v217
	s_delay_alu instid0(VALU_DEP_3) | instskip(SKIP_2) | instid1(VALU_DEP_4)
	v_add3_u32 v17, v17, v94, v95
	v_bfe_i32 v94, v86, 0, 8
	v_ashrrev_i32_e32 v95, 24, v86
	v_add3_u32 v2, v2, v99, v110
	v_mul_i32_i24_e32 v99, v96, v211
	v_mul_i32_i24_e32 v110, v90, v219
	s_delay_alu instid0(VALU_DEP_1) | instskip(SKIP_4) | instid1(VALU_DEP_3)
	v_add3_u32 v38, v38, v99, v110
	v_mul_i32_i24_e32 v99, v97, v136
	v_mul_i32_i24_e32 v110, v73, v183
	;; [unrolled: 1-line block ×4, first 2 shown]
	v_add3_u32 v51, v51, v110, v99
	v_mul_i32_i24_e32 v99, v108, v170
	v_mul_i32_i24_e32 v108, v109, v169
	s_delay_alu instid0(VALU_DEP_1) | instskip(SKIP_2) | instid1(VALU_DEP_3)
	v_add3_u32 v52, v52, v108, v99
	v_bfe_i32 v99, v92, 0, 8
	v_bfe_i32 v92, v92, 16, 8
	v_add3_u32 v52, v52, v73, v97
	s_delay_alu instid0(VALU_DEP_3) | instskip(NEXT) | instid1(VALU_DEP_3)
	v_mul_i32_i24_e32 v108, v99, v210
	v_mul_i32_i24_e32 v109, v92, v217
	v_bfe_i32 v73, v88, 0, 8
	v_ashrrev_i32_e32 v97, 24, v88
	s_delay_alu instid0(VALU_DEP_3) | instskip(SKIP_2) | instid1(VALU_DEP_1)
	v_add3_u32 v3, v3, v108, v109
	v_mul_i32_i24_e32 v108, v99, v211
	v_mul_i32_i24_e32 v109, v92, v219
	v_add3_u32 v87, v87, v108, v109
	v_mul_i32_i24_e32 v108, v37, v155
	v_mul_i32_i24_e32 v109, v1, v179
	;; [unrolled: 1-line block ×4, first 2 shown]
	s_delay_alu instid0(VALU_DEP_3) | instskip(SKIP_2) | instid1(VALU_DEP_4)
	v_add3_u32 v93, v93, v108, v109
	v_mul_i32_i24_e32 v108, v94, v214
	v_mul_i32_i24_e32 v109, v95, v213
	v_add3_u32 v1, v17, v37, v1
	v_bfe_i32 v17, v86, 8, 8
	v_bfe_i32 v37, v86, 16, 8
	s_delay_alu instid0(VALU_DEP_4) | instskip(SKIP_3) | instid1(VALU_DEP_2)
	v_add3_u32 v2, v2, v109, v108
	v_mul_i32_i24_e32 v108, v94, v215
	v_mul_i32_i24_e32 v109, v95, v216
	;; [unrolled: 1-line block ×3, first 2 shown]
	v_add3_u32 v38, v38, v109, v108
	v_mul_i32_i24_e32 v108, v85, v155
	v_mul_i32_i24_e32 v109, v54, v179
	v_mul_i32_i24_e32 v85, v85, v156
	v_mul_i32_i24_e32 v54, v54, v184
	s_delay_alu instid0(VALU_DEP_3) | instskip(SKIP_2) | instid1(VALU_DEP_4)
	v_add3_u32 v51, v51, v108, v109
	v_mul_i32_i24_e32 v108, v73, v214
	v_mul_i32_i24_e32 v109, v97, v213
	v_add3_u32 v52, v52, v85, v54
	v_bfe_i32 v54, v88, 8, 8
	v_bfe_i32 v85, v88, 16, 8
	s_delay_alu instid0(VALU_DEP_4) | instskip(SKIP_2) | instid1(VALU_DEP_4)
	v_add3_u32 v3, v3, v109, v108
	v_mul_i32_i24_e32 v108, v73, v215
	v_mul_i32_i24_e32 v109, v97, v216
	;; [unrolled: 1-line block ×3, first 2 shown]
	s_delay_alu instid0(VALU_DEP_2) | instskip(SKIP_3) | instid1(VALU_DEP_2)
	v_add3_u32 v87, v87, v109, v108
	v_mul_i32_i24_e32 v108, v96, v151
	v_mul_i32_i24_e32 v109, v90, v148
	v_mul_i32_i24_e32 v90, v90, v153
	v_add3_u32 v93, v93, v108, v109
	v_mul_i32_i24_e32 v108, v37, v209
	s_delay_alu instid0(VALU_DEP_1) | instskip(SKIP_2) | instid1(VALU_DEP_1)
	v_add3_u32 v2, v2, v86, v108
	v_mul_i32_i24_e32 v86, v17, v208
	v_mul_i32_i24_e32 v108, v37, v212
	v_add3_u32 v38, v38, v86, v108
	v_mul_i32_i24_e32 v86, v99, v151
	v_mul_i32_i24_e32 v108, v92, v148
	v_mul_i32_i24_e32 v92, v92, v153
	s_delay_alu instid0(VALU_DEP_2) | instskip(SKIP_1) | instid1(VALU_DEP_1)
	v_add3_u32 v51, v51, v86, v108
	v_mul_i32_i24_e32 v86, v54, v205
	v_add3_u32 v3, v3, v86, v88
	v_mul_i32_i24_e32 v86, v54, v208
	v_mul_i32_i24_e32 v88, v85, v212
	s_delay_alu instid0(VALU_DEP_1) | instskip(SKIP_4) | instid1(VALU_DEP_3)
	v_add3_u32 v86, v87, v86, v88
	v_mul_i32_i24_e32 v87, v94, v145
	v_mul_i32_i24_e32 v88, v95, v144
	;; [unrolled: 1-line block ×4, first 2 shown]
	v_add3_u32 v87, v93, v88, v87
	v_mul_i32_i24_e32 v88, v96, v152
	s_delay_alu instid0(VALU_DEP_1) | instskip(SKIP_2) | instid1(VALU_DEP_3)
	v_add3_u32 v1, v1, v88, v90
	v_bfe_i32 v88, v89, 0, 8
	v_bfe_i32 v90, v89, 8, 8
	v_add3_u32 v1, v1, v95, v94
	s_delay_alu instid0(VALU_DEP_3) | instskip(NEXT) | instid1(VALU_DEP_3)
	v_mul_i32_i24_e32 v93, v88, v131
	v_mul_i32_i24_e32 v96, v90, v130
	v_bfe_i32 v94, v89, 16, 8
	v_ashrrev_i32_e32 v89, 24, v89
	s_delay_alu instid0(VALU_DEP_3) | instskip(SKIP_3) | instid1(VALU_DEP_2)
	v_add3_u32 v2, v2, v93, v96
	v_mul_i32_i24_e32 v93, v88, v134
	v_mul_i32_i24_e32 v96, v90, v135
	;; [unrolled: 1-line block ×3, first 2 shown]
	v_add3_u32 v38, v38, v93, v96
	v_mul_i32_i24_e32 v93, v73, v145
	v_mul_i32_i24_e32 v96, v97, v144
	;; [unrolled: 1-line block ×3, first 2 shown]
	s_delay_alu instid0(VALU_DEP_2) | instskip(SKIP_1) | instid1(VALU_DEP_1)
	v_add3_u32 v51, v51, v96, v93
	v_mul_i32_i24_e32 v93, v99, v152
	v_add3_u32 v52, v52, v93, v92
	v_bfe_i32 v92, v91, 0, 8
	v_bfe_i32 v93, v91, 8, 8
	s_delay_alu instid0(VALU_DEP_2) | instskip(NEXT) | instid1(VALU_DEP_2)
	v_mul_i32_i24_e32 v96, v92, v131
	v_mul_i32_i24_e32 v99, v93, v130
	s_delay_alu instid0(VALU_DEP_1) | instskip(SKIP_2) | instid1(VALU_DEP_1)
	v_add3_u32 v3, v3, v96, v99
	v_mul_i32_i24_e32 v96, v92, v134
	v_mul_i32_i24_e32 v99, v93, v135
	v_add3_u32 v86, v86, v96, v99
	v_mul_i32_i24_e32 v96, v37, v141
	v_mul_i32_i24_e32 v99, v17, v177
	;; [unrolled: 1-line block ×4, first 2 shown]
	s_delay_alu instid0(VALU_DEP_3) | instskip(SKIP_1) | instid1(VALU_DEP_3)
	v_add3_u32 v87, v87, v99, v96
	v_mul_i32_i24_e32 v96, v89, v129
	v_add3_u32 v1, v1, v17, v37
	v_mul_i32_i24_e32 v17, v127, v92
	v_mul_i32_i24_e32 v37, v20, v93
	s_delay_alu instid0(VALU_DEP_4) | instskip(SKIP_2) | instid1(VALU_DEP_3)
	v_add3_u32 v2, v2, v95, v96
	v_mul_i32_i24_e32 v95, v94, v132
	v_mul_i32_i24_e32 v96, v89, v133
	v_cvt_f32_i32_e32 v2, v2
	s_delay_alu instid0(VALU_DEP_2) | instskip(SKIP_2) | instid1(VALU_DEP_3)
	v_add3_u32 v38, v38, v95, v96
	v_mul_i32_i24_e32 v95, v85, v141
	v_mul_i32_i24_e32 v96, v54, v177
	v_cvt_f32_i32_e32 v38, v38
	s_delay_alu instid0(VALU_DEP_2) | instskip(SKIP_1) | instid1(VALU_DEP_2)
	v_add3_u32 v51, v51, v96, v95
	v_mul_i32_i24_e32 v95, v97, v163
	v_add3_u32 v17, v51, v17, v37
	s_delay_alu instid0(VALU_DEP_2)
	v_add3_u32 v52, v52, v95, v73
	v_bfe_i32 v73, v91, 16, 8
	v_ashrrev_i32_e32 v91, 24, v91
	v_mul_i32_i24_e32 v37, v85, v157
	v_mul_i32_i24_e32 v51, v54, v21
	;; [unrolled: 1-line block ×5, first 2 shown]
	s_delay_alu instid0(VALU_DEP_4) | instskip(SKIP_2) | instid1(VALU_DEP_4)
	v_add3_u32 v37, v52, v51, v37
	v_mul_i32_i24_e32 v51, v125, v94
	v_mul_i32_i24_e32 v52, v126, v89
	v_add3_u32 v3, v3, v95, v96
	v_mul_i32_i24_e32 v95, v73, v132
	v_mul_i32_i24_e32 v96, v91, v133
	s_delay_alu instid0(VALU_DEP_3) | instskip(NEXT) | instid1(VALU_DEP_2)
	v_cvt_f32_i32_e32 v3, v3
	v_add3_u32 v97, v86, v95, v96
	v_mul_i32_i24_e32 v86, v127, v88
	v_mul_i32_i24_e32 v95, v20, v90
	s_delay_alu instid0(VALU_DEP_1) | instskip(NEXT) | instid1(VALU_DEP_1)
	v_add3_u32 v86, v87, v86, v95
	v_add3_u32 v51, v86, v51, v52
	v_mul_i32_i24_e32 v52, v139, v88
	ds_load_2addr_b32 v[85:86], v118 offset0:128 offset1:160
	v_add3_u32 v1, v1, v52, v54
	v_mul_i32_i24_e32 v52, v125, v73
	v_mul_i32_i24_e32 v54, v126, v91
	s_delay_alu instid0(VALU_DEP_1) | instskip(SKIP_3) | instid1(VALU_DEP_2)
	v_add3_u32 v52, v17, v52, v54
	v_mul_i32_i24_e32 v17, v139, v92
	v_mul_i32_i24_e32 v54, v140, v93
	v_add_nc_u32_e32 v93, 0x1c00, v117
	v_add3_u32 v17, v37, v17, v54
	v_mul_i32_i24_e32 v37, v137, v94
	v_mul_i32_i24_e32 v54, v138, v89
	s_delay_alu instid0(VALU_DEP_1) | instskip(SKIP_2) | instid1(VALU_DEP_3)
	v_add3_u32 v1, v1, v37, v54
	v_mul_i32_i24_e32 v37, v137, v73
	v_mul_i32_i24_e32 v54, v138, v91
	v_cvt_f32_i32_e32 v1, v1
	s_delay_alu instid0(VALU_DEP_2) | instskip(SKIP_2) | instid1(VALU_DEP_2)
	v_add3_u32 v37, v17, v37, v54
	s_wait_dscnt 0x0
	v_lshrrev_b32_e32 v17, 16, v85
	v_cvt_f32_i32_e32 v37, v37
	s_delay_alu instid0(VALU_DEP_2) | instskip(NEXT) | instid1(VALU_DEP_1)
	v_cvt_f32_f16_e32 v17, v17
	v_mul_f32_e32 v17, 0x41000000, v17
	s_delay_alu instid0(VALU_DEP_1) | instskip(SKIP_3) | instid1(VALU_DEP_3)
	v_fma_mix_f32 v96, v85, v38, -v17 op_sel_hi:[1,0,0]
	v_cvt_f32_i32_e32 v38, v51
	v_fma_mix_f32 v2, v85, v2, -v17 op_sel_hi:[1,0,0]
	v_cvt_f32_i32_e32 v51, v52
	v_fma_mix_f32 v95, v85, v38, -v17 op_sel_hi:[1,0,0]
	v_fma_mix_f32 v17, v85, v1, -v17 op_sel_hi:[1,0,0]
	v_lshrrev_b32_e32 v1, 16, v86
	v_cvt_f32_i32_e32 v38, v97
	s_delay_alu instid0(VALU_DEP_3) | instskip(NEXT) | instid1(VALU_DEP_3)
	v_fmac_f32_e32 v43, v124, v17
	v_cvt_f32_f16_e32 v1, v1
	s_delay_alu instid0(VALU_DEP_1) | instskip(NEXT) | instid1(VALU_DEP_1)
	v_mul_f32_e32 v1, 0x41000000, v1
	v_fma_mix_f32 v3, v86, v3, -v1 op_sel_hi:[1,0,0]
	v_fma_mix_f32 v38, v86, v38, -v1 op_sel_hi:[1,0,0]
	;; [unrolled: 1-line block ×4, first 2 shown]
	s_delay_alu instid0(VALU_DEP_1)
	v_dual_fmac_f32 v36, v124, v94 :: v_dual_add_nc_u32 v1, 0x1800, v117
	ds_load_2addr_b32 v[85:86], v1 offset0:4 offset1:7
	s_wait_dscnt 0x0
	v_bfe_i32 v37, v85, 8, 8
	v_bfe_i32 v51, v85, 0, 8
	v_bfe_i32 v54, v85, 16, 8
	v_ashrrev_i32_e32 v73, 24, v85
	s_delay_alu instid0(VALU_DEP_4) | instskip(NEXT) | instid1(VALU_DEP_3)
	v_mul_i32_i24_e32 v52, v37, v201
	v_mul_i32_i24_e32 v85, v54, v204
	s_delay_alu instid0(VALU_DEP_3) | instskip(SKIP_1) | instid1(VALU_DEP_4)
	v_mul_i32_i24_e32 v87, v73, v203
	v_mul_i32_i24_e32 v88, v73, v207
	v_mad_i32_i24 v52, v51, v199, v52
	s_delay_alu instid0(VALU_DEP_1) | instskip(SKIP_2) | instid1(VALU_DEP_2)
	v_add3_u32 v52, v52, v85, v87
	v_mul_i32_i24_e32 v85, v37, v200
	v_mul_i32_i24_e32 v87, v54, v206
	v_mad_i32_i24 v85, v51, v197, v85
	s_delay_alu instid0(VALU_DEP_1)
	v_add3_u32 v85, v85, v87, v88
	ds_load_2addr_b32 v[87:88], v93 offset0:4 offset1:7
	s_wait_dscnt 0x0
	v_bfe_i32 v99, v87, 8, 8
	v_bfe_i32 v108, v87, 0, 8
	;; [unrolled: 1-line block ×3, first 2 shown]
	v_ashrrev_i32_e32 v87, 24, v87
	s_delay_alu instid0(VALU_DEP_4) | instskip(NEXT) | instid1(VALU_DEP_3)
	v_mul_i32_i24_e32 v89, v99, v201
	v_mul_i32_i24_e32 v90, v109, v204
	s_delay_alu instid0(VALU_DEP_3) | instskip(SKIP_1) | instid1(VALU_DEP_4)
	v_mul_i32_i24_e32 v91, v87, v203
	v_mul_i32_i24_e32 v203, v172, v73
	v_mad_i32_i24 v89, v108, v199, v89
	v_mul_i32_i24_e32 v172, v172, v87
	v_mul_i32_i24_e32 v73, v185, v73
	s_delay_alu instid0(VALU_DEP_3) | instskip(SKIP_4) | instid1(VALU_DEP_4)
	v_add3_u32 v110, v89, v90, v91
	v_mul_i32_i24_e32 v89, v99, v200
	v_mul_i32_i24_e32 v90, v109, v206
	;; [unrolled: 1-line block ×4, first 2 shown]
	v_mad_i32_i24 v89, v108, v197, v89
	s_delay_alu instid0(VALU_DEP_1)
	v_add3_u32 v111, v89, v90, v91
	v_add_nc_u32_e32 v89, 0x1804, v117
	v_add_nc_u32_e32 v91, 0x1814, v117
	ds_load_2addr_b32 v[89:90], v89 offset1:1
	ds_load_2addr_b32 v[91:92], v91 offset1:1
	;; [unrolled: 1-line block ×3, first 2 shown]
	s_wait_dscnt 0x2
	v_bfe_i32 v112, v89, 8, 8
	v_ashrrev_i32_e32 v113, 24, v89
	s_wait_dscnt 0x0
	v_ashrrev_i32_e32 v197, 24, v199
	s_delay_alu instid0(VALU_DEP_3) | instskip(NEXT) | instid1(VALU_DEP_3)
	v_mul_i32_i24_e32 v114, v112, v228
	v_mul_i32_i24_e32 v115, v113, v227
	s_delay_alu instid0(VALU_DEP_3) | instskip(NEXT) | instid1(VALU_DEP_2)
	v_mul_i32_i24_e32 v201, v197, v227
	v_add3_u32 v52, v52, v115, v114
	v_mul_i32_i24_e32 v114, v112, v229
	v_mul_i32_i24_e32 v115, v113, v230
	s_delay_alu instid0(VALU_DEP_1) | instskip(SKIP_1) | instid1(VALU_DEP_1)
	v_add3_u32 v85, v85, v115, v114
	v_bfe_i32 v114, v199, 8, 8
	v_mul_i32_i24_e32 v115, v114, v228
	s_delay_alu instid0(VALU_DEP_1) | instskip(SKIP_2) | instid1(VALU_DEP_1)
	v_add3_u32 v110, v110, v201, v115
	v_mul_i32_i24_e32 v115, v114, v229
	v_mul_i32_i24_e32 v201, v197, v230
	v_add3_u32 v111, v111, v201, v115
	v_mul_i32_i24_e32 v115, v191, v37
	v_mul_i32_i24_e32 v191, v191, v99
	v_mul_i32_i24_e32 v201, v168, v54
	v_mul_i32_i24_e32 v168, v168, v109
	v_mul_i32_i24_e32 v37, v202, v37
	v_mad_i32_i24 v115, v175, v51, v115
	v_mad_i32_i24 v175, v175, v108, v191
	v_mul_i32_i24_e32 v99, v202, v99
	v_mul_i32_i24_e32 v54, v181, v54
	v_mad_i32_i24 v37, v187, v51, v37
	v_add3_u32 v115, v115, v201, v203
	v_add3_u32 v168, v175, v168, v172
	v_mad_i32_i24 v51, v187, v108, v99
	v_bfe_i32 v99, v199, 0, 8
	v_bfe_i32 v175, v199, 16, 8
	;; [unrolled: 1-line block ×4, first 2 shown]
	v_add3_u32 v37, v37, v54, v73
	v_mul_i32_i24_e32 v108, v99, v221
	v_mul_i32_i24_e32 v172, v175, v242
	;; [unrolled: 1-line block ×4, first 2 shown]
	v_bfe_i32 v54, v91, 0, 8
	v_ashrrev_i32_e32 v73, 24, v91
	v_add3_u32 v108, v110, v108, v172
	v_mul_i32_i24_e32 v110, v99, v222
	v_mul_i32_i24_e32 v172, v175, v244
	v_add3_u32 v52, v52, v203, v204
	v_mul_i32_i24_e32 v203, v201, v222
	v_mul_i32_i24_e32 v204, v89, v244
	;; [unrolled: 1-line block ×3, first 2 shown]
	v_add3_u32 v110, v111, v110, v172
	v_mul_i32_i24_e32 v111, v113, v171
	v_mul_i32_i24_e32 v172, v112, v188
	v_add3_u32 v85, v85, v203, v204
	v_add3_u32 v51, v51, v109, v87
	v_add_nc_u32_e32 v87, 0x1c14, v117
	v_mul_i32_i24_e32 v112, v112, v193
	v_add3_u32 v111, v115, v111, v172
	v_mul_i32_i24_e32 v115, v54, v251
	v_mul_i32_i24_e32 v172, v73, v250
	v_add_nc_u32_e32 v117, 32, v117
	s_delay_alu instid0(VALU_DEP_2) | instskip(SKIP_2) | instid1(VALU_DEP_1)
	v_add3_u32 v52, v52, v172, v115
	v_mul_i32_i24_e32 v115, v54, v253
	v_mul_i32_i24_e32 v172, v73, v254
	v_add3_u32 v85, v85, v172, v115
	v_mul_i32_i24_e32 v115, v197, v171
	v_mul_i32_i24_e32 v171, v114, v188
	;; [unrolled: 1-line block ×3, first 2 shown]
	s_delay_alu instid0(VALU_DEP_2) | instskip(SKIP_4) | instid1(VALU_DEP_2)
	v_add3_u32 v115, v168, v115, v171
	ds_load_2addr_b32 v[171:172], v87 offset1:1
	s_wait_dscnt 0x0
	v_bfe_i32 v87, v171, 0, 8
	v_ashrrev_i32_e32 v168, 24, v171
	v_mul_i32_i24_e32 v109, v87, v251
	s_delay_alu instid0(VALU_DEP_2) | instskip(NEXT) | instid1(VALU_DEP_1)
	v_mul_i32_i24_e32 v181, v168, v250
	v_add3_u32 v108, v108, v181, v109
	v_mul_i32_i24_e32 v109, v87, v253
	v_mul_i32_i24_e32 v181, v168, v254
	s_delay_alu instid0(VALU_DEP_1) | instskip(SKIP_3) | instid1(VALU_DEP_2)
	v_add3_u32 v109, v110, v181, v109
	v_mul_i32_i24_e32 v110, v201, v165
	v_mul_i32_i24_e32 v181, v89, v160
	;; [unrolled: 1-line block ×3, first 2 shown]
	v_add3_u32 v110, v111, v110, v181
	v_mul_i32_i24_e32 v111, v113, v180
	s_delay_alu instid0(VALU_DEP_1) | instskip(SKIP_2) | instid1(VALU_DEP_2)
	v_add3_u32 v37, v37, v111, v112
	v_bfe_i32 v111, v91, 8, 8
	v_bfe_i32 v91, v91, 16, 8
	v_mul_i32_i24_e32 v112, v111, v237
	s_delay_alu instid0(VALU_DEP_2) | instskip(NEXT) | instid1(VALU_DEP_1)
	v_mul_i32_i24_e32 v113, v91, v249
	v_add3_u32 v52, v52, v112, v113
	v_mul_i32_i24_e32 v112, v111, v238
	v_mul_i32_i24_e32 v113, v91, v252
	s_delay_alu instid0(VALU_DEP_1) | instskip(SKIP_3) | instid1(VALU_DEP_2)
	v_add3_u32 v85, v85, v112, v113
	v_mul_i32_i24_e32 v112, v99, v165
	v_mul_i32_i24_e32 v113, v175, v160
	;; [unrolled: 1-line block ×3, first 2 shown]
	v_add3_u32 v112, v115, v112, v113
	v_mul_i32_i24_e32 v113, v197, v180
	v_bfe_i32 v115, v171, 16, 8
	s_delay_alu instid0(VALU_DEP_2) | instskip(SKIP_1) | instid1(VALU_DEP_3)
	v_add3_u32 v51, v51, v113, v114
	v_bfe_i32 v113, v171, 8, 8
	v_mul_i32_i24_e32 v160, v115, v249
	s_delay_alu instid0(VALU_DEP_2) | instskip(NEXT) | instid1(VALU_DEP_1)
	v_mul_i32_i24_e32 v114, v113, v237
	v_add3_u32 v108, v108, v114, v160
	v_mul_i32_i24_e32 v114, v113, v238
	v_mul_i32_i24_e32 v160, v115, v252
	s_delay_alu instid0(VALU_DEP_1)
	v_add3_u32 v109, v109, v114, v160
	v_mul_i32_i24_e32 v114, v54, v161
	v_mul_i32_i24_e32 v160, v73, v158
	;; [unrolled: 1-line block ×5, first 2 shown]
	s_delay_alu instid0(VALU_DEP_4) | instskip(SKIP_1) | instid1(VALU_DEP_1)
	v_add3_u32 v110, v110, v160, v114
	v_mul_i32_i24_e32 v114, v201, v178
	v_add3_u32 v37, v37, v114, v89
	v_bfe_i32 v89, v90, 8, 8
	v_ashrrev_i32_e32 v114, 24, v90
	s_delay_alu instid0(VALU_DEP_3) | instskip(NEXT) | instid1(VALU_DEP_3)
	v_add3_u32 v37, v37, v73, v54
	v_mul_i32_i24_e32 v160, v89, v246
	s_delay_alu instid0(VALU_DEP_3) | instskip(SKIP_2) | instid1(VALU_DEP_3)
	v_mul_i32_i24_e32 v165, v114, v245
	v_bfe_i32 v54, v90, 0, 8
	v_bfe_i32 v73, v90, 16, 8
	v_add3_u32 v52, v52, v165, v160
	v_mul_i32_i24_e32 v160, v89, v247
	v_mul_i32_i24_e32 v165, v114, v248
	;; [unrolled: 1-line block ×3, first 2 shown]
	s_delay_alu instid0(VALU_DEP_2) | instskip(SKIP_2) | instid1(VALU_DEP_2)
	v_add3_u32 v85, v85, v165, v160
	v_mul_i32_i24_e32 v160, v87, v161
	v_mul_i32_i24_e32 v87, v87, v173
	v_add3_u32 v112, v112, v158, v160
	v_mul_i32_i24_e32 v158, v175, v174
	v_ashrrev_i32_e32 v160, 24, v200
	s_delay_alu instid0(VALU_DEP_2) | instskip(SKIP_1) | instid1(VALU_DEP_3)
	v_add3_u32 v51, v51, v99, v158
	v_bfe_i32 v99, v200, 8, 8
	v_mul_i32_i24_e32 v161, v160, v245
	s_delay_alu instid0(VALU_DEP_2) | instskip(NEXT) | instid1(VALU_DEP_1)
	v_mul_i32_i24_e32 v158, v99, v246
	v_add3_u32 v108, v108, v161, v158
	v_mul_i32_i24_e32 v158, v99, v247
	v_mul_i32_i24_e32 v161, v160, v248
	s_delay_alu instid0(VALU_DEP_1) | instskip(SKIP_4) | instid1(VALU_DEP_3)
	v_add3_u32 v109, v109, v161, v158
	v_mul_i32_i24_e32 v158, v91, v149
	v_mul_i32_i24_e32 v161, v111, v190
	;; [unrolled: 1-line block ×4, first 2 shown]
	v_add3_u32 v110, v110, v161, v158
	v_mul_i32_i24_e32 v158, v73, v241
	s_delay_alu instid0(VALU_DEP_3) | instskip(SKIP_1) | instid1(VALU_DEP_3)
	v_add3_u32 v37, v37, v111, v91
	v_bfe_i32 v111, v92, 0, 8
	v_add3_u32 v52, v52, v90, v158
	v_mul_i32_i24_e32 v90, v54, v233
	v_mul_i32_i24_e32 v158, v73, v243
	s_delay_alu instid0(VALU_DEP_4) | instskip(NEXT) | instid1(VALU_DEP_2)
	v_mul_i32_i24_e32 v91, v111, v236
	v_add3_u32 v85, v85, v90, v158
	v_mul_i32_i24_e32 v90, v115, v149
	v_mul_i32_i24_e32 v149, v113, v190
	v_mul_i32_i24_e32 v113, v113, v189
	s_delay_alu instid0(VALU_DEP_2) | instskip(SKIP_1) | instid1(VALU_DEP_1)
	v_add3_u32 v90, v112, v149, v90
	v_mul_i32_i24_e32 v112, v168, v176
	v_add3_u32 v51, v51, v112, v87
	v_bfe_i32 v87, v200, 0, 8
	v_bfe_i32 v112, v200, 16, 8
	s_delay_alu instid0(VALU_DEP_2) | instskip(NEXT) | instid1(VALU_DEP_2)
	v_mul_i32_i24_e32 v149, v87, v231
	v_mul_i32_i24_e32 v158, v112, v241
	s_delay_alu instid0(VALU_DEP_1) | instskip(SKIP_2) | instid1(VALU_DEP_1)
	v_add3_u32 v108, v108, v149, v158
	v_mul_i32_i24_e32 v149, v87, v233
	v_mul_i32_i24_e32 v158, v112, v243
	v_add3_u32 v109, v109, v149, v158
	v_mul_i32_i24_e32 v149, v114, v150
	v_mul_i32_i24_e32 v158, v89, v186
	;; [unrolled: 1-line block ×3, first 2 shown]
	s_delay_alu instid0(VALU_DEP_2) | instskip(SKIP_1) | instid1(VALU_DEP_1)
	v_add3_u32 v110, v110, v149, v158
	v_ashrrev_i32_e32 v149, 24, v92
	v_mul_i32_i24_e32 v158, v149, v235
	s_delay_alu instid0(VALU_DEP_1) | instskip(SKIP_2) | instid1(VALU_DEP_1)
	v_add3_u32 v52, v52, v158, v91
	v_mul_i32_i24_e32 v91, v111, v239
	v_mul_i32_i24_e32 v158, v149, v240
	v_add3_u32 v85, v85, v158, v91
	v_mul_i32_i24_e32 v91, v160, v150
	v_mul_i32_i24_e32 v150, v99, v186
	s_delay_alu instid0(VALU_DEP_1) | instskip(SKIP_2) | instid1(VALU_DEP_2)
	v_add3_u32 v90, v90, v91, v150
	v_mul_i32_i24_e32 v91, v115, v167
	v_ashrrev_i32_e32 v115, 24, v172
	v_add3_u32 v51, v51, v113, v91
	v_bfe_i32 v113, v172, 0, 8
	s_delay_alu instid0(VALU_DEP_3) | instskip(NEXT) | instid1(VALU_DEP_2)
	v_mul_i32_i24_e32 v150, v115, v235
	v_mul_i32_i24_e32 v91, v113, v236
	s_delay_alu instid0(VALU_DEP_1) | instskip(SKIP_2) | instid1(VALU_DEP_1)
	v_add3_u32 v91, v108, v150, v91
	v_mul_i32_i24_e32 v108, v113, v239
	v_mul_i32_i24_e32 v150, v115, v240
	v_add3_u32 v108, v109, v150, v108
	v_mul_i32_i24_e32 v109, v54, v147
	v_mul_i32_i24_e32 v150, v73, v146
	;; [unrolled: 1-line block ×4, first 2 shown]
	s_delay_alu instid0(VALU_DEP_3) | instskip(SKIP_2) | instid1(VALU_DEP_2)
	v_add3_u32 v109, v110, v109, v150
	v_mul_i32_i24_e32 v110, v114, v166
	v_bfe_i32 v114, v92, 16, 8
	v_add3_u32 v37, v37, v110, v89
	v_bfe_i32 v110, v92, 8, 8
	s_delay_alu instid0(VALU_DEP_3) | instskip(NEXT) | instid1(VALU_DEP_3)
	v_mul_i32_i24_e32 v92, v114, v232
	v_add3_u32 v37, v37, v54, v73
	s_delay_alu instid0(VALU_DEP_3) | instskip(NEXT) | instid1(VALU_DEP_1)
	v_mul_i32_i24_e32 v89, v110, v218
	v_add3_u32 v52, v52, v89, v92
	v_mul_i32_i24_e32 v89, v110, v220
	v_mul_i32_i24_e32 v92, v114, v234
	s_delay_alu instid0(VALU_DEP_1) | instskip(SKIP_4) | instid1(VALU_DEP_3)
	v_add3_u32 v85, v85, v89, v92
	v_mul_i32_i24_e32 v89, v87, v147
	v_mul_i32_i24_e32 v92, v112, v146
	v_bfe_i32 v146, v172, 16, 8
	v_mul_i32_i24_e32 v87, v87, v159
	v_add3_u32 v92, v90, v89, v92
	v_mul_i32_i24_e32 v89, v160, v166
	v_mul_i32_i24_e32 v90, v99, v192
	v_bfe_i32 v99, v172, 8, 8
	s_delay_alu instid0(VALU_DEP_2) | instskip(NEXT) | instid1(VALU_DEP_2)
	v_add3_u32 v51, v51, v89, v90
	v_mul_i32_i24_e32 v89, v99, v218
	v_mul_i32_i24_e32 v90, v146, v232
	s_delay_alu instid0(VALU_DEP_1) | instskip(SKIP_2) | instid1(VALU_DEP_1)
	v_add3_u32 v147, v91, v89, v90
	v_mul_i32_i24_e32 v89, v99, v220
	v_mul_i32_i24_e32 v90, v146, v234
	v_add3_u32 v108, v108, v89, v90
	v_mul_i32_i24_e32 v89, v111, v143
	v_mul_i32_i24_e32 v90, v149, v142
	;; [unrolled: 1-line block ×3, first 2 shown]
	s_delay_alu instid0(VALU_DEP_2) | instskip(SKIP_4) | instid1(VALU_DEP_2)
	v_add3_u32 v109, v109, v90, v89
	ds_load_2addr_b32 v[89:90], v1 offset1:3
	s_wait_dscnt 0x0
	v_bfe_i32 v1, v90, 8, 8
	v_ashrrev_i32_e32 v54, 24, v90
	v_mul_i32_i24_e32 v73, v1, v224
	s_delay_alu instid0(VALU_DEP_2) | instskip(NEXT) | instid1(VALU_DEP_1)
	v_mul_i32_i24_e32 v91, v54, v223
	v_add3_u32 v52, v52, v91, v73
	v_mul_i32_i24_e32 v73, v1, v225
	v_mul_i32_i24_e32 v91, v54, v226
	s_delay_alu instid0(VALU_DEP_1) | instskip(SKIP_4) | instid1(VALU_DEP_3)
	v_add3_u32 v73, v85, v91, v73
	v_mul_i32_i24_e32 v85, v113, v143
	v_mul_i32_i24_e32 v91, v115, v142
	;; [unrolled: 1-line block ×4, first 2 shown]
	v_add3_u32 v85, v92, v91, v85
	v_mul_i32_i24_e32 v91, v112, v154
	s_delay_alu instid0(VALU_DEP_1)
	v_add3_u32 v51, v51, v87, v91
	ds_load_2addr_b32 v[91:92], v93 offset1:3
	v_add3_u32 v51, v51, v115, v113
	s_wait_dscnt 0x0
	v_bfe_i32 v87, v92, 8, 8
	v_ashrrev_i32_e32 v112, 24, v92
	v_bfe_i32 v113, v92, 0, 8
	v_bfe_i32 v92, v92, 16, 8
	s_delay_alu instid0(VALU_DEP_4) | instskip(NEXT) | instid1(VALU_DEP_4)
	v_mul_i32_i24_e32 v93, v87, v224
	v_mul_i32_i24_e32 v142, v112, v223
	;; [unrolled: 1-line block ×4, first 2 shown]
	s_delay_alu instid0(VALU_DEP_3) | instskip(SKIP_1) | instid1(VALU_DEP_1)
	v_add3_u32 v93, v147, v142, v93
	v_mul_i32_i24_e32 v142, v87, v225
	v_add3_u32 v108, v108, v143, v142
	v_mul_i32_i24_e32 v142, v114, v136
	v_mul_i32_i24_e32 v143, v110, v183
	;; [unrolled: 1-line block ×5, first 2 shown]
	s_delay_alu instid0(VALU_DEP_4) | instskip(SKIP_1) | instid1(VALU_DEP_1)
	v_add3_u32 v109, v109, v143, v142
	v_mul_i32_i24_e32 v142, v149, v169
	v_add3_u32 v37, v37, v142, v111
	v_bfe_i32 v111, v90, 0, 8
	v_bfe_i32 v90, v90, 16, 8
	s_delay_alu instid0(VALU_DEP_3) | instskip(NEXT) | instid1(VALU_DEP_3)
	v_add3_u32 v37, v37, v110, v114
	v_mul_i32_i24_e32 v142, v111, v210
	s_delay_alu instid0(VALU_DEP_3) | instskip(SKIP_2) | instid1(VALU_DEP_3)
	v_mul_i32_i24_e32 v143, v90, v217
	v_bfe_i32 v110, v86, 0, 8
	v_ashrrev_i32_e32 v114, 24, v86
	v_add3_u32 v52, v52, v142, v143
	v_mul_i32_i24_e32 v142, v111, v211
	v_mul_i32_i24_e32 v143, v90, v219
	s_delay_alu instid0(VALU_DEP_1) | instskip(SKIP_2) | instid1(VALU_DEP_2)
	v_add3_u32 v73, v73, v142, v143
	v_mul_i32_i24_e32 v142, v99, v183
	v_mul_i32_i24_e32 v99, v99, v182
	v_add3_u32 v85, v85, v142, v136
	v_mul_i32_i24_e32 v136, v92, v217
	s_delay_alu instid0(VALU_DEP_1) | instskip(SKIP_2) | instid1(VALU_DEP_1)
	v_add3_u32 v93, v93, v115, v136
	v_mul_i32_i24_e32 v115, v113, v211
	v_mul_i32_i24_e32 v136, v92, v219
	v_add3_u32 v108, v108, v115, v136
	v_mul_i32_i24_e32 v115, v54, v155
	v_mul_i32_i24_e32 v136, v1, v179
	v_mul_i32_i24_e32 v54, v54, v156
	v_mul_i32_i24_e32 v1, v1, v184
	s_delay_alu instid0(VALU_DEP_3) | instskip(SKIP_2) | instid1(VALU_DEP_4)
	v_add3_u32 v109, v109, v115, v136
	v_mul_i32_i24_e32 v115, v110, v214
	v_mul_i32_i24_e32 v136, v114, v213
	v_add3_u32 v1, v37, v54, v1
	v_bfe_i32 v37, v86, 8, 8
	v_bfe_i32 v54, v86, 16, 8
	s_delay_alu instid0(VALU_DEP_4) | instskip(SKIP_3) | instid1(VALU_DEP_2)
	v_add3_u32 v52, v52, v136, v115
	v_mul_i32_i24_e32 v115, v110, v215
	v_mul_i32_i24_e32 v136, v114, v216
	;; [unrolled: 1-line block ×3, first 2 shown]
	v_add3_u32 v73, v73, v136, v115
	v_mul_i32_i24_e32 v115, v112, v155
	v_mul_i32_i24_e32 v136, v87, v179
	;; [unrolled: 1-line block ×3, first 2 shown]
	s_delay_alu instid0(VALU_DEP_2) | instskip(SKIP_2) | instid1(VALU_DEP_2)
	v_add3_u32 v85, v85, v115, v136
	v_mul_i32_i24_e32 v115, v146, v164
	v_ashrrev_i32_e32 v136, 24, v88
	v_add3_u32 v51, v51, v99, v115
	v_bfe_i32 v99, v88, 0, 8
	s_delay_alu instid0(VALU_DEP_3) | instskip(NEXT) | instid1(VALU_DEP_2)
	v_mul_i32_i24_e32 v142, v136, v213
	v_mul_i32_i24_e32 v115, v99, v214
	s_delay_alu instid0(VALU_DEP_1) | instskip(SKIP_2) | instid1(VALU_DEP_1)
	v_add3_u32 v93, v93, v142, v115
	v_mul_i32_i24_e32 v115, v99, v215
	v_mul_i32_i24_e32 v142, v136, v216
	v_add3_u32 v108, v108, v142, v115
	v_mul_i32_i24_e32 v115, v111, v151
	v_mul_i32_i24_e32 v142, v90, v148
	;; [unrolled: 1-line block ×3, first 2 shown]
	s_delay_alu instid0(VALU_DEP_2) | instskip(SKIP_1) | instid1(VALU_DEP_1)
	v_add3_u32 v109, v109, v115, v142
	v_mul_i32_i24_e32 v115, v54, v209
	v_add3_u32 v52, v52, v86, v115
	v_mul_i32_i24_e32 v86, v37, v208
	v_mul_i32_i24_e32 v115, v54, v212
	s_delay_alu instid0(VALU_DEP_1) | instskip(SKIP_3) | instid1(VALU_DEP_2)
	v_add3_u32 v73, v73, v86, v115
	v_mul_i32_i24_e32 v86, v113, v151
	v_mul_i32_i24_e32 v115, v92, v148
	;; [unrolled: 1-line block ×3, first 2 shown]
	v_add3_u32 v85, v85, v86, v115
	v_mul_i32_i24_e32 v86, v112, v156
	s_delay_alu instid0(VALU_DEP_1) | instskip(SKIP_2) | instid1(VALU_DEP_2)
	v_add3_u32 v51, v51, v86, v87
	v_bfe_i32 v86, v88, 8, 8
	v_bfe_i32 v87, v88, 16, 8
	v_mul_i32_i24_e32 v88, v86, v205
	s_delay_alu instid0(VALU_DEP_2) | instskip(NEXT) | instid1(VALU_DEP_1)
	v_mul_i32_i24_e32 v112, v87, v209
	v_add3_u32 v88, v93, v88, v112
	v_mul_i32_i24_e32 v93, v86, v208
	v_mul_i32_i24_e32 v112, v87, v212
	s_delay_alu instid0(VALU_DEP_1) | instskip(SKIP_3) | instid1(VALU_DEP_2)
	v_add3_u32 v93, v108, v93, v112
	v_mul_i32_i24_e32 v108, v110, v145
	v_mul_i32_i24_e32 v112, v114, v144
	;; [unrolled: 1-line block ×3, first 2 shown]
	v_add3_u32 v108, v109, v112, v108
	v_mul_i32_i24_e32 v109, v111, v152
	s_delay_alu instid0(VALU_DEP_1) | instskip(SKIP_2) | instid1(VALU_DEP_2)
	v_add3_u32 v1, v1, v109, v90
	v_bfe_i32 v90, v89, 0, 8
	v_bfe_i32 v109, v89, 8, 8
	v_mul_i32_i24_e32 v111, v90, v131
	s_delay_alu instid0(VALU_DEP_2) | instskip(NEXT) | instid1(VALU_DEP_1)
	v_mul_i32_i24_e32 v112, v109, v130
	v_add3_u32 v52, v52, v111, v112
	v_mul_i32_i24_e32 v111, v90, v134
	v_mul_i32_i24_e32 v112, v109, v135
	s_delay_alu instid0(VALU_DEP_1) | instskip(SKIP_3) | instid1(VALU_DEP_2)
	v_add3_u32 v73, v73, v111, v112
	v_mul_i32_i24_e32 v111, v99, v145
	v_mul_i32_i24_e32 v112, v136, v144
	;; [unrolled: 1-line block ×3, first 2 shown]
	v_add3_u32 v85, v85, v112, v111
	v_mul_i32_i24_e32 v111, v113, v152
	v_bfe_i32 v112, v91, 8, 8
	s_delay_alu instid0(VALU_DEP_2) | instskip(SKIP_1) | instid1(VALU_DEP_3)
	v_add3_u32 v51, v51, v111, v92
	v_bfe_i32 v92, v91, 0, 8
	v_mul_i32_i24_e32 v113, v112, v130
	s_delay_alu instid0(VALU_DEP_2) | instskip(NEXT) | instid1(VALU_DEP_1)
	v_mul_i32_i24_e32 v111, v92, v131
	v_add3_u32 v88, v88, v111, v113
	v_mul_i32_i24_e32 v111, v92, v134
	v_mul_i32_i24_e32 v113, v112, v135
	s_delay_alu instid0(VALU_DEP_1)
	v_add3_u32 v93, v93, v111, v113
	v_mul_i32_i24_e32 v111, v54, v141
	v_mul_i32_i24_e32 v113, v37, v177
	;; [unrolled: 1-line block ×5, first 2 shown]
	s_delay_alu instid0(VALU_DEP_4) | instskip(SKIP_1) | instid1(VALU_DEP_1)
	v_add3_u32 v108, v108, v113, v111
	v_mul_i32_i24_e32 v111, v114, v163
	v_add3_u32 v1, v1, v111, v110
	v_bfe_i32 v110, v89, 16, 8
	v_ashrrev_i32_e32 v89, 24, v89
	s_delay_alu instid0(VALU_DEP_3) | instskip(NEXT) | instid1(VALU_DEP_3)
	v_add3_u32 v1, v1, v37, v54
	v_mul_i32_i24_e32 v111, v110, v128
	s_delay_alu instid0(VALU_DEP_3) | instskip(SKIP_2) | instid1(VALU_DEP_3)
	v_mul_i32_i24_e32 v113, v89, v129
	v_mul_i32_i24_e32 v37, v127, v92
	v_mul_i32_i24_e32 v54, v140, v109
	v_add3_u32 v52, v52, v111, v113
	v_mul_i32_i24_e32 v111, v110, v132
	v_mul_i32_i24_e32 v113, v89, v133
	s_delay_alu instid0(VALU_DEP_3) | instskip(NEXT) | instid1(VALU_DEP_2)
	v_cvt_f32_i32_e32 v52, v52
	v_add3_u32 v73, v73, v111, v113
	v_mul_i32_i24_e32 v111, v87, v141
	v_mul_i32_i24_e32 v113, v86, v177
	s_delay_alu instid0(VALU_DEP_3) | instskip(NEXT) | instid1(VALU_DEP_2)
	v_cvt_f32_i32_e32 v73, v73
	v_add3_u32 v85, v85, v113, v111
	v_mul_i32_i24_e32 v111, v136, v163
	s_delay_alu instid0(VALU_DEP_1) | instskip(SKIP_2) | instid1(VALU_DEP_2)
	v_add3_u32 v51, v51, v111, v99
	v_bfe_i32 v99, v91, 16, 8
	v_ashrrev_i32_e32 v91, 24, v91
	v_mul_i32_i24_e32 v111, v99, v128
	s_delay_alu instid0(VALU_DEP_2) | instskip(NEXT) | instid1(VALU_DEP_1)
	v_mul_i32_i24_e32 v113, v91, v129
	v_add3_u32 v88, v88, v111, v113
	v_mul_i32_i24_e32 v111, v99, v132
	v_mul_i32_i24_e32 v113, v91, v133
	s_delay_alu instid0(VALU_DEP_1) | instskip(SKIP_3) | instid1(VALU_DEP_4)
	v_add3_u32 v93, v93, v111, v113
	v_mul_i32_i24_e32 v113, v20, v109
	v_mul_i32_i24_e32 v20, v20, v112
	;; [unrolled: 1-line block ×3, first 2 shown]
	v_cvt_f32_i32_e32 v86, v93
	s_delay_alu instid0(VALU_DEP_3) | instskip(SKIP_1) | instid1(VALU_DEP_4)
	v_add3_u32 v20, v85, v37, v20
	v_mul_i32_i24_e32 v37, v87, v157
	v_add3_u32 v108, v108, v111, v113
	s_delay_alu instid0(VALU_DEP_2) | instskip(SKIP_2) | instid1(VALU_DEP_1)
	v_add3_u32 v21, v51, v21, v37
	v_mul_i32_i24_e32 v37, v125, v110
	v_mul_i32_i24_e32 v51, v126, v89
	v_add3_u32 v37, v108, v37, v51
	v_mul_i32_i24_e32 v51, v139, v90
	s_delay_alu instid0(VALU_DEP_2) | instskip(NEXT) | instid1(VALU_DEP_2)
	v_cvt_f32_i32_e32 v37, v37
	v_add3_u32 v1, v1, v51, v54
	v_mul_i32_i24_e32 v51, v125, v99
	v_mul_i32_i24_e32 v54, v126, v91
	s_delay_alu instid0(VALU_DEP_1) | instskip(SKIP_2) | instid1(VALU_DEP_3)
	v_add3_u32 v51, v20, v51, v54
	v_mul_i32_i24_e32 v20, v139, v92
	v_mul_i32_i24_e32 v54, v140, v112
	v_cvt_f32_i32_e32 v51, v51
	s_delay_alu instid0(VALU_DEP_2) | instskip(SKIP_2) | instid1(VALU_DEP_1)
	v_add3_u32 v20, v21, v20, v54
	v_mul_i32_i24_e32 v21, v137, v110
	v_mul_i32_i24_e32 v54, v138, v89
	v_add3_u32 v1, v1, v21, v54
	v_mul_i32_i24_e32 v21, v137, v99
	v_mul_i32_i24_e32 v54, v138, v91
	s_delay_alu instid0(VALU_DEP_3) | instskip(NEXT) | instid1(VALU_DEP_2)
	v_cvt_f32_i32_e32 v1, v1
	v_add3_u32 v54, v20, v21, v54
	ds_load_2addr_b32 v[20:21], v118 offset0:192 offset1:224
	v_add_nc_u32_e32 v118, 4, v118
	v_cvt_f32_i32_e32 v54, v54
	s_wait_dscnt 0x0
	v_lshrrev_b32_e32 v85, 16, v20
	s_delay_alu instid0(VALU_DEP_1) | instskip(NEXT) | instid1(VALU_DEP_1)
	v_cvt_f32_f16_e32 v85, v85
	v_mul_f32_e32 v85, 0x41000000, v85
	s_delay_alu instid0(VALU_DEP_1)
	v_fma_mix_f32 v52, v20, v52, -v85 op_sel_hi:[1,0,0]
	v_fma_mix_f32 v73, v20, v73, -v85 op_sel_hi:[1,0,0]
	;; [unrolled: 1-line block ×4, first 2 shown]
	v_lshrrev_b32_e32 v20, 16, v21
	v_cvt_f32_i32_e32 v85, v88
	s_delay_alu instid0(VALU_DEP_3) | instskip(NEXT) | instid1(VALU_DEP_3)
	v_fmac_f32_e32 v32, v124, v1
	v_cvt_f32_f16_e32 v20, v20
	s_delay_alu instid0(VALU_DEP_1) | instskip(NEXT) | instid1(VALU_DEP_1)
	v_mul_f32_e32 v20, 0x41000000, v20
	v_fma_mix_f32 v85, v21, v85, -v20 op_sel_hi:[1,0,0]
	v_fma_mix_f32 v86, v21, v86, -v20 op_sel_hi:[1,0,0]
	;; [unrolled: 1-line block ×4, first 2 shown]
	ds_load_b32 v21, v121
	v_dual_fmac_f32 v28, v124, v20 :: v_dual_add_nc_u32 v121, 4, v121
	s_wait_dscnt 0x0
	v_fmac_f32_e32 v42, v21, v2
	ds_load_b32 v2, v122
	v_fmac_f32_e32 v74, v21, v196
	v_fmac_f32_e32 v61, v21, v103
	;; [unrolled: 1-line block ×7, first 2 shown]
	s_wait_dscnt 0x0
	v_dual_fmac_f32 v69, v2, v25 :: v_dual_add_nc_u32 v122, 4, v122
	v_fmac_f32_e32 v58, v2, v101
	v_fmac_f32_e32 v45, v2, v98
	;; [unrolled: 1-line block ×7, first 2 shown]
	ds_load_b32 v2, v119
	v_add_nc_u32_e32 v119, 4, v119
	s_wait_dscnt 0x0
	v_fmac_f32_e32 v40, v2, v23
	v_fmac_f32_e32 v68, v2, v194
	;; [unrolled: 1-line block ×8, first 2 shown]
	s_cbranch_scc1 .LBB118_9
; %bb.10:                               ;   in Loop: Header=BB118_7 Depth=1
	s_and_b32 s10, s7, -4
	s_wait_loadcnt 0x0
	s_wait_alu 0xfffe
	s_cmp_eq_u32 s10, 4
	s_barrier_signal -1
	s_barrier_wait -1
	global_inv scope:SCOPE_SE
	s_cbranch_scc1 .LBB118_5
; %bb.11:                               ;   in Loop: Header=BB118_7 Depth=1
	s_clause 0x3
	scratch_load_b32 v0, off, off offset:200
	scratch_load_b32 v1, off, off offset:4
	;; [unrolled: 1-line block ×4, first 2 shown]
	v_dual_mov_b32 v82, v76 :: v_dual_mov_b32 v13, v71
	v_mov_b32_e32 v76, v4
	scratch_load_b32 v4, off, off offset:16 ; 4-byte Folded Reload
	v_dual_mov_b32 v16, v10 :: v_dual_mov_b32 v83, v9
	v_dual_mov_b32 v84, v78 :: v_dual_mov_b32 v81, v72
	;; [unrolled: 1-line block ×7, first 2 shown]
	v_mad_u32_u24 v122, 0x84, v55, 64
	s_mov_b32 s10, 12
	s_wait_loadcnt 0x4
	v_add_nc_u32_e32 v0, s4, v0
	v_mov_b32_e32 v12, v65
	s_wait_loadcnt 0x1
	s_delay_alu instid0(VALU_DEP_2)
	v_dual_mov_b32 v10, v57 :: v_dual_add_nc_u32 v3, v0, v3
	v_add_nc_u32_e32 v1, v0, v1
	v_add_nc_u32_e32 v2, v0, v2
	s_wait_loadcnt 0x0
	v_add_nc_u32_e32 v17, v0, v4
	v_mad_co_i64_i32 v[24:25], null, v3, 36, v[18:19]
	v_mad_co_i64_i32 v[20:21], null, v1, 36, v[18:19]
	s_clause 0x1
	scratch_load_b32 v1, off, off offset:20
	scratch_load_b32 v3, off, off offset:28
	v_mad_co_i64_i32 v[22:23], null, v2, 36, v[18:19]
	scratch_load_b32 v2, off, off offset:32 ; 4-byte Folded Reload
	v_mad_co_i64_i32 v[85:86], null, v17, 36, v[18:19]
	s_wait_loadcnt 0x2
	v_add_nc_u32_e32 v1, v0, v1
	s_delay_alu instid0(VALU_DEP_1) | instskip(SKIP_3) | instid1(VALU_DEP_1)
	v_mad_co_i64_i32 v[87:88], null, v1, 36, v[18:19]
	scratch_load_b32 v1, off, off offset:24 ; 4-byte Folded Reload
	s_wait_loadcnt 0x1
	v_add_nc_u32_e32 v2, v0, v2
	v_mad_co_i64_i32 v[89:90], null, v2, 36, v[18:19]
	v_add_nc_u32_e32 v2, 4, v116
	s_delay_alu instid0(VALU_DEP_1) | instskip(SKIP_3) | instid1(VALU_DEP_2)
	v_mad_co_u64_u32 v[96:97], null, v2, 36, s[2:3]
	s_wait_loadcnt 0x0
	v_add_nc_u32_e32 v1, v0, v1
	v_add_nc_u32_e32 v0, v0, v3
	v_mad_co_i64_i32 v[91:92], null, v1, 36, v[18:19]
	s_delay_alu instid0(VALU_DEP_2)
	v_mad_co_i64_i32 v[94:95], null, v0, 36, v[18:19]
	s_clause 0x8
	global_load_b32 v0, v[89:90], off offset:4
	global_load_b32 v1, v[20:21], off offset:4
	;; [unrolled: 1-line block ×8, first 2 shown]
	global_load_b32 v23, v[96:97], off
	s_clause 0x6
	scratch_load_b32 v116, off, off offset:36
	scratch_load_b32 v117, off, off offset:40
	;; [unrolled: 1-line block ×7, first 2 shown]
	s_wait_loadcnt 0x0
	ds_store_b32 v4, v0
	scratch_load_b32 v0, off, off offset:44 ; 4-byte Folded Reload
	s_wait_loadcnt 0x0
	ds_store_b32 v0, v1
	scratch_load_b32 v0, off, off offset:48 ; 4-byte Folded Reload
	;; [unrolled: 3-line block ×7, first 2 shown]
	s_wait_loadcnt 0x0
	ds_store_b32 v0, v22
	scratch_load_b32 v0, off, off           ; 4-byte Folded Reload
	s_wait_loadcnt 0x0
	ds_store_b32 v0, v23
	s_wait_dscnt 0x0
	s_barrier_signal -1
	s_barrier_wait -1
	global_inv scope:SCOPE_SE
.LBB118_12:                             ;   Parent Loop BB118_7 Depth=1
                                        ; =>  This Inner Loop Header: Depth=2
	ds_load_2addr_b32 v[20:21], v117 offset0:4 offset1:7
	ds_load_2addr_b32 v[85:86], v122 offset1:1
	ds_load_2addr_b32 v[87:88], v117 offset1:3
	ds_load_b32 v123, v119
	ds_load_2addr_b32 v[89:90], v117 offset0:1 offset1:2
	ds_load_2addr_b32 v[91:92], v117 offset0:5 offset1:6
	;; [unrolled: 1-line block ×3, first 2 shown]
	v_add_nc_u32_e32 v115, 0x404, v117
	v_add_nc_u32_e32 v151, 0x400, v117
	;; [unrolled: 1-line block ×3, first 2 shown]
	s_wait_alu 0xfffe
	s_add_co_i32 s10, s10, 4
	s_wait_alu 0xfffe
	s_cmp_lt_u32 s10, 28
	s_wait_dscnt 0x6
	v_bfe_i32 v1, v20, 16, 8
	s_wait_dscnt 0x5
	v_bfe_u32 v167, v85, 20, 4
	s_wait_dscnt 0x4
	v_bfe_i32 v2, v87, 16, 8
	v_bfe_u32 v124, v85, 16, 4
	s_wait_dscnt 0x2
	v_bfe_i32 v3, v89, 16, 8
	v_bfe_u32 v159, v86, 16, 4
	v_mul_i32_i24_e32 v0, v167, v1
	s_wait_dscnt 0x1
	v_bfe_i32 v17, v91, 16, 8
	v_bfe_u32 v148, v86, 20, 4
	v_lshrrev_b32_e32 v171, 28, v85
	v_mul_i32_i24_e32 v22, v3, v159
	v_mad_i32_i24 v0, v124, v2, v0
	v_ashrrev_i32_e32 v37, 24, v20
	v_mul_i32_i24_e32 v23, v17, v148
	v_bfe_u32 v125, v85, 24, 4
	v_ashrrev_i32_e32 v38, 24, v87
	v_bfe_u32 v170, v86, 24, 4
	v_lshrrev_b32_e32 v157, 28, v86
	v_add3_u32 v22, v0, v22, v23
	v_mul_i32_i24_e32 v0, v171, v37
	v_ashrrev_i32_e32 v48, 24, v89
	v_ashrrev_i32_e32 v51, 24, v91
	v_bfe_i32 v52, v20, 0, 8
	v_bfe_u32 v174, v85, 4, 4
	v_mad_i32_i24 v0, v125, v38, v0
	v_mul_i32_i24_e32 v23, v48, v170
	v_mul_i32_i24_e32 v24, v51, v157
	v_bfe_i32 v54, v87, 0, 8
	v_and_b32_e32 v126, 15, v85
	v_bfe_i32 v73, v89, 0, 8
	v_and_b32_e32 v164, 15, v86
	v_add3_u32 v23, v0, v23, v24
	v_mul_i32_i24_e32 v0, v174, v52
	v_bfe_i32 v93, v91, 0, 8
	v_bfe_u32 v160, v86, 4, 4
	v_mul_i32_i24_e32 v24, v73, v164
	s_wait_dscnt 0x0
	v_bfe_u32 v149, v94, 24, 4
	v_mad_i32_i24 v0, v126, v54, v0
	v_lshrrev_b32_e32 v141, 28, v94
	v_mul_i32_i24_e32 v25, v93, v160
	v_ashrrev_i32_e32 v98, 24, v90
	v_bfe_i32 v108, v90, 16, 8
	v_bfe_u32 v145, v94, 16, 4
	v_bfe_i32 v109, v92, 16, 8
	v_add3_u32 v24, v0, v24, v25
	v_ashrrev_i32_e32 v0, 24, v92
	v_mul_i32_i24_e32 v25, v98, v149
	v_bfe_u32 v135, v94, 20, 4
	v_bfe_i32 v111, v90, 0, 8
	v_and_b32_e32 v146, 15, v94
	v_mul_i32_i24_e32 v96, v0, v141
	v_bfe_i32 v112, v92, 0, 8
	v_bfe_u32 v142, v94, 4, 4
	v_lshrrev_b16 v20, 8, v20
	v_bfe_i32 v254, v88, 16, 8
	v_add3_u32 v99, v23, v25, v96
	v_mul_i32_i24_e32 v23, v108, v145
	v_mul_i32_i24_e32 v25, v109, v135
	v_bfe_i32 v191, v20, 0, 8
	v_and_b32_e32 v20, 0xf0f0f0f, v86
	v_bfe_u32 v147, v95, 16, 4
	v_bfe_i32 v255, v21, 16, 8
	v_add3_u32 v110, v22, v23, v25
	v_mul_i32_i24_e32 v22, v111, v146
	v_mul_i32_i24_e32 v23, v112, v142
	v_bfe_u32 v140, v95, 20, 4
	v_bfe_u32 v154, v95, 24, 4
	v_lshrrev_b32_e32 v143, 28, v95
	v_ashrrev_i32_e32 v55, 24, v88
	v_add3_u32 v113, v24, v22, v23
	v_lshrrev_b16 v22, 8, v87
	v_add_nc_u32_e32 v23, 0x2108, v122
	v_add_nc_u32_e32 v24, 0x1088, v122
	v_ashrrev_i32_e32 v4, 24, v21
	v_bfe_i32 v215, v88, 0, 8
	v_bfe_i32 v87, v22, 0, 8
	v_add_nc_u32_e32 v22, 0x2100, v122
	ds_load_2addr_b32 v[96:97], v22 offset1:1
	ds_load_2addr_b32 v[22:23], v23 offset1:1
	;; [unrolled: 1-line block ×3, first 2 shown]
	v_and_b32_e32 v150, 15, v95
	v_bfe_i32 v56, v21, 0, 8
	v_bfe_u32 v144, v95, 4, 4
	v_lshrrev_b32_e32 v86, 4, v86
	v_bfe_i32 v90, v90, 8, 8
	v_bfe_i32 v92, v92, 8, 8
	;; [unrolled: 1-line block ×3, first 2 shown]
	s_delay_alu instid0(VALU_DEP_4) | instskip(NEXT) | instid1(VALU_DEP_1)
	v_lshrrev_b16 v86, 8, v86
	v_and_b32_e32 v86, 15, v86
	s_wait_dscnt 0x2
	v_and_b32_e32 v130, 15, v96
	v_bfe_u32 v129, v96, 8, 4
	v_bfe_u32 v127, v96, 16, 4
	;; [unrolled: 1-line block ×3, first 2 shown]
	s_wait_dscnt 0x0
	v_bfe_u32 v153, v100, 16, 4
	v_mul_i32_i24_e32 v24, v54, v130
	v_and_b32_e32 v158, 15, v100
	v_mul_i32_i24_e32 v25, v2, v127
	v_mul_i32_i24_e32 v102, v38, v128
	v_bfe_u32 v165, v100, 24, 4
	v_mad_i32_i24 v24, v87, v129, v24
	v_bfe_u32 v198, v96, 4, 4
	v_bfe_u32 v200, v96, 12, 4
	v_lshrrev_b32_e32 v168, 28, v100
	v_bfe_u32 v155, v101, 24, 4
	v_add3_u32 v114, v24, v25, v102
	v_add_nc_u32_e32 v24, 0x3180, v122
	v_add_nc_u32_e32 v25, 0x3188, v122
	ds_load_2addr_b32 v[102:103], v24 offset1:1
	ds_load_2addr_b32 v[24:25], v25 offset1:1
	;; [unrolled: 1-line block ×3, first 2 shown]
	ds_load_2addr_b32 v[192:193], v151 offset0:4 offset1:7
	ds_load_2addr_b32 v[207:208], v151 offset1:3
	v_bfe_u32 v169, v100, 4, 4
	v_bfe_u32 v203, v96, 20, 4
	v_lshrrev_b32_e32 v202, 28, v96
	v_bfe_u32 v227, v97, 8, 4
	v_bfe_u32 v226, v97, 24, 4
	v_and_b32_e32 v220, 15, v97
	v_bfe_u32 v241, v97, 16, 4
	v_bfe_u32 v250, v97, 4, 4
	v_lshrrev_b32_e32 v249, 28, v97
	v_bfe_u32 v236, v97, 12, 4
	v_bfe_u32 v248, v97, 20, 4
	;; [unrolled: 1-line block ×4, first 2 shown]
	v_mul_i32_i24_e32 v97, v51, v249
	v_and_b32_e32 v230, 15, v22
	s_wait_dscnt 0x4
	v_and_b32_e32 v133, 15, v102
	v_bfe_u32 v134, v102, 8, 4
	v_bfe_u32 v131, v102, 16, 4
	;; [unrolled: 1-line block ×3, first 2 shown]
	s_wait_dscnt 0x2
	v_bfe_i32 v197, v182, 16, 8
	v_mul_i32_i24_e32 v115, v54, v133
	s_wait_dscnt 0x1
	v_bfe_i32 v156, v192, 16, 8
	v_mul_i32_i24_e32 v136, v2, v131
	v_mul_i32_i24_e32 v137, v38, v132
	v_bfe_i32 v209, v183, 16, 8
	v_mad_i32_i24 v115, v87, v134, v115
	v_bfe_i32 v210, v182, 0, 8
	v_bfe_i32 v178, v192, 0, 8
	;; [unrolled: 1-line block ×3, first 2 shown]
	v_mul_i32_i24_e32 v138, v209, v153
	v_add3_u32 v115, v115, v136, v137
	v_add_nc_u32_e32 v136, 0x1080, v122
	v_add_nc_u32_e32 v137, 0x414, v117
	v_ashrrev_i32_e32 v181, 24, v182
	v_ashrrev_i32_e32 v188, 24, v192
	;; [unrolled: 1-line block ×3, first 2 shown]
	ds_load_2addr_b32 v[161:162], v136 offset1:1
	ds_load_2addr_b32 v[194:195], v137 offset1:1
	v_bfe_u32 v196, v102, 4, 4
	v_bfe_u32 v199, v102, 12, 4
	s_wait_dscnt 0x2
	v_bfe_i32 v5, v208, 0, 8
	v_bfe_i32 v57, v208, 16, 8
	v_mul_i32_i24_e32 v96, v156, v203
	v_bfe_u32 v205, v102, 20, 4
	v_lshrrev_b32_e32 v206, 28, v102
	v_bfe_i32 v6, v207, 16, 8
	v_bfe_i32 v59, v193, 16, 8
	v_bfe_i32 v7, v207, 0, 8
	v_mul_i32_i24_e32 v102, v156, v205
	v_bfe_i32 v60, v193, 0, 8
	v_ashrrev_i32_e32 v8, 24, v207
	v_ashrrev_i32_e32 v65, 24, v193
	v_bfe_u32 v228, v103, 8, 4
	v_bfe_u32 v229, v103, 24, 4
	v_and_b32_e32 v221, 15, v103
	v_bfe_u32 v243, v103, 16, 4
	s_wait_dscnt 0x1
	v_bfe_u32 v173, v162, 16, 4
	v_bfe_u32 v180, v161, 20, 4
	;; [unrolled: 1-line block ×3, first 2 shown]
	s_wait_dscnt 0x0
	v_bfe_i32 v204, v194, 16, 8
	v_and_b32_e32 v177, 15, v162
	v_mul_i32_i24_e32 v136, v197, v173
	v_bfe_u32 v186, v161, 4, 4
	v_bfe_u32 v172, v162, 4, 4
	v_mul_i32_i24_e32 v137, v204, v166
	v_bfe_i32 v211, v194, 0, 8
	v_mad_i32_i24 v136, v156, v180, v136
	v_bfe_u32 v179, v162, 24, 4
	v_lshrrev_b32_e32 v184, 28, v161
	v_lshrrev_b32_e32 v175, 28, v162
	v_ashrrev_i32_e32 v213, 24, v194
	v_add3_u32 v176, v136, v137, v138
	v_mul_i32_i24_e32 v136, v210, v177
	v_mul_i32_i24_e32 v137, v211, v172
	;; [unrolled: 1-line block ×3, first 2 shown]
	v_bfe_i32 v216, v195, 0, 8
	v_bfe_i32 v218, v195, 16, 8
	v_mad_i32_i24 v136, v178, v186, v136
	v_bfe_i32 v194, v194, 8, 8
	v_bfe_u32 v252, v103, 4, 4
	v_lshrrev_b32_e32 v253, 28, v103
	v_bfe_u32 v237, v103, 12, 4
	v_add3_u32 v152, v136, v137, v138
	v_mul_i32_i24_e32 v136, v181, v179
	v_mul_i32_i24_e32 v137, v213, v175
	;; [unrolled: 1-line block ×3, first 2 shown]
	v_bfe_u32 v251, v103, 20, 4
	v_bfe_u32 v246, v24, 8, 4
	v_mad_i32_i24 v136, v188, v184, v136
	v_bfe_u32 v247, v24, 24, 4
	v_bfe_u32 v240, v22, 16, 4
	v_and_b32_e32 v232, 15, v24
	v_bfe_u32 v242, v24, 16, 4
	v_add3_u32 v163, v136, v137, v138
	v_and_b32_e32 v136, 0xf0f0f0f, v85
	v_lshrrev_b32_e32 v85, 4, v85
	v_lshrrev_b16 v137, 8, v20
	v_and_b32_e32 v138, 15, v161
	v_bfe_u32 v235, v22, 4, 4
	v_lshrrev_b16 v136, 8, v136
	v_lshrrev_b16 v85, 8, v85
	v_and_b32_e32 v187, 0xffff, v137
	v_mul_i32_i24_e32 v54, v138, v54
	v_lshrrev_b32_e32 v234, 28, v22
	v_and_b32_e32 v20, 0xffff, v136
	v_and_b32_e32 v85, 15, v85
	v_bfe_u32 v238, v24, 4, 4
	v_lshrrev_b32_e32 v239, 28, v24
	v_bfe_u32 v231, v22, 20, 4
	v_bfe_u32 v233, v24, 20, 4
	v_and_b32_e32 v190, 0xffff, v85
	v_bfe_i32 v85, v89, 8, 8
	v_mul_i32_i24_e32 v89, v20, v87
	v_bfe_u32 v223, v23, 8, 4
	v_bfe_u32 v222, v23, 24, 4
	v_mul_i32_i24_e32 v137, v190, v191
	v_mul_i32_i24_e32 v136, v85, v187
	v_bfe_u32 v224, v25, 8, 4
	v_bfe_u32 v225, v25, 24, 4
	v_add_nc_u32_e32 v122, 16, v122
	s_delay_alu instid0(VALU_DEP_4) | instskip(SKIP_2) | instid1(VALU_DEP_1)
	v_add3_u32 v89, v89, v137, v136
	v_mul_i32_i24_e32 v136, v254, v147
	v_mul_i32_i24_e32 v137, v255, v140
	v_add3_u32 v110, v110, v136, v137
	v_mul_i32_i24_e32 v136, v55, v154
	v_mul_i32_i24_e32 v137, v4, v143
	s_delay_alu instid0(VALU_DEP_1) | instskip(SKIP_2) | instid1(VALU_DEP_1)
	v_add3_u32 v99, v99, v136, v137
	v_mul_i32_i24_e32 v136, v215, v150
	v_mul_i32_i24_e32 v137, v56, v144
	v_add3_u32 v113, v113, v136, v137
	v_mul_i32_i24_e32 v136, v52, v198
	v_mul_i32_i24_e32 v137, v191, v200
	s_delay_alu instid0(VALU_DEP_1) | instskip(SKIP_3) | instid1(VALU_DEP_2)
	v_add3_u32 v114, v114, v137, v136
	v_mul_i32_i24_e32 v136, v52, v196
	v_mul_i32_i24_e32 v137, v191, v199
	;; [unrolled: 1-line block ×3, first 2 shown]
	v_add3_u32 v115, v115, v137, v136
	v_and_b32_e32 v136, 0xf0f0f0f, v161
	v_bfe_u32 v137, v161, 24, 4
	s_delay_alu instid0(VALU_DEP_2) | instskip(NEXT) | instid1(VALU_DEP_2)
	v_lshrrev_b16 v136, 8, v136
	v_mul_i32_i24_e32 v38, v137, v38
	s_delay_alu instid0(VALU_DEP_2) | instskip(SKIP_1) | instid1(VALU_DEP_2)
	v_and_b32_e32 v139, 0xffff, v136
	v_bfe_u32 v136, v161, 16, 4
	v_mad_i32_i24 v54, v139, v87, v54
	s_delay_alu instid0(VALU_DEP_2) | instskip(NEXT) | instid1(VALU_DEP_1)
	v_mul_i32_i24_e32 v2, v136, v2
	v_add3_u32 v2, v54, v2, v38
	v_ashrrev_i32_e32 v38, 24, v195
	v_ashrrev_i32_e32 v54, 24, v208
	s_delay_alu instid0(VALU_DEP_2) | instskip(NEXT) | instid1(VALU_DEP_2)
	v_mul_i32_i24_e32 v87, v38, v168
	v_mul_i32_i24_e32 v151, v54, v155
	s_delay_alu instid0(VALU_DEP_1) | instskip(SKIP_2) | instid1(VALU_DEP_2)
	v_add3_u32 v87, v163, v87, v151
	v_and_b32_e32 v151, 15, v101
	v_mul_i32_i24_e32 v163, v216, v169
	v_mul_i32_i24_e32 v185, v5, v151
	s_delay_alu instid0(VALU_DEP_1) | instskip(SKIP_2) | instid1(VALU_DEP_2)
	v_add3_u32 v217, v152, v163, v185
	v_bfe_u32 v163, v100, 20, 4
	v_bfe_u32 v152, v101, 16, 4
	v_mul_i32_i24_e32 v185, v218, v163
	s_delay_alu instid0(VALU_DEP_2) | instskip(NEXT) | instid1(VALU_DEP_1)
	v_mul_i32_i24_e32 v189, v57, v152
	v_add3_u32 v176, v176, v185, v189
	v_lshrrev_b16 v185, 8, v192
	v_mul_i32_i24_e32 v189, v188, v202
	s_delay_alu instid0(VALU_DEP_2) | instskip(NEXT) | instid1(VALU_DEP_1)
	v_bfe_i32 v219, v185, 0, 8
	v_mul_i32_i24_e32 v185, v219, v200
	s_delay_alu instid0(VALU_DEP_1) | instskip(NEXT) | instid1(VALU_DEP_1)
	v_mad_i32_i24 v185, v178, v198, v185
	v_add3_u32 v96, v185, v96, v189
	v_mul_i32_i24_e32 v185, v219, v199
	v_mul_i32_i24_e32 v189, v188, v206
	s_delay_alu instid0(VALU_DEP_2) | instskip(NEXT) | instid1(VALU_DEP_1)
	v_mad_i32_i24 v185, v178, v196, v185
	v_add3_u32 v102, v185, v102, v189
	v_and_b32_e32 v185, 0xf0f0f0f, v94
	v_and_b32_e32 v189, 0xffff, v86
	v_bfe_i32 v86, v91, 8, 8
	v_lshrrev_b32_e32 v94, 4, v94
	s_delay_alu instid0(VALU_DEP_4) | instskip(NEXT) | instid1(VALU_DEP_3)
	v_lshrrev_b16 v185, 8, v185
	v_mul_i32_i24_e32 v192, v86, v189
	s_delay_alu instid0(VALU_DEP_3) | instskip(NEXT) | instid1(VALU_DEP_3)
	v_lshrrev_b16 v94, 8, v94
	v_and_b32_e32 v185, 0xffff, v185
	s_delay_alu instid0(VALU_DEP_2) | instskip(NEXT) | instid1(VALU_DEP_2)
	v_and_b32_e32 v94, 15, v94
	v_mul_i32_i24_e32 v91, v90, v185
	s_delay_alu instid0(VALU_DEP_1) | instskip(SKIP_2) | instid1(VALU_DEP_1)
	v_add3_u32 v89, v89, v192, v91
	v_mul_i32_i24_e32 v91, v1, v203
	v_mul_i32_i24_e32 v192, v37, v202
	v_add3_u32 v91, v114, v91, v192
	v_mul_i32_i24_e32 v114, v1, v205
	v_mul_i32_i24_e32 v192, v37, v206
	v_mul_i32_i24_e32 v1, v180, v1
	v_mul_i32_i24_e32 v37, v184, v37
	s_delay_alu instid0(VALU_DEP_3) | instskip(SKIP_1) | instid1(VALU_DEP_1)
	v_add3_u32 v114, v115, v114, v192
	v_lshrrev_b32_e32 v115, 4, v161
	v_lshrrev_b16 v115, 8, v115
	s_delay_alu instid0(VALU_DEP_1) | instskip(NEXT) | instid1(VALU_DEP_1)
	v_and_b32_e32 v115, 15, v115
	v_and_b32_e32 v201, 0xffff, v115
	s_delay_alu instid0(VALU_DEP_1) | instskip(SKIP_2) | instid1(VALU_DEP_3)
	v_mul_i32_i24_e32 v115, v201, v191
	v_bfe_i32 v191, v182, 8, 8
	v_and_b32_e32 v182, 0xffff, v94
	v_add3_u32 v2, v2, v115, v52
	v_mul_i32_i24_e32 v52, v219, v190
	v_mul_i32_i24_e32 v115, v156, v167
	;; [unrolled: 1-line block ×3, first 2 shown]
	s_delay_alu instid0(VALU_DEP_4) | instskip(NEXT) | instid1(VALU_DEP_4)
	v_add3_u32 v1, v2, v1, v37
	v_mad_i32_i24 v52, v178, v174, v52
	v_mul_i32_i24_e32 v2, v181, v170
	v_mul_i32_i24_e32 v37, v191, v187
	s_delay_alu instid0(VALU_DEP_3) | instskip(SKIP_2) | instid1(VALU_DEP_3)
	v_add3_u32 v52, v52, v115, v156
	v_lshrrev_b32_e32 v115, 4, v162
	v_and_b32_e32 v156, 0xf0f0f0f, v162
	v_add3_u32 v2, v52, v2, v37
	s_delay_alu instid0(VALU_DEP_3) | instskip(NEXT) | instid1(VALU_DEP_3)
	v_lshrrev_b16 v115, 8, v115
	v_lshrrev_b16 v156, 8, v156
	v_bfe_i32 v37, v183, 8, 8
	v_bfe_i32 v52, v195, 8, 8
	s_delay_alu instid0(VALU_DEP_4) | instskip(NEXT) | instid1(VALU_DEP_4)
	v_and_b32_e32 v115, 15, v115
	v_and_b32_e32 v192, 0xffff, v156
	s_delay_alu instid0(VALU_DEP_2) | instskip(SKIP_1) | instid1(VALU_DEP_3)
	v_and_b32_e32 v188, 0xffff, v115
	v_mul_i32_i24_e32 v115, v219, v201
	v_mul_i32_i24_e32 v156, v191, v192
	s_delay_alu instid0(VALU_DEP_3) | instskip(NEXT) | instid1(VALU_DEP_1)
	v_mul_i32_i24_e32 v161, v194, v188
	v_add3_u32 v115, v115, v156, v161
	v_bfe_u32 v156, v101, 20, 4
	v_mul_i32_i24_e32 v161, v6, v136
	s_delay_alu instid0(VALU_DEP_2) | instskip(NEXT) | instid1(VALU_DEP_1)
	v_mul_i32_i24_e32 v162, v59, v156
	v_add3_u32 v219, v176, v162, v161
	v_bfe_u32 v161, v101, 4, 4
	v_mul_i32_i24_e32 v162, v7, v138
	s_delay_alu instid0(VALU_DEP_2) | instskip(NEXT) | instid1(VALU_DEP_1)
	v_mul_i32_i24_e32 v176, v60, v161
	v_add3_u32 v217, v217, v176, v162
	v_lshrrev_b32_e32 v162, 28, v101
	v_mul_i32_i24_e32 v176, v8, v137
	s_delay_alu instid0(VALU_DEP_2) | instskip(NEXT) | instid1(VALU_DEP_1)
	v_mul_i32_i24_e32 v178, v65, v162
	v_add3_u32 v87, v87, v178, v176
	v_mul_i32_i24_e32 v176, v191, v227
	v_mul_i32_i24_e32 v178, v181, v226
	s_delay_alu instid0(VALU_DEP_1) | instskip(SKIP_2) | instid1(VALU_DEP_1)
	v_add3_u32 v96, v96, v178, v176
	v_mul_i32_i24_e32 v176, v191, v228
	v_mul_i32_i24_e32 v178, v181, v229
	v_add3_u32 v102, v102, v178, v176
	v_and_b32_e32 v176, 0xf0f0f0f, v95
	v_lshrrev_b32_e32 v95, 4, v95
	s_delay_alu instid0(VALU_DEP_2) | instskip(NEXT) | instid1(VALU_DEP_1)
	v_lshrrev_b16 v176, 8, v176
	v_and_b32_e32 v178, 0xffff, v176
	v_mul_i32_i24_e32 v176, v92, v182
	s_delay_alu instid0(VALU_DEP_2) | instskip(NEXT) | instid1(VALU_DEP_1)
	v_mul_i32_i24_e32 v94, v88, v178
	v_add3_u32 v89, v89, v176, v94
	v_mul_i32_i24_e32 v94, v85, v227
	v_mul_i32_i24_e32 v176, v73, v220
	s_delay_alu instid0(VALU_DEP_1) | instskip(SKIP_2) | instid1(VALU_DEP_1)
	v_add3_u32 v91, v91, v94, v176
	v_mul_i32_i24_e32 v94, v85, v228
	v_mul_i32_i24_e32 v176, v73, v221
	v_add3_u32 v94, v114, v94, v176
	v_lshrrev_b32_e32 v114, 4, v100
	v_and_b32_e32 v100, 0xf0f0f0f, v100
	s_delay_alu instid0(VALU_DEP_2) | instskip(NEXT) | instid1(VALU_DEP_2)
	v_lshrrev_b16 v114, 8, v114
	v_lshrrev_b16 v100, 8, v100
	s_delay_alu instid0(VALU_DEP_2) | instskip(NEXT) | instid1(VALU_DEP_2)
	v_and_b32_e32 v114, 15, v114
	v_and_b32_e32 v191, 0xffff, v100
	s_delay_alu instid0(VALU_DEP_2) | instskip(NEXT) | instid1(VALU_DEP_2)
	v_and_b32_e32 v181, 0xffff, v114
	v_mul_i32_i24_e32 v100, v37, v191
	s_delay_alu instid0(VALU_DEP_2) | instskip(NEXT) | instid1(VALU_DEP_1)
	v_mul_i32_i24_e32 v114, v52, v181
	v_add3_u32 v100, v115, v100, v114
	v_mul_i32_i24_e32 v114, v210, v220
	v_mul_i32_i24_e32 v115, v197, v241
	s_delay_alu instid0(VALU_DEP_1) | instskip(SKIP_2) | instid1(VALU_DEP_1)
	v_add3_u32 v96, v96, v114, v115
	v_mul_i32_i24_e32 v114, v210, v221
	v_mul_i32_i24_e32 v115, v197, v243
	v_add3_u32 v102, v102, v114, v115
	v_bfe_i32 v114, v21, 8, 8
	v_lshrrev_b16 v21, 8, v95
	v_mul_i32_i24_e32 v95, v48, v226
	s_delay_alu instid0(VALU_DEP_2) | instskip(NEXT) | instid1(VALU_DEP_1)
	v_and_b32_e32 v21, 15, v21
	v_and_b32_e32 v176, 0xffff, v21
	s_delay_alu instid0(VALU_DEP_1) | instskip(NEXT) | instid1(VALU_DEP_1)
	v_mul_i32_i24_e32 v21, v114, v176
	v_add3_u32 v89, v89, v21, v99
	v_mul_i32_i24_e32 v21, v3, v241
	s_delay_alu instid0(VALU_DEP_2) | instskip(NEXT) | instid1(VALU_DEP_2)
	v_add3_u32 v89, v113, v110, v89
	v_add3_u32 v91, v91, v21, v95
	v_mul_i32_i24_e32 v21, v3, v243
	v_mul_i32_i24_e32 v95, v48, v229
	v_mul_i32_i24_e32 v48, v48, v179
	v_mul_i32_i24_e32 v3, v3, v173
	s_delay_alu instid0(VALU_DEP_3) | instskip(SKIP_3) | instid1(VALU_DEP_2)
	v_add3_u32 v94, v94, v21, v95
	v_mul_i32_i24_e32 v21, v73, v177
	v_mul_i32_i24_e32 v73, v85, v192
	v_bfe_i32 v85, v193, 8, 8
	v_add3_u32 v1, v1, v73, v21
	v_mul_i32_i24_e32 v21, v210, v164
	v_mul_i32_i24_e32 v73, v197, v159
	v_and_b32_e32 v210, 15, v25
	s_delay_alu instid0(VALU_DEP_4) | instskip(SKIP_1) | instid1(VALU_DEP_4)
	v_add3_u32 v1, v1, v3, v48
	v_mul_i32_i24_e32 v3, v211, v160
	v_add3_u32 v2, v2, v21, v73
	v_lshrrev_b32_e32 v21, 4, v101
	v_and_b32_e32 v73, 0xf0f0f0f, v101
	v_mul_i32_i24_e32 v48, v213, v157
	v_mul_i32_i24_e32 v101, v86, v236
	s_delay_alu instid0(VALU_DEP_4) | instskip(NEXT) | instid1(VALU_DEP_4)
	v_lshrrev_b16 v21, 8, v21
	v_lshrrev_b16 v73, 8, v73
	s_delay_alu instid0(VALU_DEP_4)
	v_add3_u32 v2, v2, v48, v3
	v_lshrrev_b16 v3, 8, v207
	v_bfe_u32 v207, v25, 12, 4
	v_and_b32_e32 v21, 15, v21
	v_and_b32_e32 v183, 0xffff, v73
	v_bfe_i32 v73, v208, 8, 8
	v_bfe_i32 v3, v3, 0, 8
	v_bfe_u32 v208, v23, 20, 4
	v_and_b32_e32 v21, 0xffff, v21
	s_delay_alu instid0(VALU_DEP_4) | instskip(NEXT) | instid1(VALU_DEP_4)
	v_mul_i32_i24_e32 v95, v73, v183
	v_mul_i32_i24_e32 v48, v3, v139
	s_delay_alu instid0(VALU_DEP_3) | instskip(NEXT) | instid1(VALU_DEP_1)
	v_mul_i32_i24_e32 v99, v85, v21
	v_add3_u32 v95, v100, v95, v99
	v_mul_i32_i24_e32 v99, v211, v250
	v_mul_i32_i24_e32 v100, v213, v249
	s_delay_alu instid0(VALU_DEP_3) | instskip(SKIP_1) | instid1(VALU_DEP_3)
	v_add3_u32 v48, v95, v48, v87
	v_mul_i32_i24_e32 v87, v194, v236
	v_add3_u32 v96, v96, v100, v99
	v_mul_i32_i24_e32 v99, v211, v252
	v_mul_i32_i24_e32 v100, v213, v253
	;; [unrolled: 1-line block ×3, first 2 shown]
	v_add3_u32 v48, v217, v219, v48
	v_bfe_u32 v217, v22, 12, 4
	v_bfe_u32 v219, v24, 12, 4
	v_add3_u32 v99, v102, v100, v99
	v_mul_i32_i24_e32 v100, v93, v250
	v_add3_u32 v87, v96, v87, v95
	v_mul_i32_i24_e32 v95, v194, v237
	v_mul_i32_i24_e32 v96, v204, v251
	;; [unrolled: 1-line block ×3, first 2 shown]
	v_add3_u32 v91, v91, v100, v101
	v_mul_i32_i24_e32 v100, v93, v252
	v_mul_i32_i24_e32 v101, v86, v237
	;; [unrolled: 1-line block ×4, first 2 shown]
	v_add3_u32 v95, v99, v95, v96
	v_mul_i32_i24_e32 v96, v17, v248
	v_add3_u32 v94, v94, v100, v101
	v_mul_i32_i24_e32 v24, v218, v233
	;; [unrolled: 2-line block ×3, first 2 shown]
	v_mul_i32_i24_e32 v93, v194, v189
	v_add3_u32 v91, v91, v96, v97
	v_mul_i32_i24_e32 v96, v17, v251
	v_mul_i32_i24_e32 v97, v51, v253
	;; [unrolled: 1-line block ×3, first 2 shown]
	v_add3_u32 v2, v2, v93, v86
	v_mul_i32_i24_e32 v86, v37, v245
	v_mul_i32_i24_e32 v93, v214, v244
	;; [unrolled: 1-line block ×3, first 2 shown]
	v_add3_u32 v94, v94, v96, v97
	v_bfe_u32 v213, v23, 4, 4
	v_bfe_u32 v204, v23, 12, 4
	v_add3_u32 v86, v87, v93, v86
	v_mul_i32_i24_e32 v87, v37, v246
	v_add3_u32 v1, v1, v17, v51
	v_mul_i32_i24_e32 v17, v214, v149
	v_mul_i32_i24_e32 v37, v37, v185
	;; [unrolled: 1-line block ×4, first 2 shown]
	v_bfe_u32 v214, v25, 4, 4
	v_bfe_u32 v211, v25, 20, 4
	v_add3_u32 v2, v2, v17, v37
	v_mul_i32_i24_e32 v17, v212, v230
	v_mul_i32_i24_e32 v37, v209, v240
	v_add3_u32 v87, v95, v93, v87
	v_mul_i32_i24_e32 v93, v111, v230
	v_mul_i32_i24_e32 v95, v90, v245
	s_delay_alu instid0(VALU_DEP_4) | instskip(SKIP_2) | instid1(VALU_DEP_4)
	v_add3_u32 v17, v86, v17, v37
	v_mul_i32_i24_e32 v37, v212, v232
	v_mul_i32_i24_e32 v86, v98, v244
	v_add3_u32 v91, v91, v95, v93
	v_mul_i32_i24_e32 v93, v111, v232
	v_mul_i32_i24_e32 v95, v90, v246
	;; [unrolled: 3-line block ×3, first 2 shown]
	v_mul_i32_i24_e32 v90, v90, v191
	v_add3_u32 v93, v94, v95, v93
	s_delay_alu instid0(VALU_DEP_4) | instskip(SKIP_1) | instid1(VALU_DEP_1)
	v_add3_u32 v51, v91, v51, v86
	v_mul_i32_i24_e32 v86, v108, v242
	v_add3_u32 v86, v93, v86, v87
	v_mul_i32_i24_e32 v87, v111, v158
	s_delay_alu instid0(VALU_DEP_1) | instskip(SKIP_4) | instid1(VALU_DEP_3)
	v_add3_u32 v1, v1, v90, v87
	v_mul_i32_i24_e32 v87, v212, v146
	v_mul_i32_i24_e32 v90, v209, v145
	v_and_b32_e32 v209, 15, v23
	v_lshrrev_b32_e32 v212, 28, v23
	v_add3_u32 v2, v2, v87, v90
	v_mul_i32_i24_e32 v87, v216, v235
	v_mul_i32_i24_e32 v90, v38, v234
	s_delay_alu instid0(VALU_DEP_1) | instskip(SKIP_3) | instid1(VALU_DEP_2)
	v_add3_u32 v17, v17, v90, v87
	v_mul_i32_i24_e32 v87, v216, v238
	v_mul_i32_i24_e32 v90, v38, v239
	;; [unrolled: 1-line block ×3, first 2 shown]
	v_add3_u32 v37, v37, v90, v87
	v_mul_i32_i24_e32 v87, v112, v235
	v_mul_i32_i24_e32 v90, v92, v217
	s_delay_alu instid0(VALU_DEP_1) | instskip(SKIP_2) | instid1(VALU_DEP_1)
	v_add3_u32 v51, v51, v87, v90
	v_mul_i32_i24_e32 v87, v112, v238
	v_mul_i32_i24_e32 v90, v92, v219
	v_add3_u32 v86, v86, v87, v90
	v_mul_i32_i24_e32 v87, v98, v165
	v_mul_i32_i24_e32 v90, v108, v153
	s_delay_alu instid0(VALU_DEP_1) | instskip(SKIP_3) | instid1(VALU_DEP_3)
	v_add3_u32 v1, v1, v90, v87
	v_mul_i32_i24_e32 v87, v216, v142
	v_bfe_u32 v216, v23, 16, 4
	v_mul_i32_i24_e32 v23, v85, v204
	v_add3_u32 v2, v2, v38, v87
	v_mul_i32_i24_e32 v38, v218, v231
	s_delay_alu instid0(VALU_DEP_1) | instskip(SKIP_2) | instid1(VALU_DEP_2)
	v_add3_u32 v17, v17, v22, v38
	v_mul_i32_i24_e32 v22, v52, v219
	v_mul_i32_i24_e32 v38, v0, v239
	v_add3_u32 v22, v37, v22, v24
	v_mul_i32_i24_e32 v24, v109, v231
	v_mul_i32_i24_e32 v37, v0, v234
	;; [unrolled: 1-line block ×3, first 2 shown]
	s_delay_alu instid0(VALU_DEP_2) | instskip(SKIP_2) | instid1(VALU_DEP_2)
	v_add3_u32 v24, v51, v24, v37
	v_mul_i32_i24_e32 v37, v109, v233
	v_mul_i32_i24_e32 v51, v92, v181
	v_add3_u32 v37, v86, v37, v38
	v_mul_i32_i24_e32 v38, v112, v169
	s_delay_alu instid0(VALU_DEP_1) | instskip(SKIP_3) | instid1(VALU_DEP_2)
	v_add3_u32 v1, v1, v38, v51
	v_mul_i32_i24_e32 v38, v218, v135
	v_mul_i32_i24_e32 v51, v52, v182
	v_bfe_u32 v218, v25, 16, 4
	v_add3_u32 v2, v2, v51, v38
	v_mul_i32_i24_e32 v38, v73, v223
	v_mul_i32_i24_e32 v51, v54, v222
	s_delay_alu instid0(VALU_DEP_1) | instskip(SKIP_2) | instid1(VALU_DEP_1)
	v_add3_u32 v17, v17, v51, v38
	v_mul_i32_i24_e32 v38, v73, v224
	v_mul_i32_i24_e32 v51, v54, v225
	v_add3_u32 v22, v22, v51, v38
	v_mul_i32_i24_e32 v38, v215, v209
	v_mul_i32_i24_e32 v51, v88, v223
	s_delay_alu instid0(VALU_DEP_1) | instskip(SKIP_2) | instid1(VALU_DEP_1)
	v_add3_u32 v24, v24, v51, v38
	v_mul_i32_i24_e32 v38, v215, v210
	v_mul_i32_i24_e32 v51, v88, v224
	v_add3_u32 v37, v37, v51, v38
	v_mul_i32_i24_e32 v38, v109, v163
	s_delay_alu instid0(VALU_DEP_1) | instskip(SKIP_2) | instid1(VALU_DEP_1)
	v_add3_u32 v0, v1, v38, v0
	v_mul_i32_i24_e32 v1, v54, v154
	v_mul_i32_i24_e32 v38, v73, v178
	v_add3_u32 v1, v2, v1, v38
	v_mul_i32_i24_e32 v2, v5, v209
	v_mul_i32_i24_e32 v38, v57, v216
	s_delay_alu instid0(VALU_DEP_1) | instskip(SKIP_3) | instid1(VALU_DEP_2)
	v_add3_u32 v2, v17, v2, v38
	v_mul_i32_i24_e32 v17, v5, v210
	v_mul_i32_i24_e32 v38, v57, v218
	;; [unrolled: 1-line block ×3, first 2 shown]
	v_add3_u32 v17, v22, v17, v38
	v_mul_i32_i24_e32 v22, v254, v216
	v_mul_i32_i24_e32 v38, v55, v222
	s_delay_alu instid0(VALU_DEP_1) | instskip(SKIP_2) | instid1(VALU_DEP_1)
	v_add3_u32 v22, v24, v22, v38
	v_mul_i32_i24_e32 v24, v254, v218
	v_mul_i32_i24_e32 v38, v55, v225
	v_add3_u32 v24, v37, v24, v38
	v_mul_i32_i24_e32 v37, v215, v151
	v_mul_i32_i24_e32 v38, v88, v183
	v_lshrrev_b32_e32 v215, 28, v25
	s_delay_alu instid0(VALU_DEP_2) | instskip(SKIP_1) | instid1(VALU_DEP_1)
	v_add3_u32 v0, v0, v38, v37
	v_mul_i32_i24_e32 v37, v57, v147
	v_add3_u32 v1, v1, v5, v37
	v_mul_i32_i24_e32 v5, v60, v213
	v_mul_i32_i24_e32 v37, v65, v212
	s_delay_alu instid0(VALU_DEP_1) | instskip(SKIP_2) | instid1(VALU_DEP_1)
	v_add3_u32 v2, v2, v37, v5
	v_mul_i32_i24_e32 v5, v60, v214
	v_mul_i32_i24_e32 v37, v65, v215
	v_add3_u32 v5, v17, v37, v5
	v_mul_i32_i24_e32 v17, v56, v213
	v_mul_i32_i24_e32 v37, v114, v204
	s_delay_alu instid0(VALU_DEP_1) | instskip(SKIP_2) | instid1(VALU_DEP_1)
	v_add3_u32 v17, v22, v17, v37
	v_mul_i32_i24_e32 v22, v56, v214
	v_mul_i32_i24_e32 v37, v114, v207
	v_add3_u32 v22, v24, v22, v37
	v_mul_i32_i24_e32 v24, v254, v152
	v_mul_i32_i24_e32 v37, v55, v155
	v_add_nc_u32_e32 v55, 0xc04, v117
	s_delay_alu instid0(VALU_DEP_2) | instskip(SKIP_2) | instid1(VALU_DEP_1)
	v_add3_u32 v0, v0, v24, v37
	v_mul_i32_i24_e32 v24, v60, v144
	v_mul_i32_i24_e32 v37, v65, v143
	v_add3_u32 v1, v1, v37, v24
	v_mul_i32_i24_e32 v24, v59, v208
	s_delay_alu instid0(VALU_DEP_1) | instskip(SKIP_2) | instid1(VALU_DEP_1)
	v_add3_u32 v2, v2, v23, v24
	v_mul_i32_i24_e32 v23, v85, v207
	v_mul_i32_i24_e32 v24, v59, v211
	v_add3_u32 v5, v5, v23, v24
	v_mul_i32_i24_e32 v23, v255, v208
	v_mul_i32_i24_e32 v24, v4, v212
	s_delay_alu instid0(VALU_DEP_1) | instskip(SKIP_3) | instid1(VALU_DEP_2)
	v_add3_u32 v17, v17, v23, v24
	v_mul_i32_i24_e32 v23, v255, v211
	v_mul_i32_i24_e32 v24, v4, v215
	;; [unrolled: 1-line block ×3, first 2 shown]
	v_add3_u32 v22, v22, v23, v24
	v_mul_i32_i24_e32 v23, v56, v161
	v_mul_i32_i24_e32 v24, v114, v21
	s_delay_alu instid0(VALU_DEP_1)
	v_add3_u32 v0, v0, v23, v24
	v_mul_i32_i24_e32 v23, v59, v140
	v_mul_i32_i24_e32 v24, v85, v176
	ds_load_2addr_b32 v[85:86], v116 offset1:32
	v_add3_u32 v1, v1, v24, v23
	v_mul_i32_i24_e32 v23, v7, v130
	v_mul_i32_i24_e32 v24, v3, v129
	s_delay_alu instid0(VALU_DEP_1) | instskip(SKIP_3) | instid1(VALU_DEP_2)
	v_add3_u32 v2, v2, v23, v24
	v_mul_i32_i24_e32 v23, v7, v133
	v_mul_i32_i24_e32 v24, v3, v134
	;; [unrolled: 1-line block ×3, first 2 shown]
	v_add3_u32 v5, v5, v23, v24
	v_mul_i32_i24_e32 v23, v255, v156
	s_delay_alu instid0(VALU_DEP_1) | instskip(SKIP_1) | instid1(VALU_DEP_2)
	v_add3_u32 v0, v0, v23, v4
	v_mul_i32_i24_e32 v4, v7, v126
	v_cvt_f32_i32_e32 v0, v0
	s_delay_alu instid0(VALU_DEP_2) | instskip(SKIP_2) | instid1(VALU_DEP_1)
	v_add3_u32 v1, v1, v4, v3
	v_mul_i32_i24_e32 v3, v6, v127
	v_mul_i32_i24_e32 v4, v8, v128
	v_add3_u32 v2, v2, v3, v4
	v_mul_i32_i24_e32 v3, v6, v131
	v_mul_i32_i24_e32 v4, v8, v132
	s_delay_alu instid0(VALU_DEP_3) | instskip(NEXT) | instid1(VALU_DEP_2)
	v_cvt_f32_i32_e32 v2, v2
	v_add3_u32 v3, v5, v3, v4
	v_mul_i32_i24_e32 v4, v6, v124
	v_mul_i32_i24_e32 v5, v8, v125
	v_cvt_f32_i32_e32 v6, v22
	s_delay_alu instid0(VALU_DEP_4) | instskip(NEXT) | instid1(VALU_DEP_3)
	v_cvt_f32_i32_e32 v3, v3
	v_add3_u32 v1, v1, v4, v5
	s_wait_dscnt 0x0
	v_lshrrev_b32_e32 v4, 16, v85
	v_cvt_f32_i32_e32 v5, v89
	s_delay_alu instid0(VALU_DEP_3) | instskip(NEXT) | instid1(VALU_DEP_3)
	v_cvt_f32_i32_e32 v1, v1
	v_cvt_f32_f16_e32 v4, v4
	s_delay_alu instid0(VALU_DEP_1) | instskip(NEXT) | instid1(VALU_DEP_1)
	v_mul_f32_e32 v4, 0x41000000, v4
	v_fma_mix_f32 v22, v85, v0, -v4 op_sel_hi:[1,0,0]
	v_lshrrev_b32_e32 v0, 16, v86
	v_fma_mix_f32 v23, v85, v5, -v4 op_sel_hi:[1,0,0]
	v_cvt_f32_i32_e32 v5, v17
	v_fma_mix_f32 v25, v85, v6, -v4 op_sel_hi:[1,0,0]
	v_fmac_f32_e32 v77, v123, v22
	v_cvt_f32_f16_e32 v0, v0
	s_delay_alu instid0(VALU_DEP_4) | instskip(SKIP_1) | instid1(VALU_DEP_3)
	v_fma_mix_f32 v195, v85, v5, -v4 op_sel_hi:[1,0,0]
	v_cvt_f32_i32_e32 v4, v48
	v_mul_f32_e32 v0, 0x41000000, v0
	s_delay_alu instid0(VALU_DEP_1) | instskip(SKIP_3) | instid1(VALU_DEP_4)
	v_fma_mix_f32 v24, v86, v4, -v0 op_sel_hi:[1,0,0]
	v_fma_mix_f32 v197, v86, v2, -v0 op_sel_hi:[1,0,0]
	;; [unrolled: 1-line block ×4, first 2 shown]
	v_dual_fmac_f32 v67, v123, v24 :: v_dual_add_nc_u32 v0, 0x800, v117
	ds_load_2addr_b32 v[85:86], v0 offset0:4 offset1:7
	s_wait_dscnt 0x0
	v_bfe_i32 v1, v85, 8, 8
	v_bfe_i32 v2, v85, 0, 8
	;; [unrolled: 1-line block ×3, first 2 shown]
	v_ashrrev_i32_e32 v5, 24, v85
	s_delay_alu instid0(VALU_DEP_4) | instskip(NEXT) | instid1(VALU_DEP_3)
	v_mul_i32_i24_e32 v3, v1, v200
	v_mul_i32_i24_e32 v6, v4, v203
	s_delay_alu instid0(VALU_DEP_3) | instskip(SKIP_1) | instid1(VALU_DEP_4)
	v_mul_i32_i24_e32 v7, v5, v202
	v_mul_i32_i24_e32 v8, v5, v206
	v_mad_i32_i24 v3, v2, v198, v3
	v_mul_i32_i24_e32 v60, v171, v5
	s_delay_alu instid0(VALU_DEP_2) | instskip(SKIP_2) | instid1(VALU_DEP_2)
	v_add3_u32 v3, v3, v6, v7
	v_mul_i32_i24_e32 v6, v1, v199
	v_mul_i32_i24_e32 v7, v4, v205
	v_mad_i32_i24 v6, v2, v196, v6
	s_delay_alu instid0(VALU_DEP_1)
	v_add3_u32 v6, v6, v7, v8
	v_add_nc_u32_e32 v7, 0xc00, v117
	ds_load_2addr_b32 v[87:88], v7 offset0:4 offset1:7
	s_wait_dscnt 0x0
	v_bfe_i32 v8, v87, 8, 8
	v_bfe_i32 v17, v87, 0, 8
	;; [unrolled: 1-line block ×3, first 2 shown]
	v_ashrrev_i32_e32 v48, 24, v87
	s_delay_alu instid0(VALU_DEP_4) | instskip(NEXT) | instid1(VALU_DEP_3)
	v_mul_i32_i24_e32 v37, v8, v200
	v_mul_i32_i24_e32 v51, v38, v203
	s_delay_alu instid0(VALU_DEP_3) | instskip(SKIP_1) | instid1(VALU_DEP_4)
	v_mul_i32_i24_e32 v52, v48, v202
	v_mul_i32_i24_e32 v54, v48, v206
	v_mad_i32_i24 v37, v17, v198, v37
	v_mul_i32_i24_e32 v85, v171, v48
	s_delay_alu instid0(VALU_DEP_2) | instskip(SKIP_2) | instid1(VALU_DEP_2)
	v_add3_u32 v37, v37, v51, v52
	v_mul_i32_i24_e32 v51, v8, v199
	v_mul_i32_i24_e32 v52, v38, v205
	v_mad_i32_i24 v51, v17, v196, v51
	s_delay_alu instid0(VALU_DEP_1)
	v_add3_u32 v51, v51, v52, v54
	v_add_nc_u32_e32 v52, 0x804, v117
	v_add_nc_u32_e32 v54, 0x814, v117
	ds_load_2addr_b32 v[89:90], v52 offset1:1
	ds_load_2addr_b32 v[91:92], v54 offset1:1
	;; [unrolled: 1-line block ×3, first 2 shown]
	s_wait_dscnt 0x2
	v_bfe_i32 v52, v89, 8, 8
	v_ashrrev_i32_e32 v54, 24, v89
	s_delay_alu instid0(VALU_DEP_2) | instskip(NEXT) | instid1(VALU_DEP_2)
	v_mul_i32_i24_e32 v55, v52, v227
	v_mul_i32_i24_e32 v56, v54, v226
	s_delay_alu instid0(VALU_DEP_1) | instskip(SKIP_2) | instid1(VALU_DEP_1)
	v_add3_u32 v3, v3, v56, v55
	v_mul_i32_i24_e32 v55, v52, v228
	v_mul_i32_i24_e32 v56, v54, v229
	v_add3_u32 v6, v6, v56, v55
	s_wait_dscnt 0x0
	v_bfe_i32 v55, v94, 8, 8
	v_ashrrev_i32_e32 v56, 24, v94
	s_delay_alu instid0(VALU_DEP_2) | instskip(NEXT) | instid1(VALU_DEP_2)
	v_mul_i32_i24_e32 v57, v55, v227
	v_mul_i32_i24_e32 v59, v56, v226
	s_delay_alu instid0(VALU_DEP_1) | instskip(SKIP_2) | instid1(VALU_DEP_1)
	v_add3_u32 v37, v37, v59, v57
	v_mul_i32_i24_e32 v57, v55, v228
	v_mul_i32_i24_e32 v59, v56, v229
	v_add3_u32 v51, v51, v59, v57
	v_mul_i32_i24_e32 v57, v190, v1
	v_mul_i32_i24_e32 v59, v167, v4
	;; [unrolled: 1-line block ×3, first 2 shown]
	s_delay_alu instid0(VALU_DEP_3) | instskip(NEXT) | instid1(VALU_DEP_2)
	v_mad_i32_i24 v57, v174, v2, v57
	v_mad_i32_i24 v1, v186, v2, v1
	v_mul_i32_i24_e32 v2, v180, v4
	v_mul_i32_i24_e32 v4, v184, v5
	s_delay_alu instid0(VALU_DEP_4) | instskip(SKIP_2) | instid1(VALU_DEP_4)
	v_add3_u32 v57, v57, v59, v60
	v_bfe_i32 v59, v89, 0, 8
	v_bfe_i32 v60, v89, 16, 8
	v_add3_u32 v1, v1, v2, v4
	v_bfe_i32 v2, v91, 0, 8
	s_delay_alu instid0(VALU_DEP_4) | instskip(NEXT) | instid1(VALU_DEP_4)
	v_mul_i32_i24_e32 v65, v59, v220
	v_mul_i32_i24_e32 v73, v60, v241
	v_ashrrev_i32_e32 v4, 24, v91
	s_delay_alu instid0(VALU_DEP_4) | instskip(NEXT) | instid1(VALU_DEP_3)
	v_mul_i32_i24_e32 v5, v2, v250
	v_add3_u32 v3, v3, v65, v73
	v_mul_i32_i24_e32 v65, v59, v221
	v_mul_i32_i24_e32 v73, v60, v243
	s_delay_alu instid0(VALU_DEP_1) | instskip(SKIP_3) | instid1(VALU_DEP_3)
	v_add3_u32 v6, v6, v65, v73
	v_mul_i32_i24_e32 v65, v190, v8
	v_mul_i32_i24_e32 v73, v167, v38
	;; [unrolled: 1-line block ×3, first 2 shown]
	v_mad_i32_i24 v65, v174, v17, v65
	s_delay_alu instid0(VALU_DEP_2) | instskip(SKIP_2) | instid1(VALU_DEP_4)
	v_mad_i32_i24 v8, v186, v17, v8
	v_mul_i32_i24_e32 v17, v180, v38
	v_mul_i32_i24_e32 v38, v184, v48
	v_add3_u32 v65, v65, v73, v85
	v_bfe_i32 v73, v94, 0, 8
	v_bfe_i32 v85, v94, 16, 8
	s_delay_alu instid0(VALU_DEP_4) | instskip(SKIP_1) | instid1(VALU_DEP_4)
	v_add3_u32 v8, v8, v17, v38
	v_add_nc_u32_e32 v17, 0xc14, v117
	v_mul_i32_i24_e32 v87, v73, v220
	s_delay_alu instid0(VALU_DEP_4) | instskip(SKIP_4) | instid1(VALU_DEP_1)
	v_mul_i32_i24_e32 v89, v85, v241
	ds_load_2addr_b32 v[96:97], v17 offset1:1
	v_add3_u32 v37, v37, v87, v89
	v_mul_i32_i24_e32 v87, v73, v221
	v_mul_i32_i24_e32 v89, v85, v243
	v_add3_u32 v51, v51, v87, v89
	v_mul_i32_i24_e32 v87, v54, v170
	v_mul_i32_i24_e32 v89, v52, v187
	;; [unrolled: 1-line block ×4, first 2 shown]
	s_delay_alu instid0(VALU_DEP_3) | instskip(SKIP_1) | instid1(VALU_DEP_3)
	v_add3_u32 v57, v57, v87, v89
	v_mul_i32_i24_e32 v87, v4, v249
	v_add3_u32 v1, v1, v54, v52
	v_bfe_i32 v52, v91, 8, 8
	s_wait_dscnt 0x0
	v_bfe_i32 v17, v96, 0, 8
	v_ashrrev_i32_e32 v38, 24, v96
	v_add3_u32 v3, v3, v87, v5
	v_mul_i32_i24_e32 v5, v2, v252
	v_mul_i32_i24_e32 v87, v4, v253
	;; [unrolled: 1-line block ×3, first 2 shown]
	v_bfe_i32 v54, v91, 16, 8
	s_delay_alu instid0(VALU_DEP_3) | instskip(SKIP_4) | instid1(VALU_DEP_3)
	v_add3_u32 v5, v6, v87, v5
	v_mul_i32_i24_e32 v6, v56, v170
	v_mul_i32_i24_e32 v87, v55, v187
	;; [unrolled: 1-line block ×4, first 2 shown]
	v_add3_u32 v6, v65, v6, v87
	v_mul_i32_i24_e32 v65, v38, v249
	s_delay_alu instid0(VALU_DEP_3) | instskip(SKIP_2) | instid1(VALU_DEP_4)
	v_add3_u32 v8, v8, v56, v55
	v_bfe_i32 v55, v96, 8, 8
	v_bfe_i32 v56, v96, 16, 8
	v_add3_u32 v37, v37, v65, v48
	v_mul_i32_i24_e32 v48, v17, v252
	v_mul_i32_i24_e32 v65, v38, v253
	s_delay_alu instid0(VALU_DEP_1) | instskip(SKIP_2) | instid1(VALU_DEP_1)
	v_add3_u32 v48, v51, v65, v48
	v_mul_i32_i24_e32 v51, v59, v164
	v_mul_i32_i24_e32 v65, v60, v159
	v_add3_u32 v51, v57, v51, v65
	v_mul_i32_i24_e32 v57, v52, v236
	v_mul_i32_i24_e32 v65, v54, v248
	s_delay_alu instid0(VALU_DEP_1) | instskip(SKIP_2) | instid1(VALU_DEP_1)
	v_add3_u32 v3, v3, v57, v65
	v_mul_i32_i24_e32 v57, v52, v237
	v_mul_i32_i24_e32 v65, v54, v251
	v_add3_u32 v5, v5, v57, v65
	v_mul_i32_i24_e32 v57, v73, v164
	v_mul_i32_i24_e32 v65, v85, v159
	s_delay_alu instid0(VALU_DEP_1) | instskip(SKIP_2) | instid1(VALU_DEP_1)
	v_add3_u32 v6, v6, v57, v65
	v_mul_i32_i24_e32 v57, v55, v236
	v_mul_i32_i24_e32 v65, v56, v248
	v_add3_u32 v37, v37, v57, v65
	v_mul_i32_i24_e32 v57, v55, v237
	v_mul_i32_i24_e32 v65, v56, v251
	s_delay_alu instid0(VALU_DEP_1) | instskip(SKIP_4) | instid1(VALU_DEP_3)
	v_add3_u32 v48, v48, v57, v65
	v_mul_i32_i24_e32 v57, v2, v160
	v_mul_i32_i24_e32 v65, v4, v157
	v_mul_i32_i24_e32 v2, v2, v172
	v_mul_i32_i24_e32 v4, v4, v175
	v_add3_u32 v51, v51, v65, v57
	v_mul_i32_i24_e32 v57, v59, v177
	v_mul_i32_i24_e32 v59, v60, v173
	s_delay_alu instid0(VALU_DEP_1) | instskip(SKIP_2) | instid1(VALU_DEP_3)
	v_add3_u32 v1, v1, v57, v59
	v_bfe_i32 v57, v90, 8, 8
	v_ashrrev_i32_e32 v59, 24, v90
	v_add3_u32 v1, v1, v4, v2
	s_delay_alu instid0(VALU_DEP_3) | instskip(NEXT) | instid1(VALU_DEP_3)
	v_mul_i32_i24_e32 v60, v57, v245
	v_mul_i32_i24_e32 v65, v59, v244
	v_bfe_i32 v2, v90, 0, 8
	v_bfe_i32 v4, v90, 16, 8
	ds_load_2addr_b32 v[89:90], v0 offset1:3
	v_add3_u32 v3, v3, v65, v60
	v_mul_i32_i24_e32 v60, v57, v246
	v_mul_i32_i24_e32 v65, v59, v247
	s_delay_alu instid0(VALU_DEP_1) | instskip(SKIP_4) | instid1(VALU_DEP_3)
	v_add3_u32 v5, v5, v65, v60
	v_mul_i32_i24_e32 v60, v17, v160
	v_mul_i32_i24_e32 v65, v38, v157
	;; [unrolled: 1-line block ×4, first 2 shown]
	v_add3_u32 v6, v6, v65, v60
	v_mul_i32_i24_e32 v60, v73, v177
	v_mul_i32_i24_e32 v65, v85, v173
	s_wait_dscnt 0x0
	v_bfe_i32 v0, v90, 8, 8
	s_delay_alu instid0(VALU_DEP_2) | instskip(SKIP_2) | instid1(VALU_DEP_3)
	v_add3_u32 v8, v8, v60, v65
	v_bfe_i32 v60, v95, 8, 8
	v_ashrrev_i32_e32 v65, 24, v95
	v_add3_u32 v8, v8, v38, v17
	s_delay_alu instid0(VALU_DEP_3) | instskip(NEXT) | instid1(VALU_DEP_3)
	v_mul_i32_i24_e32 v73, v60, v245
	v_mul_i32_i24_e32 v85, v65, v244
	v_bfe_i32 v17, v95, 0, 8
	v_bfe_i32 v38, v95, 16, 8
	s_delay_alu instid0(VALU_DEP_3) | instskip(SKIP_2) | instid1(VALU_DEP_1)
	v_add3_u32 v37, v37, v85, v73
	v_mul_i32_i24_e32 v73, v60, v246
	v_mul_i32_i24_e32 v85, v65, v247
	v_add3_u32 v48, v48, v85, v73
	v_mul_i32_i24_e32 v73, v54, v148
	v_mul_i32_i24_e32 v85, v52, v189
	;; [unrolled: 1-line block ×4, first 2 shown]
	s_delay_alu instid0(VALU_DEP_3) | instskip(SKIP_2) | instid1(VALU_DEP_4)
	v_add3_u32 v51, v51, v85, v73
	v_mul_i32_i24_e32 v73, v2, v230
	v_mul_i32_i24_e32 v85, v4, v240
	v_add3_u32 v1, v1, v52, v54
	v_bfe_i32 v52, v92, 0, 8
	v_ashrrev_i32_e32 v54, 24, v92
	s_delay_alu instid0(VALU_DEP_4) | instskip(SKIP_2) | instid1(VALU_DEP_1)
	v_add3_u32 v3, v3, v73, v85
	v_mul_i32_i24_e32 v73, v2, v232
	v_mul_i32_i24_e32 v85, v4, v242
	v_add3_u32 v5, v5, v73, v85
	v_mul_i32_i24_e32 v73, v56, v148
	v_mul_i32_i24_e32 v85, v55, v189
	;; [unrolled: 1-line block ×4, first 2 shown]
	s_delay_alu instid0(VALU_DEP_3) | instskip(SKIP_2) | instid1(VALU_DEP_4)
	v_add3_u32 v6, v6, v85, v73
	v_mul_i32_i24_e32 v73, v17, v230
	v_mul_i32_i24_e32 v85, v38, v240
	v_add3_u32 v8, v8, v55, v56
	v_bfe_i32 v55, v97, 0, 8
	v_ashrrev_i32_e32 v56, 24, v97
	s_delay_alu instid0(VALU_DEP_4) | instskip(SKIP_2) | instid1(VALU_DEP_1)
	v_add3_u32 v37, v37, v73, v85
	v_mul_i32_i24_e32 v73, v17, v232
	v_mul_i32_i24_e32 v85, v38, v242
	v_add3_u32 v48, v48, v73, v85
	v_mul_i32_i24_e32 v73, v59, v149
	v_mul_i32_i24_e32 v85, v57, v185
	;; [unrolled: 1-line block ×4, first 2 shown]
	s_delay_alu instid0(VALU_DEP_3) | instskip(SKIP_2) | instid1(VALU_DEP_4)
	v_add3_u32 v51, v51, v73, v85
	v_mul_i32_i24_e32 v73, v52, v235
	v_mul_i32_i24_e32 v85, v54, v234
	v_add3_u32 v1, v1, v59, v57
	v_bfe_i32 v57, v92, 8, 8
	v_bfe_i32 v59, v92, 16, 8
	ds_load_2addr_b32 v[91:92], v7 offset1:3
	v_add3_u32 v3, v3, v85, v73
	v_mul_i32_i24_e32 v73, v52, v238
	v_mul_i32_i24_e32 v85, v54, v239
	s_delay_alu instid0(VALU_DEP_1) | instskip(SKIP_4) | instid1(VALU_DEP_3)
	v_add3_u32 v5, v5, v85, v73
	v_mul_i32_i24_e32 v73, v65, v149
	v_mul_i32_i24_e32 v85, v60, v185
	;; [unrolled: 1-line block ×4, first 2 shown]
	v_add3_u32 v6, v6, v73, v85
	v_mul_i32_i24_e32 v73, v55, v235
	v_mul_i32_i24_e32 v85, v56, v234
	s_delay_alu instid0(VALU_DEP_4)
	v_add3_u32 v8, v8, v65, v60
	v_bfe_i32 v60, v97, 8, 8
	v_bfe_i32 v65, v97, 16, 8
	s_wait_dscnt 0x0
	v_bfe_i32 v7, v92, 8, 8
	v_add3_u32 v37, v37, v85, v73
	v_mul_i32_i24_e32 v73, v55, v238
	v_mul_i32_i24_e32 v85, v56, v239
	s_delay_alu instid0(VALU_DEP_1) | instskip(SKIP_4) | instid1(VALU_DEP_3)
	v_add3_u32 v48, v48, v85, v73
	v_mul_i32_i24_e32 v73, v2, v146
	v_mul_i32_i24_e32 v85, v4, v145
	;; [unrolled: 1-line block ×4, first 2 shown]
	v_add3_u32 v51, v51, v73, v85
	v_mul_i32_i24_e32 v73, v57, v217
	v_mul_i32_i24_e32 v85, v59, v231
	s_delay_alu instid0(VALU_DEP_4) | instskip(SKIP_2) | instid1(VALU_DEP_4)
	v_add3_u32 v1, v1, v2, v4
	v_ashrrev_i32_e32 v2, 24, v90
	v_mul_i32_i24_e32 v4, v0, v223
	v_add3_u32 v3, v3, v73, v85
	v_mul_i32_i24_e32 v73, v57, v219
	v_mul_i32_i24_e32 v85, v59, v233
	s_delay_alu instid0(VALU_DEP_1) | instskip(SKIP_2) | instid1(VALU_DEP_1)
	v_add3_u32 v5, v5, v73, v85
	v_mul_i32_i24_e32 v73, v17, v146
	v_mul_i32_i24_e32 v85, v38, v145
	v_add3_u32 v6, v6, v73, v85
	v_mul_i32_i24_e32 v73, v60, v217
	v_mul_i32_i24_e32 v85, v65, v231
	s_delay_alu instid0(VALU_DEP_1) | instskip(SKIP_2) | instid1(VALU_DEP_1)
	v_add3_u32 v37, v37, v73, v85
	v_mul_i32_i24_e32 v73, v60, v219
	v_mul_i32_i24_e32 v85, v65, v233
	v_add3_u32 v48, v48, v73, v85
	v_mul_i32_i24_e32 v73, v52, v142
	v_mul_i32_i24_e32 v85, v54, v141
	s_delay_alu instid0(VALU_DEP_1) | instskip(SKIP_1) | instid1(VALU_DEP_1)
	v_add3_u32 v51, v51, v85, v73
	v_mul_i32_i24_e32 v73, v2, v222
	v_add3_u32 v3, v3, v73, v4
	v_mul_i32_i24_e32 v4, v0, v224
	v_mul_i32_i24_e32 v73, v2, v225
	s_delay_alu instid0(VALU_DEP_1) | instskip(SKIP_2) | instid1(VALU_DEP_1)
	v_add3_u32 v4, v5, v73, v4
	v_mul_i32_i24_e32 v5, v55, v142
	v_mul_i32_i24_e32 v73, v56, v141
	v_add3_u32 v5, v6, v73, v5
	v_mul_i32_i24_e32 v6, v17, v158
	v_mul_i32_i24_e32 v17, v38, v153
	s_delay_alu instid0(VALU_DEP_1) | instskip(SKIP_2) | instid1(VALU_DEP_2)
	v_add3_u32 v6, v8, v6, v17
	v_ashrrev_i32_e32 v8, 24, v92
	v_mul_i32_i24_e32 v17, v7, v223
	v_mul_i32_i24_e32 v38, v8, v222
	s_delay_alu instid0(VALU_DEP_1) | instskip(SKIP_2) | instid1(VALU_DEP_1)
	v_add3_u32 v17, v37, v38, v17
	v_mul_i32_i24_e32 v37, v7, v224
	v_mul_i32_i24_e32 v38, v8, v225
	v_add3_u32 v37, v48, v38, v37
	v_mul_i32_i24_e32 v38, v59, v135
	v_mul_i32_i24_e32 v48, v57, v182
	s_delay_alu instid0(VALU_DEP_1) | instskip(SKIP_2) | instid1(VALU_DEP_1)
	v_add3_u32 v38, v51, v48, v38
	v_mul_i32_i24_e32 v48, v52, v169
	v_mul_i32_i24_e32 v51, v54, v168
	v_add3_u32 v1, v1, v51, v48
	v_bfe_i32 v48, v90, 0, 8
	v_bfe_i32 v51, v90, 16, 8
	s_delay_alu instid0(VALU_DEP_2) | instskip(NEXT) | instid1(VALU_DEP_2)
	v_mul_i32_i24_e32 v52, v48, v209
	v_mul_i32_i24_e32 v54, v51, v216
	s_delay_alu instid0(VALU_DEP_1) | instskip(SKIP_2) | instid1(VALU_DEP_1)
	v_add3_u32 v3, v3, v52, v54
	v_mul_i32_i24_e32 v52, v48, v210
	v_mul_i32_i24_e32 v54, v51, v218
	v_add3_u32 v4, v4, v52, v54
	v_mul_i32_i24_e32 v52, v65, v135
	v_mul_i32_i24_e32 v54, v60, v182
	s_delay_alu instid0(VALU_DEP_1) | instskip(SKIP_2) | instid1(VALU_DEP_1)
	v_add3_u32 v5, v5, v54, v52
	v_mul_i32_i24_e32 v52, v55, v169
	v_mul_i32_i24_e32 v54, v56, v168
	v_add3_u32 v6, v6, v54, v52
	v_bfe_i32 v52, v92, 0, 8
	v_bfe_i32 v54, v92, 16, 8
	s_delay_alu instid0(VALU_DEP_2) | instskip(NEXT) | instid1(VALU_DEP_2)
	v_mul_i32_i24_e32 v55, v52, v209
	v_mul_i32_i24_e32 v56, v54, v216
	s_delay_alu instid0(VALU_DEP_1) | instskip(SKIP_2) | instid1(VALU_DEP_1)
	v_add3_u32 v17, v17, v55, v56
	v_mul_i32_i24_e32 v55, v52, v210
	v_mul_i32_i24_e32 v56, v54, v218
	v_add3_u32 v37, v37, v55, v56
	v_mul_i32_i24_e32 v55, v2, v154
	v_mul_i32_i24_e32 v56, v0, v178
	v_mul_i32_i24_e32 v2, v2, v155
	v_mul_i32_i24_e32 v0, v0, v183
	s_delay_alu instid0(VALU_DEP_3) | instskip(SKIP_2) | instid1(VALU_DEP_1)
	v_add3_u32 v38, v38, v55, v56
	v_mul_i32_i24_e32 v55, v59, v163
	v_mul_i32_i24_e32 v56, v57, v181
	v_add3_u32 v1, v1, v56, v55
	v_bfe_i32 v55, v86, 0, 8
	v_ashrrev_i32_e32 v56, 24, v86
	s_delay_alu instid0(VALU_DEP_3) | instskip(NEXT) | instid1(VALU_DEP_3)
	v_add3_u32 v0, v1, v2, v0
	v_mul_i32_i24_e32 v57, v55, v213
	s_delay_alu instid0(VALU_DEP_3)
	v_mul_i32_i24_e32 v59, v56, v212
	v_bfe_i32 v1, v86, 8, 8
	v_bfe_i32 v2, v86, 16, 8
	ds_load_2addr_b32 v[85:86], v116 offset0:64 offset1:96
	v_add3_u32 v3, v3, v59, v57
	v_mul_i32_i24_e32 v57, v55, v214
	v_mul_i32_i24_e32 v59, v56, v215
	s_delay_alu instid0(VALU_DEP_1) | instskip(SKIP_4) | instid1(VALU_DEP_3)
	v_add3_u32 v4, v4, v59, v57
	v_mul_i32_i24_e32 v57, v8, v154
	v_mul_i32_i24_e32 v59, v7, v178
	;; [unrolled: 1-line block ×4, first 2 shown]
	v_add3_u32 v5, v5, v57, v59
	v_mul_i32_i24_e32 v57, v65, v163
	v_mul_i32_i24_e32 v59, v60, v181
	s_delay_alu instid0(VALU_DEP_1) | instskip(SKIP_2) | instid1(VALU_DEP_3)
	v_add3_u32 v6, v6, v59, v57
	v_bfe_i32 v57, v88, 0, 8
	v_ashrrev_i32_e32 v59, 24, v88
	v_add3_u32 v6, v6, v8, v7
	s_delay_alu instid0(VALU_DEP_3) | instskip(NEXT) | instid1(VALU_DEP_3)
	v_mul_i32_i24_e32 v60, v57, v213
	v_mul_i32_i24_e32 v65, v59, v212
	v_bfe_i32 v7, v88, 8, 8
	v_bfe_i32 v8, v88, 16, 8
	s_delay_alu instid0(VALU_DEP_3) | instskip(SKIP_2) | instid1(VALU_DEP_1)
	v_add3_u32 v17, v17, v65, v60
	v_mul_i32_i24_e32 v60, v57, v214
	v_mul_i32_i24_e32 v65, v59, v215
	v_add3_u32 v37, v37, v65, v60
	v_mul_i32_i24_e32 v60, v48, v150
	v_mul_i32_i24_e32 v65, v51, v147
	;; [unrolled: 1-line block ×4, first 2 shown]
	s_delay_alu instid0(VALU_DEP_3) | instskip(SKIP_2) | instid1(VALU_DEP_4)
	v_add3_u32 v38, v38, v60, v65
	v_mul_i32_i24_e32 v60, v1, v204
	v_mul_i32_i24_e32 v65, v2, v208
	v_add3_u32 v0, v0, v48, v51
	v_bfe_i32 v48, v89, 0, 8
	v_bfe_i32 v51, v89, 8, 8
	s_delay_alu instid0(VALU_DEP_4) | instskip(SKIP_2) | instid1(VALU_DEP_1)
	v_add3_u32 v3, v3, v60, v65
	v_mul_i32_i24_e32 v60, v1, v207
	v_mul_i32_i24_e32 v65, v2, v211
	v_add3_u32 v4, v4, v60, v65
	v_mul_i32_i24_e32 v60, v52, v150
	v_mul_i32_i24_e32 v65, v54, v147
	;; [unrolled: 1-line block ×4, first 2 shown]
	s_delay_alu instid0(VALU_DEP_3) | instskip(SKIP_2) | instid1(VALU_DEP_4)
	v_add3_u32 v5, v5, v60, v65
	v_mul_i32_i24_e32 v60, v7, v204
	v_mul_i32_i24_e32 v65, v8, v208
	v_add3_u32 v6, v6, v52, v54
	v_bfe_i32 v52, v91, 0, 8
	v_bfe_i32 v54, v91, 8, 8
	s_delay_alu instid0(VALU_DEP_4) | instskip(SKIP_2) | instid1(VALU_DEP_1)
	v_add3_u32 v17, v17, v60, v65
	v_mul_i32_i24_e32 v60, v7, v207
	v_mul_i32_i24_e32 v65, v8, v211
	v_add3_u32 v37, v37, v60, v65
	v_mul_i32_i24_e32 v60, v55, v144
	v_mul_i32_i24_e32 v65, v56, v143
	;; [unrolled: 1-line block ×4, first 2 shown]
	s_delay_alu instid0(VALU_DEP_3) | instskip(SKIP_2) | instid1(VALU_DEP_4)
	v_add3_u32 v38, v38, v65, v60
	v_mul_i32_i24_e32 v60, v48, v130
	v_mul_i32_i24_e32 v65, v51, v129
	v_add3_u32 v0, v0, v56, v55
	v_bfe_i32 v55, v89, 16, 8
	v_ashrrev_i32_e32 v56, 24, v89
	s_delay_alu instid0(VALU_DEP_4) | instskip(SKIP_2) | instid1(VALU_DEP_1)
	v_add3_u32 v3, v3, v60, v65
	v_mul_i32_i24_e32 v60, v48, v133
	v_mul_i32_i24_e32 v65, v51, v134
	v_add3_u32 v4, v4, v60, v65
	v_mul_i32_i24_e32 v60, v57, v144
	v_mul_i32_i24_e32 v65, v59, v143
	;; [unrolled: 1-line block ×4, first 2 shown]
	s_delay_alu instid0(VALU_DEP_3) | instskip(SKIP_2) | instid1(VALU_DEP_4)
	v_add3_u32 v5, v5, v65, v60
	v_mul_i32_i24_e32 v60, v52, v130
	v_mul_i32_i24_e32 v65, v54, v129
	v_add3_u32 v6, v6, v59, v57
	v_bfe_i32 v57, v91, 16, 8
	v_ashrrev_i32_e32 v59, 24, v91
	s_delay_alu instid0(VALU_DEP_4) | instskip(SKIP_2) | instid1(VALU_DEP_1)
	v_add3_u32 v17, v17, v60, v65
	v_mul_i32_i24_e32 v60, v52, v133
	v_mul_i32_i24_e32 v65, v54, v134
	v_add3_u32 v37, v37, v60, v65
	v_mul_i32_i24_e32 v60, v2, v140
	v_mul_i32_i24_e32 v65, v1, v176
	;; [unrolled: 1-line block ×4, first 2 shown]
	s_delay_alu instid0(VALU_DEP_3) | instskip(SKIP_2) | instid1(VALU_DEP_4)
	v_add3_u32 v38, v38, v65, v60
	v_mul_i32_i24_e32 v60, v55, v127
	v_mul_i32_i24_e32 v65, v56, v128
	v_add3_u32 v0, v0, v1, v2
	v_mul_i32_i24_e32 v1, v126, v52
	v_mul_i32_i24_e32 v2, v20, v54
	s_delay_alu instid0(VALU_DEP_4) | instskip(SKIP_2) | instid1(VALU_DEP_3)
	v_add3_u32 v3, v3, v60, v65
	v_mul_i32_i24_e32 v60, v55, v131
	v_mul_i32_i24_e32 v65, v56, v132
	v_cvt_f32_i32_e32 v3, v3
	s_delay_alu instid0(VALU_DEP_2) | instskip(SKIP_2) | instid1(VALU_DEP_3)
	v_add3_u32 v4, v4, v60, v65
	v_mul_i32_i24_e32 v60, v8, v140
	v_mul_i32_i24_e32 v65, v7, v176
	v_cvt_f32_i32_e32 v4, v4
	s_delay_alu instid0(VALU_DEP_2) | instskip(SKIP_2) | instid1(VALU_DEP_3)
	v_add3_u32 v5, v5, v65, v60
	v_mul_i32_i24_e32 v60, v57, v127
	v_mul_i32_i24_e32 v65, v59, v128
	v_add3_u32 v1, v5, v1, v2
	v_mul_i32_i24_e32 v2, v8, v156
	s_delay_alu instid0(VALU_DEP_3) | instskip(SKIP_4) | instid1(VALU_DEP_3)
	v_add3_u32 v17, v17, v60, v65
	v_mul_i32_i24_e32 v60, v57, v131
	v_mul_i32_i24_e32 v65, v59, v132
	;; [unrolled: 1-line block ×4, first 2 shown]
	v_add3_u32 v37, v37, v60, v65
	v_mul_i32_i24_e32 v60, v126, v48
	v_mul_i32_i24_e32 v65, v20, v51
	v_add3_u32 v2, v6, v5, v2
	v_mul_i32_i24_e32 v5, v124, v55
	v_mul_i32_i24_e32 v6, v125, v56
	s_delay_alu instid0(VALU_DEP_4) | instskip(NEXT) | instid1(VALU_DEP_1)
	v_add3_u32 v38, v38, v60, v65
	v_add3_u32 v5, v38, v5, v6
	v_mul_i32_i24_e32 v6, v138, v48
	s_delay_alu instid0(VALU_DEP_1) | instskip(SKIP_2) | instid1(VALU_DEP_1)
	v_add3_u32 v0, v0, v6, v7
	v_mul_i32_i24_e32 v6, v124, v57
	v_mul_i32_i24_e32 v7, v125, v59
	v_add3_u32 v1, v1, v6, v7
	v_mul_i32_i24_e32 v6, v138, v52
	v_mul_i32_i24_e32 v7, v139, v54
	s_delay_alu instid0(VALU_DEP_3) | instskip(NEXT) | instid1(VALU_DEP_2)
	v_cvt_f32_i32_e32 v1, v1
	v_add3_u32 v2, v2, v6, v7
	v_mul_i32_i24_e32 v6, v136, v55
	v_mul_i32_i24_e32 v7, v137, v56
	s_delay_alu instid0(VALU_DEP_1) | instskip(SKIP_3) | instid1(VALU_DEP_2)
	v_add3_u32 v0, v0, v6, v7
	v_mul_i32_i24_e32 v6, v136, v57
	v_mul_i32_i24_e32 v7, v137, v59
	v_add_nc_u32_e32 v57, 0x1404, v117
	v_add3_u32 v2, v2, v6, v7
	s_wait_dscnt 0x0
	v_lshrrev_b32_e32 v6, 16, v85
	s_delay_alu instid0(VALU_DEP_2) | instskip(NEXT) | instid1(VALU_DEP_2)
	v_cvt_f32_i32_e32 v2, v2
	v_cvt_f32_f16_e32 v6, v6
	s_delay_alu instid0(VALU_DEP_1) | instskip(NEXT) | instid1(VALU_DEP_1)
	v_mul_f32_e32 v6, 0x41000000, v6
	v_fma_mix_f32 v103, v85, v3, -v6 op_sel_hi:[1,0,0]
	v_cvt_f32_i32_e32 v3, v5
	v_fma_mix_f32 v101, v85, v4, -v6 op_sel_hi:[1,0,0]
	v_cvt_f32_i32_e32 v4, v0
	v_cvt_f32_i32_e32 v5, v37
	s_delay_alu instid0(VALU_DEP_4) | instskip(SKIP_1) | instid1(VALU_DEP_4)
	v_fma_mix_f32 v0, v85, v3, -v6 op_sel_hi:[1,0,0]
	v_lshrrev_b32_e32 v3, 16, v86
	v_fma_mix_f32 v254, v85, v4, -v6 op_sel_hi:[1,0,0]
	v_cvt_f32_i32_e32 v4, v17
	s_delay_alu instid0(VALU_DEP_3) | instskip(NEXT) | instid1(VALU_DEP_1)
	v_cvt_f32_f16_e32 v3, v3
	v_dual_fmac_f32 v62, v123, v254 :: v_dual_mul_f32 v3, 0x41000000, v3
	s_delay_alu instid0(VALU_DEP_1)
	v_fma_mix_f32 v102, v86, v1, -v3 op_sel_hi:[1,0,0]
	v_add_nc_u32_e32 v1, 0x1000, v117
	v_fma_mix_f32 v48, v86, v4, -v3 op_sel_hi:[1,0,0]
	v_fma_mix_f32 v98, v86, v5, -v3 op_sel_hi:[1,0,0]
	;; [unrolled: 1-line block ×3, first 2 shown]
	ds_load_2addr_b32 v[85:86], v1 offset0:4 offset1:7
	v_fmac_f32_e32 v49, v123, v100
	s_wait_dscnt 0x0
	v_bfe_i32 v2, v85, 8, 8
	v_bfe_i32 v3, v85, 0, 8
	v_bfe_i32 v5, v85, 16, 8
	v_ashrrev_i32_e32 v6, 24, v85
	s_delay_alu instid0(VALU_DEP_4) | instskip(NEXT) | instid1(VALU_DEP_3)
	v_mul_i32_i24_e32 v4, v2, v200
	v_mul_i32_i24_e32 v7, v5, v203
	s_delay_alu instid0(VALU_DEP_3) | instskip(SKIP_1) | instid1(VALU_DEP_4)
	v_mul_i32_i24_e32 v8, v6, v202
	v_mul_i32_i24_e32 v17, v6, v206
	v_mad_i32_i24 v4, v3, v198, v4
	v_mul_i32_i24_e32 v73, v171, v6
	s_delay_alu instid0(VALU_DEP_2) | instskip(SKIP_2) | instid1(VALU_DEP_2)
	v_add3_u32 v4, v4, v7, v8
	v_mul_i32_i24_e32 v7, v2, v199
	v_mul_i32_i24_e32 v8, v5, v205
	v_mad_i32_i24 v7, v3, v196, v7
	s_delay_alu instid0(VALU_DEP_1)
	v_add3_u32 v7, v7, v8, v17
	v_add_nc_u32_e32 v8, 0x1400, v117
	ds_load_2addr_b32 v[87:88], v8 offset0:4 offset1:7
	s_wait_dscnt 0x0
	v_bfe_i32 v17, v87, 8, 8
	v_bfe_i32 v37, v87, 0, 8
	;; [unrolled: 1-line block ×3, first 2 shown]
	v_ashrrev_i32_e32 v52, 24, v87
	s_delay_alu instid0(VALU_DEP_4) | instskip(NEXT) | instid1(VALU_DEP_3)
	v_mul_i32_i24_e32 v38, v17, v200
	v_mul_i32_i24_e32 v54, v51, v203
	s_delay_alu instid0(VALU_DEP_3) | instskip(SKIP_1) | instid1(VALU_DEP_4)
	v_mul_i32_i24_e32 v55, v52, v202
	v_mul_i32_i24_e32 v56, v52, v206
	v_mad_i32_i24 v38, v37, v198, v38
	s_delay_alu instid0(VALU_DEP_1) | instskip(SKIP_2) | instid1(VALU_DEP_2)
	v_add3_u32 v38, v38, v54, v55
	v_mul_i32_i24_e32 v54, v17, v199
	v_mul_i32_i24_e32 v55, v51, v205
	v_mad_i32_i24 v54, v37, v196, v54
	s_delay_alu instid0(VALU_DEP_1)
	v_add3_u32 v54, v54, v55, v56
	v_add_nc_u32_e32 v55, 0x1004, v117
	v_add_nc_u32_e32 v56, 0x1014, v117
	ds_load_2addr_b32 v[89:90], v55 offset1:1
	ds_load_2addr_b32 v[91:92], v56 offset1:1
	;; [unrolled: 1-line block ×3, first 2 shown]
	s_wait_dscnt 0x2
	v_bfe_i32 v55, v89, 8, 8
	v_ashrrev_i32_e32 v56, 24, v89
	s_delay_alu instid0(VALU_DEP_2) | instskip(NEXT) | instid1(VALU_DEP_2)
	v_mul_i32_i24_e32 v57, v55, v227
	v_mul_i32_i24_e32 v59, v56, v226
	s_delay_alu instid0(VALU_DEP_1) | instskip(SKIP_2) | instid1(VALU_DEP_1)
	v_add3_u32 v4, v4, v59, v57
	v_mul_i32_i24_e32 v57, v55, v228
	v_mul_i32_i24_e32 v59, v56, v229
	v_add3_u32 v7, v7, v59, v57
	s_wait_dscnt 0x0
	v_bfe_i32 v57, v94, 8, 8
	v_ashrrev_i32_e32 v59, 24, v94
	s_delay_alu instid0(VALU_DEP_2) | instskip(NEXT) | instid1(VALU_DEP_2)
	v_mul_i32_i24_e32 v60, v57, v227
	v_mul_i32_i24_e32 v65, v59, v226
	s_delay_alu instid0(VALU_DEP_1) | instskip(SKIP_2) | instid1(VALU_DEP_1)
	v_add3_u32 v38, v38, v65, v60
	v_mul_i32_i24_e32 v60, v57, v228
	v_mul_i32_i24_e32 v65, v59, v229
	v_add3_u32 v54, v54, v65, v60
	v_mul_i32_i24_e32 v60, v190, v2
	v_mul_i32_i24_e32 v65, v167, v5
	;; [unrolled: 1-line block ×3, first 2 shown]
	s_delay_alu instid0(VALU_DEP_3) | instskip(NEXT) | instid1(VALU_DEP_2)
	v_mad_i32_i24 v60, v174, v3, v60
	v_mad_i32_i24 v2, v186, v3, v2
	v_mul_i32_i24_e32 v3, v180, v5
	v_mul_i32_i24_e32 v5, v184, v6
	s_delay_alu instid0(VALU_DEP_4)
	v_add3_u32 v60, v60, v65, v73
	v_bfe_i32 v65, v89, 0, 8
	v_bfe_i32 v73, v89, 16, 8
	v_mul_i32_i24_e32 v89, v171, v52
	v_add3_u32 v2, v2, v3, v5
	v_bfe_i32 v3, v91, 0, 8
	v_mul_i32_i24_e32 v85, v65, v220
	v_mul_i32_i24_e32 v87, v73, v241
	v_ashrrev_i32_e32 v5, 24, v91
	s_delay_alu instid0(VALU_DEP_4) | instskip(NEXT) | instid1(VALU_DEP_3)
	v_mul_i32_i24_e32 v6, v3, v250
	v_add3_u32 v4, v4, v85, v87
	v_mul_i32_i24_e32 v85, v65, v221
	v_mul_i32_i24_e32 v87, v73, v243
	s_delay_alu instid0(VALU_DEP_1) | instskip(SKIP_3) | instid1(VALU_DEP_3)
	v_add3_u32 v7, v7, v85, v87
	v_mul_i32_i24_e32 v85, v190, v17
	v_mul_i32_i24_e32 v87, v167, v51
	;; [unrolled: 1-line block ×3, first 2 shown]
	v_mad_i32_i24 v85, v174, v37, v85
	s_delay_alu instid0(VALU_DEP_2) | instskip(SKIP_2) | instid1(VALU_DEP_4)
	v_mad_i32_i24 v17, v186, v37, v17
	v_mul_i32_i24_e32 v37, v180, v51
	v_mul_i32_i24_e32 v51, v184, v52
	v_add3_u32 v85, v85, v87, v89
	v_bfe_i32 v87, v94, 0, 8
	v_bfe_i32 v89, v94, 16, 8
	s_delay_alu instid0(VALU_DEP_4) | instskip(SKIP_1) | instid1(VALU_DEP_4)
	v_add3_u32 v17, v17, v37, v51
	v_add_nc_u32_e32 v37, 0x1414, v117
	v_mul_i32_i24_e32 v93, v87, v220
	s_delay_alu instid0(VALU_DEP_4) | instskip(SKIP_4) | instid1(VALU_DEP_1)
	v_mul_i32_i24_e32 v94, v89, v241
	ds_load_2addr_b32 v[96:97], v37 offset1:1
	v_add3_u32 v38, v38, v93, v94
	v_mul_i32_i24_e32 v93, v87, v221
	v_mul_i32_i24_e32 v94, v89, v243
	v_add3_u32 v54, v54, v93, v94
	v_mul_i32_i24_e32 v93, v56, v170
	v_mul_i32_i24_e32 v94, v55, v187
	;; [unrolled: 1-line block ×4, first 2 shown]
	s_delay_alu instid0(VALU_DEP_3) | instskip(SKIP_1) | instid1(VALU_DEP_3)
	v_add3_u32 v60, v60, v93, v94
	v_mul_i32_i24_e32 v93, v5, v249
	v_add3_u32 v2, v2, v56, v55
	v_bfe_i32 v55, v91, 8, 8
	s_wait_dscnt 0x0
	v_bfe_i32 v37, v96, 0, 8
	v_ashrrev_i32_e32 v51, 24, v96
	v_add3_u32 v4, v4, v93, v6
	v_mul_i32_i24_e32 v6, v3, v252
	v_mul_i32_i24_e32 v93, v5, v253
	v_mul_i32_i24_e32 v52, v37, v250
	v_bfe_i32 v56, v91, 16, 8
	s_delay_alu instid0(VALU_DEP_3) | instskip(SKIP_4) | instid1(VALU_DEP_3)
	v_add3_u32 v6, v7, v93, v6
	v_mul_i32_i24_e32 v7, v59, v170
	v_mul_i32_i24_e32 v93, v57, v187
	;; [unrolled: 1-line block ×4, first 2 shown]
	v_add3_u32 v7, v85, v7, v93
	v_mul_i32_i24_e32 v85, v51, v249
	s_delay_alu instid0(VALU_DEP_3) | instskip(SKIP_2) | instid1(VALU_DEP_4)
	v_add3_u32 v17, v17, v59, v57
	v_bfe_i32 v57, v96, 8, 8
	v_bfe_i32 v59, v96, 16, 8
	v_add3_u32 v38, v38, v85, v52
	v_mul_i32_i24_e32 v52, v37, v252
	v_mul_i32_i24_e32 v85, v51, v253
	s_delay_alu instid0(VALU_DEP_1) | instskip(SKIP_2) | instid1(VALU_DEP_1)
	v_add3_u32 v52, v54, v85, v52
	v_mul_i32_i24_e32 v54, v65, v164
	v_mul_i32_i24_e32 v85, v73, v159
	v_add3_u32 v54, v60, v54, v85
	v_mul_i32_i24_e32 v60, v55, v236
	v_mul_i32_i24_e32 v85, v56, v248
	s_delay_alu instid0(VALU_DEP_1) | instskip(SKIP_2) | instid1(VALU_DEP_1)
	v_add3_u32 v4, v4, v60, v85
	v_mul_i32_i24_e32 v60, v55, v237
	v_mul_i32_i24_e32 v85, v56, v251
	;; [unrolled: 7-line block ×3, first 2 shown]
	v_add3_u32 v38, v38, v60, v85
	v_mul_i32_i24_e32 v60, v57, v237
	v_mul_i32_i24_e32 v85, v59, v251
	s_delay_alu instid0(VALU_DEP_1) | instskip(SKIP_4) | instid1(VALU_DEP_3)
	v_add3_u32 v52, v52, v60, v85
	v_mul_i32_i24_e32 v60, v3, v160
	v_mul_i32_i24_e32 v85, v5, v157
	;; [unrolled: 1-line block ×4, first 2 shown]
	v_add3_u32 v54, v54, v85, v60
	v_mul_i32_i24_e32 v60, v65, v177
	v_mul_i32_i24_e32 v65, v73, v173
	s_delay_alu instid0(VALU_DEP_1) | instskip(SKIP_2) | instid1(VALU_DEP_3)
	v_add3_u32 v2, v2, v60, v65
	v_bfe_i32 v60, v90, 8, 8
	v_ashrrev_i32_e32 v65, 24, v90
	v_add3_u32 v2, v2, v5, v3
	s_delay_alu instid0(VALU_DEP_3) | instskip(NEXT) | instid1(VALU_DEP_3)
	v_mul_i32_i24_e32 v73, v60, v245
	v_mul_i32_i24_e32 v85, v65, v244
	v_bfe_i32 v3, v90, 0, 8
	v_bfe_i32 v5, v90, 16, 8
	s_delay_alu instid0(VALU_DEP_3) | instskip(SKIP_2) | instid1(VALU_DEP_1)
	v_add3_u32 v4, v4, v85, v73
	v_mul_i32_i24_e32 v73, v60, v246
	v_mul_i32_i24_e32 v85, v65, v247
	v_add3_u32 v6, v6, v85, v73
	v_mul_i32_i24_e32 v73, v37, v160
	v_mul_i32_i24_e32 v85, v51, v157
	;; [unrolled: 1-line block ×4, first 2 shown]
	s_delay_alu instid0(VALU_DEP_3) | instskip(SKIP_2) | instid1(VALU_DEP_1)
	v_add3_u32 v7, v7, v85, v73
	v_mul_i32_i24_e32 v73, v87, v177
	v_mul_i32_i24_e32 v85, v89, v173
	v_add3_u32 v17, v17, v73, v85
	v_bfe_i32 v73, v95, 8, 8
	v_ashrrev_i32_e32 v85, 24, v95
	s_delay_alu instid0(VALU_DEP_3) | instskip(NEXT) | instid1(VALU_DEP_3)
	v_add3_u32 v17, v17, v51, v37
	v_mul_i32_i24_e32 v87, v73, v245
	s_delay_alu instid0(VALU_DEP_3) | instskip(SKIP_2) | instid1(VALU_DEP_3)
	v_mul_i32_i24_e32 v89, v85, v244
	v_bfe_i32 v37, v95, 0, 8
	v_bfe_i32 v51, v95, 16, 8
	v_add3_u32 v38, v38, v89, v87
	v_mul_i32_i24_e32 v87, v73, v246
	v_mul_i32_i24_e32 v89, v85, v247
	s_delay_alu instid0(VALU_DEP_1) | instskip(SKIP_4) | instid1(VALU_DEP_3)
	v_add3_u32 v52, v52, v89, v87
	v_mul_i32_i24_e32 v87, v56, v148
	v_mul_i32_i24_e32 v89, v55, v189
	;; [unrolled: 1-line block ×4, first 2 shown]
	v_add3_u32 v54, v54, v89, v87
	v_mul_i32_i24_e32 v87, v3, v230
	v_mul_i32_i24_e32 v89, v5, v240
	s_delay_alu instid0(VALU_DEP_4) | instskip(SKIP_2) | instid1(VALU_DEP_4)
	v_add3_u32 v2, v2, v55, v56
	v_bfe_i32 v55, v92, 0, 8
	v_ashrrev_i32_e32 v56, 24, v92
	v_add3_u32 v4, v4, v87, v89
	v_mul_i32_i24_e32 v87, v3, v232
	v_mul_i32_i24_e32 v89, v5, v242
	s_delay_alu instid0(VALU_DEP_1) | instskip(SKIP_4) | instid1(VALU_DEP_3)
	v_add3_u32 v6, v6, v87, v89
	v_mul_i32_i24_e32 v87, v59, v148
	v_mul_i32_i24_e32 v89, v57, v189
	;; [unrolled: 1-line block ×4, first 2 shown]
	v_add3_u32 v7, v7, v89, v87
	v_mul_i32_i24_e32 v87, v37, v230
	v_mul_i32_i24_e32 v89, v51, v240
	s_delay_alu instid0(VALU_DEP_4) | instskip(SKIP_2) | instid1(VALU_DEP_4)
	v_add3_u32 v17, v17, v57, v59
	v_bfe_i32 v57, v97, 0, 8
	v_ashrrev_i32_e32 v59, 24, v97
	v_add3_u32 v38, v38, v87, v89
	v_mul_i32_i24_e32 v87, v37, v232
	v_mul_i32_i24_e32 v89, v51, v242
	s_delay_alu instid0(VALU_DEP_1) | instskip(SKIP_4) | instid1(VALU_DEP_3)
	v_add3_u32 v52, v52, v87, v89
	v_mul_i32_i24_e32 v87, v65, v149
	v_mul_i32_i24_e32 v89, v60, v185
	;; [unrolled: 1-line block ×4, first 2 shown]
	v_add3_u32 v54, v54, v87, v89
	v_mul_i32_i24_e32 v87, v55, v235
	v_mul_i32_i24_e32 v89, v56, v234
	s_delay_alu instid0(VALU_DEP_4)
	v_add3_u32 v2, v2, v65, v60
	v_bfe_i32 v60, v92, 8, 8
	v_bfe_i32 v65, v92, 16, 8
	ds_load_2addr_b32 v[91:92], v8 offset1:3
	v_add3_u32 v4, v4, v89, v87
	v_mul_i32_i24_e32 v87, v55, v238
	v_mul_i32_i24_e32 v89, v56, v239
	s_delay_alu instid0(VALU_DEP_1) | instskip(SKIP_4) | instid1(VALU_DEP_3)
	v_add3_u32 v6, v6, v89, v87
	v_mul_i32_i24_e32 v87, v85, v149
	v_mul_i32_i24_e32 v89, v73, v185
	v_mul_i32_i24_e32 v85, v85, v165
	v_mul_i32_i24_e32 v73, v73, v191
	v_add3_u32 v7, v7, v87, v89
	v_mul_i32_i24_e32 v87, v57, v235
	v_mul_i32_i24_e32 v89, v59, v234
	s_delay_alu instid0(VALU_DEP_4)
	v_add3_u32 v17, v17, v85, v73
	v_bfe_i32 v73, v97, 8, 8
	v_bfe_i32 v85, v97, 16, 8
	s_wait_dscnt 0x0
	v_bfe_i32 v8, v92, 8, 8
	v_add3_u32 v38, v38, v89, v87
	v_mul_i32_i24_e32 v87, v57, v238
	v_mul_i32_i24_e32 v89, v59, v239
	s_delay_alu instid0(VALU_DEP_1) | instskip(SKIP_4) | instid1(VALU_DEP_3)
	v_add3_u32 v52, v52, v89, v87
	v_mul_i32_i24_e32 v87, v3, v146
	v_mul_i32_i24_e32 v89, v5, v145
	;; [unrolled: 1-line block ×4, first 2 shown]
	v_add3_u32 v54, v54, v87, v89
	v_mul_i32_i24_e32 v87, v60, v217
	v_mul_i32_i24_e32 v89, v65, v231
	s_delay_alu instid0(VALU_DEP_4) | instskip(NEXT) | instid1(VALU_DEP_2)
	v_add3_u32 v2, v2, v3, v5
	v_add3_u32 v4, v4, v87, v89
	v_mul_i32_i24_e32 v87, v60, v219
	v_mul_i32_i24_e32 v89, v65, v233
	s_delay_alu instid0(VALU_DEP_1) | instskip(SKIP_2) | instid1(VALU_DEP_1)
	v_add3_u32 v6, v6, v87, v89
	v_mul_i32_i24_e32 v87, v37, v146
	v_mul_i32_i24_e32 v89, v51, v145
	v_add3_u32 v7, v7, v87, v89
	v_mul_i32_i24_e32 v87, v73, v217
	v_mul_i32_i24_e32 v89, v85, v231
	s_delay_alu instid0(VALU_DEP_1) | instskip(SKIP_2) | instid1(VALU_DEP_1)
	v_add3_u32 v38, v38, v87, v89
	v_mul_i32_i24_e32 v87, v73, v219
	v_mul_i32_i24_e32 v89, v85, v233
	v_add3_u32 v52, v52, v87, v89
	v_mul_i32_i24_e32 v87, v55, v142
	v_mul_i32_i24_e32 v89, v56, v141
	s_delay_alu instid0(VALU_DEP_1) | instskip(SKIP_4) | instid1(VALU_DEP_2)
	v_add3_u32 v54, v54, v89, v87
	ds_load_2addr_b32 v[89:90], v1 offset1:3
	s_wait_dscnt 0x0
	v_bfe_i32 v1, v90, 8, 8
	v_ashrrev_i32_e32 v3, 24, v90
	v_mul_i32_i24_e32 v5, v1, v223
	s_delay_alu instid0(VALU_DEP_2) | instskip(NEXT) | instid1(VALU_DEP_1)
	v_mul_i32_i24_e32 v87, v3, v222
	v_add3_u32 v4, v4, v87, v5
	v_mul_i32_i24_e32 v5, v1, v224
	v_mul_i32_i24_e32 v87, v3, v225
	s_delay_alu instid0(VALU_DEP_1) | instskip(SKIP_2) | instid1(VALU_DEP_1)
	v_add3_u32 v5, v6, v87, v5
	v_mul_i32_i24_e32 v6, v57, v142
	v_mul_i32_i24_e32 v87, v59, v141
	v_add3_u32 v6, v7, v87, v6
	v_mul_i32_i24_e32 v7, v37, v158
	v_mul_i32_i24_e32 v37, v51, v153
	s_delay_alu instid0(VALU_DEP_1) | instskip(SKIP_2) | instid1(VALU_DEP_2)
	v_add3_u32 v7, v17, v7, v37
	v_ashrrev_i32_e32 v17, 24, v92
	v_mul_i32_i24_e32 v37, v8, v223
	v_mul_i32_i24_e32 v51, v17, v222
	s_delay_alu instid0(VALU_DEP_1) | instskip(SKIP_2) | instid1(VALU_DEP_1)
	v_add3_u32 v37, v38, v51, v37
	v_mul_i32_i24_e32 v38, v8, v224
	v_mul_i32_i24_e32 v51, v17, v225
	v_add3_u32 v38, v52, v51, v38
	v_mul_i32_i24_e32 v51, v65, v135
	v_mul_i32_i24_e32 v52, v60, v182
	s_delay_alu instid0(VALU_DEP_1) | instskip(SKIP_2) | instid1(VALU_DEP_1)
	v_add3_u32 v51, v54, v52, v51
	v_mul_i32_i24_e32 v52, v55, v169
	v_mul_i32_i24_e32 v54, v56, v168
	v_add3_u32 v2, v2, v54, v52
	v_bfe_i32 v52, v90, 0, 8
	v_bfe_i32 v54, v90, 16, 8
	s_delay_alu instid0(VALU_DEP_2) | instskip(NEXT) | instid1(VALU_DEP_2)
	v_mul_i32_i24_e32 v55, v52, v209
	v_mul_i32_i24_e32 v56, v54, v216
	s_delay_alu instid0(VALU_DEP_1) | instskip(SKIP_2) | instid1(VALU_DEP_1)
	v_add3_u32 v4, v4, v55, v56
	v_mul_i32_i24_e32 v55, v52, v210
	v_mul_i32_i24_e32 v56, v54, v218
	v_add3_u32 v5, v5, v55, v56
	v_mul_i32_i24_e32 v55, v85, v135
	v_mul_i32_i24_e32 v56, v73, v182
	s_delay_alu instid0(VALU_DEP_1) | instskip(SKIP_2) | instid1(VALU_DEP_1)
	v_add3_u32 v6, v6, v56, v55
	v_mul_i32_i24_e32 v55, v57, v169
	v_mul_i32_i24_e32 v56, v59, v168
	v_add3_u32 v7, v7, v56, v55
	v_bfe_i32 v55, v92, 0, 8
	v_bfe_i32 v56, v92, 16, 8
	s_delay_alu instid0(VALU_DEP_2) | instskip(NEXT) | instid1(VALU_DEP_2)
	v_mul_i32_i24_e32 v57, v55, v209
	v_mul_i32_i24_e32 v59, v56, v216
	s_delay_alu instid0(VALU_DEP_1) | instskip(SKIP_2) | instid1(VALU_DEP_1)
	v_add3_u32 v37, v37, v57, v59
	v_mul_i32_i24_e32 v57, v55, v210
	v_mul_i32_i24_e32 v59, v56, v218
	v_add3_u32 v38, v38, v57, v59
	v_mul_i32_i24_e32 v57, v3, v154
	v_mul_i32_i24_e32 v59, v1, v178
	;; [unrolled: 1-line block ×4, first 2 shown]
	s_delay_alu instid0(VALU_DEP_3) | instskip(SKIP_2) | instid1(VALU_DEP_1)
	v_add3_u32 v51, v51, v57, v59
	v_mul_i32_i24_e32 v57, v65, v163
	v_mul_i32_i24_e32 v59, v60, v181
	v_add3_u32 v2, v2, v59, v57
	v_bfe_i32 v57, v86, 0, 8
	v_ashrrev_i32_e32 v59, 24, v86
	s_delay_alu instid0(VALU_DEP_3) | instskip(NEXT) | instid1(VALU_DEP_3)
	v_add3_u32 v1, v2, v3, v1
	v_mul_i32_i24_e32 v60, v57, v213
	s_delay_alu instid0(VALU_DEP_3) | instskip(SKIP_2) | instid1(VALU_DEP_3)
	v_mul_i32_i24_e32 v65, v59, v212
	v_bfe_i32 v2, v86, 8, 8
	v_bfe_i32 v3, v86, 16, 8
	v_add3_u32 v4, v4, v65, v60
	v_mul_i32_i24_e32 v60, v57, v214
	v_mul_i32_i24_e32 v65, v59, v215
	s_delay_alu instid0(VALU_DEP_1) | instskip(SKIP_4) | instid1(VALU_DEP_3)
	v_add3_u32 v5, v5, v65, v60
	v_mul_i32_i24_e32 v60, v17, v154
	v_mul_i32_i24_e32 v65, v8, v178
	;; [unrolled: 1-line block ×4, first 2 shown]
	v_add3_u32 v6, v6, v60, v65
	v_mul_i32_i24_e32 v60, v85, v163
	v_mul_i32_i24_e32 v65, v73, v181
	s_delay_alu instid0(VALU_DEP_1) | instskip(SKIP_2) | instid1(VALU_DEP_3)
	v_add3_u32 v7, v7, v65, v60
	v_bfe_i32 v60, v88, 0, 8
	v_ashrrev_i32_e32 v65, 24, v88
	v_add3_u32 v7, v7, v17, v8
	s_delay_alu instid0(VALU_DEP_3) | instskip(NEXT) | instid1(VALU_DEP_3)
	v_mul_i32_i24_e32 v73, v60, v213
	v_mul_i32_i24_e32 v85, v65, v212
	v_bfe_i32 v8, v88, 8, 8
	v_bfe_i32 v17, v88, 16, 8
	s_delay_alu instid0(VALU_DEP_3) | instskip(SKIP_2) | instid1(VALU_DEP_1)
	v_add3_u32 v37, v37, v85, v73
	v_mul_i32_i24_e32 v73, v60, v214
	v_mul_i32_i24_e32 v85, v65, v215
	v_add3_u32 v38, v38, v85, v73
	v_mul_i32_i24_e32 v73, v52, v150
	v_mul_i32_i24_e32 v85, v54, v147
	;; [unrolled: 1-line block ×4, first 2 shown]
	s_delay_alu instid0(VALU_DEP_3) | instskip(SKIP_2) | instid1(VALU_DEP_4)
	v_add3_u32 v51, v51, v73, v85
	v_mul_i32_i24_e32 v73, v2, v204
	v_mul_i32_i24_e32 v85, v3, v208
	v_add3_u32 v1, v1, v52, v54
	v_bfe_i32 v52, v89, 0, 8
	v_bfe_i32 v54, v89, 8, 8
	s_delay_alu instid0(VALU_DEP_4) | instskip(SKIP_2) | instid1(VALU_DEP_1)
	v_add3_u32 v4, v4, v73, v85
	v_mul_i32_i24_e32 v73, v2, v207
	v_mul_i32_i24_e32 v85, v3, v211
	v_add3_u32 v5, v5, v73, v85
	v_mul_i32_i24_e32 v73, v55, v150
	v_mul_i32_i24_e32 v85, v56, v147
	;; [unrolled: 1-line block ×4, first 2 shown]
	s_delay_alu instid0(VALU_DEP_3) | instskip(SKIP_2) | instid1(VALU_DEP_4)
	v_add3_u32 v6, v6, v73, v85
	v_mul_i32_i24_e32 v73, v8, v204
	v_mul_i32_i24_e32 v85, v17, v208
	v_add3_u32 v7, v7, v55, v56
	v_bfe_i32 v55, v91, 0, 8
	v_bfe_i32 v56, v91, 8, 8
	s_delay_alu instid0(VALU_DEP_4) | instskip(SKIP_2) | instid1(VALU_DEP_1)
	v_add3_u32 v37, v37, v73, v85
	v_mul_i32_i24_e32 v73, v8, v207
	v_mul_i32_i24_e32 v85, v17, v211
	v_add3_u32 v38, v38, v73, v85
	v_mul_i32_i24_e32 v73, v57, v144
	v_mul_i32_i24_e32 v85, v59, v143
	;; [unrolled: 1-line block ×4, first 2 shown]
	s_delay_alu instid0(VALU_DEP_3) | instskip(SKIP_2) | instid1(VALU_DEP_4)
	v_add3_u32 v51, v51, v85, v73
	v_mul_i32_i24_e32 v73, v52, v130
	v_mul_i32_i24_e32 v85, v54, v129
	v_add3_u32 v1, v1, v59, v57
	v_bfe_i32 v57, v89, 16, 8
	v_ashrrev_i32_e32 v59, 24, v89
	s_delay_alu instid0(VALU_DEP_4) | instskip(SKIP_2) | instid1(VALU_DEP_1)
	v_add3_u32 v4, v4, v73, v85
	v_mul_i32_i24_e32 v73, v52, v133
	v_mul_i32_i24_e32 v85, v54, v134
	v_add3_u32 v5, v5, v73, v85
	v_mul_i32_i24_e32 v73, v60, v144
	v_mul_i32_i24_e32 v85, v65, v143
	;; [unrolled: 1-line block ×4, first 2 shown]
	s_delay_alu instid0(VALU_DEP_3) | instskip(SKIP_2) | instid1(VALU_DEP_4)
	v_add3_u32 v6, v6, v85, v73
	v_mul_i32_i24_e32 v73, v55, v130
	v_mul_i32_i24_e32 v85, v56, v129
	v_add3_u32 v7, v7, v65, v60
	v_bfe_i32 v60, v91, 16, 8
	v_ashrrev_i32_e32 v65, 24, v91
	s_delay_alu instid0(VALU_DEP_4) | instskip(SKIP_2) | instid1(VALU_DEP_1)
	v_add3_u32 v37, v37, v73, v85
	v_mul_i32_i24_e32 v73, v55, v133
	v_mul_i32_i24_e32 v85, v56, v134
	v_add3_u32 v38, v38, v73, v85
	v_mul_i32_i24_e32 v73, v3, v140
	v_mul_i32_i24_e32 v85, v2, v176
	;; [unrolled: 1-line block ×4, first 2 shown]
	s_delay_alu instid0(VALU_DEP_3) | instskip(SKIP_2) | instid1(VALU_DEP_4)
	v_add3_u32 v51, v51, v85, v73
	v_mul_i32_i24_e32 v73, v57, v127
	v_mul_i32_i24_e32 v85, v59, v128
	v_add3_u32 v1, v1, v2, v3
	v_mul_i32_i24_e32 v2, v126, v55
	v_mul_i32_i24_e32 v3, v20, v56
	s_delay_alu instid0(VALU_DEP_4) | instskip(SKIP_2) | instid1(VALU_DEP_3)
	v_add3_u32 v4, v4, v73, v85
	v_mul_i32_i24_e32 v73, v57, v131
	v_mul_i32_i24_e32 v85, v59, v132
	v_cvt_f32_i32_e32 v4, v4
	s_delay_alu instid0(VALU_DEP_2) | instskip(SKIP_2) | instid1(VALU_DEP_3)
	v_add3_u32 v5, v5, v73, v85
	v_mul_i32_i24_e32 v73, v17, v140
	v_mul_i32_i24_e32 v85, v8, v176
	v_cvt_f32_i32_e32 v5, v5
	s_delay_alu instid0(VALU_DEP_2) | instskip(SKIP_2) | instid1(VALU_DEP_3)
	v_add3_u32 v6, v6, v85, v73
	v_mul_i32_i24_e32 v73, v60, v127
	v_mul_i32_i24_e32 v85, v65, v128
	v_add3_u32 v2, v6, v2, v3
	v_mul_i32_i24_e32 v3, v17, v156
	s_delay_alu instid0(VALU_DEP_3) | instskip(SKIP_4) | instid1(VALU_DEP_3)
	v_add3_u32 v37, v37, v73, v85
	v_mul_i32_i24_e32 v73, v60, v131
	v_mul_i32_i24_e32 v85, v65, v132
	;; [unrolled: 1-line block ×4, first 2 shown]
	v_add3_u32 v38, v38, v73, v85
	v_mul_i32_i24_e32 v73, v126, v52
	v_mul_i32_i24_e32 v85, v20, v54
	v_add3_u32 v3, v7, v6, v3
	v_mul_i32_i24_e32 v6, v124, v57
	v_mul_i32_i24_e32 v7, v125, v59
	s_delay_alu instid0(VALU_DEP_4) | instskip(SKIP_4) | instid1(VALU_DEP_1)
	v_add3_u32 v51, v51, v73, v85
	ds_load_2addr_b32 v[85:86], v116 offset0:128 offset1:160
	v_add_nc_u32_e32 v73, 0x1c04, v117
	v_add3_u32 v6, v51, v6, v7
	v_mul_i32_i24_e32 v7, v138, v52
	v_add3_u32 v1, v1, v7, v8
	v_mul_i32_i24_e32 v7, v124, v60
	v_mul_i32_i24_e32 v8, v125, v65
	s_delay_alu instid0(VALU_DEP_1) | instskip(SKIP_2) | instid1(VALU_DEP_3)
	v_add3_u32 v2, v2, v7, v8
	v_mul_i32_i24_e32 v7, v138, v55
	v_mul_i32_i24_e32 v8, v139, v56
	v_cvt_f32_i32_e32 v2, v2
	s_delay_alu instid0(VALU_DEP_2) | instskip(SKIP_2) | instid1(VALU_DEP_1)
	v_add3_u32 v3, v3, v7, v8
	v_mul_i32_i24_e32 v7, v136, v57
	v_mul_i32_i24_e32 v8, v137, v59
	v_add3_u32 v1, v1, v7, v8
	v_mul_i32_i24_e32 v7, v136, v60
	v_mul_i32_i24_e32 v8, v137, v65
	s_delay_alu instid0(VALU_DEP_3) | instskip(NEXT) | instid1(VALU_DEP_2)
	v_cvt_f32_i32_e32 v1, v1
	v_add3_u32 v3, v3, v7, v8
	s_wait_dscnt 0x0
	v_lshrrev_b32_e32 v7, 16, v85
	s_delay_alu instid0(VALU_DEP_2) | instskip(NEXT) | instid1(VALU_DEP_2)
	v_cvt_f32_i32_e32 v3, v3
	v_cvt_f32_f16_e32 v7, v7
	s_delay_alu instid0(VALU_DEP_1) | instskip(NEXT) | instid1(VALU_DEP_1)
	v_mul_f32_e32 v7, 0x41000000, v7
	v_fma_mix_f32 v17, v85, v1, -v7 op_sel_hi:[1,0,0]
	v_lshrrev_b32_e32 v1, 16, v86
	v_fma_mix_f32 v96, v85, v5, -v7 op_sel_hi:[1,0,0]
	v_cvt_f32_i32_e32 v5, v6
	v_cvt_f32_i32_e32 v6, v38
	v_fma_mix_f32 v4, v85, v4, -v7 op_sel_hi:[1,0,0]
	v_cvt_f32_f16_e32 v1, v1
	v_fmac_f32_e32 v43, v123, v17
	v_fma_mix_f32 v95, v85, v5, -v7 op_sel_hi:[1,0,0]
	v_cvt_f32_i32_e32 v5, v37
	s_delay_alu instid0(VALU_DEP_4) | instskip(NEXT) | instid1(VALU_DEP_1)
	v_mul_f32_e32 v1, 0x41000000, v1
	v_fma_mix_f32 v5, v86, v5, -v1 op_sel_hi:[1,0,0]
	v_fma_mix_f32 v6, v86, v6, -v1 op_sel_hi:[1,0,0]
	;; [unrolled: 1-line block ×4, first 2 shown]
	s_delay_alu instid0(VALU_DEP_1)
	v_dual_fmac_f32 v36, v123, v94 :: v_dual_add_nc_u32 v1, 0x1800, v117
	ds_load_2addr_b32 v[85:86], v1 offset0:4 offset1:7
	s_wait_dscnt 0x0
	v_bfe_i32 v2, v85, 8, 8
	v_bfe_i32 v3, v85, 0, 8
	;; [unrolled: 1-line block ×3, first 2 shown]
	v_ashrrev_i32_e32 v37, 24, v85
	s_delay_alu instid0(VALU_DEP_4) | instskip(NEXT) | instid1(VALU_DEP_3)
	v_mul_i32_i24_e32 v7, v2, v200
	v_mul_i32_i24_e32 v38, v8, v203
	s_delay_alu instid0(VALU_DEP_3) | instskip(SKIP_1) | instid1(VALU_DEP_4)
	v_mul_i32_i24_e32 v51, v37, v202
	v_mul_i32_i24_e32 v52, v37, v206
	v_mad_i32_i24 v7, v3, v198, v7
	v_mul_i32_i24_e32 v99, v171, v37
	v_mul_i32_i24_e32 v37, v184, v37
	s_delay_alu instid0(VALU_DEP_3) | instskip(SKIP_2) | instid1(VALU_DEP_2)
	v_add3_u32 v7, v7, v38, v51
	v_mul_i32_i24_e32 v38, v2, v199
	v_mul_i32_i24_e32 v51, v8, v205
	v_mad_i32_i24 v38, v3, v196, v38
	s_delay_alu instid0(VALU_DEP_1)
	v_add3_u32 v38, v38, v51, v52
	v_add_nc_u32_e32 v51, 0x1c00, v117
	ds_load_2addr_b32 v[87:88], v51 offset0:4 offset1:7
	s_wait_dscnt 0x0
	v_bfe_i32 v52, v87, 8, 8
	v_bfe_i32 v55, v87, 0, 8
	;; [unrolled: 1-line block ×3, first 2 shown]
	v_ashrrev_i32_e32 v59, 24, v87
	s_delay_alu instid0(VALU_DEP_4) | instskip(NEXT) | instid1(VALU_DEP_3)
	v_mul_i32_i24_e32 v54, v52, v200
	v_mul_i32_i24_e32 v57, v56, v203
	s_delay_alu instid0(VALU_DEP_3) | instskip(SKIP_1) | instid1(VALU_DEP_4)
	v_mul_i32_i24_e32 v60, v59, v202
	v_mul_i32_i24_e32 v65, v59, v206
	v_mad_i32_i24 v54, v55, v198, v54
	v_mul_i32_i24_e32 v109, v171, v59
	v_mul_i32_i24_e32 v59, v184, v59
	s_delay_alu instid0(VALU_DEP_3) | instskip(SKIP_2) | instid1(VALU_DEP_2)
	v_add3_u32 v54, v54, v57, v60
	v_mul_i32_i24_e32 v57, v52, v199
	v_mul_i32_i24_e32 v60, v56, v205
	v_mad_i32_i24 v57, v55, v196, v57
	s_delay_alu instid0(VALU_DEP_1)
	v_add3_u32 v57, v57, v60, v65
	v_add_nc_u32_e32 v60, 0x1804, v117
	v_add_nc_u32_e32 v65, 0x1814, v117
	ds_load_2addr_b32 v[89:90], v60 offset1:1
	ds_load_2addr_b32 v[91:92], v65 offset1:1
	;; [unrolled: 1-line block ×3, first 2 shown]
	s_wait_dscnt 0x2
	v_bfe_i32 v60, v89, 8, 8
	v_ashrrev_i32_e32 v65, 24, v89
	s_wait_dscnt 0x0
	v_ashrrev_i32_e32 v87, 24, v198
	s_delay_alu instid0(VALU_DEP_3) | instskip(NEXT) | instid1(VALU_DEP_3)
	v_mul_i32_i24_e32 v73, v60, v227
	v_mul_i32_i24_e32 v85, v65, v226
	s_delay_alu instid0(VALU_DEP_3) | instskip(NEXT) | instid1(VALU_DEP_2)
	v_mul_i32_i24_e32 v93, v87, v226
	v_add3_u32 v7, v7, v85, v73
	v_mul_i32_i24_e32 v73, v60, v228
	v_mul_i32_i24_e32 v85, v65, v229
	s_delay_alu instid0(VALU_DEP_1) | instskip(SKIP_1) | instid1(VALU_DEP_1)
	v_add3_u32 v38, v38, v85, v73
	v_bfe_i32 v73, v198, 8, 8
	v_mul_i32_i24_e32 v85, v73, v227
	s_delay_alu instid0(VALU_DEP_1) | instskip(SKIP_2) | instid1(VALU_DEP_1)
	v_add3_u32 v54, v54, v93, v85
	v_mul_i32_i24_e32 v85, v73, v228
	v_mul_i32_i24_e32 v93, v87, v229
	v_add3_u32 v57, v57, v93, v85
	v_mul_i32_i24_e32 v85, v190, v2
	v_mul_i32_i24_e32 v93, v167, v8
	;; [unrolled: 1-line block ×4, first 2 shown]
	s_delay_alu instid0(VALU_DEP_4) | instskip(NEXT) | instid1(VALU_DEP_3)
	v_mad_i32_i24 v85, v174, v3, v85
	v_mad_i32_i24 v2, v186, v3, v2
	s_delay_alu instid0(VALU_DEP_2) | instskip(SKIP_2) | instid1(VALU_DEP_4)
	v_add3_u32 v85, v85, v93, v99
	v_bfe_i32 v93, v89, 0, 8
	v_bfe_i32 v89, v89, 16, 8
	v_add3_u32 v2, v2, v8, v37
	v_bfe_i32 v8, v91, 0, 8
	v_ashrrev_i32_e32 v37, 24, v91
	v_mul_i32_i24_e32 v99, v93, v220
	v_mul_i32_i24_e32 v108, v89, v241
	s_delay_alu instid0(VALU_DEP_1) | instskip(SKIP_2) | instid1(VALU_DEP_1)
	v_add3_u32 v7, v7, v99, v108
	v_mul_i32_i24_e32 v99, v93, v221
	v_mul_i32_i24_e32 v108, v89, v243
	v_add3_u32 v38, v38, v99, v108
	v_mul_i32_i24_e32 v99, v190, v52
	v_mul_i32_i24_e32 v108, v167, v56
	;; [unrolled: 1-line block ×4, first 2 shown]
	s_delay_alu instid0(VALU_DEP_4) | instskip(NEXT) | instid1(VALU_DEP_3)
	v_mad_i32_i24 v99, v174, v55, v99
	v_mad_i32_i24 v3, v186, v55, v52
	v_bfe_i32 v52, v198, 0, 8
	s_delay_alu instid0(VALU_DEP_3) | instskip(SKIP_1) | instid1(VALU_DEP_4)
	v_add3_u32 v99, v99, v108, v109
	v_bfe_i32 v108, v198, 16, 8
	v_add3_u32 v3, v3, v56, v59
	s_delay_alu instid0(VALU_DEP_4) | instskip(SKIP_3) | instid1(VALU_DEP_1)
	v_mul_i32_i24_e32 v55, v52, v220
	v_add_nc_u32_e32 v56, 0x1c14, v117
	v_add_nc_u32_e32 v117, 32, v117
	v_mul_i32_i24_e32 v109, v108, v241
	v_add3_u32 v54, v54, v55, v109
	v_mul_i32_i24_e32 v55, v52, v221
	v_mul_i32_i24_e32 v109, v108, v243
	s_delay_alu instid0(VALU_DEP_1) | instskip(SKIP_3) | instid1(VALU_DEP_2)
	v_add3_u32 v55, v57, v55, v109
	v_mul_i32_i24_e32 v57, v65, v170
	v_mul_i32_i24_e32 v109, v60, v187
	;; [unrolled: 1-line block ×3, first 2 shown]
	v_add3_u32 v57, v85, v57, v109
	v_mul_i32_i24_e32 v85, v8, v250
	v_mul_i32_i24_e32 v109, v37, v249
	s_delay_alu instid0(VALU_DEP_1) | instskip(SKIP_2) | instid1(VALU_DEP_1)
	v_add3_u32 v7, v7, v109, v85
	v_mul_i32_i24_e32 v85, v8, v252
	v_mul_i32_i24_e32 v109, v37, v253
	v_add3_u32 v38, v38, v109, v85
	v_mul_i32_i24_e32 v85, v87, v170
	ds_load_2addr_b32 v[170:171], v56 offset1:1
	v_mul_i32_i24_e32 v109, v73, v187
	v_mul_i32_i24_e32 v73, v73, v192
	s_delay_alu instid0(VALU_DEP_2) | instskip(SKIP_3) | instid1(VALU_DEP_2)
	v_add3_u32 v85, v99, v85, v109
	s_wait_dscnt 0x0
	v_bfe_i32 v56, v170, 0, 8
	v_ashrrev_i32_e32 v99, 24, v170
	v_mul_i32_i24_e32 v59, v56, v250
	s_delay_alu instid0(VALU_DEP_2) | instskip(NEXT) | instid1(VALU_DEP_1)
	v_mul_i32_i24_e32 v109, v99, v249
	v_add3_u32 v54, v54, v109, v59
	v_mul_i32_i24_e32 v59, v56, v252
	v_mul_i32_i24_e32 v109, v99, v253
	s_delay_alu instid0(VALU_DEP_1) | instskip(SKIP_3) | instid1(VALU_DEP_2)
	v_add3_u32 v55, v55, v109, v59
	v_mul_i32_i24_e32 v59, v93, v164
	v_mul_i32_i24_e32 v109, v89, v159
	;; [unrolled: 1-line block ×3, first 2 shown]
	v_add3_u32 v57, v57, v59, v109
	v_mul_i32_i24_e32 v59, v65, v179
	s_delay_alu instid0(VALU_DEP_1) | instskip(SKIP_2) | instid1(VALU_DEP_2)
	v_add3_u32 v2, v2, v59, v60
	v_bfe_i32 v59, v91, 8, 8
	v_bfe_i32 v60, v91, 16, 8
	v_mul_i32_i24_e32 v65, v59, v236
	s_delay_alu instid0(VALU_DEP_2) | instskip(NEXT) | instid1(VALU_DEP_1)
	v_mul_i32_i24_e32 v91, v60, v248
	v_add3_u32 v7, v7, v65, v91
	v_mul_i32_i24_e32 v65, v59, v237
	v_mul_i32_i24_e32 v91, v60, v251
	s_delay_alu instid0(VALU_DEP_1) | instskip(SKIP_3) | instid1(VALU_DEP_2)
	v_add3_u32 v38, v38, v65, v91
	v_mul_i32_i24_e32 v65, v52, v164
	v_mul_i32_i24_e32 v91, v108, v159
	;; [unrolled: 1-line block ×3, first 2 shown]
	v_add3_u32 v65, v85, v65, v91
	v_mul_i32_i24_e32 v85, v87, v179
	v_bfe_i32 v87, v170, 16, 8
	s_delay_alu instid0(VALU_DEP_2) | instskip(SKIP_1) | instid1(VALU_DEP_3)
	v_add3_u32 v3, v3, v85, v73
	v_bfe_i32 v73, v170, 8, 8
	v_mul_i32_i24_e32 v91, v87, v248
	s_delay_alu instid0(VALU_DEP_2) | instskip(NEXT) | instid1(VALU_DEP_1)
	v_mul_i32_i24_e32 v85, v73, v236
	v_add3_u32 v54, v54, v85, v91
	v_mul_i32_i24_e32 v85, v73, v237
	v_mul_i32_i24_e32 v91, v87, v251
	s_delay_alu instid0(VALU_DEP_1) | instskip(SKIP_4) | instid1(VALU_DEP_3)
	v_add3_u32 v55, v55, v85, v91
	v_mul_i32_i24_e32 v85, v8, v160
	v_mul_i32_i24_e32 v91, v37, v157
	;; [unrolled: 1-line block ×4, first 2 shown]
	v_add3_u32 v57, v57, v91, v85
	v_mul_i32_i24_e32 v85, v93, v177
	s_delay_alu instid0(VALU_DEP_1) | instskip(SKIP_2) | instid1(VALU_DEP_3)
	v_add3_u32 v2, v2, v85, v89
	v_bfe_i32 v85, v90, 8, 8
	v_ashrrev_i32_e32 v89, 24, v90
	v_add3_u32 v2, v2, v37, v8
	s_delay_alu instid0(VALU_DEP_3) | instskip(NEXT) | instid1(VALU_DEP_3)
	v_mul_i32_i24_e32 v91, v85, v245
	v_mul_i32_i24_e32 v93, v89, v244
	v_bfe_i32 v8, v90, 0, 8
	v_bfe_i32 v37, v90, 16, 8
	s_delay_alu instid0(VALU_DEP_3) | instskip(SKIP_3) | instid1(VALU_DEP_2)
	v_add3_u32 v7, v7, v93, v91
	v_mul_i32_i24_e32 v91, v85, v246
	v_mul_i32_i24_e32 v93, v89, v247
	;; [unrolled: 1-line block ×3, first 2 shown]
	v_add3_u32 v38, v38, v93, v91
	v_mul_i32_i24_e32 v91, v56, v160
	v_mul_i32_i24_e32 v93, v99, v157
	;; [unrolled: 1-line block ×3, first 2 shown]
	s_delay_alu instid0(VALU_DEP_2) | instskip(SKIP_2) | instid1(VALU_DEP_2)
	v_add3_u32 v65, v65, v93, v91
	v_mul_i32_i24_e32 v91, v108, v173
	v_ashrrev_i32_e32 v93, 24, v199
	v_add3_u32 v3, v3, v52, v91
	v_bfe_i32 v52, v199, 8, 8
	s_delay_alu instid0(VALU_DEP_3) | instskip(NEXT) | instid1(VALU_DEP_2)
	v_mul_i32_i24_e32 v108, v93, v244
	v_mul_i32_i24_e32 v91, v52, v245
	s_delay_alu instid0(VALU_DEP_1) | instskip(SKIP_2) | instid1(VALU_DEP_1)
	v_add3_u32 v54, v54, v108, v91
	v_mul_i32_i24_e32 v91, v52, v246
	v_mul_i32_i24_e32 v108, v93, v247
	v_add3_u32 v55, v55, v108, v91
	v_mul_i32_i24_e32 v91, v60, v148
	v_mul_i32_i24_e32 v108, v59, v189
	;; [unrolled: 1-line block ×4, first 2 shown]
	s_delay_alu instid0(VALU_DEP_3) | instskip(SKIP_1) | instid1(VALU_DEP_3)
	v_add3_u32 v57, v57, v108, v91
	v_mul_i32_i24_e32 v91, v37, v240
	v_add3_u32 v2, v2, v59, v60
	v_bfe_i32 v59, v92, 0, 8
	v_ashrrev_i32_e32 v60, 24, v92
	s_delay_alu instid0(VALU_DEP_4) | instskip(SKIP_2) | instid1(VALU_DEP_1)
	v_add3_u32 v7, v7, v90, v91
	v_mul_i32_i24_e32 v90, v8, v232
	v_mul_i32_i24_e32 v91, v37, v242
	v_add3_u32 v38, v38, v90, v91
	v_mul_i32_i24_e32 v90, v87, v148
	v_mul_i32_i24_e32 v91, v73, v189
	;; [unrolled: 1-line block ×4, first 2 shown]
	s_delay_alu instid0(VALU_DEP_3) | instskip(SKIP_2) | instid1(VALU_DEP_2)
	v_add3_u32 v65, v65, v91, v90
	v_mul_i32_i24_e32 v90, v99, v175
	v_bfe_i32 v91, v199, 16, 8
	v_add3_u32 v3, v3, v90, v56
	v_bfe_i32 v56, v199, 0, 8
	s_delay_alu instid0(VALU_DEP_3) | instskip(NEXT) | instid1(VALU_DEP_3)
	v_mul_i32_i24_e32 v99, v91, v240
	v_add3_u32 v3, v3, v73, v87
	s_delay_alu instid0(VALU_DEP_3) | instskip(SKIP_1) | instid1(VALU_DEP_2)
	v_mul_i32_i24_e32 v90, v56, v230
	v_bfe_i32 v73, v171, 0, 8
	v_add3_u32 v54, v54, v90, v99
	v_mul_i32_i24_e32 v90, v56, v232
	v_mul_i32_i24_e32 v99, v91, v242
	s_delay_alu instid0(VALU_DEP_4) | instskip(NEXT) | instid1(VALU_DEP_2)
	v_mul_i32_i24_e32 v87, v73, v235
	v_add3_u32 v55, v55, v90, v99
	v_mul_i32_i24_e32 v90, v89, v149
	v_mul_i32_i24_e32 v99, v85, v185
	;; [unrolled: 1-line block ×3, first 2 shown]
	s_delay_alu instid0(VALU_DEP_2) | instskip(SKIP_2) | instid1(VALU_DEP_1)
	v_add3_u32 v57, v57, v90, v99
	v_mul_i32_i24_e32 v90, v59, v235
	v_mul_i32_i24_e32 v99, v60, v234
	v_add3_u32 v7, v7, v99, v90
	v_mul_i32_i24_e32 v90, v59, v238
	v_mul_i32_i24_e32 v99, v60, v239
	s_delay_alu instid0(VALU_DEP_1) | instskip(SKIP_3) | instid1(VALU_DEP_2)
	v_add3_u32 v38, v38, v99, v90
	v_mul_i32_i24_e32 v90, v93, v149
	v_mul_i32_i24_e32 v99, v52, v185
	;; [unrolled: 1-line block ×3, first 2 shown]
	v_add3_u32 v65, v65, v90, v99
	v_ashrrev_i32_e32 v99, 24, v171
	s_delay_alu instid0(VALU_DEP_1) | instskip(NEXT) | instid1(VALU_DEP_1)
	v_mul_i32_i24_e32 v90, v99, v234
	v_add3_u32 v54, v54, v90, v87
	v_mul_i32_i24_e32 v87, v73, v238
	v_mul_i32_i24_e32 v90, v99, v239
	s_delay_alu instid0(VALU_DEP_1) | instskip(SKIP_4) | instid1(VALU_DEP_3)
	v_add3_u32 v55, v55, v90, v87
	v_mul_i32_i24_e32 v87, v8, v146
	v_mul_i32_i24_e32 v90, v37, v145
	;; [unrolled: 1-line block ×4, first 2 shown]
	v_add3_u32 v57, v57, v87, v90
	v_mul_i32_i24_e32 v87, v89, v165
	s_delay_alu instid0(VALU_DEP_1) | instskip(SKIP_2) | instid1(VALU_DEP_3)
	v_add3_u32 v2, v2, v87, v85
	v_bfe_i32 v85, v92, 8, 8
	v_bfe_i32 v87, v92, 16, 8
	v_add3_u32 v2, v2, v8, v37
	s_delay_alu instid0(VALU_DEP_3) | instskip(NEXT) | instid1(VALU_DEP_3)
	v_mul_i32_i24_e32 v89, v85, v217
	v_mul_i32_i24_e32 v90, v87, v231
	s_delay_alu instid0(VALU_DEP_1) | instskip(SKIP_2) | instid1(VALU_DEP_1)
	v_add3_u32 v7, v7, v89, v90
	v_mul_i32_i24_e32 v89, v85, v219
	v_mul_i32_i24_e32 v90, v87, v233
	v_add3_u32 v38, v38, v89, v90
	v_mul_i32_i24_e32 v89, v56, v146
	v_mul_i32_i24_e32 v90, v91, v145
	;; [unrolled: 1-line block ×3, first 2 shown]
	s_delay_alu instid0(VALU_DEP_2) | instskip(SKIP_2) | instid1(VALU_DEP_2)
	v_add3_u32 v65, v65, v89, v90
	v_mul_i32_i24_e32 v89, v93, v165
	v_bfe_i32 v93, v171, 16, 8
	v_add3_u32 v3, v3, v89, v52
	v_bfe_i32 v52, v171, 8, 8
	s_delay_alu instid0(VALU_DEP_3) | instskip(NEXT) | instid1(VALU_DEP_2)
	v_mul_i32_i24_e32 v90, v93, v231
	v_mul_i32_i24_e32 v89, v52, v217
	s_delay_alu instid0(VALU_DEP_1) | instskip(SKIP_2) | instid1(VALU_DEP_1)
	v_add3_u32 v54, v54, v89, v90
	v_mul_i32_i24_e32 v89, v52, v219
	v_mul_i32_i24_e32 v90, v93, v233
	v_add3_u32 v55, v55, v89, v90
	v_mul_i32_i24_e32 v89, v59, v142
	v_mul_i32_i24_e32 v90, v60, v141
	s_delay_alu instid0(VALU_DEP_1) | instskip(SKIP_4) | instid1(VALU_DEP_2)
	v_add3_u32 v57, v57, v90, v89
	ds_load_2addr_b32 v[89:90], v1 offset1:3
	s_wait_dscnt 0x0
	v_bfe_i32 v1, v90, 8, 8
	v_ashrrev_i32_e32 v8, 24, v90
	v_mul_i32_i24_e32 v37, v1, v223
	s_delay_alu instid0(VALU_DEP_2) | instskip(NEXT) | instid1(VALU_DEP_1)
	v_mul_i32_i24_e32 v92, v8, v222
	v_add3_u32 v7, v7, v92, v37
	v_mul_i32_i24_e32 v37, v1, v224
	v_mul_i32_i24_e32 v92, v8, v225
	s_delay_alu instid0(VALU_DEP_1) | instskip(SKIP_2) | instid1(VALU_DEP_1)
	v_add3_u32 v37, v38, v92, v37
	v_mul_i32_i24_e32 v38, v73, v142
	v_mul_i32_i24_e32 v92, v99, v141
	v_add3_u32 v38, v65, v92, v38
	v_mul_i32_i24_e32 v65, v91, v153
	ds_load_2addr_b32 v[91:92], v51 offset1:3
	v_add3_u32 v3, v3, v56, v65
	s_wait_dscnt 0x0
	v_bfe_i32 v51, v92, 8, 8
	v_ashrrev_i32_e32 v65, 24, v92
	s_delay_alu instid0(VALU_DEP_2) | instskip(NEXT) | instid1(VALU_DEP_2)
	v_mul_i32_i24_e32 v56, v51, v223
	v_mul_i32_i24_e32 v108, v65, v222
	s_delay_alu instid0(VALU_DEP_1) | instskip(SKIP_2) | instid1(VALU_DEP_1)
	v_add3_u32 v54, v54, v108, v56
	v_mul_i32_i24_e32 v56, v51, v224
	v_mul_i32_i24_e32 v108, v65, v225
	v_add3_u32 v55, v55, v108, v56
	v_mul_i32_i24_e32 v56, v87, v135
	v_mul_i32_i24_e32 v108, v85, v182
	v_mul_i32_i24_e32 v85, v85, v181
	s_delay_alu instid0(VALU_DEP_2) | instskip(SKIP_2) | instid1(VALU_DEP_1)
	v_add3_u32 v56, v57, v108, v56
	v_mul_i32_i24_e32 v57, v59, v169
	v_mul_i32_i24_e32 v59, v60, v168
	v_add3_u32 v2, v2, v59, v57
	v_bfe_i32 v57, v90, 0, 8
	v_bfe_i32 v59, v90, 16, 8
	s_delay_alu instid0(VALU_DEP_2) | instskip(NEXT) | instid1(VALU_DEP_2)
	v_mul_i32_i24_e32 v60, v57, v209
	v_mul_i32_i24_e32 v90, v59, v216
	s_delay_alu instid0(VALU_DEP_1) | instskip(SKIP_2) | instid1(VALU_DEP_1)
	v_add3_u32 v7, v7, v60, v90
	v_mul_i32_i24_e32 v60, v57, v210
	v_mul_i32_i24_e32 v90, v59, v218
	v_add3_u32 v37, v37, v60, v90
	v_mul_i32_i24_e32 v60, v93, v135
	v_mul_i32_i24_e32 v90, v52, v182
	;; [unrolled: 1-line block ×3, first 2 shown]
	s_delay_alu instid0(VALU_DEP_2) | instskip(SKIP_3) | instid1(VALU_DEP_2)
	v_add3_u32 v38, v38, v90, v60
	v_mul_i32_i24_e32 v60, v73, v169
	v_mul_i32_i24_e32 v73, v99, v168
	v_bfe_i32 v90, v92, 16, 8
	v_add3_u32 v3, v3, v73, v60
	v_bfe_i32 v60, v92, 0, 8
	s_delay_alu instid0(VALU_DEP_3) | instskip(NEXT) | instid1(VALU_DEP_2)
	v_mul_i32_i24_e32 v92, v90, v216
	v_mul_i32_i24_e32 v73, v60, v209
	s_delay_alu instid0(VALU_DEP_1) | instskip(SKIP_2) | instid1(VALU_DEP_1)
	v_add3_u32 v54, v54, v73, v92
	v_mul_i32_i24_e32 v73, v60, v210
	v_mul_i32_i24_e32 v92, v90, v218
	v_add3_u32 v55, v55, v73, v92
	v_mul_i32_i24_e32 v73, v8, v154
	v_mul_i32_i24_e32 v92, v1, v178
	;; [unrolled: 1-line block ×4, first 2 shown]
	s_delay_alu instid0(VALU_DEP_3) | instskip(SKIP_1) | instid1(VALU_DEP_1)
	v_add3_u32 v56, v56, v73, v92
	v_mul_i32_i24_e32 v73, v87, v163
	v_add3_u32 v2, v2, v85, v73
	v_bfe_i32 v73, v86, 0, 8
	v_ashrrev_i32_e32 v85, 24, v86
	s_delay_alu instid0(VALU_DEP_3) | instskip(NEXT) | instid1(VALU_DEP_3)
	v_add3_u32 v1, v2, v8, v1
	v_mul_i32_i24_e32 v87, v73, v213
	s_delay_alu instid0(VALU_DEP_3) | instskip(SKIP_2) | instid1(VALU_DEP_3)
	v_mul_i32_i24_e32 v92, v85, v212
	v_bfe_i32 v2, v86, 8, 8
	v_bfe_i32 v8, v86, 16, 8
	v_add3_u32 v7, v7, v92, v87
	v_mul_i32_i24_e32 v87, v73, v214
	v_mul_i32_i24_e32 v92, v85, v215
	;; [unrolled: 1-line block ×3, first 2 shown]
	s_delay_alu instid0(VALU_DEP_2) | instskip(SKIP_4) | instid1(VALU_DEP_3)
	v_add3_u32 v37, v37, v92, v87
	v_mul_i32_i24_e32 v87, v65, v154
	v_mul_i32_i24_e32 v92, v51, v178
	;; [unrolled: 1-line block ×4, first 2 shown]
	v_add3_u32 v38, v38, v87, v92
	v_mul_i32_i24_e32 v87, v93, v163
	v_ashrrev_i32_e32 v92, 24, v88
	s_delay_alu instid0(VALU_DEP_2) | instskip(SKIP_1) | instid1(VALU_DEP_3)
	v_add3_u32 v3, v3, v52, v87
	v_bfe_i32 v52, v88, 0, 8
	v_mul_i32_i24_e32 v93, v92, v212
	s_delay_alu instid0(VALU_DEP_3) | instskip(NEXT) | instid1(VALU_DEP_3)
	v_add3_u32 v3, v3, v65, v51
	v_mul_i32_i24_e32 v87, v52, v213
	v_bfe_i32 v51, v88, 8, 8
	v_bfe_i32 v65, v88, 16, 8
	s_delay_alu instid0(VALU_DEP_3) | instskip(SKIP_2) | instid1(VALU_DEP_1)
	v_add3_u32 v54, v54, v93, v87
	v_mul_i32_i24_e32 v87, v52, v214
	v_mul_i32_i24_e32 v93, v92, v215
	v_add3_u32 v55, v55, v93, v87
	v_mul_i32_i24_e32 v87, v57, v150
	v_mul_i32_i24_e32 v93, v59, v147
	;; [unrolled: 1-line block ×4, first 2 shown]
	s_delay_alu instid0(VALU_DEP_3) | instskip(SKIP_1) | instid1(VALU_DEP_3)
	v_add3_u32 v56, v56, v87, v93
	v_mul_i32_i24_e32 v87, v8, v208
	v_add3_u32 v1, v1, v57, v59
	v_bfe_i32 v57, v89, 0, 8
	v_bfe_i32 v59, v89, 8, 8
	s_delay_alu instid0(VALU_DEP_4) | instskip(SKIP_2) | instid1(VALU_DEP_1)
	v_add3_u32 v7, v7, v86, v87
	v_mul_i32_i24_e32 v86, v2, v207
	v_mul_i32_i24_e32 v87, v8, v211
	v_add3_u32 v37, v37, v86, v87
	v_mul_i32_i24_e32 v86, v60, v150
	v_mul_i32_i24_e32 v87, v90, v147
	;; [unrolled: 1-line block ×3, first 2 shown]
	s_delay_alu instid0(VALU_DEP_2) | instskip(SKIP_2) | instid1(VALU_DEP_1)
	v_add3_u32 v38, v38, v86, v87
	v_mul_i32_i24_e32 v86, v51, v204
	v_mul_i32_i24_e32 v87, v65, v208
	v_add3_u32 v54, v54, v86, v87
	v_mul_i32_i24_e32 v86, v51, v207
	v_mul_i32_i24_e32 v87, v65, v211
	s_delay_alu instid0(VALU_DEP_1) | instskip(SKIP_4) | instid1(VALU_DEP_3)
	v_add3_u32 v55, v55, v86, v87
	v_mul_i32_i24_e32 v86, v73, v144
	v_mul_i32_i24_e32 v87, v85, v143
	;; [unrolled: 1-line block ×4, first 2 shown]
	v_add3_u32 v56, v56, v87, v86
	v_mul_i32_i24_e32 v86, v57, v130
	v_mul_i32_i24_e32 v87, v59, v129
	s_delay_alu instid0(VALU_DEP_4) | instskip(SKIP_2) | instid1(VALU_DEP_4)
	v_add3_u32 v1, v1, v85, v73
	v_bfe_i32 v73, v89, 16, 8
	v_ashrrev_i32_e32 v85, 24, v89
	v_add3_u32 v7, v7, v86, v87
	v_mul_i32_i24_e32 v86, v57, v133
	v_mul_i32_i24_e32 v87, v59, v134
	s_delay_alu instid0(VALU_DEP_1) | instskip(SKIP_3) | instid1(VALU_DEP_2)
	v_add3_u32 v37, v37, v86, v87
	v_mul_i32_i24_e32 v86, v52, v144
	v_mul_i32_i24_e32 v87, v92, v143
	;; [unrolled: 1-line block ×3, first 2 shown]
	v_add3_u32 v38, v38, v87, v86
	v_mul_i32_i24_e32 v86, v90, v152
	v_bfe_i32 v87, v91, 8, 8
	s_delay_alu instid0(VALU_DEP_2) | instskip(SKIP_1) | instid1(VALU_DEP_3)
	v_add3_u32 v3, v3, v60, v86
	v_bfe_i32 v60, v91, 0, 8
	v_mul_i32_i24_e32 v88, v87, v129
	s_delay_alu instid0(VALU_DEP_2) | instskip(NEXT) | instid1(VALU_DEP_1)
	v_mul_i32_i24_e32 v86, v60, v130
	v_add3_u32 v54, v54, v86, v88
	v_mul_i32_i24_e32 v86, v60, v133
	v_mul_i32_i24_e32 v88, v87, v134
	s_delay_alu instid0(VALU_DEP_1) | instskip(SKIP_4) | instid1(VALU_DEP_3)
	v_add3_u32 v55, v55, v86, v88
	v_mul_i32_i24_e32 v86, v8, v140
	v_mul_i32_i24_e32 v88, v2, v176
	;; [unrolled: 1-line block ×4, first 2 shown]
	v_add3_u32 v56, v56, v88, v86
	v_mul_i32_i24_e32 v86, v73, v127
	v_mul_i32_i24_e32 v88, v85, v128
	s_delay_alu instid0(VALU_DEP_4) | instskip(SKIP_2) | instid1(VALU_DEP_4)
	v_add3_u32 v1, v1, v2, v8
	v_mul_i32_i24_e32 v2, v126, v60
	v_mul_i32_i24_e32 v8, v20, v87
	v_add3_u32 v7, v7, v86, v88
	v_mul_i32_i24_e32 v86, v73, v131
	v_mul_i32_i24_e32 v88, v85, v132
	s_delay_alu instid0(VALU_DEP_3) | instskip(NEXT) | instid1(VALU_DEP_2)
	v_cvt_f32_i32_e32 v7, v7
	v_add3_u32 v37, v37, v86, v88
	v_mul_i32_i24_e32 v86, v65, v140
	v_mul_i32_i24_e32 v88, v51, v176
	s_delay_alu instid0(VALU_DEP_3) | instskip(NEXT) | instid1(VALU_DEP_2)
	v_cvt_f32_i32_e32 v37, v37
	v_add3_u32 v38, v38, v88, v86
	v_mul_i32_i24_e32 v86, v92, v162
	s_delay_alu instid0(VALU_DEP_2) | instskip(NEXT) | instid1(VALU_DEP_2)
	v_add3_u32 v2, v38, v2, v8
	v_add3_u32 v3, v3, v86, v52
	v_bfe_i32 v52, v91, 16, 8
	v_ashrrev_i32_e32 v86, 24, v91
	v_mul_i32_i24_e32 v8, v65, v156
	s_delay_alu instid0(VALU_DEP_3) | instskip(NEXT) | instid1(VALU_DEP_3)
	v_mul_i32_i24_e32 v88, v52, v127
	v_mul_i32_i24_e32 v89, v86, v128
	s_delay_alu instid0(VALU_DEP_1) | instskip(SKIP_2) | instid1(VALU_DEP_1)
	v_add3_u32 v54, v54, v88, v89
	v_mul_i32_i24_e32 v88, v52, v131
	v_mul_i32_i24_e32 v89, v86, v132
	v_add3_u32 v55, v55, v88, v89
	v_mul_i32_i24_e32 v88, v126, v57
	v_mul_i32_i24_e32 v89, v20, v59
	;; [unrolled: 1-line block ×4, first 2 shown]
	v_cvt_f32_i32_e32 v51, v55
	s_delay_alu instid0(VALU_DEP_4) | instskip(NEXT) | instid1(VALU_DEP_4)
	v_add3_u32 v56, v56, v88, v89
	v_add3_u32 v3, v3, v20, v8
	v_mul_i32_i24_e32 v8, v124, v73
	v_mul_i32_i24_e32 v20, v125, v85
	s_delay_alu instid0(VALU_DEP_1) | instskip(SKIP_1) | instid1(VALU_DEP_2)
	v_add3_u32 v8, v56, v8, v20
	v_mul_i32_i24_e32 v20, v138, v57
	v_cvt_f32_i32_e32 v8, v8
	s_delay_alu instid0(VALU_DEP_2) | instskip(SKIP_2) | instid1(VALU_DEP_1)
	v_add3_u32 v1, v1, v20, v21
	v_mul_i32_i24_e32 v20, v124, v52
	v_mul_i32_i24_e32 v21, v125, v86
	v_add3_u32 v2, v2, v20, v21
	v_mul_i32_i24_e32 v20, v138, v60
	v_mul_i32_i24_e32 v21, v139, v87
	s_delay_alu instid0(VALU_DEP_3) | instskip(NEXT) | instid1(VALU_DEP_2)
	v_cvt_f32_i32_e32 v2, v2
	v_add3_u32 v3, v3, v20, v21
	v_mul_i32_i24_e32 v20, v136, v73
	v_mul_i32_i24_e32 v21, v137, v85
	s_delay_alu instid0(VALU_DEP_1) | instskip(SKIP_2) | instid1(VALU_DEP_3)
	v_add3_u32 v1, v1, v20, v21
	v_mul_i32_i24_e32 v20, v136, v52
	v_mul_i32_i24_e32 v21, v137, v86
	v_cvt_f32_i32_e32 v1, v1
	s_delay_alu instid0(VALU_DEP_2)
	v_add3_u32 v3, v3, v20, v21
	ds_load_2addr_b32 v[20:21], v116 offset0:192 offset1:224
	v_add_nc_u32_e32 v116, 4, v116
	v_cvt_f32_i32_e32 v3, v3
	s_wait_dscnt 0x0
	v_lshrrev_b32_e32 v38, 16, v20
	s_delay_alu instid0(VALU_DEP_1) | instskip(NEXT) | instid1(VALU_DEP_1)
	v_cvt_f32_f16_e32 v38, v38
	v_mul_f32_e32 v38, 0x41000000, v38
	s_delay_alu instid0(VALU_DEP_1)
	v_fma_mix_f32 v7, v20, v7, -v38 op_sel_hi:[1,0,0]
	v_fma_mix_f32 v37, v20, v37, -v38 op_sel_hi:[1,0,0]
	;; [unrolled: 1-line block ×4, first 2 shown]
	v_lshrrev_b32_e32 v20, 16, v21
	v_cvt_f32_i32_e32 v38, v54
	s_delay_alu instid0(VALU_DEP_3) | instskip(NEXT) | instid1(VALU_DEP_3)
	v_fmac_f32_e32 v32, v123, v1
	v_cvt_f32_f16_e32 v20, v20
	s_delay_alu instid0(VALU_DEP_1) | instskip(NEXT) | instid1(VALU_DEP_1)
	v_mul_f32_e32 v20, 0x41000000, v20
	v_fma_mix_f32 v38, v21, v38, -v20 op_sel_hi:[1,0,0]
	v_fma_mix_f32 v51, v21, v51, -v20 op_sel_hi:[1,0,0]
	;; [unrolled: 1-line block ×4, first 2 shown]
	ds_load_b32 v20, v120
	v_add_nc_u32_e32 v120, 4, v120
	v_fmac_f32_e32 v28, v123, v3
	s_wait_dscnt 0x0
	v_fmac_f32_e32 v42, v20, v4
	ds_load_b32 v4, v121
	v_fmac_f32_e32 v74, v20, v195
	v_fmac_f32_e32 v61, v20, v103
	;; [unrolled: 1-line block ×7, first 2 shown]
	v_add_nc_u32_e32 v121, 4, v121
	s_wait_dscnt 0x0
	v_fmac_f32_e32 v69, v4, v25
	v_fmac_f32_e32 v58, v4, v101
	;; [unrolled: 1-line block ×8, first 2 shown]
	ds_load_b32 v4, v118
	v_add_nc_u32_e32 v118, 4, v118
	s_wait_dscnt 0x0
	v_fmac_f32_e32 v40, v4, v23
	v_fmac_f32_e32 v68, v4, v193
	;; [unrolled: 1-line block ×8, first 2 shown]
	s_cbranch_scc1 .LBB118_12
; %bb.13:                               ;   in Loop: Header=BB118_7 Depth=1
	s_wait_loadcnt 0x0
	s_barrier_signal -1
	s_barrier_wait -1
	global_inv scope:SCOPE_SE
	v_mov_b32_e32 v59, v71
	v_dual_mov_b32 v71, v13 :: v_dual_mov_b32 v6, v72
	v_dual_mov_b32 v5, v14 :: v_dual_mov_b32 v72, v81
	;; [unrolled: 1-line block ×3, first 2 shown]
	scratch_load_b64 v[80:81], off, off offset:136 ; 8-byte Folded Reload
	v_dual_mov_b32 v55, v9 :: v_dual_mov_b32 v56, v70
	v_dual_mov_b32 v57, v10 :: v_dual_mov_b32 v60, v11
	;; [unrolled: 1-line block ×4, first 2 shown]
	v_mov_b32_e32 v76, v82
	s_wait_loadcnt 0x0
	s_clause 0x2
	scratch_load_b64 v[81:82], off, off offset:144
	scratch_load_b32 v11, off, off offset:152
	scratch_load_b64 v[12:13], off, off offset:156
	v_dual_mov_b32 v9, v83 :: v_dual_mov_b32 v78, v84
	v_mov_b32_e32 v10, v16
	s_wait_loadcnt 0x0
	s_clause 0x4
	scratch_load_b32 v13, off, off offset:164
	scratch_load_b32 v82, off, off offset:168
	scratch_load_b64 v[83:84], off, off offset:172
	scratch_load_b32 v14, off, off offset:180
	scratch_load_b64 v[15:16], off, off offset:184
	s_wait_loadcnt 0x2
	scratch_load_b32 v84, off, off offset:192 ; 4-byte Folded Reload
	s_wait_loadcnt 0x1
	scratch_load_b32 v16, off, off offset:196 ; 4-byte Folded Reload
	s_branch .LBB118_5
.LBB118_14:
	scratch_load_b32 v1, off, off offset:220 th:TH_LOAD_LU ; 4-byte Folded Reload
	s_wait_loadcnt 0x7
	scratch_load_b32 v3, off, off offset:224 ; 4-byte Folded Reload
	s_wait_loadcnt 0x2
	v_mov_b32_e32 v2, v55
.LBB118_15:
	s_mov_b32 s0, exec_lo
	s_wait_loadcnt 0x0
	v_cmpx_gt_u32_e64 s6, v3
	s_cbranch_execz .LBB118_66
; %bb.16:
	v_add_nc_u32_e32 v0, s14, v2
	v_mul_lo_u32 v5, v3, s12
	s_delay_alu instid0(VALU_DEP_2)
	v_cmp_gt_u32_e32 vcc_lo, s12, v0
	s_and_saveexec_b32 s1, vcc_lo
	s_cbranch_execz .LBB118_18
; %bb.17:
	s_delay_alu instid0(VALU_DEP_2) | instskip(NEXT) | instid1(VALU_DEP_1)
	v_dual_mov_b32 v3, 0 :: v_dual_add_nc_u32 v2, v0, v5
	v_lshlrev_b64_e32 v[2:3], 2, v[2:3]
	s_wait_kmcnt 0x0
	s_delay_alu instid0(VALU_DEP_1) | instskip(NEXT) | instid1(VALU_DEP_1)
	v_add_co_u32 v2, s0, s8, v2
	v_add_co_ci_u32_e64 v3, null, s9, v3, s0
	global_store_b32 v[2:3], v40, off
.LBB118_18:
	s_or_b32 exec_lo, exec_lo, s1
	v_add_nc_u32_e32 v2, 32, v0
	s_delay_alu instid0(VALU_DEP_1)
	v_cmp_gt_u32_e64 s0, s12, v2
	s_and_saveexec_b32 s2, s0
	s_cbranch_execz .LBB118_20
; %bb.19:
	v_dual_mov_b32 v4, 0 :: v_dual_add_nc_u32 v3, v2, v5
	s_delay_alu instid0(VALU_DEP_1) | instskip(SKIP_1) | instid1(VALU_DEP_1)
	v_lshlrev_b64_e32 v[3:4], 2, v[3:4]
	s_wait_kmcnt 0x0
	v_add_co_u32 v3, s1, s8, v3
	s_wait_alu 0xf1ff
	s_delay_alu instid0(VALU_DEP_2)
	v_add_co_ci_u32_e64 v4, null, s9, v4, s1
	global_store_b32 v[3:4], v77, off
.LBB118_20:
	s_wait_alu 0xfffe
	s_or_b32 exec_lo, exec_lo, s2
	v_add_nc_u32_e32 v3, 64, v0
	s_delay_alu instid0(VALU_DEP_1)
	v_cmp_gt_u32_e64 s1, s12, v3
	s_and_saveexec_b32 s3, s1
	s_cbranch_execz .LBB118_22
; %bb.21:
	v_dual_mov_b32 v7, 0 :: v_dual_add_nc_u32 v6, v3, v5
	s_delay_alu instid0(VALU_DEP_1) | instskip(SKIP_1) | instid1(VALU_DEP_1)
	v_lshlrev_b64_e32 v[6:7], 2, v[6:7]
	s_wait_kmcnt 0x0
	v_add_co_u32 v6, s2, s8, v6
	s_wait_alu 0xf1ff
	s_delay_alu instid0(VALU_DEP_2)
	v_add_co_ci_u32_e64 v7, null, s9, v7, s2
	global_store_b32 v[6:7], v74, off
.LBB118_22:
	s_wait_alu 0xfffe
	;; [unrolled: 18-line block ×3, first 2 shown]
	s_or_b32 exec_lo, exec_lo, s4
	v_add3_u32 v5, v1, s13, 8
	s_delay_alu instid0(VALU_DEP_1)
	v_cmp_gt_u32_e64 s3, s6, v5
	s_and_b32 exec_lo, exec_lo, s3
	s_cbranch_execz .LBB118_66
; %bb.25:
	v_mul_lo_u32 v5, v5, s12
	s_and_saveexec_b32 s4, vcc_lo
	s_cbranch_execnz .LBB118_67
; %bb.26:
	s_wait_alu 0xfffe
	s_or_b32 exec_lo, exec_lo, s4
	s_and_saveexec_b32 s4, s0
	s_cbranch_execnz .LBB118_68
.LBB118_27:
	s_wait_alu 0xfffe
	s_or_b32 exec_lo, exec_lo, s4
	s_and_saveexec_b32 s4, s1
	s_cbranch_execnz .LBB118_69
.LBB118_28:
	s_wait_alu 0xfffe
	s_or_b32 exec_lo, exec_lo, s4
	s_and_saveexec_b32 s4, s2
	s_cbranch_execz .LBB118_30
.LBB118_29:
	v_dual_mov_b32 v6, 0 :: v_dual_add_nc_u32 v5, v5, v4
	s_delay_alu instid0(VALU_DEP_1) | instskip(SKIP_1) | instid1(VALU_DEP_1)
	v_lshlrev_b64_e32 v[5:6], 2, v[5:6]
	s_wait_kmcnt 0x0
	v_add_co_u32 v5, s3, s8, v5
	s_wait_alu 0xf1ff
	s_delay_alu instid0(VALU_DEP_2)
	v_add_co_ci_u32_e64 v6, null, s9, v6, s3
	global_store_b32 v[5:6], v64, off
.LBB118_30:
	s_wait_alu 0xfffe
	s_or_b32 exec_lo, exec_lo, s4
	v_add3_u32 v5, v1, s13, 16
	s_delay_alu instid0(VALU_DEP_1)
	v_cmp_gt_u32_e64 s3, s6, v5
	s_and_b32 exec_lo, exec_lo, s3
	s_cbranch_execz .LBB118_66
; %bb.31:
	v_mul_lo_u32 v5, v5, s12
	s_and_saveexec_b32 s4, vcc_lo
	s_cbranch_execnz .LBB118_70
; %bb.32:
	s_wait_alu 0xfffe
	s_or_b32 exec_lo, exec_lo, s4
	s_and_saveexec_b32 s4, s0
	s_cbranch_execnz .LBB118_71
.LBB118_33:
	s_wait_alu 0xfffe
	s_or_b32 exec_lo, exec_lo, s4
	s_and_saveexec_b32 s4, s1
	s_cbranch_execnz .LBB118_72
.LBB118_34:
	s_wait_alu 0xfffe
	s_or_b32 exec_lo, exec_lo, s4
	s_and_saveexec_b32 s4, s2
	s_cbranch_execz .LBB118_36
.LBB118_35:
	v_dual_mov_b32 v6, 0 :: v_dual_add_nc_u32 v5, v5, v4
	s_delay_alu instid0(VALU_DEP_1) | instskip(SKIP_1) | instid1(VALU_DEP_1)
	v_lshlrev_b64_e32 v[5:6], 2, v[5:6]
	s_wait_kmcnt 0x0
	v_add_co_u32 v5, s3, s8, v5
	s_wait_alu 0xf1ff
	s_delay_alu instid0(VALU_DEP_2)
	v_add_co_ci_u32_e64 v6, null, s9, v6, s3
	global_store_b32 v[5:6], v58, off
.LBB118_36:
	s_wait_alu 0xfffe
	s_or_b32 exec_lo, exec_lo, s4
	v_add3_u32 v5, v1, s13, 24
	s_delay_alu instid0(VALU_DEP_1)
	v_cmp_gt_u32_e64 s3, s6, v5
	s_and_b32 exec_lo, exec_lo, s3
	s_cbranch_execz .LBB118_66
; %bb.37:
	v_mul_lo_u32 v5, v5, s12
	s_and_saveexec_b32 s4, vcc_lo
	s_cbranch_execnz .LBB118_73
; %bb.38:
	s_wait_alu 0xfffe
	s_or_b32 exec_lo, exec_lo, s4
	s_and_saveexec_b32 s4, s0
	s_cbranch_execnz .LBB118_74
.LBB118_39:
	s_wait_alu 0xfffe
	s_or_b32 exec_lo, exec_lo, s4
	s_and_saveexec_b32 s4, s1
	s_cbranch_execnz .LBB118_75
.LBB118_40:
	s_wait_alu 0xfffe
	s_or_b32 exec_lo, exec_lo, s4
	s_and_saveexec_b32 s4, s2
	s_cbranch_execz .LBB118_42
.LBB118_41:
	v_dual_mov_b32 v6, 0 :: v_dual_add_nc_u32 v5, v5, v4
	s_delay_alu instid0(VALU_DEP_1) | instskip(SKIP_1) | instid1(VALU_DEP_1)
	v_lshlrev_b64_e32 v[5:6], 2, v[5:6]
	s_wait_kmcnt 0x0
	v_add_co_u32 v5, s3, s8, v5
	s_wait_alu 0xf1ff
	s_delay_alu instid0(VALU_DEP_2)
	v_add_co_ci_u32_e64 v6, null, s9, v6, s3
	global_store_b32 v[5:6], v45, off
.LBB118_42:
	s_wait_alu 0xfffe
	s_or_b32 exec_lo, exec_lo, s4
	v_add3_u32 v5, v1, s13, 32
	s_delay_alu instid0(VALU_DEP_1)
	v_cmp_gt_u32_e64 s3, s6, v5
	s_and_b32 exec_lo, exec_lo, s3
	s_cbranch_execz .LBB118_66
; %bb.43:
	v_mul_lo_u32 v5, v5, s12
	s_and_saveexec_b32 s4, vcc_lo
	s_cbranch_execnz .LBB118_76
; %bb.44:
	s_wait_alu 0xfffe
	s_or_b32 exec_lo, exec_lo, s4
	s_and_saveexec_b32 s4, s0
	s_cbranch_execnz .LBB118_77
.LBB118_45:
	s_wait_alu 0xfffe
	s_or_b32 exec_lo, exec_lo, s4
	s_and_saveexec_b32 s4, s1
	s_cbranch_execnz .LBB118_78
.LBB118_46:
	s_wait_alu 0xfffe
	s_or_b32 exec_lo, exec_lo, s4
	s_and_saveexec_b32 s4, s2
	s_cbranch_execz .LBB118_48
.LBB118_47:
	v_dual_mov_b32 v6, 0 :: v_dual_add_nc_u32 v5, v5, v4
	s_delay_alu instid0(VALU_DEP_1) | instskip(SKIP_1) | instid1(VALU_DEP_1)
	v_lshlrev_b64_e32 v[5:6], 2, v[5:6]
	s_wait_kmcnt 0x0
	v_add_co_u32 v5, s3, s8, v5
	s_wait_alu 0xf1ff
	s_delay_alu instid0(VALU_DEP_2)
	v_add_co_ci_u32_e64 v6, null, s9, v6, s3
	global_store_b32 v[5:6], v41, off
.LBB118_48:
	s_wait_alu 0xfffe
	s_or_b32 exec_lo, exec_lo, s4
	v_add3_u32 v5, v1, s13, 40
	s_delay_alu instid0(VALU_DEP_1)
	v_cmp_gt_u32_e64 s3, s6, v5
	s_and_b32 exec_lo, exec_lo, s3
	s_cbranch_execz .LBB118_66
; %bb.49:
	v_mul_lo_u32 v5, v5, s12
	s_and_saveexec_b32 s4, vcc_lo
	s_cbranch_execnz .LBB118_79
; %bb.50:
	s_wait_alu 0xfffe
	s_or_b32 exec_lo, exec_lo, s4
	s_and_saveexec_b32 s4, s0
	s_cbranch_execnz .LBB118_80
.LBB118_51:
	s_wait_alu 0xfffe
	s_or_b32 exec_lo, exec_lo, s4
	s_and_saveexec_b32 s4, s1
	s_cbranch_execnz .LBB118_81
.LBB118_52:
	s_wait_alu 0xfffe
	s_or_b32 exec_lo, exec_lo, s4
	s_and_saveexec_b32 s4, s2
	s_cbranch_execz .LBB118_54
.LBB118_53:
	v_dual_mov_b32 v6, 0 :: v_dual_add_nc_u32 v5, v5, v4
	s_delay_alu instid0(VALU_DEP_1) | instskip(SKIP_1) | instid1(VALU_DEP_1)
	v_lshlrev_b64_e32 v[5:6], 2, v[5:6]
	s_wait_kmcnt 0x0
	v_add_co_u32 v5, s3, s8, v5
	s_wait_alu 0xf1ff
	s_delay_alu instid0(VALU_DEP_2)
	v_add_co_ci_u32_e64 v6, null, s9, v6, s3
	global_store_b32 v[5:6], v34, off
.LBB118_54:
	s_wait_alu 0xfffe
	s_or_b32 exec_lo, exec_lo, s4
	v_add3_u32 v5, v1, s13, 48
	s_delay_alu instid0(VALU_DEP_1)
	v_cmp_gt_u32_e64 s3, s6, v5
	s_and_b32 exec_lo, exec_lo, s3
	s_cbranch_execz .LBB118_66
; %bb.55:
	v_mul_lo_u32 v5, v5, s12
	s_and_saveexec_b32 s4, vcc_lo
	s_cbranch_execnz .LBB118_82
; %bb.56:
	s_wait_alu 0xfffe
	s_or_b32 exec_lo, exec_lo, s4
	s_and_saveexec_b32 s4, s0
	s_cbranch_execnz .LBB118_83
.LBB118_57:
	s_wait_alu 0xfffe
	s_or_b32 exec_lo, exec_lo, s4
	s_and_saveexec_b32 s4, s1
	s_cbranch_execnz .LBB118_84
.LBB118_58:
	s_wait_alu 0xfffe
	s_or_b32 exec_lo, exec_lo, s4
	s_and_saveexec_b32 s4, s2
	s_cbranch_execz .LBB118_60
.LBB118_59:
	v_dual_mov_b32 v6, 0 :: v_dual_add_nc_u32 v5, v5, v4
	s_delay_alu instid0(VALU_DEP_1) | instskip(SKIP_1) | instid1(VALU_DEP_1)
	v_lshlrev_b64_e32 v[5:6], 2, v[5:6]
	s_wait_kmcnt 0x0
	v_add_co_u32 v5, s3, s8, v5
	s_wait_alu 0xf1ff
	s_delay_alu instid0(VALU_DEP_2)
	v_add_co_ci_u32_e64 v6, null, s9, v6, s3
	global_store_b32 v[5:6], v30, off
.LBB118_60:
	s_wait_alu 0xfffe
	s_or_b32 exec_lo, exec_lo, s4
	v_add3_u32 v1, v1, s13, 56
	s_delay_alu instid0(VALU_DEP_1)
	v_cmp_gt_u32_e64 s3, s6, v1
	s_and_b32 exec_lo, exec_lo, s3
	s_cbranch_execz .LBB118_66
; %bb.61:
	v_mul_lo_u32 v1, v1, s12
	s_and_saveexec_b32 s3, vcc_lo
	s_cbranch_execnz .LBB118_85
; %bb.62:
	s_wait_alu 0xfffe
	s_or_b32 exec_lo, exec_lo, s3
	s_and_saveexec_b32 s3, s0
	s_cbranch_execnz .LBB118_86
.LBB118_63:
	s_wait_alu 0xfffe
	s_or_b32 exec_lo, exec_lo, s3
	s_and_saveexec_b32 s0, s1
	s_cbranch_execnz .LBB118_87
.LBB118_64:
	s_wait_alu 0xfffe
	s_or_b32 exec_lo, exec_lo, s0
	s_delay_alu instid0(SALU_CYCLE_1)
	s_and_b32 exec_lo, exec_lo, s2
	s_cbranch_execz .LBB118_66
.LBB118_65:
	v_dual_mov_b32 v1, 0 :: v_dual_add_nc_u32 v0, v1, v4
	s_delay_alu instid0(VALU_DEP_1) | instskip(SKIP_1) | instid1(VALU_DEP_1)
	v_lshlrev_b64_e32 v[0:1], 2, v[0:1]
	s_wait_kmcnt 0x0
	v_add_co_u32 v0, vcc_lo, s8, v0
	s_wait_alu 0xfffd
	s_delay_alu instid0(VALU_DEP_2)
	v_add_co_ci_u32_e64 v1, null, s9, v1, vcc_lo
	global_store_b32 v[0:1], v26, off
.LBB118_66:
	s_nop 0
	s_sendmsg sendmsg(MSG_DEALLOC_VGPRS)
	s_endpgm
.LBB118_67:
	s_delay_alu instid0(VALU_DEP_1) | instskip(NEXT) | instid1(VALU_DEP_1)
	v_dual_mov_b32 v7, 0 :: v_dual_add_nc_u32 v6, v5, v0
	v_lshlrev_b64_e32 v[6:7], 2, v[6:7]
	s_wait_kmcnt 0x0
	s_delay_alu instid0(VALU_DEP_1) | instskip(SKIP_1) | instid1(VALU_DEP_2)
	v_add_co_u32 v6, s3, s8, v6
	s_wait_alu 0xf1ff
	v_add_co_ci_u32_e64 v7, null, s9, v7, s3
	global_store_b32 v[6:7], v68, off
	s_wait_alu 0xfffe
	s_or_b32 exec_lo, exec_lo, s4
	s_and_saveexec_b32 s4, s0
	s_cbranch_execz .LBB118_27
.LBB118_68:
	s_delay_alu instid0(VALU_DEP_1) | instskip(NEXT) | instid1(VALU_DEP_1)
	v_dual_mov_b32 v7, 0 :: v_dual_add_nc_u32 v6, v5, v2
	v_lshlrev_b64_e32 v[6:7], 2, v[6:7]
	s_wait_kmcnt 0x0
	s_delay_alu instid0(VALU_DEP_1) | instskip(SKIP_1) | instid1(VALU_DEP_2)
	v_add_co_u32 v6, s3, s8, v6
	s_wait_alu 0xf1ff
	v_add_co_ci_u32_e64 v7, null, s9, v7, s3
	global_store_b32 v[6:7], v67, off
	s_wait_alu 0xfffe
	s_or_b32 exec_lo, exec_lo, s4
	s_and_saveexec_b32 s4, s1
	s_cbranch_execz .LBB118_28
.LBB118_69:
	v_dual_mov_b32 v7, 0 :: v_dual_add_nc_u32 v6, v5, v3
	s_delay_alu instid0(VALU_DEP_1) | instskip(SKIP_1) | instid1(VALU_DEP_1)
	v_lshlrev_b64_e32 v[6:7], 2, v[6:7]
	s_wait_kmcnt 0x0
	v_add_co_u32 v6, s3, s8, v6
	s_wait_alu 0xf1ff
	s_delay_alu instid0(VALU_DEP_2)
	v_add_co_ci_u32_e64 v7, null, s9, v7, s3
	global_store_b32 v[6:7], v66, off
	s_wait_alu 0xfffe
	s_or_b32 exec_lo, exec_lo, s4
	s_and_saveexec_b32 s4, s2
	s_cbranch_execnz .LBB118_29
	s_branch .LBB118_30
.LBB118_70:
	s_delay_alu instid0(VALU_DEP_1) | instskip(NEXT) | instid1(VALU_DEP_1)
	v_dual_mov_b32 v7, 0 :: v_dual_add_nc_u32 v6, v5, v0
	v_lshlrev_b64_e32 v[6:7], 2, v[6:7]
	s_wait_kmcnt 0x0
	s_delay_alu instid0(VALU_DEP_1) | instskip(SKIP_1) | instid1(VALU_DEP_2)
	v_add_co_u32 v6, s3, s8, v6
	s_wait_alu 0xf1ff
	v_add_co_ci_u32_e64 v7, null, s9, v7, s3
	global_store_b32 v[6:7], v63, off
	s_wait_alu 0xfffe
	s_or_b32 exec_lo, exec_lo, s4
	s_and_saveexec_b32 s4, s0
	s_cbranch_execz .LBB118_33
.LBB118_71:
	s_delay_alu instid0(VALU_DEP_1) | instskip(NEXT) | instid1(VALU_DEP_1)
	v_dual_mov_b32 v7, 0 :: v_dual_add_nc_u32 v6, v5, v2
	v_lshlrev_b64_e32 v[6:7], 2, v[6:7]
	s_wait_kmcnt 0x0
	s_delay_alu instid0(VALU_DEP_1) | instskip(SKIP_1) | instid1(VALU_DEP_2)
	v_add_co_u32 v6, s3, s8, v6
	s_wait_alu 0xf1ff
	v_add_co_ci_u32_e64 v7, null, s9, v7, s3
	global_store_b32 v[6:7], v62, off
	s_wait_alu 0xfffe
	s_or_b32 exec_lo, exec_lo, s4
	s_and_saveexec_b32 s4, s1
	s_cbranch_execz .LBB118_34
.LBB118_72:
	v_dual_mov_b32 v7, 0 :: v_dual_add_nc_u32 v6, v5, v3
	s_delay_alu instid0(VALU_DEP_1) | instskip(SKIP_1) | instid1(VALU_DEP_1)
	v_lshlrev_b64_e32 v[6:7], 2, v[6:7]
	s_wait_kmcnt 0x0
	v_add_co_u32 v6, s3, s8, v6
	s_wait_alu 0xf1ff
	s_delay_alu instid0(VALU_DEP_2)
	v_add_co_ci_u32_e64 v7, null, s9, v7, s3
	global_store_b32 v[6:7], v61, off
	s_wait_alu 0xfffe
	s_or_b32 exec_lo, exec_lo, s4
	s_and_saveexec_b32 s4, s2
	s_cbranch_execnz .LBB118_35
	s_branch .LBB118_36
.LBB118_73:
	s_delay_alu instid0(VALU_DEP_1) | instskip(NEXT) | instid1(VALU_DEP_1)
	v_dual_mov_b32 v7, 0 :: v_dual_add_nc_u32 v6, v5, v0
	v_lshlrev_b64_e32 v[6:7], 2, v[6:7]
	s_wait_kmcnt 0x0
	s_delay_alu instid0(VALU_DEP_1) | instskip(SKIP_1) | instid1(VALU_DEP_2)
	v_add_co_u32 v6, s3, s8, v6
	s_wait_alu 0xf1ff
	v_add_co_ci_u32_e64 v7, null, s9, v7, s3
	global_store_b32 v[6:7], v53, off
	s_wait_alu 0xfffe
	s_or_b32 exec_lo, exec_lo, s4
	s_and_saveexec_b32 s4, s0
	s_cbranch_execz .LBB118_39
.LBB118_74:
	s_delay_alu instid0(VALU_DEP_1) | instskip(NEXT) | instid1(VALU_DEP_1)
	v_dual_mov_b32 v7, 0 :: v_dual_add_nc_u32 v6, v5, v2
	v_lshlrev_b64_e32 v[6:7], 2, v[6:7]
	s_wait_kmcnt 0x0
	s_delay_alu instid0(VALU_DEP_1) | instskip(SKIP_1) | instid1(VALU_DEP_2)
	v_add_co_u32 v6, s3, s8, v6
	s_wait_alu 0xf1ff
	v_add_co_ci_u32_e64 v7, null, s9, v7, s3
	global_store_b32 v[6:7], v49, off
	s_wait_alu 0xfffe
	s_or_b32 exec_lo, exec_lo, s4
	s_and_saveexec_b32 s4, s1
	s_cbranch_execz .LBB118_40
.LBB118_75:
	v_dual_mov_b32 v7, 0 :: v_dual_add_nc_u32 v6, v5, v3
	s_delay_alu instid0(VALU_DEP_1) | instskip(SKIP_1) | instid1(VALU_DEP_1)
	v_lshlrev_b64_e32 v[6:7], 2, v[6:7]
	s_wait_kmcnt 0x0
	v_add_co_u32 v6, s3, s8, v6
	s_wait_alu 0xf1ff
	s_delay_alu instid0(VALU_DEP_2)
	v_add_co_ci_u32_e64 v7, null, s9, v7, s3
	global_store_b32 v[6:7], v47, off
	s_wait_alu 0xfffe
	s_or_b32 exec_lo, exec_lo, s4
	s_and_saveexec_b32 s4, s2
	s_cbranch_execnz .LBB118_41
	s_branch .LBB118_42
.LBB118_76:
	s_delay_alu instid0(VALU_DEP_1) | instskip(NEXT) | instid1(VALU_DEP_1)
	v_dual_mov_b32 v7, 0 :: v_dual_add_nc_u32 v6, v5, v0
	v_lshlrev_b64_e32 v[6:7], 2, v[6:7]
	s_wait_kmcnt 0x0
	s_delay_alu instid0(VALU_DEP_1) | instskip(SKIP_1) | instid1(VALU_DEP_2)
	v_add_co_u32 v6, s3, s8, v6
	s_wait_alu 0xf1ff
	v_add_co_ci_u32_e64 v7, null, s9, v7, s3
	global_store_b32 v[6:7], v44, off
	s_wait_alu 0xfffe
	s_or_b32 exec_lo, exec_lo, s4
	s_and_saveexec_b32 s4, s0
	s_cbranch_execz .LBB118_45
.LBB118_77:
	s_delay_alu instid0(VALU_DEP_1) | instskip(NEXT) | instid1(VALU_DEP_1)
	v_dual_mov_b32 v7, 0 :: v_dual_add_nc_u32 v6, v5, v2
	v_lshlrev_b64_e32 v[6:7], 2, v[6:7]
	s_wait_kmcnt 0x0
	s_delay_alu instid0(VALU_DEP_1) | instskip(SKIP_1) | instid1(VALU_DEP_2)
	v_add_co_u32 v6, s3, s8, v6
	s_wait_alu 0xf1ff
	v_add_co_ci_u32_e64 v7, null, s9, v7, s3
	global_store_b32 v[6:7], v43, off
	s_wait_alu 0xfffe
	s_or_b32 exec_lo, exec_lo, s4
	s_and_saveexec_b32 s4, s1
	s_cbranch_execz .LBB118_46
.LBB118_78:
	v_dual_mov_b32 v7, 0 :: v_dual_add_nc_u32 v6, v5, v3
	s_delay_alu instid0(VALU_DEP_1) | instskip(SKIP_1) | instid1(VALU_DEP_1)
	v_lshlrev_b64_e32 v[6:7], 2, v[6:7]
	s_wait_kmcnt 0x0
	v_add_co_u32 v6, s3, s8, v6
	s_wait_alu 0xf1ff
	s_delay_alu instid0(VALU_DEP_2)
	v_add_co_ci_u32_e64 v7, null, s9, v7, s3
	global_store_b32 v[6:7], v42, off
	s_wait_alu 0xfffe
	s_or_b32 exec_lo, exec_lo, s4
	s_and_saveexec_b32 s4, s2
	s_cbranch_execnz .LBB118_47
	s_branch .LBB118_48
.LBB118_79:
	s_delay_alu instid0(VALU_DEP_1) | instskip(NEXT) | instid1(VALU_DEP_1)
	v_dual_mov_b32 v7, 0 :: v_dual_add_nc_u32 v6, v5, v0
	v_lshlrev_b64_e32 v[6:7], 2, v[6:7]
	s_wait_kmcnt 0x0
	s_delay_alu instid0(VALU_DEP_1) | instskip(SKIP_1) | instid1(VALU_DEP_2)
	v_add_co_u32 v6, s3, s8, v6
	s_wait_alu 0xf1ff
	v_add_co_ci_u32_e64 v7, null, s9, v7, s3
	global_store_b32 v[6:7], v39, off
	s_wait_alu 0xfffe
	s_or_b32 exec_lo, exec_lo, s4
	s_and_saveexec_b32 s4, s0
	s_cbranch_execz .LBB118_51
.LBB118_80:
	s_delay_alu instid0(VALU_DEP_1) | instskip(NEXT) | instid1(VALU_DEP_1)
	v_dual_mov_b32 v7, 0 :: v_dual_add_nc_u32 v6, v5, v2
	v_lshlrev_b64_e32 v[6:7], 2, v[6:7]
	s_wait_kmcnt 0x0
	s_delay_alu instid0(VALU_DEP_1) | instskip(SKIP_1) | instid1(VALU_DEP_2)
	v_add_co_u32 v6, s3, s8, v6
	s_wait_alu 0xf1ff
	v_add_co_ci_u32_e64 v7, null, s9, v7, s3
	global_store_b32 v[6:7], v36, off
	s_wait_alu 0xfffe
	s_or_b32 exec_lo, exec_lo, s4
	s_and_saveexec_b32 s4, s1
	s_cbranch_execz .LBB118_52
.LBB118_81:
	v_dual_mov_b32 v7, 0 :: v_dual_add_nc_u32 v6, v5, v3
	s_delay_alu instid0(VALU_DEP_1) | instskip(SKIP_1) | instid1(VALU_DEP_1)
	v_lshlrev_b64_e32 v[6:7], 2, v[6:7]
	s_wait_kmcnt 0x0
	v_add_co_u32 v6, s3, s8, v6
	s_wait_alu 0xf1ff
	s_delay_alu instid0(VALU_DEP_2)
	v_add_co_ci_u32_e64 v7, null, s9, v7, s3
	global_store_b32 v[6:7], v35, off
	s_wait_alu 0xfffe
	s_or_b32 exec_lo, exec_lo, s4
	s_and_saveexec_b32 s4, s2
	s_cbranch_execnz .LBB118_53
	s_branch .LBB118_54
.LBB118_82:
	s_delay_alu instid0(VALU_DEP_1) | instskip(NEXT) | instid1(VALU_DEP_1)
	v_dual_mov_b32 v7, 0 :: v_dual_add_nc_u32 v6, v5, v0
	v_lshlrev_b64_e32 v[6:7], 2, v[6:7]
	s_wait_kmcnt 0x0
	s_delay_alu instid0(VALU_DEP_1) | instskip(SKIP_1) | instid1(VALU_DEP_2)
	v_add_co_u32 v6, s3, s8, v6
	s_wait_alu 0xf1ff
	v_add_co_ci_u32_e64 v7, null, s9, v7, s3
	global_store_b32 v[6:7], v33, off
	s_wait_alu 0xfffe
	s_or_b32 exec_lo, exec_lo, s4
	s_and_saveexec_b32 s4, s0
	s_cbranch_execz .LBB118_57
.LBB118_83:
	s_delay_alu instid0(VALU_DEP_1) | instskip(NEXT) | instid1(VALU_DEP_1)
	v_dual_mov_b32 v7, 0 :: v_dual_add_nc_u32 v6, v5, v2
	v_lshlrev_b64_e32 v[6:7], 2, v[6:7]
	s_wait_kmcnt 0x0
	s_delay_alu instid0(VALU_DEP_1) | instskip(SKIP_1) | instid1(VALU_DEP_2)
	v_add_co_u32 v6, s3, s8, v6
	s_wait_alu 0xf1ff
	v_add_co_ci_u32_e64 v7, null, s9, v7, s3
	global_store_b32 v[6:7], v32, off
	s_wait_alu 0xfffe
	s_or_b32 exec_lo, exec_lo, s4
	s_and_saveexec_b32 s4, s1
	s_cbranch_execz .LBB118_58
.LBB118_84:
	v_dual_mov_b32 v7, 0 :: v_dual_add_nc_u32 v6, v5, v3
	s_delay_alu instid0(VALU_DEP_1) | instskip(SKIP_1) | instid1(VALU_DEP_1)
	v_lshlrev_b64_e32 v[6:7], 2, v[6:7]
	s_wait_kmcnt 0x0
	v_add_co_u32 v6, s3, s8, v6
	s_wait_alu 0xf1ff
	s_delay_alu instid0(VALU_DEP_2)
	v_add_co_ci_u32_e64 v7, null, s9, v7, s3
	global_store_b32 v[6:7], v31, off
	s_wait_alu 0xfffe
	s_or_b32 exec_lo, exec_lo, s4
	s_and_saveexec_b32 s4, s2
	s_cbranch_execnz .LBB118_59
	s_branch .LBB118_60
.LBB118_85:
	s_delay_alu instid0(VALU_DEP_1) | instskip(NEXT) | instid1(VALU_DEP_1)
	v_dual_mov_b32 v6, 0 :: v_dual_add_nc_u32 v5, v1, v0
	v_lshlrev_b64_e32 v[5:6], 2, v[5:6]
	s_wait_kmcnt 0x0
	s_delay_alu instid0(VALU_DEP_1) | instskip(SKIP_1) | instid1(VALU_DEP_2)
	v_add_co_u32 v5, vcc_lo, s8, v5
	s_wait_alu 0xfffd
	v_add_co_ci_u32_e64 v6, null, s9, v6, vcc_lo
	global_store_b32 v[5:6], v29, off
	s_wait_alu 0xfffe
	s_or_b32 exec_lo, exec_lo, s3
	s_and_saveexec_b32 s3, s0
	s_cbranch_execz .LBB118_63
.LBB118_86:
	s_delay_alu instid0(VALU_DEP_1) | instskip(NEXT) | instid1(VALU_DEP_1)
	v_dual_mov_b32 v6, 0 :: v_dual_add_nc_u32 v5, v1, v2
	v_lshlrev_b64_e32 v[5:6], 2, v[5:6]
	s_wait_kmcnt 0x0
	s_delay_alu instid0(VALU_DEP_1) | instskip(SKIP_1) | instid1(VALU_DEP_2)
	v_add_co_u32 v5, vcc_lo, s8, v5
	s_wait_alu 0xfffd
	v_add_co_ci_u32_e64 v6, null, s9, v6, vcc_lo
	global_store_b32 v[5:6], v28, off
	s_wait_alu 0xfffe
	s_or_b32 exec_lo, exec_lo, s3
	s_and_saveexec_b32 s0, s1
	s_cbranch_execz .LBB118_64
.LBB118_87:
	v_dual_mov_b32 v3, 0 :: v_dual_add_nc_u32 v2, v1, v3
	s_delay_alu instid0(VALU_DEP_1) | instskip(SKIP_1) | instid1(VALU_DEP_1)
	v_lshlrev_b64_e32 v[2:3], 2, v[2:3]
	s_wait_kmcnt 0x0
	v_add_co_u32 v2, vcc_lo, s8, v2
	s_wait_alu 0xfffd
	s_delay_alu instid0(VALU_DEP_2) | instskip(SKIP_3) | instid1(SALU_CYCLE_1)
	v_add_co_ci_u32_e64 v3, null, s9, v3, vcc_lo
	global_store_b32 v[2:3], v27, off
	s_wait_alu 0xfffe
	s_or_b32 exec_lo, exec_lo, s0
	s_and_b32 exec_lo, exec_lo, s2
	s_cbranch_execnz .LBB118_65
	s_branch .LBB118_66
	.section	.rodata,"a",@progbits
	.p2align	6, 0x0
	.amdhsa_kernel _ZL12mul_mat_q4_0IfLb1EEvPKvS1_PT_iiiii
		.amdhsa_group_segment_fixed_size 30336
		.amdhsa_private_segment_fixed_size 232
		.amdhsa_kernarg_size 44
		.amdhsa_user_sgpr_count 2
		.amdhsa_user_sgpr_dispatch_ptr 0
		.amdhsa_user_sgpr_queue_ptr 0
		.amdhsa_user_sgpr_kernarg_segment_ptr 1
		.amdhsa_user_sgpr_dispatch_id 0
		.amdhsa_user_sgpr_private_segment_size 0
		.amdhsa_wavefront_size32 1
		.amdhsa_uses_dynamic_stack 0
		.amdhsa_enable_private_segment 1
		.amdhsa_system_sgpr_workgroup_id_x 1
		.amdhsa_system_sgpr_workgroup_id_y 1
		.amdhsa_system_sgpr_workgroup_id_z 0
		.amdhsa_system_sgpr_workgroup_info 0
		.amdhsa_system_vgpr_workitem_id 1
		.amdhsa_next_free_vgpr 256
		.amdhsa_next_free_sgpr 17
		.amdhsa_reserve_vcc 1
		.amdhsa_float_round_mode_32 0
		.amdhsa_float_round_mode_16_64 0
		.amdhsa_float_denorm_mode_32 3
		.amdhsa_float_denorm_mode_16_64 3
		.amdhsa_fp16_overflow 0
		.amdhsa_workgroup_processor_mode 1
		.amdhsa_memory_ordered 1
		.amdhsa_forward_progress 1
		.amdhsa_inst_pref_size 255
		.amdhsa_round_robin_scheduling 0
		.amdhsa_exception_fp_ieee_invalid_op 0
		.amdhsa_exception_fp_denorm_src 0
		.amdhsa_exception_fp_ieee_div_zero 0
		.amdhsa_exception_fp_ieee_overflow 0
		.amdhsa_exception_fp_ieee_underflow 0
		.amdhsa_exception_fp_ieee_inexact 0
		.amdhsa_exception_int_div_zero 0
	.end_amdhsa_kernel
	.section	.text._ZL12mul_mat_q4_0IfLb1EEvPKvS1_PT_iiiii,"axG",@progbits,_ZL12mul_mat_q4_0IfLb1EEvPKvS1_PT_iiiii,comdat
.Lfunc_end118:
	.size	_ZL12mul_mat_q4_0IfLb1EEvPKvS1_PT_iiiii, .Lfunc_end118-_ZL12mul_mat_q4_0IfLb1EEvPKvS1_PT_iiiii
                                        ; -- End function
	.set _ZL12mul_mat_q4_0IfLb1EEvPKvS1_PT_iiiii.num_vgpr, 256
	.set _ZL12mul_mat_q4_0IfLb1EEvPKvS1_PT_iiiii.num_agpr, 0
	.set _ZL12mul_mat_q4_0IfLb1EEvPKvS1_PT_iiiii.numbered_sgpr, 17
	.set _ZL12mul_mat_q4_0IfLb1EEvPKvS1_PT_iiiii.num_named_barrier, 0
	.set _ZL12mul_mat_q4_0IfLb1EEvPKvS1_PT_iiiii.private_seg_size, 232
	.set _ZL12mul_mat_q4_0IfLb1EEvPKvS1_PT_iiiii.uses_vcc, 1
	.set _ZL12mul_mat_q4_0IfLb1EEvPKvS1_PT_iiiii.uses_flat_scratch, 1
	.set _ZL12mul_mat_q4_0IfLb1EEvPKvS1_PT_iiiii.has_dyn_sized_stack, 0
	.set _ZL12mul_mat_q4_0IfLb1EEvPKvS1_PT_iiiii.has_recursion, 0
	.set _ZL12mul_mat_q4_0IfLb1EEvPKvS1_PT_iiiii.has_indirect_call, 0
	.section	.AMDGPU.csdata,"",@progbits
; Kernel info:
; codeLenInByte = 36136
; TotalNumSgprs: 19
; NumVgprs: 256
; ScratchSize: 232
; MemoryBound: 0
; FloatMode: 240
; IeeeMode: 1
; LDSByteSize: 30336 bytes/workgroup (compile time only)
; SGPRBlocks: 0
; VGPRBlocks: 31
; NumSGPRsForWavesPerEU: 19
; NumVGPRsForWavesPerEU: 256
; Occupancy: 5
; WaveLimiterHint : 0
; COMPUTE_PGM_RSRC2:SCRATCH_EN: 1
; COMPUTE_PGM_RSRC2:USER_SGPR: 2
; COMPUTE_PGM_RSRC2:TRAP_HANDLER: 0
; COMPUTE_PGM_RSRC2:TGID_X_EN: 1
; COMPUTE_PGM_RSRC2:TGID_Y_EN: 1
; COMPUTE_PGM_RSRC2:TGID_Z_EN: 0
; COMPUTE_PGM_RSRC2:TIDIG_COMP_CNT: 1
	.section	.text._ZL12mul_mat_q4_1IfLb0EEvPKvS1_PT_iiiii,"axG",@progbits,_ZL12mul_mat_q4_1IfLb0EEvPKvS1_PT_iiiii,comdat
	.globl	_ZL12mul_mat_q4_1IfLb0EEvPKvS1_PT_iiiii ; -- Begin function _ZL12mul_mat_q4_1IfLb0EEvPKvS1_PT_iiiii
	.p2align	8
	.type	_ZL12mul_mat_q4_1IfLb0EEvPKvS1_PT_iiiii,@function
_ZL12mul_mat_q4_1IfLb0EEvPKvS1_PT_iiiii: ; @_ZL12mul_mat_q4_1IfLb0EEvPKvS1_PT_iiiii
; %bb.0:
	s_clause 0x1
	s_load_b32 s2, s[0:1], 0x18
	s_load_b96 s[4:6], s[0:1], 0x20
	v_bfe_u32 v1, v0, 10, 10
	s_lshl_b32 s7, ttmp7, 6
	scratch_store_b32 off, v1, off offset:500 ; 4-byte Folded Spill
	v_and_b32_e32 v1, 0x3ff, v0
	scratch_store_b32 off, v1, off offset:244 ; 4-byte Folded Spill
	s_wait_kmcnt 0x0
	s_cmp_gt_i32 s2, 31
	s_cbranch_scc1 .LBB119_2
; %bb.1:
	v_bfe_u32 v1, v0, 10, 10
	v_and_b32_e32 v2, 0x3ff, v0
	s_mov_b32 s3, 0
	s_delay_alu instid0(VALU_DEP_2)
	v_add_nc_u32_e32 v3, s7, v1
	scratch_store_b32 off, v3, off offset:496 ; 4-byte Folded Spill
	s_branch .LBB119_3
.LBB119_2:
	s_mov_b32 s3, -1
                                        ; implicit-def: $vgpr1
                                        ; implicit-def: $vgpr2
                                        ; implicit-def: $vgpr3
                                        ; kill: killed $vgpr3
.LBB119_3:
	s_load_b64 s[8:9], s[0:1], 0x10
	v_dual_mov_b32 v35, 0 :: v_dual_mov_b32 v160, 0
	v_dual_mov_b32 v39, 0 :: v_dual_mov_b32 v54, 0
	;; [unrolled: 1-line block ×13, first 2 shown]
	v_mov_b32_e32 v72, 0
	v_mov_b32_e32 v38, 0
	;; [unrolled: 1-line block ×6, first 2 shown]
	s_and_not1_b32 vcc_lo, exec_lo, s3
	s_lshl_b32 s14, ttmp9, 7
	s_cbranch_vccnz .LBB119_15
; %bb.4:
	v_bfe_u32 v38, v0, 10, 10
	s_add_co_i32 s10, s4, -1
	v_bfe_u32 v26, v0, 3, 7
	v_cvt_f64_i32_e32 v[1:2], s10
	v_bfe_u32 v62, v0, 2, 8
	v_dual_mov_b32 v57, 0 :: v_dual_add_nc_u32 v10, s7, v38
	v_dual_mov_b32 v56, 0 :: v_dual_and_b32 v19, 3, v0
	s_ashr_i32 s3, s2, 31
	s_delay_alu instid0(VALU_DEP_2)
	v_cvt_f64_u32_e32 v[3:4], v10
	v_dual_mov_b32 v138, 0 :: v_dual_add_nc_u32 v5, 8, v10
	v_dual_mov_b32 v136, 0 :: v_dual_add_nc_u32 v7, 16, v10
	;; [unrolled: 1-line block ×4, first 2 shown]
	v_add_nc_u32_e32 v13, 40, v10
	v_dual_mov_b32 v72, 0 :: v_dual_add_nc_u32 v15, 48, v10
	v_dual_mov_b32 v68, 0 :: v_dual_add_nc_u32 v17, 56, v10
	v_cvt_f64_u32_e32 v[5:6], v5
	v_cvt_f64_u32_e32 v[7:8], v7
	s_clause 0x1
	scratch_store_b32 off, v10, off offset:496
	scratch_store_b32 off, v26, off offset:352
	v_cvt_f64_u32_e32 v[9:10], v9
	v_cvt_f64_u32_e32 v[11:12], v11
	;; [unrolled: 1-line block ×5, first 2 shown]
	s_lshr_b32 s3, s3, 27
	s_ashr_i32 s12, s5, 31
	v_dual_mov_b32 v58, 0 :: v_dual_and_b32 v39, 0x3ff, v0
	v_dual_mov_b32 v54, 0 :: v_dual_lshlrev_b32 v27, 2, v19
	s_add_co_i32 s11, s2, s3
	s_lshr_b32 s12, s12, 27
	s_wait_alu 0xfffe
	s_ashr_i32 s15, s11, 5
	s_add_co_i32 s5, s5, s12
	v_dual_mov_b32 v67, 0 :: v_dual_lshlrev_b32 v20, 2, v39
	v_dual_mov_b32 v162, 0 :: v_dual_and_b32 v63, 7, v0
	s_ashr_i32 s5, s5, 5
	v_min_num_f64_e32 v[3:4], v[3:4], v[1:2]
	s_delay_alu instid0(VALU_DEP_3)
	v_dual_mov_b32 v40, 0 :: v_dual_and_b32 v73, 12, v20
	v_mad_u32_u24 v74, 0x84, v38, v20
	v_dual_mov_b32 v41, 0 :: v_dual_and_b32 v20, 28, v20
	v_dual_mov_b32 v46, 0 :: v_dual_add_nc_u32 v25, 32, v39
	s_load_b128 s[0:3], s[0:1], 0x0
	v_mul_lo_u32 v61, s15, v38
	v_dual_mov_b32 v124, 0 :: v_dual_add_nc_u32 v23, 0x60, v39
	s_lshl_b32 s16, s15, 3
	v_dual_mov_b32 v55, 0 :: v_dual_add_nc_u32 v24, 64, v39
	v_min_num_f64_e32 v[5:6], v[5:6], v[1:2]
	v_min_num_f64_e32 v[7:8], v[7:8], v[1:2]
	v_dual_mov_b32 v70, 0 :: v_dual_add_nc_u32 v65, s16, v61
	v_min_num_f64_e32 v[9:10], v[9:10], v[1:2]
	v_min_num_f64_e32 v[11:12], v[11:12], v[1:2]
	;; [unrolled: 1-line block ×5, first 2 shown]
	v_lshl_add_u32 v17, v38, 2, v26
	v_lshl_add_u32 v26, v38, 3, v62
	v_lshlrev_b32_e32 v18, 2, v63
	v_dual_mov_b32 v64, 0 :: v_dual_and_b32 v21, 31, v0
	s_delay_alu instid0(VALU_DEP_4)
	v_mul_lo_u32 v80, s15, v17
	v_and_b32_e32 v35, 0x7fc, v17
	v_lshlrev_b32_e32 v36, 5, v17
	v_add_nc_u32_e32 v37, 32, v17
	v_dual_mov_b32 v49, 0 :: v_dual_add_nc_u32 v66, s16, v65
	v_and_b32_e32 v0, 0xfc, v0
	v_dual_mov_b32 v59, 0 :: v_dual_lshlrev_b32 v22, 7, v38
	v_cvt_i32_f64_e32 v3, v[3:4]
	s_delay_alu instid0(VALU_DEP_4) | instskip(SKIP_1) | instid1(VALU_DEP_4)
	v_add_nc_u32_e32 v71, s16, v66
	v_lshl_or_b32 v21, v21, 2, 0x4200
	v_dual_mov_b32 v69, 0 :: v_dual_add_nc_u32 v28, 0x400, v22
	v_dual_mov_b32 v160, 0 :: v_dual_add_nc_u32 v29, 0x800, v22
	;; [unrolled: 1-line block ×5, first 2 shown]
	s_and_not1_b32 s11, s11, 31
	v_add_nc_u32_e32 v33, 0x1800, v22
	v_cvt_i32_f64_e32 v4, v[5:6]
	v_cvt_i32_f64_e32 v5, v[7:8]
	v_mov_b32_e32 v161, 0
	s_wait_alu 0xfffe
	v_add_nc_u32_e32 v85, s11, v80
	v_cvt_i32_f64_e32 v6, v[9:10]
	v_cvt_i32_f64_e32 v7, v[11:12]
	v_and_b32_e32 v11, 63, v26
	v_add_nc_u32_e32 v10, 0x60, v17
	v_cvt_i32_f64_e32 v1, v[1:2]
	v_add_nc_u32_e32 v2, 64, v17
	v_cvt_i32_f64_e32 v8, v[13:14]
	v_or_b32_e32 v17, s7, v11
	v_lshl_or_b32 v11, v11, 4, v27
	v_cvt_i32_f64_e32 v9, v[15:16]
	v_and_b32_e32 v13, 0xffc, v37
	v_and_b32_e32 v15, 0xffc, v2
	;; [unrolled: 1-line block ×3, first 2 shown]
	v_min_i32_e32 v17, s10, v17
	v_add_nc_u32_e32 v11, 0x7280, v11
	v_dual_mov_b32 v37, 0 :: v_dual_lshlrev_b32 v14, 5, v37
	v_add3_u32 v12, v35, v18, 0x6200
	v_add3_u32 v13, v13, v18, 0x6200
	v_mul_lo_u32 v3, s5, v3
	v_add3_u32 v15, v15, v18, 0x6200
	v_add3_u32 v16, v16, v18, 0x6200
	scratch_store_b32 off, v11, off offset:248 ; 4-byte Folded Spill
	v_mad_co_u64_u32 v[17:18], null, v17, s5, v[19:20]
	v_dual_mov_b32 v36, 0 :: v_dual_add_nc_u32 v91, v12, v36
	v_add_nc_u32_e32 v75, s16, v71
	v_dual_mov_b32 v35, 0 :: v_dual_add_nc_u32 v34, 0x1c00, v22
	v_lshlrev_b32_e32 v2, 5, v2
	v_lshlrev_b32_e32 v10, 5, v10
	s_delay_alu instid0(VALU_DEP_4)
	v_add_nc_u32_e32 v76, s16, v75
	v_add_nc_u32_e32 v87, s11, v85
	s_mul_i32 s12, s15, s14
	v_add_nc_u32_e32 v92, v13, v14
	s_ashr_i32 s13, s12, 31
	v_add_nc_u32_e32 v77, s16, v76
	v_add_nc_u32_e32 v89, s11, v87
	;; [unrolled: 1-line block ×4, first 2 shown]
	s_mul_u64 s[12:13], s[12:13], 20
	v_mul_lo_u32 v1, s5, v1
	scratch_store_b32 off, v3, off offset:252 ; 4-byte Folded Spill
	v_mul_lo_u32 v3, s5, v4
	scratch_store_b64 off, v[17:18], off offset:428 ; 8-byte Folded Spill
	v_and_b32_e32 v4, 0x1fc, v24
	v_add_nc_u32_e32 v78, s16, v77
	s_mov_b32 s11, 0
	s_wait_kmcnt 0x0
	s_add_nc_u64 s[0:1], s[0:1], s[12:13]
	scratch_store_b32 off, v1, off offset:280 ; 4-byte Folded Spill
	v_lshlrev_b32_e32 v1, 5, v39
	scratch_store_b32 off, v3, off offset:256 ; 4-byte Folded Spill
	v_mul_lo_u32 v3, s5, v5
	v_and_b32_e32 v5, 0x1fc, v25
	v_add_nc_u32_e32 v79, s16, v78
	v_add_nc_u32_e32 v4, v1, v4
	v_dual_mov_b32 v39, 0 :: v_dual_add_nc_u32 v0, v1, v0
	s_delay_alu instid0(VALU_DEP_4) | instskip(NEXT) | instid1(VALU_DEP_4)
	v_add_nc_u32_e32 v5, v1, v5
	v_add_nc_u32_e32 v81, s16, v79
	scratch_store_b32 off, v3, off offset:260 ; 4-byte Folded Spill
	v_mul_lo_u32 v3, s5, v6
	v_lshrrev_b32_e32 v6, 3, v25
	s_wait_alu 0xfffe
	s_mov_b32 s10, s11
	v_add_nc_u32_e32 v82, s16, v81
	s_clause 0x1
	scratch_store_b32 off, v6, off offset:476
	scratch_store_b32 off, v3, off offset:264
	v_mul_lo_u32 v3, s5, v7
	v_add_nc_u32_e32 v83, s16, v82
	s_delay_alu instid0(VALU_DEP_1) | instskip(SKIP_3) | instid1(VALU_DEP_1)
	v_add_nc_u32_e32 v84, s16, v83
	scratch_store_b32 off, v3, off offset:268 ; 4-byte Folded Spill
	v_mul_lo_u32 v3, s5, v8
	v_add_nc_u32_e32 v86, s16, v84
	v_add_nc_u32_e32 v88, s16, v86
	scratch_store_b32 off, v3, off offset:272 ; 4-byte Folded Spill
	v_mul_lo_u32 v3, s5, v9
	v_add_co_u32 v6, s5, s2, v20
	s_wait_alu 0xf1ff
	v_add_co_ci_u32_e64 v7, null, s3, 0, s5
	v_add_nc_u32_e32 v90, s16, v88
	s_add_co_i32 s5, s15, 3
	scratch_store_b32 off, v3, off offset:276 ; 4-byte Folded Spill
	v_and_b32_e32 v3, 0x1fc, v23
	s_delay_alu instid0(VALU_DEP_1) | instskip(NEXT) | instid1(VALU_DEP_1)
	v_add_nc_u32_e32 v3, v1, v3
	v_add_nc_u32_e32 v1, 0x6e00, v3
	scratch_store_b32 off, v1, off offset:444 ; 4-byte Folded Spill
	v_add_nc_u32_e32 v1, 0x6a00, v4
	scratch_store_b32 off, v1, off offset:448 ; 4-byte Folded Spill
	;; [unrolled: 2-line block ×3, first 2 shown]
	v_add_nc_u32_e32 v1, 0x6200, v0
	v_add_nc_u32_e32 v0, 0x6210, v0
	s_clause 0x1
	scratch_store_b32 off, v1, off offset:456
	scratch_store_b32 off, v0, off offset:492
	v_lshl_add_u32 v1, v38, 4, 0x7280
	scratch_store_b64 off, v[6:7], off offset:284 ; 8-byte Folded Spill
	v_add_nc_u32_e32 v0, v21, v22
	v_mov_b32_e32 v38, 0
	scratch_store_b32 off, v1, off offset:292 ; 4-byte Folded Spill
	v_add_nc_u32_e32 v1, 0x4200, v22
	scratch_store_b32 off, v0, off offset:300 ; 4-byte Folded Spill
	v_add_nc_u32_e32 v0, v21, v28
	;; [unrolled: 2-line block ×8, first 2 shown]
	s_clause 0x1
	scratch_store_b32 off, v1, off offset:488
	scratch_store_b32 off, v0, off offset:316
	v_add_nc_u32_e32 v0, v21, v32
	scratch_store_b32 off, v0, off offset:320 ; 4-byte Folded Spill
	v_add_nc_u32_e32 v0, v21, v33
	scratch_store_b32 off, v0, off offset:324 ; 4-byte Folded Spill
	v_add_nc_u32_e32 v0, v21, v34
	s_clause 0x1c
	scratch_store_b32 off, v0, off offset:328
	scratch_store_b32 off, v61, off offset:336
	;; [unrolled: 1-line block ×29, first 2 shown]
	s_branch .LBB119_7
.LBB119_5:                              ;   in Loop: Header=BB119_7 Depth=1
	s_clause 0x1b
	scratch_load_b32 v61, off, off offset:336
	scratch_load_b32 v62, off, off offset:340
	;; [unrolled: 1-line block ×28, first 2 shown]
.LBB119_6:                              ;   in Loop: Header=BB119_7 Depth=1
	s_add_co_i32 s10, s10, 8
	s_add_co_i32 s5, s5, -8
	s_wait_alu 0xfffe
	s_cmp_ge_i32 s10, s15
	s_cbranch_scc1 .LBB119_14
.LBB119_7:                              ; =>This Loop Header: Depth=1
                                        ;     Child Loop BB119_9 Depth 2
                                        ;     Child Loop BB119_12 Depth 2
	s_wait_alu 0xfffe
	s_mul_u64 s[12:13], s[10:11], 20
	s_cmp_gt_u32 s5, 3
	s_wait_alu 0xfffe
	s_add_nc_u64 s[12:13], s[0:1], s[12:13]
	s_wait_loadcnt 0x14
	v_add_nc_u32_e32 v32, 0x35a0, v74
	s_wait_alu 0xfffe
	v_mad_co_u64_u32 v[0:1], null, v62, 20, s[12:13]
	v_add_nc_u32_e32 v33, 0x39c0, v74
	v_add_nc_u32_e32 v34, 0x3de0, v74
	s_delay_alu instid0(VALU_DEP_3) | instskip(SKIP_3) | instid1(VALU_DEP_4)
	v_mad_co_u64_u32 v[2:3], null, v61, 20, v[0:1]
	v_mad_co_u64_u32 v[4:5], null, v65, 20, v[0:1]
	;; [unrolled: 1-line block ×4, first 2 shown]
	v_add_co_u32 v2, vcc_lo, v2, v73
	s_wait_loadcnt 0x13
	v_mad_co_u64_u32 v[10:11], null, v75, 20, v[0:1]
	s_wait_alu 0xfffd
	v_add_co_ci_u32_e64 v3, null, 0, v3, vcc_lo
	v_add_co_u32 v4, vcc_lo, v4, v73
	s_wait_loadcnt 0x12
	v_mad_co_u64_u32 v[12:13], null, v76, 20, v[0:1]
	s_wait_alu 0xfffd
	v_add_co_ci_u32_e64 v5, null, 0, v5, vcc_lo
	;; [unrolled: 5-line block ×4, first 2 shown]
	v_add_co_u32 v10, vcc_lo, v10, v73
	s_wait_alu 0xfffd
	v_add_co_ci_u32_e64 v11, null, 0, v11, vcc_lo
	v_add_co_u32 v12, vcc_lo, v12, v73
	s_wait_alu 0xfffd
	v_add_co_ci_u32_e64 v13, null, 0, v13, vcc_lo
	v_add_co_u32 v14, vcc_lo, v14, v73
	s_wait_alu 0xfffd
	v_add_co_ci_u32_e64 v15, null, 0, v15, vcc_lo
	v_add_co_u32 v16, vcc_lo, v16, v73
	s_wait_loadcnt 0xf
	v_mad_co_u64_u32 v[18:19], null, v79, 20, v[0:1]
	s_wait_alu 0xfffd
	v_add_co_ci_u32_e64 v17, null, 0, v17, vcc_lo
	s_clause 0x7
	global_load_b32 v24, v[2:3], off offset:4
	global_load_b32 v25, v[4:5], off offset:4
	;; [unrolled: 1-line block ×8, first 2 shown]
	s_wait_loadcnt 0x15
	v_mad_co_u64_u32 v[2:3], null, v81, 20, v[0:1]
	s_wait_loadcnt 0x14
	v_mad_co_u64_u32 v[6:7], null, v82, 20, v[0:1]
	;; [unrolled: 2-line block ×3, first 2 shown]
	v_add_co_u32 v4, vcc_lo, v18, v73
	s_wait_loadcnt 0x12
	v_mad_co_u64_u32 v[10:11], null, v84, 20, v[0:1]
	s_wait_alu 0xfffd
	v_add_co_ci_u32_e64 v5, null, 0, v19, vcc_lo
	v_add_co_u32 v2, vcc_lo, v2, v73
	s_wait_loadcnt 0x10
	v_mad_co_u64_u32 v[12:13], null, v86, 20, v[0:1]
	s_wait_alu 0xfffd
	v_add_co_ci_u32_e64 v3, null, 0, v3, vcc_lo
	;; [unrolled: 5-line block ×4, first 2 shown]
	v_add_co_u32 v10, vcc_lo, v10, v73
	v_mad_co_u64_u32 v[16:17], null, v63, 20, s[12:13]
	s_wait_alu 0xfffd
	v_add_co_ci_u32_e64 v11, null, 0, v11, vcc_lo
	v_add_co_u32 v12, vcc_lo, v12, v73
	s_wait_alu 0xfffd
	v_add_co_ci_u32_e64 v13, null, 0, v13, vcc_lo
	v_add_co_u32 v14, vcc_lo, v14, v73
	s_wait_alu 0xfffd
	v_add_co_ci_u32_e64 v15, null, 0, v15, vcc_lo
	v_add_co_u32 v0, vcc_lo, v0, v73
	s_wait_alu 0xfffd
	v_add_co_ci_u32_e64 v1, null, 0, v1, vcc_lo
	v_mad_co_u64_u32 v[18:19], null, v80, 20, v[16:17]
	v_mad_co_u64_u32 v[20:21], null, v85, 20, v[16:17]
	v_mad_co_u64_u32 v[22:23], null, v87, 20, v[16:17]
	v_mad_co_u64_u32 v[16:17], null, v89, 20, v[16:17]
	s_clause 0xb
	global_load_b32 v4, v[4:5], off offset:4
	global_load_b32 v2, v[2:3], off offset:4
	;; [unrolled: 1-line block ×8, first 2 shown]
	global_load_b32 v1, v[18:19], off
	global_load_b32 v9, v[20:21], off
	;; [unrolled: 1-line block ×4, first 2 shown]
	v_add_nc_u32_e32 v12, 0x420, v74
	v_add_nc_u32_e32 v13, 0x840, v74
	;; [unrolled: 1-line block ×12, first 2 shown]
	s_wait_loadcnt 0x13
	ds_store_b32 v74, v24
	s_wait_loadcnt 0x12
	ds_store_b32 v12, v25
	;; [unrolled: 2-line block ×20, first 2 shown]
	s_cbranch_scc0 .LBB119_6
; %bb.8:                                ;   in Loop: Header=BB119_7 Depth=1
	s_clause 0x4
	scratch_load_b32 v0, off, off offset:352
	scratch_load_b32 v9, off, off offset:280
	;; [unrolled: 1-line block ×3, first 2 shown]
	scratch_load_b64 v[15:16], off, off offset:284
	scratch_load_b32 v11, off, off offset:272
	s_mov_b32 s12, -4
	s_wait_loadcnt 0x4
	v_add_nc_u32_e32 v8, s10, v0
	scratch_load_b64 v[0:1], off, off offset:428 ; 8-byte Folded Reload
	s_wait_loadcnt 0x0
	scratch_load_b32 v1, off, off offset:256 ; 4-byte Folded Reload
	v_add_nc_u32_e32 v9, v8, v9
	v_add_nc_u32_e32 v10, v8, v10
	;; [unrolled: 1-line block ×3, first 2 shown]
	scratch_load_b32 v11, off, off offset:276 ; 4-byte Folded Reload
	v_mad_co_i64_i32 v[12:13], null, v12, 36, v[15:16]
	v_add_nc_u32_e32 v17, s10, v0
	scratch_load_b32 v0, off, off offset:252 ; 4-byte Folded Reload
	s_wait_loadcnt 0x2
	v_add_nc_u32_e32 v2, v8, v1
	scratch_load_b32 v1, off, off offset:260 ; 4-byte Folded Reload
	scratch_store_b32 off, v17, off offset:332 ; 4-byte Folded Spill
	v_mad_co_i64_i32 v[2:3], null, v2, 36, v[15:16]
	s_wait_loadcnt 0x2
	v_add_nc_u32_e32 v14, v8, v11
	v_mad_co_i64_i32 v[10:11], null, v10, 36, v[15:16]
	s_wait_loadcnt 0x1
	v_add_nc_u32_e32 v0, v8, v0
	s_wait_loadcnt 0x0
	v_add_nc_u32_e32 v4, v8, v1
	scratch_load_b32 v1, off, off offset:264 ; 4-byte Folded Reload
	v_mad_co_i64_i32 v[4:5], null, v4, 36, v[15:16]
	s_wait_loadcnt 0x0
	v_add_nc_u32_e32 v6, v8, v1
	v_mad_co_i64_i32 v[8:9], null, v9, 36, v[15:16]
	v_mad_co_i64_i32 v[0:1], null, v0, 36, v[15:16]
	s_delay_alu instid0(VALU_DEP_3)
	v_mad_co_i64_i32 v[6:7], null, v6, 36, v[15:16]
	v_mad_co_i64_i32 v[14:15], null, v14, 36, v[15:16]
	v_mad_co_u64_u32 v[16:17], null, v17, 36, s[2:3]
	s_clause 0x8
	global_load_b32 v8, v[8:9], off offset:4
	global_load_b32 v0, v[0:1], off offset:4
	;; [unrolled: 1-line block ×8, first 2 shown]
	global_load_b32 v7, v[16:17], off
	s_clause 0x2
	scratch_load_b32 v158, off, off offset:296
	scratch_load_b32 v159, off, off offset:292
	;; [unrolled: 1-line block ×3, first 2 shown]
	s_wait_loadcnt 0x0
	v_mul_u32_u24_e32 v164, 0x84, v9
	s_clause 0x4
	scratch_load_b32 v10, off, off offset:456
	scratch_load_b32 v11, off, off offset:452
	;; [unrolled: 1-line block ×5, first 2 shown]
	s_wait_loadcnt 0x0
	ds_store_b32 v9, v8
	scratch_load_b32 v8, off, off offset:300 ; 4-byte Folded Reload
	s_wait_loadcnt 0x0
	ds_store_b32 v8, v0
	scratch_load_b32 v0, off, off offset:304 ; 4-byte Folded Reload
	;; [unrolled: 3-line block ×8, first 2 shown]
	s_wait_loadcnt 0x0
	ds_store_b32 v0, v7
	s_wait_storecnt_dscnt 0x0
	s_barrier_signal -1
	s_barrier_wait -1
	global_inv scope:SCOPE_SE
.LBB119_9:                              ;   Parent Loop BB119_7 Depth=1
                                        ; =>  This Inner Loop Header: Depth=2
	s_clause 0x1c
	scratch_store_b32 off, v15, off offset:112
	scratch_store_b32 off, v14, off offset:108
	;; [unrolled: 1-line block ×28, first 2 shown]
	scratch_store_b32 off, v35, off
	ds_load_b32 v13, v10
	ds_load_b32 v12, v11
	;; [unrolled: 1-line block ×4, first 2 shown]
	ds_load_2addr_b32 v[4:5], v159 offset1:32
	ds_load_2addr_b32 v[8:9], v158 offset0:5 offset1:6
	v_dual_mov_b32 v163, v162 :: v_dual_add_nc_u32 v38, 0x400, v158
	v_add_nc_u32_e32 v100, 0x1800, v158
	s_wait_alu 0xfffe
	s_add_co_i32 s12, s12, 4
	v_mov_b32_e32 v162, v160
	s_wait_alu 0xfffe
	s_cmp_lt_u32 s12, 12
	s_wait_dscnt 0x1
	v_pk_mul_f16 v0, v4, v13
	s_wait_dscnt 0x0
	v_bfe_i32 v210, v8, 16, 8
	v_ashrrev_i32_e32 v211, 24, v8
	v_bfe_i32 v215, v8, 0, 8
	v_ashrrev_i32_e32 v200, 24, v9
	scratch_store_b32 off, v0, off offset:120 ; 4-byte Folded Spill
	v_pk_mul_f16 v0, v4, v12
	v_bfe_i32 v201, v9, 16, 8
	v_bfe_i32 v203, v9, 0, 8
	;; [unrolled: 1-line block ×3, first 2 shown]
	scratch_store_b32 off, v0, off offset:116 ; 4-byte Folded Spill
	v_pk_mul_f16 v0, v4, v11
	ds_load_2addr_b32 v[27:28], v164 offset1:1
	ds_load_2addr_b32 v[6:7], v164 offset0:2 offset1:3
	ds_load_2addr_b32 v[15:16], v158 offset1:3
	ds_load_2addr_b32 v[29:30], v158 offset0:1 offset1:2
	scratch_store_b32 off, v0, off offset:188 ; 4-byte Folded Spill
	v_pk_mul_f16 v0, v4, v10
	scratch_store_b32 off, v0, off offset:184 ; 4-byte Folded Spill
	v_pk_mul_f16 v0, v13, v5
	;; [unrolled: 2-line block ×3, first 2 shown]
	s_wait_dscnt 0x3
	v_bfe_u32 v242, v27, 20, 4
	v_bfe_u32 v197, v27, 16, 4
	;; [unrolled: 1-line block ×3, first 2 shown]
	scratch_store_b32 off, v0, off offset:232 ; 4-byte Folded Spill
	v_pk_mul_f16 v0, v11, v5
	s_wait_dscnt 0x0
	v_bfe_i32 v224, v29, 16, 8
	v_bfe_u32 v214, v28, 20, 4
	v_lshrrev_b32_e32 v245, 28, v27
	v_bfe_u32 v198, v27, 24, 4
	scratch_store_b32 off, v0, off offset:180 ; 4-byte Folded Spill
	v_pk_mul_f16 v0, v10, v5
	ds_load_2addr_b32 v[4:5], v158 offset0:4 offset1:7
	v_mul_i32_i24_e32 v3, v210, v214
	v_bfe_u32 v233, v28, 24, 4
	v_lshrrev_b32_e32 v216, 28, v28
	scratch_store_b32 off, v0, off offset:176 ; 4-byte Folded Spill
	ds_load_2addr_b32 v[0:1], v159 offset0:64 offset1:96
	v_ashrrev_i32_e32 v227, 24, v29
	v_bfe_u32 v249, v27, 4, 4
	v_bfe_i32 v31, v15, 0, 8
	v_and_b32_e32 v199, 15, v27
	v_bfe_i32 v232, v29, 0, 8
	v_and_b32_e32 v229, 15, v28
	v_bfe_u32 v217, v28, 4, 4
	v_bfe_u32 v213, v6, 24, 4
	v_lshrrev_b32_e32 v204, 28, v6
	v_ashrrev_i32_e32 v206, 24, v30
	v_bfe_i32 v207, v30, 16, 8
	v_bfe_u32 v208, v6, 16, 4
	v_bfe_u32 v202, v6, 20, 4
	v_bfe_i32 v212, v30, 0, 8
	s_wait_dscnt 0x1
	v_bfe_i32 v237, v4, 16, 8
	v_ashrrev_i32_e32 v239, 24, v4
	v_bfe_i32 v238, v4, 0, 8
	v_and_b32_e32 v209, 15, v6
	v_bfe_u32 v205, v6, 4, 4
	s_wait_dscnt 0x0
	v_pk_mul_f16 v2, v13, v0
	v_lshrrev_b16 v4, 8, v4
	v_bfe_i32 v94, v29, 8, 8
	v_bfe_i32 v244, v16, 16, 8
	v_bfe_u32 v250, v7, 16, 4
	scratch_store_b32 off, v2, off offset:152 ; 4-byte Folded Spill
	v_pk_mul_f16 v2, v12, v0
	v_bfe_i32 v144, v4, 0, 8
	v_and_b32_e32 v4, 0xf0f0f0f, v28
	v_bfe_u32 v231, v7, 20, 4
	v_bfe_u32 v255, v7, 24, 4
	scratch_store_b32 off, v2, off offset:124 ; 4-byte Folded Spill
	v_pk_mul_f16 v2, v11, v0
	v_pk_mul_f16 v0, v10, v0
	v_lshrrev_b16 v4, 8, v4
	v_lshrrev_b32_e32 v235, 28, v7
	v_ashrrev_i32_e32 v247, 24, v16
	v_ashrrev_i32_e32 v230, 24, v5
	scratch_store_b32 off, v0, off offset:192 ; 4-byte Folded Spill
	v_pk_mul_f16 v0, v13, v1
	v_and_b32_e32 v92, 0xffff, v4
	v_bfe_i32 v254, v16, 0, 8
	v_and_b32_e32 v251, 15, v7
	v_bfe_i32 v234, v5, 0, 8
	scratch_store_b32 off, v0, off offset:156 ; 4-byte Folded Spill
	v_pk_mul_f16 v0, v12, v1
	scratch_store_b32 off, v2, off offset:200 ; 4-byte Folded Spill
	v_bfe_u32 v236, v7, 4, 4
	scratch_store_b32 off, v0, off offset:128 ; 4-byte Folded Spill
	v_pk_mul_f16 v0, v11, v1
	scratch_store_b32 off, v0, off offset:204 ; 4-byte Folded Spill
	v_pk_mul_f16 v0, v10, v1
	scratch_store_b32 off, v0, off offset:196 ; 4-byte Folded Spill
	ds_load_2addr_b32 v[0:1], v159 offset0:128 offset1:160
	s_wait_dscnt 0x0
	v_pk_mul_f16 v2, v13, v0
	scratch_store_b32 off, v2, off offset:160 ; 4-byte Folded Spill
	v_pk_mul_f16 v2, v12, v0
	scratch_store_b32 off, v2, off offset:132 ; 4-byte Folded Spill
	v_pk_mul_f16 v2, v11, v0
	v_pk_mul_f16 v0, v10, v0
	scratch_store_b32 off, v0, off offset:208 ; 4-byte Folded Spill
	v_pk_mul_f16 v0, v13, v1
	scratch_store_b32 off, v0, off offset:164 ; 4-byte Folded Spill
	v_pk_mul_f16 v0, v12, v1
	s_clause 0x1
	scratch_store_b32 off, v2, off offset:216
	scratch_store_b32 off, v0, off offset:136
	v_pk_mul_f16 v0, v11, v1
	scratch_store_b32 off, v0, off offset:220 ; 4-byte Folded Spill
	v_pk_mul_f16 v0, v10, v1
	scratch_store_b32 off, v0, off offset:212 ; 4-byte Folded Spill
	ds_load_2addr_b32 v[0:1], v159 offset0:192 offset1:224
	v_add_nc_u32_e32 v159, 4, v159
	s_wait_dscnt 0x0
	v_pk_mul_f16 v2, v13, v0
	scratch_store_b32 off, v2, off offset:172 ; 4-byte Folded Spill
	v_pk_mul_f16 v2, v13, v1
	scratch_store_b32 off, v2, off offset:168 ; 4-byte Folded Spill
	;; [unrolled: 2-line block ×3, first 2 shown]
	v_pk_mul_f16 v2, v12, v1
	v_mul_i32_i24_e32 v12, v215, v217
	scratch_store_b32 off, v2, off offset:140 ; 4-byte Folded Spill
	v_pk_mul_f16 v2, v11, v0
	v_pk_mul_f16 v0, v10, v0
	s_clause 0x1
	scratch_store_b32 off, v2, off offset:236
	scratch_store_b32 off, v0, off offset:240
	v_pk_mul_f16 v2, v11, v1
	v_pk_mul_f16 v0, v10, v1
	v_mul_i32_i24_e32 v1, v242, v237
	v_mul_i32_i24_e32 v10, v227, v233
	;; [unrolled: 1-line block ×3, first 2 shown]
	s_clause 0x1
	scratch_store_b32 off, v2, off offset:224
	scratch_store_b32 off, v0, off offset:228
	v_bfe_i32 v0, v15, 16, 8
	v_mul_i32_i24_e32 v2, v224, v228
	s_delay_alu instid0(VALU_DEP_2) | instskip(NEXT) | instid1(VALU_DEP_1)
	v_mad_i32_i24 v1, v197, v0, v1
	v_add3_u32 v2, v1, v2, v3
	v_ashrrev_i32_e32 v1, 24, v15
	v_mul_i32_i24_e32 v3, v245, v239
	s_delay_alu instid0(VALU_DEP_1) | instskip(NEXT) | instid1(VALU_DEP_1)
	v_mad_i32_i24 v3, v198, v1, v3
	v_add3_u32 v3, v3, v10, v11
	v_mul_i32_i24_e32 v10, v249, v238
	v_mul_i32_i24_e32 v11, v232, v229
	s_delay_alu instid0(VALU_DEP_2) | instskip(NEXT) | instid1(VALU_DEP_1)
	v_mad_i32_i24 v10, v199, v31, v10
	v_add3_u32 v10, v10, v11, v12
	v_mul_i32_i24_e32 v11, v206, v213
	v_mul_i32_i24_e32 v12, v200, v204
	s_delay_alu instid0(VALU_DEP_1) | instskip(SKIP_3) | instid1(VALU_DEP_2)
	v_add3_u32 v33, v3, v11, v12
	v_mul_i32_i24_e32 v3, v207, v208
	v_mul_i32_i24_e32 v11, v201, v202
	v_add_nc_u32_e32 v12, 0x1088, v164
	v_add3_u32 v35, v2, v3, v11
	v_mul_i32_i24_e32 v2, v212, v209
	v_mul_i32_i24_e32 v3, v203, v205
	s_delay_alu instid0(VALU_DEP_1) | instskip(SKIP_2) | instid1(VALU_DEP_2)
	v_add3_u32 v34, v10, v2, v3
	v_lshrrev_b16 v2, 8, v15
	v_add_nc_u32_e32 v10, 0x2100, v164
	v_bfe_i32 v32, v2, 0, 8
	v_add_nc_u32_e32 v2, 0x2108, v164
	ds_load_2addr_b32 v[54:55], v10 offset1:1
	ds_load_2addr_b32 v[10:11], v2 offset1:1
	;; [unrolled: 1-line block ×3, first 2 shown]
	s_wait_dscnt 0x2
	v_and_b32_e32 v222, 15, v54
	v_bfe_u32 v223, v54, 8, 4
	v_bfe_u32 v218, v54, 16, 4
	;; [unrolled: 1-line block ×3, first 2 shown]
	s_wait_dscnt 0x0
	v_bfe_u32 v143, v56, 16, 4
	v_mul_i32_i24_e32 v2, v31, v222
	v_and_b32_e32 v76, 15, v56
	v_mul_i32_i24_e32 v3, v0, v218
	v_mul_i32_i24_e32 v12, v1, v219
	v_bfe_u32 v127, v56, 24, 4
	v_mad_i32_i24 v2, v32, v223, v2
	v_bfe_u32 v42, v54, 12, 4
	v_bfe_u32 v43, v54, 4, 4
	;; [unrolled: 1-line block ×3, first 2 shown]
	v_lshrrev_b32_e32 v87, 28, v54
	v_add3_u32 v36, v2, v3, v12
	v_add_nc_u32_e32 v2, 0x3180, v164
	v_add_nc_u32_e32 v3, 0x414, v158
	;; [unrolled: 1-line block ×3, first 2 shown]
	ds_load_2addr_b32 v[58:59], v2 offset1:1
	ds_load_2addr_b32 v[64:65], v3 offset1:1
	;; [unrolled: 1-line block ×3, first 2 shown]
	v_lshrrev_b32_e32 v81, 28, v56
	v_bfe_u32 v252, v57, 24, 4
	v_bfe_u32 v135, v56, 4, 4
	v_and_b32_e32 v240, 15, v57
	v_bfe_u32 v142, v56, 20, 4
	v_bfe_u32 v241, v57, 16, 4
	;; [unrolled: 1-line block ×5, first 2 shown]
	v_lshrrev_b32_e32 v246, 28, v57
	v_and_b32_e32 v187, 15, v55
	v_bfe_u32 v188, v55, 16, 4
	s_wait_dscnt 0x2
	v_and_b32_e32 v225, 15, v58
	v_bfe_u32 v226, v58, 8, 4
	v_bfe_u32 v220, v58, 16, 4
	;; [unrolled: 1-line block ×3, first 2 shown]
	s_wait_dscnt 0x1
	v_bfe_i32 v149, v64, 16, 8
	v_mul_i32_i24_e32 v2, v31, v225
	v_bfe_i32 v80, v64, 0, 8
	v_mul_i32_i24_e32 v3, v0, v220
	v_mul_i32_i24_e32 v14, v1, v221
	v_ashrrev_i32_e32 v82, 24, v64
	v_mad_i32_i24 v2, v32, v226, v2
	v_bfe_u32 v45, v58, 12, 4
	v_bfe_u32 v46, v58, 4, 4
	;; [unrolled: 1-line block ×3, first 2 shown]
	v_lshrrev_b32_e32 v99, 28, v58
	v_add3_u32 v37, v2, v3, v14
	v_add_nc_u32_e32 v2, 0x1080, v164
	v_add_nc_u32_e32 v3, 0x404, v158
	ds_load_2addr_b32 v[68:69], v2 offset1:1
	ds_load_2addr_b32 v[70:71], v3 offset1:1
	ds_load_2addr_b32 v[60:61], v38 offset0:4 offset1:7
	ds_load_2addr_b32 v[23:24], v100 offset0:4 offset1:7
	v_bfe_i32 v58, v5, 16, 8
	ds_load_2addr_b32 v[62:63], v38 offset1:3
	v_bfe_i32 v128, v65, 16, 8
	v_bfe_u32 v166, v59, 8, 4
	v_bfe_u32 v167, v59, 24, 4
	v_and_b32_e32 v191, 15, v59
	v_bfe_u32 v192, v59, 16, 4
	v_add_nc_u32_e32 v164, 16, v164
	s_wait_dscnt 0x4
	v_bfe_u32 v150, v69, 16, 4
	s_wait_dscnt 0x3
	v_bfe_i32 v2, v70, 16, 8
	v_bfe_u32 v66, v68, 20, 4
	s_wait_dscnt 0x2
	v_bfe_i32 v72, v60, 16, 8
	v_bfe_u32 v131, v69, 20, 4
	v_bfe_i32 v129, v71, 16, 8
	v_mul_i32_i24_e32 v3, v2, v150
	v_and_b32_e32 v151, 15, v69
	v_bfe_u32 v73, v68, 4, 4
	v_mul_i32_i24_e32 v14, v149, v131
	v_mul_i32_i24_e32 v15, v129, v143
	v_mad_i32_i24 v3, v72, v66, v3
	v_bfe_i32 v74, v60, 0, 8
	v_bfe_u32 v134, v69, 4, 4
	v_bfe_i32 v130, v71, 0, 8
	v_bfe_u32 v79, v69, 24, 4
	v_add3_u32 v39, v3, v14, v15
	v_bfe_i32 v3, v70, 0, 8
	v_mul_i32_i24_e32 v15, v80, v134
	v_mul_i32_i24_e32 v17, v130, v76
	v_ashrrev_i32_e32 v83, 24, v70
	v_lshrrev_b32_e32 v67, 28, v68
	v_mul_i32_i24_e32 v14, v3, v151
	v_ashrrev_i32_e32 v77, 24, v60
	v_lshrrev_b32_e32 v132, 28, v69
	v_ashrrev_i32_e32 v133, 24, v71
	s_wait_dscnt 0x1
	v_bfe_i32 v122, v23, 8, 8
	v_mad_i32_i24 v14, v74, v73, v14
	v_bfe_i32 v123, v23, 0, 8
	v_bfe_i32 v157, v23, 16, 8
	v_ashrrev_i32_e32 v88, 24, v23
	s_wait_dscnt 0x0
	v_bfe_i32 v141, v63, 16, 8
	v_add3_u32 v40, v14, v15, v17
	v_mul_i32_i24_e32 v14, v83, v79
	v_mul_i32_i24_e32 v15, v82, v132
	;; [unrolled: 1-line block ×3, first 2 shown]
	v_bfe_i32 v253, v61, 16, 8
	v_bfe_i32 v243, v62, 0, 8
	v_mad_i32_i24 v14, v77, v67, v14
	s_delay_alu instid0(VALU_DEP_1)
	v_add3_u32 v41, v14, v15, v17
	v_add_nc_u32_e32 v14, 0x800, v158
	ds_load_2addr_b32 v[14:15], v14 offset0:4 offset1:7
	s_wait_dscnt 0x0
	v_bfe_i32 v84, v14, 8, 8
	v_bfe_i32 v85, v14, 0, 8
	v_bfe_i32 v95, v14, 16, 8
	v_ashrrev_i32_e32 v96, 24, v14
	s_delay_alu instid0(VALU_DEP_4) | instskip(NEXT) | instid1(VALU_DEP_3)
	v_mul_i32_i24_e32 v17, v84, v42
	v_mul_i32_i24_e32 v14, v95, v86
	s_delay_alu instid0(VALU_DEP_3) | instskip(NEXT) | instid1(VALU_DEP_3)
	v_mul_i32_i24_e32 v18, v96, v87
	v_mad_i32_i24 v17, v85, v43, v17
	s_delay_alu instid0(VALU_DEP_1) | instskip(SKIP_3) | instid1(VALU_DEP_3)
	v_add3_u32 v44, v17, v14, v18
	v_mul_i32_i24_e32 v14, v84, v45
	v_mul_i32_i24_e32 v17, v95, v97
	v_mul_i32_i24_e32 v18, v96, v99
	v_mad_i32_i24 v14, v85, v46, v14
	s_delay_alu instid0(VALU_DEP_1)
	v_add3_u32 v47, v14, v17, v18
	v_add_nc_u32_e32 v14, 0xc00, v158
	ds_load_2addr_b32 v[17:18], v14 offset0:4 offset1:7
	s_wait_dscnt 0x0
	v_bfe_i32 v101, v17, 8, 8
	v_bfe_i32 v106, v17, 0, 8
	v_bfe_i32 v108, v17, 16, 8
	v_ashrrev_i32_e32 v109, 24, v17
	s_delay_alu instid0(VALU_DEP_4) | instskip(NEXT) | instid1(VALU_DEP_3)
	v_mul_i32_i24_e32 v14, v101, v42
	v_mul_i32_i24_e32 v17, v108, v86
	s_delay_alu instid0(VALU_DEP_3) | instskip(NEXT) | instid1(VALU_DEP_3)
	v_mul_i32_i24_e32 v19, v109, v87
	v_mad_i32_i24 v14, v106, v43, v14
	s_delay_alu instid0(VALU_DEP_1) | instskip(SKIP_3) | instid1(VALU_DEP_3)
	v_add3_u32 v48, v14, v17, v19
	v_mul_i32_i24_e32 v14, v101, v45
	v_mul_i32_i24_e32 v17, v108, v97
	v_mul_i32_i24_e32 v19, v109, v99
	v_mad_i32_i24 v14, v106, v46, v14
	s_delay_alu instid0(VALU_DEP_1)
	v_add3_u32 v49, v14, v17, v19
	v_add_nc_u32_e32 v17, 0x1000, v158
	ds_load_2addr_b32 v[19:20], v17 offset0:4 offset1:7
	s_wait_dscnt 0x0
	v_bfe_i32 v110, v19, 8, 8
	v_bfe_i32 v111, v19, 0, 8
	v_bfe_i32 v113, v19, 16, 8
	v_ashrrev_i32_e32 v115, 24, v19
	s_delay_alu instid0(VALU_DEP_4) | instskip(NEXT) | instid1(VALU_DEP_3)
	v_mul_i32_i24_e32 v14, v110, v42
	v_mul_i32_i24_e32 v19, v113, v86
	s_delay_alu instid0(VALU_DEP_3) | instskip(NEXT) | instid1(VALU_DEP_3)
	v_mul_i32_i24_e32 v21, v115, v87
	v_mad_i32_i24 v14, v111, v43, v14
	s_delay_alu instid0(VALU_DEP_1) | instskip(SKIP_3) | instid1(VALU_DEP_3)
	v_add3_u32 v112, v14, v19, v21
	v_mul_i32_i24_e32 v14, v110, v45
	v_mul_i32_i24_e32 v19, v113, v97
	v_mul_i32_i24_e32 v21, v115, v99
	v_mad_i32_i24 v14, v111, v46, v14
	s_delay_alu instid0(VALU_DEP_1)
	v_add3_u32 v114, v14, v19, v21
	v_add_nc_u32_e32 v14, 0x1400, v158
	ds_load_2addr_b32 v[21:22], v14 offset0:4 offset1:7
	s_wait_dscnt 0x0
	v_bfe_i32 v116, v21, 8, 8
	v_bfe_i32 v117, v21, 0, 8
	v_bfe_i32 v118, v21, 16, 8
	v_ashrrev_i32_e32 v119, 24, v21
	s_delay_alu instid0(VALU_DEP_4) | instskip(NEXT) | instid1(VALU_DEP_3)
	v_mul_i32_i24_e32 v14, v116, v42
	v_mul_i32_i24_e32 v19, v118, v86
	s_delay_alu instid0(VALU_DEP_3) | instskip(NEXT) | instid1(VALU_DEP_3)
	v_mul_i32_i24_e32 v21, v119, v87
	v_mad_i32_i24 v14, v117, v43, v14
	s_delay_alu instid0(VALU_DEP_1) | instskip(SKIP_3) | instid1(VALU_DEP_3)
	v_add3_u32 v120, v14, v19, v21
	v_mul_i32_i24_e32 v14, v116, v45
	v_mul_i32_i24_e32 v19, v118, v97
	v_mul_i32_i24_e32 v21, v119, v99
	v_mad_i32_i24 v14, v117, v46, v14
	s_delay_alu instid0(VALU_DEP_1) | instskip(SKIP_3) | instid1(VALU_DEP_3)
	v_add3_u32 v121, v14, v19, v21
	v_mul_i32_i24_e32 v14, v122, v42
	v_mul_i32_i24_e32 v19, v157, v86
	v_mul_i32_i24_e32 v21, v88, v87
	v_mad_i32_i24 v14, v123, v43, v14
	s_delay_alu instid0(VALU_DEP_1) | instskip(SKIP_3) | instid1(VALU_DEP_3)
	v_add3_u32 v125, v14, v19, v21
	v_mul_i32_i24_e32 v14, v122, v45
	v_mul_i32_i24_e32 v19, v157, v97
	;; [unrolled: 1-line block ×3, first 2 shown]
	v_mad_i32_i24 v14, v123, v46, v14
	s_delay_alu instid0(VALU_DEP_1)
	v_add3_u32 v126, v14, v19, v21
	v_add_nc_u32_e32 v14, 0x1c00, v158
	ds_load_2addr_b32 v[25:26], v14 offset0:4 offset1:7
	s_wait_dscnt 0x0
	v_bfe_i32 v148, v25, 8, 8
	v_bfe_i32 v89, v25, 0, 8
	;; [unrolled: 1-line block ×3, first 2 shown]
	v_ashrrev_i32_e32 v91, 24, v25
	s_delay_alu instid0(VALU_DEP_4) | instskip(NEXT) | instid1(VALU_DEP_3)
	v_mul_i32_i24_e32 v14, v148, v42
	v_mul_i32_i24_e32 v19, v90, v86
	s_delay_alu instid0(VALU_DEP_3) | instskip(NEXT) | instid1(VALU_DEP_3)
	v_mul_i32_i24_e32 v21, v91, v87
	v_mad_i32_i24 v14, v89, v43, v14
	s_delay_alu instid0(VALU_DEP_1) | instskip(SKIP_3) | instid1(VALU_DEP_3)
	v_add3_u32 v139, v14, v19, v21
	v_mul_i32_i24_e32 v14, v148, v45
	v_mul_i32_i24_e32 v19, v90, v97
	;; [unrolled: 1-line block ×3, first 2 shown]
	v_mad_i32_i24 v14, v89, v46, v14
	s_delay_alu instid0(VALU_DEP_1) | instskip(SKIP_3) | instid1(VALU_DEP_3)
	v_add3_u32 v140, v14, v19, v21
	v_lshrrev_b32_e32 v19, 4, v27
	v_and_b32_e32 v14, 0xf0f0f0f, v27
	v_and_b32_e32 v21, 15, v68
	v_lshrrev_b16 v19, 8, v19
	s_delay_alu instid0(VALU_DEP_3) | instskip(NEXT) | instid1(VALU_DEP_2)
	v_lshrrev_b16 v14, 8, v14
	v_and_b32_e32 v19, 15, v19
	s_delay_alu instid0(VALU_DEP_2) | instskip(SKIP_1) | instid1(VALU_DEP_3)
	v_and_b32_e32 v25, 0xffff, v14
	v_mul_i32_i24_e32 v14, v94, v92
	v_and_b32_e32 v93, 0xffff, v19
	s_delay_alu instid0(VALU_DEP_3) | instskip(NEXT) | instid1(VALU_DEP_2)
	v_mul_i32_i24_e32 v4, v25, v32
	v_mul_i32_i24_e32 v19, v93, v144
	s_delay_alu instid0(VALU_DEP_1) | instskip(SKIP_3) | instid1(VALU_DEP_2)
	v_add3_u32 v145, v4, v19, v14
	v_mul_i32_i24_e32 v4, v244, v250
	v_mul_i32_i24_e32 v14, v58, v231
	v_bfe_u32 v19, v68, 24, 4
	v_add3_u32 v75, v35, v4, v14
	v_mul_i32_i24_e32 v4, v247, v255
	v_mul_i32_i24_e32 v14, v230, v235
	s_delay_alu instid0(VALU_DEP_4) | instskip(NEXT) | instid1(VALU_DEP_2)
	v_mul_i32_i24_e32 v1, v19, v1
	v_add3_u32 v98, v33, v4, v14
	v_mul_i32_i24_e32 v4, v254, v251
	v_mul_i32_i24_e32 v14, v234, v236
	s_delay_alu instid0(VALU_DEP_1) | instskip(SKIP_2) | instid1(VALU_DEP_1)
	v_add3_u32 v78, v34, v4, v14
	v_mul_i32_i24_e32 v4, v238, v43
	v_mul_i32_i24_e32 v14, v144, v42
	v_add3_u32 v146, v36, v14, v4
	v_mul_i32_i24_e32 v4, v238, v46
	v_mul_i32_i24_e32 v14, v144, v45
	s_delay_alu instid0(VALU_DEP_1) | instskip(SKIP_3) | instid1(VALU_DEP_3)
	v_add3_u32 v147, v37, v14, v4
	v_and_b32_e32 v4, 0xf0f0f0f, v68
	v_mul_i32_i24_e32 v14, v21, v31
	v_add_nc_u32_e32 v37, 0x1814, v158
	v_lshrrev_b16 v4, 8, v4
	s_delay_alu instid0(VALU_DEP_1) | instskip(NEXT) | instid1(VALU_DEP_1)
	v_and_b32_e32 v23, 0xffff, v4
	v_mad_i32_i24 v4, v23, v32, v14
	v_bfe_u32 v14, v68, 16, 4
	v_mul_i32_i24_e32 v32, v77, v87
	s_delay_alu instid0(VALU_DEP_2) | instskip(NEXT) | instid1(VALU_DEP_1)
	v_mul_i32_i24_e32 v0, v14, v0
	v_add3_u32 v153, v4, v0, v1
	v_ashrrev_i32_e32 v4, 24, v65
	v_ashrrev_i32_e32 v1, 24, v63
	s_delay_alu instid0(VALU_DEP_2) | instskip(NEXT) | instid1(VALU_DEP_2)
	v_mul_i32_i24_e32 v0, v4, v81
	v_mul_i32_i24_e32 v27, v1, v252
	s_delay_alu instid0(VALU_DEP_1) | instskip(SKIP_3) | instid1(VALU_DEP_3)
	v_add3_u32 v156, v41, v0, v27
	v_bfe_i32 v27, v65, 0, 8
	v_bfe_i32 v0, v63, 0, 8
	;; [unrolled: 1-line block ×3, first 2 shown]
	v_mul_i32_i24_e32 v29, v27, v135
	s_delay_alu instid0(VALU_DEP_3) | instskip(NEXT) | instid1(VALU_DEP_1)
	v_mul_i32_i24_e32 v31, v0, v240
	v_add3_u32 v155, v40, v29, v31
	v_mul_i32_i24_e32 v29, v128, v142
	v_mul_i32_i24_e32 v31, v141, v241
	s_delay_alu instid0(VALU_DEP_1) | instskip(SKIP_2) | instid1(VALU_DEP_2)
	v_add3_u32 v154, v39, v29, v31
	v_lshrrev_b16 v29, 8, v60
	v_mul_i32_i24_e32 v31, v72, v86
	v_bfe_i32 v60, v29, 0, 8
	s_delay_alu instid0(VALU_DEP_1) | instskip(NEXT) | instid1(VALU_DEP_1)
	v_mul_i32_i24_e32 v29, v60, v42
	v_mad_i32_i24 v29, v74, v43, v29
	s_delay_alu instid0(VALU_DEP_1) | instskip(SKIP_4) | instid1(VALU_DEP_4)
	v_add3_u32 v102, v29, v31, v32
	v_mul_i32_i24_e32 v29, v60, v45
	v_mul_i32_i24_e32 v31, v72, v97
	;; [unrolled: 1-line block ×4, first 2 shown]
	v_mad_i32_i24 v29, v74, v46, v29
	s_delay_alu instid0(VALU_DEP_1)
	v_add3_u32 v103, v29, v31, v32
	v_add_nc_u32_e32 v29, 0x804, v158
	v_add_nc_u32_e32 v32, 0xc14, v158
	;; [unrolled: 1-line block ×3, first 2 shown]
	ds_load_2addr_b32 v[53:54], v29 offset1:1
	ds_load_2addr_b32 v[33:34], v32 offset1:1
	;; [unrolled: 1-line block ×3, first 2 shown]
	v_add_nc_u32_e32 v32, 0x1414, v158
	s_wait_dscnt 0x2
	v_bfe_i32 v107, v53, 8, 8
	v_ashrrev_i32_e32 v160, 24, v53
	v_bfe_i32 v189, v53, 0, 8
	v_bfe_i32 v190, v53, 16, 8
	s_delay_alu instid0(VALU_DEP_4) | instskip(NEXT) | instid1(VALU_DEP_4)
	v_mul_i32_i24_e32 v29, v107, v104
	v_mul_i32_i24_e32 v31, v160, v105
	s_delay_alu instid0(VALU_DEP_4) | instskip(NEXT) | instid1(VALU_DEP_2)
	v_mul_i32_i24_e32 v53, v189, v187
	v_add3_u32 v165, v44, v31, v29
	v_mul_i32_i24_e32 v29, v107, v166
	v_mul_i32_i24_e32 v31, v160, v167
	s_delay_alu instid0(VALU_DEP_1)
	v_add3_u32 v168, v47, v31, v29
	v_add_nc_u32_e32 v29, 0xc04, v158
	ds_load_2addr_b32 v[51:52], v29 offset1:1
	s_wait_dscnt 0x0
	v_bfe_i32 v169, v51, 8, 8
	v_ashrrev_i32_e32 v170, 24, v51
	s_delay_alu instid0(VALU_DEP_2) | instskip(NEXT) | instid1(VALU_DEP_2)
	v_mul_i32_i24_e32 v29, v169, v104
	v_mul_i32_i24_e32 v31, v170, v105
	s_delay_alu instid0(VALU_DEP_1) | instskip(SKIP_2) | instid1(VALU_DEP_1)
	v_add3_u32 v171, v48, v31, v29
	v_mul_i32_i24_e32 v29, v169, v166
	v_mul_i32_i24_e32 v31, v170, v167
	v_add3_u32 v172, v49, v31, v29
	v_add_nc_u32_e32 v29, 0x1004, v158
	v_add_nc_u32_e32 v31, 0x1014, v158
	ds_load_2addr_b32 v[49:50], v29 offset1:1
	ds_load_2addr_b32 v[35:36], v32 offset1:1
	;; [unrolled: 1-line block ×3, first 2 shown]
	s_wait_dscnt 0x2
	v_bfe_i32 v173, v49, 8, 8
	v_ashrrev_i32_e32 v174, 24, v49
	s_delay_alu instid0(VALU_DEP_2) | instskip(NEXT) | instid1(VALU_DEP_2)
	v_mul_i32_i24_e32 v29, v173, v104
	v_mul_i32_i24_e32 v31, v174, v105
	s_delay_alu instid0(VALU_DEP_1) | instskip(SKIP_2) | instid1(VALU_DEP_1)
	v_add3_u32 v112, v112, v31, v29
	v_mul_i32_i24_e32 v29, v173, v166
	v_mul_i32_i24_e32 v31, v174, v167
	v_add3_u32 v114, v114, v31, v29
	v_add_nc_u32_e32 v29, 0x1404, v158
	ds_load_2addr_b32 v[47:48], v29 offset1:1
	s_wait_dscnt 0x0
	v_bfe_i32 v175, v47, 8, 8
	v_ashrrev_i32_e32 v176, 24, v47
	s_delay_alu instid0(VALU_DEP_2) | instskip(NEXT) | instid1(VALU_DEP_2)
	v_mul_i32_i24_e32 v29, v175, v104
	v_mul_i32_i24_e32 v31, v176, v105
	s_delay_alu instid0(VALU_DEP_1) | instskip(SKIP_2) | instid1(VALU_DEP_1)
	v_add3_u32 v120, v120, v31, v29
	v_mul_i32_i24_e32 v29, v175, v166
	v_mul_i32_i24_e32 v31, v176, v167
	v_add3_u32 v121, v121, v31, v29
	v_add_nc_u32_e32 v29, 0x1804, v158
	v_add_nc_u32_e32 v31, 0x1c14, v158
	ds_load_2addr_b32 v[45:46], v29 offset1:1
	ds_load_2addr_b32 v[31:32], v31 offset1:1
	;; [unrolled: 1-line block ×3, first 2 shown]
	s_wait_dscnt 0x2
	v_bfe_i32 v177, v45, 8, 8
	v_ashrrev_i32_e32 v178, 24, v45
	s_delay_alu instid0(VALU_DEP_2) | instskip(NEXT) | instid1(VALU_DEP_2)
	v_mul_i32_i24_e32 v29, v177, v104
	v_mul_i32_i24_e32 v43, v178, v105
	s_delay_alu instid0(VALU_DEP_1) | instskip(SKIP_2) | instid1(VALU_DEP_1)
	v_add3_u32 v179, v125, v43, v29
	v_mul_i32_i24_e32 v29, v177, v166
	v_mul_i32_i24_e32 v43, v178, v167
	v_add3_u32 v180, v126, v43, v29
	v_add_nc_u32_e32 v29, 0x1c04, v158
	v_bfe_i32 v126, v49, 0, 8
	ds_load_2addr_b32 v[43:44], v29 offset1:1
	s_wait_dscnt 0x0
	v_bfe_i32 v181, v43, 8, 8
	v_ashrrev_i32_e32 v182, 24, v43
	s_delay_alu instid0(VALU_DEP_2) | instskip(NEXT) | instid1(VALU_DEP_2)
	v_mul_i32_i24_e32 v29, v181, v104
	v_mul_i32_i24_e32 v125, v182, v105
	s_delay_alu instid0(VALU_DEP_1) | instskip(SKIP_3) | instid1(VALU_DEP_2)
	v_add3_u32 v183, v139, v125, v29
	v_mul_i32_i24_e32 v29, v181, v166
	v_mul_i32_i24_e32 v125, v182, v167
	v_ashrrev_i32_e32 v139, 24, v61
	v_add3_u32 v184, v140, v125, v29
	v_lshrrev_b32_e32 v29, 4, v28
	v_bfe_i32 v28, v30, 8, 8
	v_and_b32_e32 v30, 0xf0f0f0f, v6
	v_bfe_i32 v140, v45, 16, 8
	v_lshrrev_b32_e32 v6, 4, v6
	v_lshrrev_b16 v29, 8, v29
	s_delay_alu instid0(VALU_DEP_4) | instskip(NEXT) | instid1(VALU_DEP_3)
	v_lshrrev_b16 v30, 8, v30
	v_lshrrev_b16 v6, 8, v6
	s_delay_alu instid0(VALU_DEP_3) | instskip(NEXT) | instid1(VALU_DEP_3)
	v_and_b32_e32 v125, 15, v29
	v_and_b32_e32 v29, 0xffff, v30
	s_delay_alu instid0(VALU_DEP_3) | instskip(NEXT) | instid1(VALU_DEP_3)
	v_and_b32_e32 v6, 15, v6
	v_and_b32_e32 v30, 0xffff, v125
	s_delay_alu instid0(VALU_DEP_3) | instskip(NEXT) | instid1(VALU_DEP_2)
	v_mul_i32_i24_e32 v8, v28, v29
	v_mul_i32_i24_e32 v125, v152, v30
	s_delay_alu instid0(VALU_DEP_1)
	v_add3_u32 v185, v145, v125, v8
	v_mul_i32_i24_e32 v8, v237, v86
	v_mul_i32_i24_e32 v86, v239, v87
	;; [unrolled: 1-line block ×4, first 2 shown]
	v_bfe_i32 v145, v49, 16, 8
	v_mul_i32_i24_e32 v49, v126, v187
	v_add3_u32 v86, v146, v8, v86
	v_mul_i32_i24_e32 v8, v237, v97
	v_bfe_i32 v146, v51, 0, 8
	s_delay_alu instid0(VALU_DEP_2)
	v_add3_u32 v87, v147, v8, v87
	v_lshrrev_b32_e32 v8, 4, v68
	v_mul_i32_i24_e32 v68, v73, v238
	v_ashrrev_i32_e32 v238, 24, v62
	v_bfe_i32 v147, v51, 16, 8
	v_mul_i32_i24_e32 v51, v146, v187
	v_lshrrev_b16 v8, 8, v8
	s_delay_alu instid0(VALU_DEP_1) | instskip(NEXT) | instid1(VALU_DEP_1)
	v_and_b32_e32 v8, 15, v8
	v_and_b32_e32 v97, 0xffff, v8
	s_delay_alu instid0(VALU_DEP_1) | instskip(SKIP_1) | instid1(VALU_DEP_2)
	v_mul_i32_i24_e32 v8, v97, v144
	v_bfe_i32 v144, v61, 0, 8
	v_add3_u32 v68, v153, v8, v68
	v_mul_i32_i24_e32 v8, v60, v93
	v_bfe_i32 v153, v64, 8, 8
	v_mul_i32_i24_e32 v60, v60, v97
	s_delay_alu instid0(VALU_DEP_3) | instskip(SKIP_1) | instid1(VALU_DEP_1)
	v_mad_i32_i24 v8, v74, v249, v8
	v_mul_i32_i24_e32 v74, v77, v245
	v_add3_u32 v72, v8, v72, v74
	v_lshrrev_b32_e32 v8, 4, v69
	v_and_b32_e32 v69, 0xf0f0f0f, v69
	s_delay_alu instid0(VALU_DEP_2) | instskip(NEXT) | instid1(VALU_DEP_2)
	v_lshrrev_b16 v8, 8, v8
	v_lshrrev_b16 v69, 8, v69
	s_delay_alu instid0(VALU_DEP_2) | instskip(NEXT) | instid1(VALU_DEP_2)
	v_and_b32_e32 v8, 15, v8
	v_and_b32_e32 v74, 0xffff, v69
	v_bfe_i32 v69, v70, 8, 8
	s_delay_alu instid0(VALU_DEP_3) | instskip(NEXT) | instid1(VALU_DEP_2)
	v_and_b32_e32 v8, 0xffff, v8
	v_mul_i32_i24_e32 v64, v69, v74
	s_delay_alu instid0(VALU_DEP_2) | instskip(NEXT) | instid1(VALU_DEP_1)
	v_mul_i32_i24_e32 v70, v153, v8
	v_add3_u32 v70, v60, v64, v70
	v_bfe_i32 v60, v62, 16, 8
	v_bfe_u32 v64, v57, 20, 4
	s_delay_alu instid0(VALU_DEP_2) | instskip(NEXT) | instid1(VALU_DEP_2)
	v_mul_i32_i24_e32 v77, v60, v14
	v_mul_i32_i24_e32 v99, v253, v64
	s_delay_alu instid0(VALU_DEP_1) | instskip(SKIP_2) | instid1(VALU_DEP_1)
	v_add3_u32 v154, v154, v99, v77
	v_mul_i32_i24_e32 v77, v243, v21
	v_mul_i32_i24_e32 v99, v144, v248
	v_add3_u32 v155, v155, v99, v77
	v_mul_i32_i24_e32 v77, v238, v19
	v_mul_i32_i24_e32 v99, v139, v246
	s_delay_alu instid0(VALU_DEP_1) | instskip(SKIP_3) | instid1(VALU_DEP_2)
	v_add3_u32 v186, v156, v99, v77
	v_mul_i32_i24_e32 v77, v69, v104
	v_mul_i32_i24_e32 v99, v83, v105
	v_bfe_i32 v156, v45, 0, 8
	v_add3_u32 v99, v102, v99, v77
	v_mul_i32_i24_e32 v77, v69, v166
	v_mul_i32_i24_e32 v102, v83, v167
	s_delay_alu instid0(VALU_DEP_4) | instskip(NEXT) | instid1(VALU_DEP_2)
	v_mul_i32_i24_e32 v45, v156, v187
	v_add3_u32 v102, v103, v102, v77
	v_mul_i32_i24_e32 v77, v93, v84
	v_mul_i32_i24_e32 v103, v242, v95
	s_delay_alu instid0(VALU_DEP_2) | instskip(NEXT) | instid1(VALU_DEP_1)
	v_mad_i32_i24 v77, v249, v85, v77
	v_add3_u32 v103, v77, v103, v125
	v_mul_i32_i24_e32 v77, v190, v188
	v_mul_i32_i24_e32 v125, v245, v109
	s_delay_alu instid0(VALU_DEP_2) | instskip(SKIP_2) | instid1(VALU_DEP_1)
	v_add3_u32 v165, v165, v53, v77
	v_mul_i32_i24_e32 v53, v189, v191
	v_mul_i32_i24_e32 v77, v190, v192
	v_add3_u32 v168, v168, v53, v77
	v_mul_i32_i24_e32 v53, v93, v101
	v_mul_i32_i24_e32 v77, v242, v108
	s_delay_alu instid0(VALU_DEP_2) | instskip(NEXT) | instid1(VALU_DEP_1)
	v_mad_i32_i24 v53, v249, v106, v53
	v_add3_u32 v193, v53, v77, v125
	v_mul_i32_i24_e32 v53, v147, v188
	v_mul_i32_i24_e32 v77, v245, v115
	v_bfe_i32 v125, v47, 16, 8
	s_delay_alu instid0(VALU_DEP_3) | instskip(SKIP_2) | instid1(VALU_DEP_1)
	v_add3_u32 v171, v171, v51, v53
	v_mul_i32_i24_e32 v51, v146, v191
	v_mul_i32_i24_e32 v53, v147, v192
	v_add3_u32 v172, v172, v51, v53
	v_mul_i32_i24_e32 v51, v93, v110
	v_mul_i32_i24_e32 v53, v242, v113
	s_delay_alu instid0(VALU_DEP_2) | instskip(NEXT) | instid1(VALU_DEP_1)
	v_mad_i32_i24 v51, v249, v111, v51
	v_add3_u32 v194, v51, v53, v77
	v_mul_i32_i24_e32 v51, v145, v188
	v_mul_i32_i24_e32 v53, v145, v192
	;; [unrolled: 1-line block ×3, first 2 shown]
	s_delay_alu instid0(VALU_DEP_3) | instskip(SKIP_2) | instid1(VALU_DEP_2)
	v_add3_u32 v49, v112, v49, v51
	v_mul_i32_i24_e32 v51, v126, v191
	v_mul_i32_i24_e32 v112, v245, v88
	v_add3_u32 v195, v114, v51, v53
	v_mul_i32_i24_e32 v51, v93, v116
	v_mul_i32_i24_e32 v53, v242, v118
	v_lshrrev_b32_e32 v114, 28, v59
	s_delay_alu instid0(VALU_DEP_3) | instskip(NEXT) | instid1(VALU_DEP_1)
	v_mad_i32_i24 v51, v249, v117, v51
	v_add3_u32 v196, v51, v53, v77
	v_bfe_i32 v77, v47, 0, 8
	v_mul_i32_i24_e32 v51, v125, v188
	v_mul_i32_i24_e32 v53, v125, v192
	s_delay_alu instid0(VALU_DEP_3) | instskip(NEXT) | instid1(VALU_DEP_1)
	v_mul_i32_i24_e32 v47, v77, v187
	v_add3_u32 v47, v120, v47, v51
	v_mul_i32_i24_e32 v51, v77, v191
	s_delay_alu instid0(VALU_DEP_1) | instskip(SKIP_2) | instid1(VALU_DEP_2)
	v_add3_u32 v120, v121, v51, v53
	v_mul_i32_i24_e32 v51, v93, v122
	v_mul_i32_i24_e32 v53, v242, v157
	v_mad_i32_i24 v51, v249, v123, v51
	s_delay_alu instid0(VALU_DEP_1) | instskip(SKIP_3) | instid1(VALU_DEP_3)
	v_add3_u32 v121, v51, v53, v112
	v_mul_i32_i24_e32 v51, v140, v188
	v_mul_i32_i24_e32 v53, v140, v192
	v_lshrrev_b32_e32 v112, 28, v55
	v_add3_u32 v45, v179, v45, v51
	v_mul_i32_i24_e32 v51, v156, v191
	s_delay_alu instid0(VALU_DEP_1)
	v_add3_u32 v179, v180, v51, v53
	v_mul_i32_i24_e32 v51, v93, v148
	v_mul_i32_i24_e32 v53, v242, v90
	v_mul_i32_i24_e32 v93, v245, v91
	v_bfe_i32 v245, v9, 8, 8
	v_and_b32_e32 v9, 0xf0f0f0f, v7
	v_mad_i32_i24 v51, v249, v89, v51
	v_bfe_i32 v249, v43, 0, 8
	v_and_b32_e32 v242, 0xffff, v6
	v_lshrrev_b32_e32 v7, 4, v7
	v_lshrrev_b16 v9, 8, v9
	v_add3_u32 v93, v51, v53, v93
	v_mul_i32_i24_e32 v51, v97, v84
	v_mul_i32_i24_e32 v53, v97, v101
	;; [unrolled: 1-line block ×6, first 2 shown]
	v_bfe_i32 v148, v43, 16, 8
	v_mad_i32_i24 v85, v73, v85, v51
	v_mul_i32_i24_e32 v43, v249, v187
	v_mad_i32_i24 v106, v73, v106, v53
	v_mad_i32_i24 v84, v73, v111, v84
	v_mul_i32_i24_e32 v51, v148, v188
	v_mul_i32_i24_e32 v53, v148, v192
	v_mad_i32_i24 v101, v73, v117, v101
	v_mad_i32_i24 v116, v73, v123, v110
	;; [unrolled: 1-line block ×3, first 2 shown]
	v_add3_u32 v43, v183, v43, v51
	v_mul_i32_i24_e32 v51, v249, v191
	v_bfe_i32 v110, v41, 0, 8
	v_ashrrev_i32_e32 v111, 24, v41
	s_delay_alu instid0(VALU_DEP_3) | instskip(SKIP_4) | instid1(VALU_DEP_3)
	v_add3_u32 v89, v184, v51, v53
	v_bfe_i32 v51, v16, 8, 8
	v_and_b32_e32 v53, 0xffff, v9
	v_mul_i32_i24_e32 v9, v245, v242
	v_and_b32_e32 v16, 0xf0f0f0f, v56
	v_mul_i32_i24_e32 v6, v51, v53
	s_delay_alu instid0(VALU_DEP_2) | instskip(NEXT) | instid1(VALU_DEP_2)
	v_lshrrev_b16 v16, 8, v16
	v_add3_u32 v117, v185, v9, v6
	v_mul_i32_i24_e32 v6, v94, v104
	v_mul_i32_i24_e32 v9, v232, v187
	v_bfe_u32 v104, v59, 4, 4
	s_delay_alu instid0(VALU_DEP_2) | instskip(SKIP_2) | instid1(VALU_DEP_1)
	v_add3_u32 v86, v86, v6, v9
	v_mul_i32_i24_e32 v6, v94, v166
	v_mul_i32_i24_e32 v9, v232, v191
	v_add3_u32 v87, v87, v6, v9
	v_mul_i32_i24_e32 v6, v66, v237
	v_mul_i32_i24_e32 v9, v67, v239
	v_ashrrev_i32_e32 v237, 24, v33
	v_bfe_i32 v239, v39, 0, 8
	s_delay_alu instid0(VALU_DEP_3) | instskip(SKIP_3) | instid1(VALU_DEP_2)
	v_add3_u32 v68, v68, v6, v9
	v_mul_i32_i24_e32 v6, v83, v233
	v_mul_i32_i24_e32 v9, v69, v92
	;; [unrolled: 1-line block ×3, first 2 shown]
	v_add3_u32 v69, v72, v6, v9
	v_lshrrev_b32_e32 v6, 4, v56
	v_bfe_i32 v9, v71, 8, 8
	v_mul_i32_i24_e32 v72, v2, v192
	s_delay_alu instid0(VALU_DEP_3) | instskip(NEXT) | instid1(VALU_DEP_1)
	v_lshrrev_b16 v6, 8, v6
	v_and_b32_e32 v56, 15, v6
	v_and_b32_e32 v6, 0xffff, v16
	s_delay_alu instid0(VALU_DEP_2) | instskip(NEXT) | instid1(VALU_DEP_2)
	v_and_b32_e32 v56, 0xffff, v56
	v_mul_i32_i24_e32 v16, v9, v6
	s_delay_alu instid0(VALU_DEP_2) | instskip(NEXT) | instid1(VALU_DEP_1)
	v_mul_i32_i24_e32 v71, v65, v56
	v_add3_u32 v70, v70, v16, v71
	v_mul_i32_i24_e32 v16, v3, v187
	v_mul_i32_i24_e32 v71, v2, v188
	v_mul_i32_i24_e32 v2, v2, v228
	s_delay_alu instid0(VALU_DEP_2) | instskip(SKIP_2) | instid1(VALU_DEP_2)
	v_add3_u32 v71, v99, v16, v71
	v_mul_i32_i24_e32 v16, v3, v191
	v_mul_i32_i24_e32 v3, v3, v229
	v_add3_u32 v72, v102, v16, v72
	v_mul_i32_i24_e32 v16, v160, v233
	v_bfe_u32 v102, v55, 4, 4
	s_delay_alu instid0(VALU_DEP_2) | instskip(SKIP_3) | instid1(VALU_DEP_2)
	v_add3_u32 v83, v103, v16, v83
	v_mul_i32_i24_e32 v16, v66, v95
	v_mul_i32_i24_e32 v95, v67, v96
	;; [unrolled: 1-line block ×3, first 2 shown]
	v_add3_u32 v85, v85, v16, v95
	v_mul_i32_i24_e32 v16, v110, v102
	v_mul_i32_i24_e32 v95, v111, v112
	s_delay_alu instid0(VALU_DEP_1) | instskip(SKIP_2) | instid1(VALU_DEP_1)
	v_add3_u32 v103, v165, v95, v16
	v_mul_i32_i24_e32 v16, v110, v104
	v_mul_i32_i24_e32 v95, v111, v114
	v_add3_u32 v122, v168, v95, v16
	v_mul_i32_i24_e32 v16, v170, v233
	v_mul_i32_i24_e32 v95, v169, v92
	s_delay_alu instid0(VALU_DEP_1) | instskip(SKIP_2) | instid1(VALU_DEP_1)
	v_add3_u32 v123, v193, v16, v95
	v_mul_i32_i24_e32 v16, v66, v108
	v_mul_i32_i24_e32 v95, v67, v109
	v_add3_u32 v108, v106, v16, v95
	v_bfe_i32 v16, v33, 0, 8
	v_ashrrev_i32_e32 v106, 24, v31
	s_delay_alu instid0(VALU_DEP_2) | instskip(NEXT) | instid1(VALU_DEP_1)
	v_mul_i32_i24_e32 v95, v16, v102
	v_add3_u32 v109, v171, v96, v95
	v_mul_i32_i24_e32 v95, v16, v104
	v_mul_i32_i24_e32 v96, v237, v114
	s_delay_alu instid0(VALU_DEP_1) | instskip(SKIP_2) | instid1(VALU_DEP_1)
	v_add3_u32 v165, v172, v96, v95
	v_mul_i32_i24_e32 v95, v174, v233
	v_mul_i32_i24_e32 v96, v173, v92
	v_add3_u32 v166, v194, v95, v96
	v_mul_i32_i24_e32 v95, v66, v113
	v_mul_i32_i24_e32 v96, v67, v115
	v_bfe_u32 v115, v55, 20, 4
	v_bfe_i32 v113, v41, 16, 8
	s_delay_alu instid0(VALU_DEP_3) | instskip(SKIP_2) | instid1(VALU_DEP_2)
	v_add3_u32 v84, v84, v95, v96
	v_ashrrev_i32_e32 v95, 24, v39
	v_mul_i32_i24_e32 v96, v239, v102
	v_mul_i32_i24_e32 v97, v95, v112
	s_delay_alu instid0(VALU_DEP_1) | instskip(SKIP_3) | instid1(VALU_DEP_2)
	v_add3_u32 v168, v49, v97, v96
	v_mul_i32_i24_e32 v49, v239, v104
	v_mul_i32_i24_e32 v96, v95, v114
	v_ashrrev_i32_e32 v97, 24, v35
	v_add3_u32 v171, v195, v96, v49
	v_mul_i32_i24_e32 v49, v176, v233
	v_mul_i32_i24_e32 v96, v175, v92
	s_delay_alu instid0(VALU_DEP_4) | instskip(NEXT) | instid1(VALU_DEP_2)
	v_mul_i32_i24_e32 v99, v97, v112
	v_add3_u32 v172, v196, v49, v96
	v_mul_i32_i24_e32 v49, v66, v118
	v_mul_i32_i24_e32 v96, v67, v119
	s_delay_alu instid0(VALU_DEP_1) | instskip(SKIP_2) | instid1(VALU_DEP_2)
	v_add3_u32 v180, v101, v49, v96
	v_bfe_i32 v96, v35, 0, 8
	v_ashrrev_i32_e32 v101, 24, v37
	v_mul_i32_i24_e32 v49, v96, v102
	s_delay_alu instid0(VALU_DEP_1) | instskip(SKIP_3) | instid1(VALU_DEP_2)
	v_add3_u32 v183, v47, v99, v49
	v_mul_i32_i24_e32 v47, v96, v104
	v_mul_i32_i24_e32 v49, v97, v114
	v_bfe_i32 v99, v37, 0, 8
	v_add3_u32 v184, v120, v49, v47
	v_mul_i32_i24_e32 v47, v178, v233
	v_mul_i32_i24_e32 v49, v177, v92
	s_delay_alu instid0(VALU_DEP_1) | instskip(SKIP_2) | instid1(VALU_DEP_1)
	v_add3_u32 v185, v121, v47, v49
	v_mul_i32_i24_e32 v47, v66, v157
	v_mul_i32_i24_e32 v49, v67, v88
	v_add3_u32 v88, v116, v47, v49
	v_mul_i32_i24_e32 v47, v99, v102
	v_mul_i32_i24_e32 v49, v101, v112
	v_bfe_u32 v116, v59, 20, 4
	s_delay_alu instid0(VALU_DEP_2)
	v_add3_u32 v187, v45, v49, v47
	v_mul_i32_i24_e32 v45, v99, v104
	v_mul_i32_i24_e32 v47, v101, v114
	v_bfe_i32 v49, v61, 8, 8
	v_bfe_i32 v61, v63, 8, 8
	;; [unrolled: 1-line block ×3, first 2 shown]
	s_delay_alu instid0(VALU_DEP_4) | instskip(SKIP_3) | instid1(VALU_DEP_2)
	v_add3_u32 v179, v179, v47, v45
	v_mul_i32_i24_e32 v45, v182, v233
	v_mul_i32_i24_e32 v47, v181, v92
	v_bfe_i32 v233, v31, 0, 8
	v_add3_u32 v92, v93, v45, v47
	v_mul_i32_i24_e32 v45, v66, v90
	v_mul_i32_i24_e32 v47, v67, v91
	s_delay_alu instid0(VALU_DEP_1) | instskip(SKIP_2) | instid1(VALU_DEP_1)
	v_add3_u32 v73, v73, v45, v47
	v_mul_i32_i24_e32 v45, v233, v102
	v_mul_i32_i24_e32 v47, v106, v112
	v_add3_u32 v90, v43, v47, v45
	v_bfe_i32 v47, v5, 8, 8
	v_lshrrev_b16 v5, 8, v7
	v_mul_i32_i24_e32 v43, v233, v104
	v_mul_i32_i24_e32 v45, v106, v114
	;; [unrolled: 1-line block ×3, first 2 shown]
	s_delay_alu instid0(VALU_DEP_4) | instskip(NEXT) | instid1(VALU_DEP_3)
	v_and_b32_e32 v5, 15, v5
	v_add3_u32 v89, v89, v45, v43
	s_delay_alu instid0(VALU_DEP_2) | instskip(NEXT) | instid1(VALU_DEP_1)
	v_and_b32_e32 v45, 0xffff, v5
	v_mul_i32_i24_e32 v5, v47, v45
	s_delay_alu instid0(VALU_DEP_1) | instskip(SKIP_1) | instid1(VALU_DEP_1)
	v_add3_u32 v91, v117, v5, v98
	v_mul_i32_i24_e32 v5, v224, v188
	v_add3_u32 v86, v86, v5, v7
	v_mul_i32_i24_e32 v5, v224, v192
	v_mul_i32_i24_e32 v7, v227, v167
	s_delay_alu instid0(VALU_DEP_1)
	v_add3_u32 v87, v87, v5, v7
	v_mul_i32_i24_e32 v7, v94, v74
	v_add3_u32 v94, v69, v3, v2
	v_lshrrev_b32_e32 v2, 4, v57
	v_and_b32_e32 v3, 0xf0f0f0f, v57
	v_mul_i32_i24_e32 v5, v232, v151
	v_bfe_i32 v232, v37, 16, 8
	s_delay_alu instid0(VALU_DEP_4) | instskip(NEXT) | instid1(VALU_DEP_4)
	v_lshrrev_b16 v2, 8, v2
	v_lshrrev_b16 v3, 8, v3
	s_delay_alu instid0(VALU_DEP_4) | instskip(SKIP_4) | instid1(VALU_DEP_2)
	v_add3_u32 v93, v68, v7, v5
	v_bfe_i32 v5, v33, 8, 8
	v_bfe_i32 v7, v39, 8, 8
	v_and_b32_e32 v2, 15, v2
	v_and_b32_e32 v57, 0xffff, v3
	;; [unrolled: 1-line block ×3, first 2 shown]
	s_delay_alu instid0(VALU_DEP_2) | instskip(NEXT) | instid1(VALU_DEP_2)
	v_mul_i32_i24_e32 v2, v61, v57
	v_mul_i32_i24_e32 v3, v49, v43
	s_delay_alu instid0(VALU_DEP_1) | instskip(SKIP_3) | instid1(VALU_DEP_2)
	v_add3_u32 v98, v70, v2, v3
	v_mul_i32_i24_e32 v2, v80, v102
	v_mul_i32_i24_e32 v3, v82, v112
	v_mul_i32_i24_e32 v112, v211, v112
	v_add3_u32 v105, v71, v3, v2
	v_mul_i32_i24_e32 v2, v80, v104
	v_mul_i32_i24_e32 v3, v82, v114
	s_delay_alu instid0(VALU_DEP_1) | instskip(SKIP_2) | instid1(VALU_DEP_1)
	v_add3_u32 v167, v72, v3, v2
	v_mul_i32_i24_e32 v2, v189, v229
	v_mul_i32_i24_e32 v3, v190, v228
	v_add3_u32 v188, v83, v2, v3
	v_mul_i32_i24_e32 v2, v160, v79
	v_mul_i32_i24_e32 v3, v107, v74
	v_bfe_u32 v83, v55, 12, 4
	v_bfe_i32 v55, v41, 8, 8
	v_mov_b32_e32 v160, v162
	v_bfe_i32 v41, v33, 16, 8
	v_add3_u32 v107, v85, v2, v3
	v_mul_i32_i24_e32 v3, v113, v115
	v_mul_i32_i24_e32 v2, v55, v83
	v_bfe_u32 v85, v59, 12, 4
	v_bfe_i32 v59, v39, 16, 8
	v_mul_i32_i24_e32 v33, v125, v228
	v_mul_i32_i24_e32 v39, v175, v74
	v_add3_u32 v103, v103, v2, v3
	v_mul_i32_i24_e32 v2, v55, v85
	v_mul_i32_i24_e32 v3, v113, v116
	v_mov_b32_e32 v162, v163
	s_delay_alu instid0(VALU_DEP_2) | instskip(SKIP_2) | instid1(VALU_DEP_1)
	v_add3_u32 v117, v122, v2, v3
	v_mul_i32_i24_e32 v2, v146, v229
	v_mul_i32_i24_e32 v3, v147, v228
	v_add3_u32 v118, v123, v2, v3
	v_mul_i32_i24_e32 v2, v170, v79
	v_mul_i32_i24_e32 v3, v169, v74
	s_delay_alu instid0(VALU_DEP_1) | instskip(SKIP_2) | instid1(VALU_DEP_1)
	v_add3_u32 v119, v108, v2, v3
	v_mul_i32_i24_e32 v2, v5, v83
	v_mul_i32_i24_e32 v3, v41, v115
	v_add3_u32 v120, v109, v2, v3
	v_mul_i32_i24_e32 v2, v5, v85
	v_mul_i32_i24_e32 v3, v41, v116
	s_delay_alu instid0(VALU_DEP_1) | instskip(SKIP_2) | instid1(VALU_DEP_1)
	v_add3_u32 v121, v165, v2, v3
	v_mul_i32_i24_e32 v2, v126, v229
	v_mul_i32_i24_e32 v3, v145, v228
	v_add3_u32 v122, v166, v2, v3
	v_mul_i32_i24_e32 v2, v174, v79
	v_mul_i32_i24_e32 v3, v173, v74
	s_delay_alu instid0(VALU_DEP_1) | instskip(SKIP_3) | instid1(VALU_DEP_2)
	v_add3_u32 v123, v84, v2, v3
	v_mul_i32_i24_e32 v2, v7, v83
	v_mul_i32_i24_e32 v3, v59, v115
	v_mul_i32_i24_e32 v84, v149, v116
	v_add3_u32 v157, v168, v2, v3
	v_mul_i32_i24_e32 v2, v7, v85
	v_mul_i32_i24_e32 v3, v59, v116
	s_delay_alu instid0(VALU_DEP_1) | instskip(SKIP_2) | instid1(VALU_DEP_2)
	v_add3_u32 v2, v171, v2, v3
	v_mul_i32_i24_e32 v3, v77, v229
	v_mul_i32_i24_e32 v77, v77, v151
	v_add3_u32 v3, v172, v3, v33
	v_mul_i32_i24_e32 v33, v176, v79
	s_delay_alu instid0(VALU_DEP_1) | instskip(SKIP_2) | instid1(VALU_DEP_2)
	v_add3_u32 v108, v180, v33, v39
	v_bfe_i32 v39, v35, 8, 8
	v_mul_i32_i24_e32 v35, v63, v115
	v_mul_i32_i24_e32 v33, v39, v83
	s_delay_alu instid0(VALU_DEP_1) | instskip(SKIP_2) | instid1(VALU_DEP_1)
	v_add3_u32 v109, v183, v33, v35
	v_mul_i32_i24_e32 v33, v39, v85
	v_mul_i32_i24_e32 v35, v63, v116
	v_add3_u32 v66, v184, v33, v35
	v_mul_i32_i24_e32 v33, v156, v229
	v_mul_i32_i24_e32 v35, v140, v228
	s_delay_alu instid0(VALU_DEP_1) | instskip(SKIP_2) | instid1(VALU_DEP_1)
	v_add3_u32 v67, v185, v33, v35
	v_mul_i32_i24_e32 v33, v178, v79
	v_mul_i32_i24_e32 v35, v177, v74
	v_add3_u32 v68, v88, v33, v35
	v_bfe_i32 v35, v37, 8, 8
	v_mul_i32_i24_e32 v37, v232, v115
	s_delay_alu instid0(VALU_DEP_2) | instskip(NEXT) | instid1(VALU_DEP_1)
	v_mul_i32_i24_e32 v33, v35, v83
	v_add3_u32 v69, v187, v33, v37
	v_mul_i32_i24_e32 v33, v35, v85
	v_mul_i32_i24_e32 v37, v232, v116
	s_delay_alu instid0(VALU_DEP_1) | instskip(SKIP_4) | instid1(VALU_DEP_3)
	v_add3_u32 v70, v179, v33, v37
	v_mul_i32_i24_e32 v33, v249, v229
	v_mul_i32_i24_e32 v37, v148, v228
	v_bfe_i32 v228, v31, 16, 8
	v_bfe_u32 v229, v10, 8, 4
	v_add3_u32 v71, v92, v33, v37
	v_mul_i32_i24_e32 v33, v181, v74
	v_mul_i32_i24_e32 v37, v182, v79
	;; [unrolled: 1-line block ×3, first 2 shown]
	s_delay_alu instid0(VALU_DEP_2) | instskip(SKIP_2) | instid1(VALU_DEP_2)
	v_add3_u32 v72, v73, v37, v33
	v_bfe_i32 v37, v31, 8, 8
	v_mul_i32_i24_e32 v33, v228, v115
	v_mul_i32_i24_e32 v31, v37, v83
	s_delay_alu instid0(VALU_DEP_1) | instskip(SKIP_2) | instid1(VALU_DEP_1)
	v_add3_u32 v73, v90, v31, v33
	v_mul_i32_i24_e32 v31, v37, v85
	v_mul_i32_i24_e32 v33, v228, v116
	v_add3_u32 v74, v89, v31, v33
	v_add3_u32 v31, v78, v75, v91
	v_mul_i32_i24_e32 v33, v215, v102
	v_mul_i32_i24_e32 v75, v152, v83
	;; [unrolled: 1-line block ×3, first 2 shown]
	v_bfe_u32 v89, v12, 24, 4
	s_delay_alu instid0(VALU_DEP_3) | instskip(SKIP_4) | instid1(VALU_DEP_4)
	v_add3_u32 v75, v86, v33, v75
	v_mul_i32_i24_e32 v33, v215, v104
	v_mul_i32_i24_e32 v86, v190, v150
	;; [unrolled: 1-line block ×4, first 2 shown]
	v_add3_u32 v78, v87, v33, v78
	v_mul_i32_i24_e32 v33, v227, v79
	v_mul_i32_i24_e32 v79, v224, v150
	v_bfe_u32 v227, v10, 24, 4
	v_ashrrev_i32_e32 v224, 24, v54
	s_delay_alu instid0(VALU_DEP_3) | instskip(SKIP_2) | instid1(VALU_DEP_4)
	v_add3_u32 v79, v93, v79, v33
	v_mul_i32_i24_e32 v33, v80, v217
	v_mul_i32_i24_e32 v80, v82, v216
	;; [unrolled: 1-line block ×5, first 2 shown]
	s_delay_alu instid0(VALU_DEP_4) | instskip(SKIP_2) | instid1(VALU_DEP_2)
	v_add3_u32 v80, v94, v80, v33
	v_lshrrev_b16 v33, 8, v62
	v_ashrrev_i32_e32 v94, 24, v52
	v_bfe_i32 v33, v33, 0, 8
	s_delay_alu instid0(VALU_DEP_2) | instskip(NEXT) | instid1(VALU_DEP_2)
	v_mul_i32_i24_e32 v102, v94, v227
	v_mul_i32_i24_e32 v62, v33, v23
	s_delay_alu instid0(VALU_DEP_1) | instskip(SKIP_2) | instid1(VALU_DEP_1)
	v_add3_u32 v82, v98, v62, v186
	v_mul_i32_i24_e32 v62, v153, v83
	v_mul_i32_i24_e32 v83, v149, v115
	v_add3_u32 v83, v105, v62, v83
	v_mul_i32_i24_e32 v62, v153, v85
	v_mul_i32_i24_e32 v85, v111, v216
	;; [unrolled: 1-line block ×3, first 2 shown]
	s_delay_alu instid0(VALU_DEP_3) | instskip(SKIP_1) | instid1(VALU_DEP_1)
	v_add3_u32 v84, v167, v62, v84
	v_mul_i32_i24_e32 v62, v110, v217
	v_add3_u32 v85, v188, v85, v62
	v_mul_i32_i24_e32 v62, v189, v151
	s_delay_alu instid0(VALU_DEP_1) | instskip(SKIP_2) | instid1(VALU_DEP_2)
	v_add3_u32 v86, v107, v62, v86
	v_bfe_i32 v62, v54, 8, 8
	v_ashrrev_i32_e32 v107, 24, v50
	v_mul_i32_i24_e32 v87, v62, v229
	s_delay_alu instid0(VALU_DEP_1) | instskip(SKIP_2) | instid1(VALU_DEP_2)
	v_add3_u32 v87, v103, v88, v87
	v_bfe_u32 v88, v12, 8, 4
	v_mul_i32_i24_e32 v103, v94, v89
	v_mul_i32_i24_e32 v90, v62, v88
	s_delay_alu instid0(VALU_DEP_1) | instskip(SKIP_2) | instid1(VALU_DEP_2)
	v_add3_u32 v90, v117, v91, v90
	v_mul_i32_i24_e32 v91, v16, v217
	v_mul_i32_i24_e32 v16, v16, v134
	v_add3_u32 v91, v118, v92, v91
	v_mul_i32_i24_e32 v92, v146, v151
	v_mul_i32_i24_e32 v118, v107, v227
	s_delay_alu instid0(VALU_DEP_2) | instskip(SKIP_2) | instid1(VALU_DEP_2)
	v_add3_u32 v92, v119, v92, v93
	v_bfe_i32 v93, v52, 8, 8
	v_mul_i32_i24_e32 v119, v107, v89
	v_mul_i32_i24_e32 v98, v93, v229
	s_delay_alu instid0(VALU_DEP_1) | instskip(SKIP_1) | instid1(VALU_DEP_1)
	v_add3_u32 v98, v120, v102, v98
	v_mul_i32_i24_e32 v102, v93, v88
	v_add3_u32 v102, v121, v103, v102
	v_mul_i32_i24_e32 v103, v239, v217
	v_ashrrev_i32_e32 v121, 24, v46
	s_delay_alu instid0(VALU_DEP_2) | instskip(SKIP_1) | instid1(VALU_DEP_3)
	v_add3_u32 v103, v122, v104, v103
	v_mul_i32_i24_e32 v104, v126, v151
	v_mul_i32_i24_e32 v122, v121, v227
	s_delay_alu instid0(VALU_DEP_2) | instskip(SKIP_2) | instid1(VALU_DEP_2)
	v_add3_u32 v104, v123, v104, v105
	v_bfe_i32 v105, v50, 8, 8
	v_ashrrev_i32_e32 v123, 24, v44
	v_mul_i32_i24_e32 v117, v105, v229
	s_delay_alu instid0(VALU_DEP_1) | instskip(SKIP_1) | instid1(VALU_DEP_1)
	v_add3_u32 v117, v157, v118, v117
	v_mul_i32_i24_e32 v118, v105, v88
	v_add3_u32 v2, v2, v119, v118
	v_mul_i32_i24_e32 v118, v96, v217
	v_mul_i32_i24_e32 v119, v97, v216
	;; [unrolled: 1-line block ×4, first 2 shown]
	s_delay_alu instid0(VALU_DEP_3) | instskip(SKIP_3) | instid1(VALU_DEP_3)
	v_add3_u32 v3, v3, v119, v118
	v_mul_i32_i24_e32 v118, v125, v150
	v_ashrrev_i32_e32 v119, 24, v48
	v_mul_i32_i24_e32 v125, v123, v227
	v_add3_u32 v108, v108, v77, v118
	v_bfe_i32 v118, v48, 8, 8
	s_delay_alu instid0(VALU_DEP_4) | instskip(NEXT) | instid1(VALU_DEP_3)
	v_mul_i32_i24_e32 v120, v119, v227
	v_add3_u32 v96, v108, v97, v96
	s_delay_alu instid0(VALU_DEP_3) | instskip(SKIP_2) | instid1(VALU_DEP_3)
	v_mul_i32_i24_e32 v77, v118, v229
	v_bfe_i32 v97, v48, 0, 8
	v_bfe_i32 v48, v48, 16, 8
	v_add3_u32 v109, v109, v120, v77
	v_mul_i32_i24_e32 v77, v118, v88
	v_mul_i32_i24_e32 v120, v119, v89
	s_delay_alu instid0(VALU_DEP_1) | instskip(SKIP_4) | instid1(VALU_DEP_3)
	v_add3_u32 v66, v66, v120, v77
	v_mul_i32_i24_e32 v77, v99, v217
	v_mul_i32_i24_e32 v120, v101, v216
	;; [unrolled: 1-line block ×4, first 2 shown]
	v_add3_u32 v67, v67, v120, v77
	v_mul_i32_i24_e32 v77, v156, v151
	v_mul_i32_i24_e32 v120, v140, v150
	s_delay_alu instid0(VALU_DEP_1) | instskip(SKIP_1) | instid1(VALU_DEP_2)
	v_add3_u32 v68, v68, v77, v120
	v_bfe_i32 v120, v46, 8, 8
	v_add3_u32 v68, v68, v101, v99
	s_delay_alu instid0(VALU_DEP_2) | instskip(SKIP_2) | instid1(VALU_DEP_3)
	v_mul_i32_i24_e32 v77, v120, v229
	v_bfe_i32 v99, v46, 0, 8
	v_bfe_i32 v46, v46, 16, 8
	v_add3_u32 v69, v69, v122, v77
	v_mul_i32_i24_e32 v77, v120, v88
	v_mul_i32_i24_e32 v122, v121, v89
	s_delay_alu instid0(VALU_DEP_1) | instskip(SKIP_2) | instid1(VALU_DEP_1)
	v_add3_u32 v70, v70, v122, v77
	v_mul_i32_i24_e32 v77, v233, v217
	v_mul_i32_i24_e32 v122, v106, v216
	v_add3_u32 v71, v71, v122, v77
	v_mul_i32_i24_e32 v77, v249, v151
	v_mul_i32_i24_e32 v122, v148, v150
	s_delay_alu instid0(VALU_DEP_1) | instskip(SKIP_1) | instid1(VALU_DEP_1)
	v_add3_u32 v72, v72, v77, v122
	v_bfe_i32 v122, v44, 8, 8
	v_mul_i32_i24_e32 v77, v122, v229
	s_delay_alu instid0(VALU_DEP_1) | instskip(SKIP_2) | instid1(VALU_DEP_1)
	v_add3_u32 v73, v73, v125, v77
	v_mul_i32_i24_e32 v77, v122, v88
	v_mul_i32_i24_e32 v125, v123, v89
	v_add3_u32 v74, v74, v125, v77
	v_mul_i32_i24_e32 v77, v210, v115
	s_delay_alu instid0(VALU_DEP_1) | instskip(SKIP_2) | instid1(VALU_DEP_1)
	v_add3_u32 v75, v75, v77, v112
	v_mul_i32_i24_e32 v77, v210, v116
	v_mul_i32_i24_e32 v112, v211, v114
	v_add3_u32 v78, v78, v77, v112
	v_mul_i32_i24_e32 v77, v215, v134
	v_mul_i32_i24_e32 v112, v152, v8
	s_delay_alu instid0(VALU_DEP_1) | instskip(SKIP_2) | instid1(VALU_DEP_1)
	v_add3_u32 v79, v79, v77, v112
	v_mul_i32_i24_e32 v77, v149, v214
	v_mul_i32_i24_e32 v112, v153, v30
	v_add3_u32 v80, v80, v112, v77
	v_add3_u32 v77, v155, v154, v82
	v_mul_i32_i24_e32 v82, v9, v229
	v_mul_i32_i24_e32 v112, v133, v227
	s_delay_alu instid0(VALU_DEP_1)
	v_add3_u32 v82, v83, v112, v82
	v_mul_i32_i24_e32 v83, v9, v88
	v_mul_i32_i24_e32 v112, v133, v89
	v_mul_i32_i24_e32 v88, v28, v88
	v_mul_i32_i24_e32 v9, v9, v29
	v_mul_i32_i24_e32 v89, v206, v89
	s_delay_alu instid0(VALU_DEP_4) | instskip(SKIP_3) | instid1(VALU_DEP_2)
	v_add3_u32 v83, v84, v112, v83
	v_mul_i32_i24_e32 v84, v113, v214
	v_mul_i32_i24_e32 v112, v55, v30
	;; [unrolled: 1-line block ×3, first 2 shown]
	v_add3_u32 v84, v85, v112, v84
	v_mul_i32_i24_e32 v85, v110, v134
	v_mul_i32_i24_e32 v110, v111, v132
	v_bfe_u32 v111, v10, 16, 4
	s_delay_alu instid0(VALU_DEP_2) | instskip(SKIP_3) | instid1(VALU_DEP_2)
	v_add3_u32 v85, v86, v110, v85
	v_bfe_i32 v86, v54, 0, 8
	v_bfe_i32 v54, v54, 16, 8
	v_and_b32_e32 v110, 15, v10
	v_mul_i32_i24_e32 v114, v54, v111
	s_delay_alu instid0(VALU_DEP_2) | instskip(SKIP_2) | instid1(VALU_DEP_3)
	v_mul_i32_i24_e32 v112, v86, v110
	v_mul_i32_i24_e32 v108, v97, v110
	;; [unrolled: 1-line block ×3, first 2 shown]
	v_add3_u32 v87, v87, v112, v114
	v_and_b32_e32 v112, 15, v12
	v_bfe_u32 v114, v12, 16, 4
	s_delay_alu instid0(VALU_DEP_2) | instskip(NEXT) | instid1(VALU_DEP_2)
	v_mul_i32_i24_e32 v115, v86, v112
	v_mul_i32_i24_e32 v116, v54, v114
	s_delay_alu instid0(VALU_DEP_1) | instskip(SKIP_4) | instid1(VALU_DEP_3)
	v_add3_u32 v90, v90, v115, v116
	v_mul_i32_i24_e32 v115, v41, v214
	v_mul_i32_i24_e32 v116, v5, v30
	;; [unrolled: 1-line block ×4, first 2 shown]
	v_add3_u32 v91, v91, v116, v115
	v_mul_i32_i24_e32 v115, v237, v132
	s_delay_alu instid0(VALU_DEP_1) | instskip(SKIP_2) | instid1(VALU_DEP_3)
	v_add3_u32 v16, v92, v115, v16
	v_bfe_i32 v92, v52, 0, 8
	v_bfe_i32 v52, v52, 16, 8
	v_add3_u32 v5, v16, v5, v41
	s_delay_alu instid0(VALU_DEP_3) | instskip(NEXT) | instid1(VALU_DEP_3)
	v_mul_i32_i24_e32 v115, v92, v110
	v_mul_i32_i24_e32 v116, v52, v111
	v_bfe_i32 v41, v34, 0, 8
	s_delay_alu instid0(VALU_DEP_2) | instskip(SKIP_2) | instid1(VALU_DEP_1)
	v_add3_u32 v98, v98, v115, v116
	v_mul_i32_i24_e32 v115, v92, v112
	v_mul_i32_i24_e32 v116, v52, v114
	v_add3_u32 v102, v102, v115, v116
	v_mul_i32_i24_e32 v115, v59, v214
	v_mul_i32_i24_e32 v116, v7, v30
	;; [unrolled: 1-line block ×4, first 2 shown]
	s_delay_alu instid0(VALU_DEP_3) | instskip(SKIP_1) | instid1(VALU_DEP_1)
	v_add3_u32 v103, v103, v116, v115
	v_mul_i32_i24_e32 v115, v239, v134
	v_add3_u32 v95, v104, v95, v115
	v_bfe_i32 v104, v50, 0, 8
	v_bfe_i32 v50, v50, 16, 8
	s_delay_alu instid0(VALU_DEP_3) | instskip(NEXT) | instid1(VALU_DEP_3)
	v_add3_u32 v7, v95, v7, v59
	v_mul_i32_i24_e32 v115, v104, v110
	s_delay_alu instid0(VALU_DEP_3) | instskip(SKIP_2) | instid1(VALU_DEP_3)
	v_mul_i32_i24_e32 v116, v50, v111
	v_bfe_i32 v59, v40, 0, 8
	v_ashrrev_i32_e32 v95, 24, v40
	v_add3_u32 v115, v117, v115, v116
	v_mul_i32_i24_e32 v116, v104, v112
	v_mul_i32_i24_e32 v117, v50, v114
	s_delay_alu instid0(VALU_DEP_1) | instskip(SKIP_4) | instid1(VALU_DEP_3)
	v_add3_u32 v2, v2, v116, v117
	v_mul_i32_i24_e32 v116, v63, v214
	v_mul_i32_i24_e32 v117, v39, v30
	;; [unrolled: 1-line block ×4, first 2 shown]
	v_add3_u32 v3, v3, v117, v116
	v_mul_i32_i24_e32 v116, v48, v111
	s_delay_alu instid0(VALU_DEP_3)
	v_add3_u32 v39, v96, v39, v63
	v_bfe_i32 v63, v36, 0, 8
	v_ashrrev_i32_e32 v96, 24, v36
	v_bfe_u32 v117, v13, 24, 4
	v_add3_u32 v108, v109, v108, v116
	v_mul_i32_i24_e32 v109, v97, v112
	v_mul_i32_i24_e32 v116, v48, v114
	s_delay_alu instid0(VALU_DEP_1)
	v_add3_u32 v66, v66, v109, v116
	v_mul_i32_i24_e32 v109, v232, v214
	v_mul_i32_i24_e32 v116, v35, v30
	v_mul_i32_i24_e32 v30, v37, v30
	v_mul_i32_i24_e32 v35, v35, v8
	v_mul_i32_i24_e32 v8, v37, v8
	v_bfe_i32 v37, v32, 0, 8
	v_add3_u32 v67, v67, v116, v109
	v_mul_i32_i24_e32 v109, v46, v111
	v_bfe_u32 v116, v13, 8, 4
	s_delay_alu instid0(VALU_DEP_2) | instskip(SKIP_2) | instid1(VALU_DEP_1)
	v_add3_u32 v69, v69, v101, v109
	v_mul_i32_i24_e32 v101, v99, v112
	v_mul_i32_i24_e32 v109, v46, v114
	v_add3_u32 v70, v70, v101, v109
	v_mul_i32_i24_e32 v101, v228, v214
	s_delay_alu instid0(VALU_DEP_1) | instskip(SKIP_2) | instid1(VALU_DEP_1)
	v_add3_u32 v30, v71, v30, v101
	v_mul_i32_i24_e32 v71, v233, v134
	v_mul_i32_i24_e32 v101, v106, v132
	v_add3_u32 v71, v72, v101, v71
	v_bfe_i32 v72, v44, 0, 8
	v_bfe_i32 v44, v44, 16, 8
	s_delay_alu instid0(VALU_DEP_2) | instskip(NEXT) | instid1(VALU_DEP_2)
	v_mul_i32_i24_e32 v101, v72, v110
	v_mul_i32_i24_e32 v106, v44, v111
	s_delay_alu instid0(VALU_DEP_1) | instskip(SKIP_2) | instid1(VALU_DEP_1)
	v_add3_u32 v73, v73, v101, v106
	v_mul_i32_i24_e32 v101, v72, v112
	v_mul_i32_i24_e32 v106, v44, v114
	v_add3_u32 v74, v74, v101, v106
	v_mul_i32_i24_e32 v101, v28, v229
	v_mul_i32_i24_e32 v106, v212, v110
	;; [unrolled: 1-line block ×3, first 2 shown]
	s_delay_alu instid0(VALU_DEP_2) | instskip(SKIP_1) | instid1(VALU_DEP_1)
	v_add3_u32 v75, v75, v101, v106
	v_mul_i32_i24_e32 v101, v212, v112
	v_add3_u32 v78, v78, v88, v101
	v_mul_i32_i24_e32 v88, v211, v132
	v_mul_i32_i24_e32 v101, v210, v131
	s_delay_alu instid0(VALU_DEP_1) | instskip(SKIP_2) | instid1(VALU_DEP_2)
	v_add3_u32 v79, v79, v101, v88
	v_mul_i32_i24_e32 v88, v133, v213
	v_ashrrev_i32_e32 v101, 24, v42
	v_add3_u32 v9, v80, v88, v9
	v_mul_i32_i24_e32 v80, v130, v110
	v_mul_i32_i24_e32 v88, v129, v111
	s_delay_alu instid0(VALU_DEP_1) | instskip(SKIP_2) | instid1(VALU_DEP_1)
	v_add3_u32 v80, v82, v80, v88
	v_mul_i32_i24_e32 v82, v130, v112
	v_mul_i32_i24_e32 v88, v129, v114
	v_add3_u32 v82, v83, v82, v88
	v_mul_i32_i24_e32 v83, v224, v213
	v_mul_i32_i24_e32 v88, v62, v29
	;; [unrolled: 1-line block ×3, first 2 shown]
	s_delay_alu instid0(VALU_DEP_2) | instskip(SKIP_2) | instid1(VALU_DEP_2)
	v_add3_u32 v83, v84, v83, v88
	v_mul_i32_i24_e32 v84, v113, v131
	v_bfe_i32 v88, v42, 0, 8
	v_add3_u32 v55, v85, v55, v84
	v_bfe_u32 v84, v10, 4, 4
	v_lshrrev_b32_e32 v85, 28, v10
	s_delay_alu instid0(VALU_DEP_2) | instskip(NEXT) | instid1(VALU_DEP_2)
	v_mul_i32_i24_e32 v106, v88, v84
	v_mul_i32_i24_e32 v109, v101, v85
	;; [unrolled: 1-line block ×3, first 2 shown]
	s_delay_alu instid0(VALU_DEP_2) | instskip(SKIP_2) | instid1(VALU_DEP_2)
	v_add3_u32 v87, v87, v109, v106
	v_bfe_u32 v106, v12, 4, 4
	v_lshrrev_b32_e32 v109, 28, v12
	v_mul_i32_i24_e32 v110, v88, v106
	s_delay_alu instid0(VALU_DEP_2) | instskip(SKIP_1) | instid1(VALU_DEP_2)
	v_mul_i32_i24_e32 v112, v101, v109
	v_mul_i32_i24_e32 v113, v95, v109
	v_add3_u32 v90, v90, v112, v110
	v_mul_i32_i24_e32 v110, v94, v213
	v_mul_i32_i24_e32 v112, v93, v29
	v_mul_i32_i24_e32 v93, v93, v6
	s_delay_alu instid0(VALU_DEP_2) | instskip(SKIP_1) | instid1(VALU_DEP_1)
	v_add3_u32 v91, v91, v110, v112
	v_ashrrev_i32_e32 v110, 24, v34
	v_mul_i32_i24_e32 v112, v110, v85
	s_delay_alu instid0(VALU_DEP_1) | instskip(SKIP_2) | instid1(VALU_DEP_1)
	v_add3_u32 v16, v98, v112, v16
	v_mul_i32_i24_e32 v98, v41, v106
	v_mul_i32_i24_e32 v112, v110, v109
	v_add3_u32 v98, v102, v112, v98
	v_mul_i32_i24_e32 v102, v107, v213
	v_mul_i32_i24_e32 v112, v105, v29
	s_delay_alu instid0(VALU_DEP_1) | instskip(SKIP_2) | instid1(VALU_DEP_1)
	v_add3_u32 v102, v103, v102, v112
	v_mul_i32_i24_e32 v103, v59, v84
	v_mul_i32_i24_e32 v112, v95, v85
	v_add3_u32 v103, v115, v112, v103
	v_mul_i32_i24_e32 v112, v59, v106
	s_delay_alu instid0(VALU_DEP_1) | instskip(SKIP_2) | instid1(VALU_DEP_1)
	v_add3_u32 v2, v2, v113, v112
	v_mul_i32_i24_e32 v112, v119, v213
	v_mul_i32_i24_e32 v113, v118, v29
	v_add3_u32 v3, v3, v112, v113
	v_mul_i32_i24_e32 v112, v63, v84
	v_mul_i32_i24_e32 v113, v96, v85
	s_delay_alu instid0(VALU_DEP_1) | instskip(SKIP_2) | instid1(VALU_DEP_1)
	v_add3_u32 v108, v108, v113, v112
	v_mul_i32_i24_e32 v112, v63, v106
	v_mul_i32_i24_e32 v113, v96, v109
	v_add3_u32 v66, v66, v113, v112
	v_mul_i32_i24_e32 v112, v121, v213
	v_mul_i32_i24_e32 v113, v120, v29
	;; [unrolled: 1-line block ×3, first 2 shown]
	s_delay_alu instid0(VALU_DEP_2) | instskip(SKIP_1) | instid1(VALU_DEP_1)
	v_add3_u32 v67, v67, v112, v113
	v_mul_i32_i24_e32 v112, v232, v131
	v_add3_u32 v35, v68, v35, v112
	v_bfe_i32 v68, v38, 0, 8
	v_ashrrev_i32_e32 v112, 24, v38
	s_delay_alu instid0(VALU_DEP_2) | instskip(NEXT) | instid1(VALU_DEP_2)
	v_mul_i32_i24_e32 v113, v68, v84
	v_mul_i32_i24_e32 v115, v112, v85
	s_delay_alu instid0(VALU_DEP_1) | instskip(SKIP_2) | instid1(VALU_DEP_1)
	v_add3_u32 v69, v69, v115, v113
	v_mul_i32_i24_e32 v113, v68, v106
	v_mul_i32_i24_e32 v115, v112, v109
	v_add3_u32 v70, v70, v115, v113
	v_mul_i32_i24_e32 v113, v123, v213
	s_delay_alu instid0(VALU_DEP_1) | instskip(SKIP_1) | instid1(VALU_DEP_1)
	v_add3_u32 v29, v30, v113, v29
	v_mul_i32_i24_e32 v30, v228, v131
	v_add3_u32 v8, v71, v8, v30
	v_ashrrev_i32_e32 v71, 24, v32
	v_mul_i32_i24_e32 v30, v37, v84
	s_delay_alu instid0(VALU_DEP_2) | instskip(NEXT) | instid1(VALU_DEP_1)
	v_mul_i32_i24_e32 v113, v71, v85
	v_add3_u32 v30, v73, v113, v30
	v_mul_i32_i24_e32 v73, v37, v106
	v_mul_i32_i24_e32 v113, v71, v109
	s_delay_alu instid0(VALU_DEP_1) | instskip(SKIP_2) | instid1(VALU_DEP_1)
	v_add3_u32 v73, v74, v113, v73
	v_mul_i32_i24_e32 v74, v207, v111
	v_mul_i32_i24_e32 v111, v206, v227
	v_add3_u32 v74, v75, v74, v111
	v_mul_i32_i24_e32 v75, v207, v114
	v_bfe_i32 v114, v32, 8, 8
	v_bfe_i32 v32, v32, 16, 8
	s_delay_alu instid0(VALU_DEP_3) | instskip(SKIP_1) | instid1(VALU_DEP_1)
	v_add3_u32 v75, v78, v75, v89
	v_mul_i32_i24_e32 v78, v212, v76
	v_add3_u32 v28, v79, v28, v78
	v_mul_i32_i24_e32 v78, v130, v209
	v_mul_i32_i24_e32 v79, v129, v208
	s_delay_alu instid0(VALU_DEP_1) | instskip(SKIP_3) | instid1(VALU_DEP_2)
	v_add3_u32 v9, v9, v78, v79
	v_mul_i32_i24_e32 v78, v27, v84
	v_mul_i32_i24_e32 v79, v4, v85
	;; [unrolled: 1-line block ×3, first 2 shown]
	v_add3_u32 v78, v80, v79, v78
	v_mul_i32_i24_e32 v79, v27, v106
	v_mul_i32_i24_e32 v80, v4, v109
	;; [unrolled: 1-line block ×3, first 2 shown]
	s_delay_alu instid0(VALU_DEP_2) | instskip(SKIP_2) | instid1(VALU_DEP_1)
	v_add3_u32 v79, v82, v80, v79
	v_mul_i32_i24_e32 v80, v86, v209
	v_mul_i32_i24_e32 v82, v54, v208
	v_add3_u32 v80, v83, v80, v82
	v_mul_i32_i24_e32 v82, v224, v127
	s_delay_alu instid0(VALU_DEP_1) | instskip(SKIP_4) | instid1(VALU_DEP_2)
	v_add3_u32 v55, v55, v82, v62
	v_bfe_i32 v62, v42, 8, 8
	v_bfe_i32 v42, v42, 16, 8
	v_bfe_u32 v82, v10, 12, 4
	v_bfe_u32 v10, v10, 20, 4
	v_mul_i32_i24_e32 v83, v62, v82
	s_delay_alu instid0(VALU_DEP_2) | instskip(NEXT) | instid1(VALU_DEP_1)
	v_mul_i32_i24_e32 v89, v42, v10
	v_add3_u32 v83, v87, v83, v89
	v_bfe_u32 v87, v12, 12, 4
	v_bfe_u32 v12, v12, 20, 4
	s_delay_alu instid0(VALU_DEP_2) | instskip(NEXT) | instid1(VALU_DEP_2)
	v_mul_i32_i24_e32 v89, v62, v87
	v_mul_i32_i24_e32 v111, v42, v12
	s_delay_alu instid0(VALU_DEP_1) | instskip(SKIP_2) | instid1(VALU_DEP_1)
	v_add3_u32 v89, v90, v89, v111
	v_mul_i32_i24_e32 v90, v92, v209
	v_mul_i32_i24_e32 v111, v52, v208
	v_add3_u32 v90, v91, v90, v111
	v_mul_i32_i24_e32 v91, v94, v127
	v_bfe_i32 v111, v38, 8, 8
	v_bfe_i32 v38, v38, 16, 8
	s_delay_alu instid0(VALU_DEP_3) | instskip(SKIP_2) | instid1(VALU_DEP_2)
	v_add3_u32 v91, v5, v91, v93
	v_bfe_i32 v93, v34, 8, 8
	v_bfe_i32 v34, v34, 16, 8
	v_mul_i32_i24_e32 v5, v93, v82
	s_delay_alu instid0(VALU_DEP_2) | instskip(NEXT) | instid1(VALU_DEP_1)
	v_mul_i32_i24_e32 v94, v34, v10
	v_add3_u32 v16, v16, v5, v94
	v_mul_i32_i24_e32 v5, v93, v87
	v_mul_i32_i24_e32 v94, v34, v12
	s_delay_alu instid0(VALU_DEP_1) | instskip(SKIP_2) | instid1(VALU_DEP_1)
	v_add3_u32 v94, v98, v5, v94
	v_mul_i32_i24_e32 v5, v104, v209
	v_mul_i32_i24_e32 v98, v50, v208
	v_add3_u32 v98, v102, v5, v98
	v_mul_i32_i24_e32 v5, v107, v127
	v_mul_i32_i24_e32 v102, v105, v6
	v_bfe_i32 v105, v40, 8, 8
	v_bfe_i32 v40, v40, 16, 8
	;; [unrolled: 1-line block ×4, first 2 shown]
	v_add3_u32 v102, v7, v5, v102
	v_mul_i32_i24_e32 v5, v105, v82
	v_mul_i32_i24_e32 v7, v40, v10
	s_delay_alu instid0(VALU_DEP_1) | instskip(SKIP_2) | instid1(VALU_DEP_1)
	v_add3_u32 v103, v103, v5, v7
	v_mul_i32_i24_e32 v5, v105, v87
	v_mul_i32_i24_e32 v7, v40, v12
	v_add3_u32 v2, v2, v5, v7
	v_mul_i32_i24_e32 v5, v97, v209
	v_mul_i32_i24_e32 v7, v48, v208
	s_delay_alu instid0(VALU_DEP_1) | instskip(SKIP_2) | instid1(VALU_DEP_1)
	v_add3_u32 v3, v3, v5, v7
	v_mul_i32_i24_e32 v5, v119, v127
	v_mul_i32_i24_e32 v7, v118, v6
	;; [unrolled: 7-line block ×8, first 2 shown]
	v_add3_u32 v75, v75, v5, v6
	v_mul_i32_i24_e32 v5, v206, v127
	v_mul_i32_i24_e32 v6, v207, v143
	s_delay_alu instid0(VALU_DEP_1) | instskip(SKIP_1) | instid1(VALU_DEP_1)
	v_add3_u32 v84, v28, v6, v5
	v_mul_i32_i24_e32 v5, v27, v205
	v_add3_u32 v106, v9, v4, v5
	v_mul_i32_i24_e32 v4, v65, v82
	v_mul_i32_i24_e32 v5, v128, v10
	v_bfe_u32 v82, v11, 24, 4
	v_mul_i32_i24_e32 v10, v201, v10
	s_delay_alu instid0(VALU_DEP_3) | instskip(SKIP_2) | instid1(VALU_DEP_4)
	v_add3_u32 v78, v78, v4, v5
	v_mul_i32_i24_e32 v4, v65, v87
	v_mul_i32_i24_e32 v5, v128, v12
	v_add3_u32 v10, v74, v10, v85
	v_mul_i32_i24_e32 v12, v201, v12
	v_mul_i32_i24_e32 v74, v200, v109
	;; [unrolled: 1-line block ×3, first 2 shown]
	v_add3_u32 v79, v79, v4, v5
	v_mul_i32_i24_e32 v4, v88, v205
	v_mul_i32_i24_e32 v5, v101, v204
	v_add3_u32 v12, v75, v12, v74
	v_mul_i32_i24_e32 v74, v203, v135
	v_mul_i32_i24_e32 v75, v245, v56
	s_delay_alu instid0(VALU_DEP_4) | instskip(SKIP_2) | instid1(VALU_DEP_4)
	v_add3_u32 v80, v80, v5, v4
	v_mul_i32_i24_e32 v4, v86, v76
	v_mul_i32_i24_e32 v5, v54, v143
	v_add3_u32 v74, v84, v74, v75
	v_mul_i32_i24_e32 v75, v128, v202
	v_mul_i32_i24_e32 v84, v1, v82
	s_delay_alu instid0(VALU_DEP_4)
	v_add3_u32 v54, v55, v4, v5
	v_add_nc_u32_e32 v4, 0x800, v158
	v_bfe_u32 v55, v11, 8, 4
	v_add3_u32 v65, v106, v65, v75
	ds_load_2addr_b32 v[4:5], v4 offset1:3
	v_mul_i32_i24_e32 v75, v61, v55
	s_delay_alu instid0(VALU_DEP_1) | instskip(SKIP_4) | instid1(VALU_DEP_3)
	v_add3_u32 v75, v78, v84, v75
	v_mul_i32_i24_e32 v78, v61, v116
	v_mul_i32_i24_e32 v84, v1, v117
	;; [unrolled: 1-line block ×4, first 2 shown]
	v_add3_u32 v78, v79, v84, v78
	v_mul_i32_i24_e32 v79, v42, v202
	v_mul_i32_i24_e32 v84, v62, v242
	s_delay_alu instid0(VALU_DEP_4)
	v_add3_u32 v1, v65, v1, v61
	v_mul_i32_i24_e32 v42, v42, v142
	v_mul_i32_i24_e32 v62, v62, v56
	s_wait_dscnt 0x0
	v_bfe_i32 v86, v5, 8, 8
	v_ashrrev_i32_e32 v87, 24, v5
	v_add3_u32 v79, v80, v84, v79
	v_mul_i32_i24_e32 v80, v88, v135
	v_mul_i32_i24_e32 v84, v101, v81
	v_mul_i32_i24_e32 v6, v86, v55
	v_mul_i32_i24_e32 v7, v87, v82
	v_bfe_i32 v85, v5, 0, 8
	v_bfe_i32 v5, v5, 16, 8
	v_add3_u32 v54, v54, v84, v80
	v_and_b32_e32 v80, 15, v11
	v_add3_u32 v83, v83, v7, v6
	v_mul_i32_i24_e32 v6, v86, v116
	v_mul_i32_i24_e32 v7, v87, v117
	v_bfe_u32 v84, v11, 16, 4
	v_mul_i32_i24_e32 v88, v85, v80
	v_mul_i32_i24_e32 v61, v0, v80
	v_add3_u32 v42, v54, v62, v42
	v_add3_u32 v89, v89, v7, v6
	v_mul_i32_i24_e32 v6, v41, v205
	v_mul_i32_i24_e32 v7, v110, v204
	;; [unrolled: 1-line block ×5, first 2 shown]
	v_bfe_u32 v54, v11, 4, 4
	v_add3_u32 v90, v90, v7, v6
	v_mul_i32_i24_e32 v6, v92, v76
	v_mul_i32_i24_e32 v7, v52, v143
	v_add3_u32 v83, v83, v88, v101
	v_and_b32_e32 v88, 15, v13
	v_bfe_u32 v101, v13, 16, 4
	v_add3_u32 v61, v75, v61, v65
	v_add3_u32 v52, v91, v6, v7
	v_add_nc_u32_e32 v6, 0xc00, v158
	v_mul_i32_i24_e32 v106, v85, v88
	v_mul_i32_i24_e32 v109, v5, v101
	;; [unrolled: 1-line block ×4, first 2 shown]
	ds_load_2addr_b32 v[6:7], v6 offset1:3
	v_lshrrev_b32_e32 v62, 28, v11
	v_add3_u32 v89, v89, v106, v109
	v_mul_i32_i24_e32 v106, v34, v202
	v_mul_i32_i24_e32 v109, v93, v242
	;; [unrolled: 1-line block ×4, first 2 shown]
	s_delay_alu instid0(VALU_DEP_3) | instskip(SKIP_1) | instid1(VALU_DEP_1)
	v_add3_u32 v90, v90, v109, v106
	v_mul_i32_i24_e32 v106, v110, v81
	v_add3_u32 v41, v52, v106, v41
	s_wait_dscnt 0x0
	v_bfe_i32 v91, v7, 8, 8
	v_ashrrev_i32_e32 v92, 24, v7
	v_bfe_i32 v52, v7, 0, 8
	v_bfe_i32 v7, v7, 16, 8
	s_delay_alu instid0(VALU_DEP_4) | instskip(NEXT) | instid1(VALU_DEP_4)
	v_mul_i32_i24_e32 v8, v91, v55
	v_mul_i32_i24_e32 v9, v92, v82
	s_delay_alu instid0(VALU_DEP_4) | instskip(NEXT) | instid1(VALU_DEP_4)
	v_mul_i32_i24_e32 v106, v52, v80
	v_mul_i32_i24_e32 v109, v7, v84
	;; [unrolled: 1-line block ×3, first 2 shown]
	s_delay_alu instid0(VALU_DEP_4) | instskip(SKIP_2) | instid1(VALU_DEP_3)
	v_add3_u32 v118, v16, v9, v8
	v_mul_i32_i24_e32 v8, v91, v116
	v_mul_i32_i24_e32 v9, v92, v117
	v_add3_u32 v106, v118, v106, v109
	v_mul_i32_i24_e32 v109, v52, v88
	s_delay_alu instid0(VALU_DEP_3)
	v_add3_u32 v94, v94, v9, v8
	v_mul_i32_i24_e32 v8, v59, v205
	v_mul_i32_i24_e32 v9, v95, v204
	;; [unrolled: 1-line block ×4, first 2 shown]
	v_add3_u32 v94, v94, v109, v110
	v_mul_i32_i24_e32 v109, v40, v202
	v_add3_u32 v98, v98, v9, v8
	v_mul_i32_i24_e32 v8, v104, v76
	v_mul_i32_i24_e32 v9, v50, v143
	;; [unrolled: 1-line block ×4, first 2 shown]
	s_delay_alu instid0(VALU_DEP_3)
	v_add3_u32 v50, v102, v8, v9
	ds_load_2addr_b32 v[8:9], v17 offset1:3
	v_add3_u32 v98, v98, v110, v109
	v_add3_u32 v50, v50, v95, v59
	s_wait_dscnt 0x0
	v_bfe_i32 v102, v9, 8, 8
	v_ashrrev_i32_e32 v104, 24, v9
	v_bfe_i32 v59, v9, 0, 8
	v_bfe_i32 v9, v9, 16, 8
	s_delay_alu instid0(VALU_DEP_4) | instskip(NEXT) | instid1(VALU_DEP_4)
	v_mul_i32_i24_e32 v16, v102, v55
	v_mul_i32_i24_e32 v17, v104, v82
	s_delay_alu instid0(VALU_DEP_4) | instskip(NEXT) | instid1(VALU_DEP_4)
	v_mul_i32_i24_e32 v95, v59, v80
	v_mul_i32_i24_e32 v109, v9, v84
	s_delay_alu instid0(VALU_DEP_3) | instskip(SKIP_2) | instid1(VALU_DEP_3)
	v_add3_u32 v103, v103, v17, v16
	v_mul_i32_i24_e32 v16, v102, v116
	v_mul_i32_i24_e32 v17, v104, v117
	v_add3_u32 v95, v103, v95, v109
	v_mul_i32_i24_e32 v103, v59, v88
	s_delay_alu instid0(VALU_DEP_3)
	v_add3_u32 v2, v2, v17, v16
	v_mul_i32_i24_e32 v16, v63, v205
	v_mul_i32_i24_e32 v17, v96, v204
	;; [unrolled: 1-line block ×5, first 2 shown]
	s_delay_alu instid0(VALU_DEP_4)
	v_add3_u32 v3, v3, v17, v16
	v_mul_i32_i24_e32 v16, v97, v76
	v_mul_i32_i24_e32 v17, v48, v143
	v_add3_u32 v2, v2, v103, v109
	v_mul_i32_i24_e32 v103, v36, v202
	v_mul_i32_i24_e32 v109, v107, v242
	;; [unrolled: 1-line block ×3, first 2 shown]
	v_add3_u32 v39, v39, v16, v17
	v_add_nc_u32_e32 v16, 0x1400, v158
	s_delay_alu instid0(VALU_DEP_4) | instskip(NEXT) | instid1(VALU_DEP_3)
	v_add3_u32 v3, v3, v109, v103
	v_add3_u32 v39, v39, v96, v63
	ds_load_2addr_b32 v[16:17], v16 offset1:3
	s_wait_dscnt 0x0
	v_bfe_i32 v48, v17, 8, 8
	v_ashrrev_i32_e32 v97, 24, v17
	v_bfe_i32 v63, v17, 0, 8
	v_bfe_i32 v17, v17, 16, 8
	s_delay_alu instid0(VALU_DEP_4) | instskip(NEXT) | instid1(VALU_DEP_4)
	v_mul_i32_i24_e32 v27, v48, v55
	v_mul_i32_i24_e32 v28, v97, v82
	s_delay_alu instid0(VALU_DEP_4) | instskip(NEXT) | instid1(VALU_DEP_4)
	v_mul_i32_i24_e32 v96, v63, v80
	v_mul_i32_i24_e32 v103, v17, v84
	s_delay_alu instid0(VALU_DEP_3) | instskip(SKIP_2) | instid1(VALU_DEP_3)
	v_add3_u32 v108, v108, v28, v27
	v_mul_i32_i24_e32 v27, v48, v116
	v_mul_i32_i24_e32 v28, v97, v117
	v_add3_u32 v96, v108, v96, v103
	v_mul_i32_i24_e32 v103, v63, v88
	s_delay_alu instid0(VALU_DEP_3) | instskip(SKIP_4) | instid1(VALU_DEP_3)
	v_add3_u32 v66, v66, v28, v27
	v_mul_i32_i24_e32 v27, v68, v205
	v_mul_i32_i24_e32 v28, v112, v204
	;; [unrolled: 1-line block ×4, first 2 shown]
	v_add3_u32 v67, v67, v28, v27
	v_mul_i32_i24_e32 v27, v99, v76
	v_mul_i32_i24_e32 v28, v46, v143
	v_add3_u32 v66, v66, v103, v108
	v_mul_i32_i24_e32 v103, v38, v202
	v_mul_i32_i24_e32 v108, v111, v242
	;; [unrolled: 1-line block ×3, first 2 shown]
	v_add3_u32 v35, v35, v27, v28
	ds_load_2addr_b32 v[27:28], v100 offset1:3
	v_add3_u32 v67, v67, v108, v103
	v_mul_i32_i24_e32 v103, v112, v81
	s_delay_alu instid0(VALU_DEP_1)
	v_add3_u32 v35, v35, v103, v68
	s_wait_dscnt 0x0
	v_bfe_i32 v46, v28, 8, 8
	v_ashrrev_i32_e32 v99, 24, v28
	v_bfe_i32 v68, v28, 0, 8
	v_bfe_i32 v28, v28, 16, 8
	s_delay_alu instid0(VALU_DEP_4) | instskip(NEXT) | instid1(VALU_DEP_4)
	v_mul_i32_i24_e32 v30, v46, v55
	v_mul_i32_i24_e32 v100, v99, v82
	s_delay_alu instid0(VALU_DEP_4) | instskip(NEXT) | instid1(VALU_DEP_4)
	v_mul_i32_i24_e32 v103, v68, v80
	v_mul_i32_i24_e32 v108, v28, v84
	s_delay_alu instid0(VALU_DEP_3) | instskip(SKIP_2) | instid1(VALU_DEP_3)
	v_add3_u32 v69, v69, v100, v30
	v_mul_i32_i24_e32 v30, v46, v116
	v_mul_i32_i24_e32 v100, v99, v117
	v_add3_u32 v69, v69, v103, v108
	v_mul_i32_i24_e32 v103, v68, v88
	s_delay_alu instid0(VALU_DEP_3)
	v_add3_u32 v70, v70, v100, v30
	v_mul_i32_i24_e32 v30, v37, v205
	v_mul_i32_i24_e32 v100, v71, v204
	;; [unrolled: 1-line block ×5, first 2 shown]
	s_delay_alu instid0(VALU_DEP_4)
	v_add3_u32 v100, v29, v100, v30
	v_mul_i32_i24_e32 v29, v72, v76
	v_mul_i32_i24_e32 v30, v44, v143
	v_add3_u32 v70, v70, v103, v108
	v_mul_i32_i24_e32 v103, v32, v202
	v_mul_i32_i24_e32 v108, v114, v242
	;; [unrolled: 1-line block ×3, first 2 shown]
	v_add3_u32 v44, v113, v29, v30
	v_add_nc_u32_e32 v29, 0x1c00, v158
	v_add_nc_u32_e32 v158, 32, v158
	v_add3_u32 v100, v100, v108, v103
	s_delay_alu instid0(VALU_DEP_4)
	v_add3_u32 v37, v44, v71, v37
	ds_load_2addr_b32 v[29:30], v29 offset1:3
	s_wait_dscnt 0x0
	v_bfe_i32 v72, v30, 8, 8
	v_ashrrev_i32_e32 v76, 24, v30
	v_bfe_i32 v44, v30, 0, 8
	v_bfe_i32 v30, v30, 16, 8
	s_delay_alu instid0(VALU_DEP_4) | instskip(NEXT) | instid1(VALU_DEP_4)
	v_mul_i32_i24_e32 v113, v72, v55
	v_mul_i32_i24_e32 v119, v76, v82
	s_delay_alu instid0(VALU_DEP_4) | instskip(NEXT) | instid1(VALU_DEP_4)
	v_mul_i32_i24_e32 v71, v44, v80
	v_mul_i32_i24_e32 v103, v30, v84
	;; [unrolled: 1-line block ×4, first 2 shown]
	v_add3_u32 v113, v115, v119, v113
	v_mul_i32_i24_e32 v115, v72, v116
	v_mul_i32_i24_e32 v119, v76, v117
	;; [unrolled: 1-line block ×4, first 2 shown]
	v_add3_u32 v71, v113, v71, v103
	v_mul_i32_i24_e32 v103, v44, v88
	v_add3_u32 v73, v73, v119, v115
	s_delay_alu instid0(VALU_DEP_1) | instskip(SKIP_1) | instid1(VALU_DEP_1)
	v_add3_u32 v73, v73, v103, v108
	v_mul_i32_i24_e32 v103, v254, v80
	v_add3_u32 v10, v10, v55, v103
	v_mul_i32_i24_e32 v55, v51, v116
	v_mul_i32_i24_e32 v103, v254, v88
	;; [unrolled: 1-line block ×3, first 2 shown]
	s_delay_alu instid0(VALU_DEP_4) | instskip(SKIP_1) | instid1(VALU_DEP_4)
	v_add3_u32 v10, v10, v84, v82
	v_mul_i32_i24_e32 v82, v244, v101
	v_add3_u32 v12, v12, v55, v103
	v_mul_i32_i24_e32 v55, v200, v81
	v_mul_i32_i24_e32 v81, v201, v142
	;; [unrolled: 1-line block ×3, first 2 shown]
	s_delay_alu instid0(VALU_DEP_2) | instskip(SKIP_2) | instid1(VALU_DEP_4)
	v_add3_u32 v55, v74, v81, v55
	v_mul_i32_i24_e32 v74, v141, v101
	v_lshrrev_b32_e32 v81, 28, v13
	v_add3_u32 v12, v12, v82, v84
	v_mul_i32_i24_e32 v82, v254, v240
	s_delay_alu instid0(VALU_DEP_4) | instskip(SKIP_2) | instid1(VALU_DEP_4)
	v_add3_u32 v65, v78, v65, v74
	v_mul_i32_i24_e32 v74, v87, v255
	v_ashrrev_i32_e32 v78, 24, v15
	v_add3_u32 v51, v55, v51, v82
	v_mul_i32_i24_e32 v55, v141, v250
	s_delay_alu instid0(VALU_DEP_4)
	v_add3_u32 v74, v79, v74, v75
	v_bfe_i32 v75, v15, 0, 8
	v_mul_i32_i24_e32 v80, v78, v62
	v_mul_i32_i24_e32 v88, v78, v81
	v_add3_u32 v0, v1, v0, v55
	v_mul_i32_i24_e32 v1, v144, v54
	v_mul_i32_i24_e32 v79, v75, v54
	;; [unrolled: 1-line block ×3, first 2 shown]
	s_delay_alu instid0(VALU_DEP_2) | instskip(SKIP_1) | instid1(VALU_DEP_3)
	v_add3_u32 v79, v83, v80, v79
	v_bfe_u32 v80, v13, 4, 4
	v_add3_u32 v1, v61, v55, v1
	v_mul_i32_i24_e32 v61, v139, v81
	s_delay_alu instid0(VALU_DEP_3) | instskip(SKIP_1) | instid1(VALU_DEP_2)
	v_mul_i32_i24_e32 v83, v75, v80
	v_mul_i32_i24_e32 v55, v144, v80
	v_add3_u32 v83, v89, v88, v83
	v_mul_i32_i24_e32 v88, v92, v255
	v_mul_i32_i24_e32 v89, v91, v53
	s_delay_alu instid0(VALU_DEP_4)
	v_add3_u32 v55, v65, v61, v55
	v_mul_i32_i24_e32 v61, v85, v251
	v_mul_i32_i24_e32 v65, v5, v250
	;; [unrolled: 1-line block ×3, first 2 shown]
	v_add3_u32 v88, v90, v88, v89
	v_mul_i32_i24_e32 v89, v93, v56
	s_delay_alu instid0(VALU_DEP_4) | instskip(SKIP_2) | instid1(VALU_DEP_4)
	v_add3_u32 v61, v74, v61, v65
	v_mul_i32_i24_e32 v65, v87, v252
	v_mul_i32_i24_e32 v74, v86, v57
	v_add3_u32 v34, v41, v89, v34
	v_bfe_i32 v41, v18, 0, 8
	v_ashrrev_i32_e32 v89, 24, v18
	v_mul_i32_i24_e32 v87, v91, v57
	v_add3_u32 v42, v42, v65, v74
	v_bfe_u32 v65, v11, 20, 4
	v_mul_i32_i24_e32 v90, v41, v54
	v_mul_i32_i24_e32 v93, v89, v62
	;; [unrolled: 1-line block ×3, first 2 shown]
	v_bfe_u32 v11, v11, 12, 4
	v_bfe_i32 v74, v15, 8, 8
	v_bfe_i32 v15, v15, 16, 8
	v_add3_u32 v90, v106, v93, v90
	v_mul_i32_i24_e32 v93, v41, v80
	v_mul_i32_i24_e32 v91, v9, v250
	;; [unrolled: 1-line block ×5, first 2 shown]
	v_add3_u32 v93, v94, v103, v93
	v_mul_i32_i24_e32 v94, v104, v255
	v_mul_i32_i24_e32 v103, v102, v53
	v_add3_u32 v79, v79, v82, v84
	v_bfe_u32 v82, v13, 12, 4
	v_bfe_u32 v13, v13, 20, 4
	s_delay_alu instid0(VALU_DEP_4) | instskip(SKIP_1) | instid1(VALU_DEP_4)
	v_add3_u32 v94, v98, v94, v103
	v_mul_i32_i24_e32 v98, v105, v56
	v_mul_i32_i24_e32 v84, v74, v82
	s_delay_alu instid0(VALU_DEP_4) | instskip(NEXT) | instid1(VALU_DEP_3)
	v_mul_i32_i24_e32 v86, v15, v13
	v_add3_u32 v40, v50, v98, v40
	v_bfe_i32 v50, v20, 0, 8
	v_ashrrev_i32_e32 v98, 24, v20
	s_delay_alu instid0(VALU_DEP_4)
	v_add3_u32 v83, v83, v84, v86
	v_mul_i32_i24_e32 v84, v52, v251
	v_mul_i32_i24_e32 v86, v7, v250
	;; [unrolled: 1-line block ×6, first 2 shown]
	v_add3_u32 v84, v88, v84, v86
	v_mul_i32_i24_e32 v86, v92, v252
	v_add3_u32 v95, v95, v105, v103
	v_mul_i32_i24_e32 v103, v50, v80
	v_mul_i32_i24_e32 v105, v98, v81
	;; [unrolled: 1-line block ×3, first 2 shown]
	v_add3_u32 v34, v34, v86, v87
	v_bfe_i32 v86, v18, 8, 8
	v_bfe_i32 v18, v18, 16, 8
	v_add3_u32 v2, v2, v105, v103
	v_mul_i32_i24_e32 v103, v97, v255
	v_mul_i32_i24_e32 v105, v48, v53
	;; [unrolled: 1-line block ×5, first 2 shown]
	v_add3_u32 v7, v34, v52, v7
	v_add3_u32 v3, v3, v103, v105
	v_mul_i32_i24_e32 v103, v107, v56
	v_add3_u32 v87, v90, v87, v88
	v_mul_i32_i24_e32 v88, v86, v82
	v_mul_i32_i24_e32 v90, v18, v13
	v_bfe_i32 v34, v6, 0, 8
	v_add3_u32 v36, v39, v103, v36
	v_bfe_i32 v39, v22, 0, 8
	v_ashrrev_i32_e32 v103, 24, v22
	v_add3_u32 v88, v93, v88, v90
	v_mul_i32_i24_e32 v90, v59, v251
	v_bfe_i32 v52, v6, 8, 8
	v_mul_i32_i24_e32 v105, v39, v54
	v_mul_i32_i24_e32 v106, v103, v62
	;; [unrolled: 1-line block ×3, first 2 shown]
	v_add3_u32 v90, v94, v90, v91
	v_mul_i32_i24_e32 v91, v104, v252
	s_delay_alu instid0(VALU_DEP_4) | instskip(SKIP_2) | instid1(VALU_DEP_4)
	v_add3_u32 v96, v96, v106, v105
	v_mul_i32_i24_e32 v105, v39, v80
	v_mul_i32_i24_e32 v106, v103, v81
	v_add3_u32 v40, v40, v91, v92
	v_bfe_i32 v91, v20, 8, 8
	v_bfe_i32 v20, v20, 16, 8
	s_delay_alu instid0(VALU_DEP_4)
	v_add3_u32 v66, v66, v106, v105
	v_mul_i32_i24_e32 v105, v99, v255
	v_mul_i32_i24_e32 v106, v46, v53
	;; [unrolled: 1-line block ×6, first 2 shown]
	v_add3_u32 v67, v67, v105, v106
	v_mul_i32_i24_e32 v105, v111, v56
	v_mul_i32_i24_e32 v56, v114, v56
	v_add3_u32 v92, v95, v92, v93
	v_mul_i32_i24_e32 v93, v91, v82
	v_mul_i32_i24_e32 v46, v46, v57
	v_add3_u32 v35, v35, v105, v38
	v_bfe_i32 v38, v24, 0, 8
	v_ashrrev_i32_e32 v105, 24, v24
	v_add3_u32 v32, v37, v56, v32
	v_bfe_i32 v37, v26, 0, 8
	v_ashrrev_i32_e32 v56, 24, v26
	v_mul_i32_i24_e32 v106, v38, v54
	v_mul_i32_i24_e32 v107, v105, v62
	v_add3_u32 v2, v2, v93, v94
	v_mul_i32_i24_e32 v93, v63, v251
	v_mul_i32_i24_e32 v94, v17, v250
	v_mul_i32_i24_e32 v57, v72, v57
	v_add3_u32 v69, v69, v107, v106
	v_mul_i32_i24_e32 v106, v38, v80
	;; [unrolled: 4-line block ×3, first 2 shown]
	v_add3_u32 v9, v40, v59, v9
	v_add3_u32 v70, v70, v107, v106
	v_mul_i32_i24_e32 v106, v76, v255
	v_add3_u32 v32, v32, v72, v57
	v_bfe_i32 v57, v26, 8, 8
	v_bfe_i32 v26, v26, 16, 8
	v_add3_u32 v36, v36, v93, v48
	v_add3_u32 v53, v100, v106, v53
	v_mul_i32_i24_e32 v100, v37, v54
	v_mul_i32_i24_e32 v106, v56, v62
	v_bfe_i32 v48, v22, 8, 8
	v_bfe_i32 v22, v22, 16, 8
	v_mul_i32_i24_e32 v72, v57, v11
	v_mul_i32_i24_e32 v76, v26, v65
	v_add3_u32 v71, v71, v106, v100
	v_mul_i32_i24_e32 v100, v37, v80
	v_mul_i32_i24_e32 v106, v56, v81
	;; [unrolled: 1-line block ×4, first 2 shown]
	v_add3_u32 v71, v71, v72, v76
	v_mul_i32_i24_e32 v72, v57, v82
	v_add3_u32 v73, v73, v106, v100
	v_mul_i32_i24_e32 v76, v26, v13
	;; [unrolled: 2-line block ×3, first 2 shown]
	v_mul_i32_i24_e32 v95, v22, v13
	v_mul_i32_i24_e32 v54, v234, v54
	v_add3_u32 v72, v73, v72, v76
	v_mul_i32_i24_e32 v73, v47, v11
	v_mul_i32_i24_e32 v62, v230, v62
	v_add3_u32 v66, v66, v94, v95
	;; [unrolled: 3-line block ×3, first 2 shown]
	v_mul_i32_i24_e32 v54, v234, v80
	v_mul_i32_i24_e32 v73, v47, v82
	v_mul_i32_i24_e32 v47, v47, v43
	v_add3_u32 v67, v67, v94, v95
	v_mul_i32_i24_e32 v94, v99, v252
	v_mul_i32_i24_e32 v80, v52, v223
	v_add3_u32 v12, v12, v54, v73
	v_mul_i32_i24_e32 v54, v247, v252
	v_mul_i32_i24_e32 v73, v244, v241
	v_add3_u32 v35, v35, v94, v46
	v_bfe_i32 v46, v24, 8, 8
	v_bfe_i32 v24, v24, 16, 8
	;; [unrolled: 1-line block ×3, first 2 shown]
	v_add3_u32 v51, v51, v73, v54
	v_mul_i32_i24_e32 v54, v144, v236
	v_mul_i32_i24_e32 v73, v139, v235
	;; [unrolled: 1-line block ×5, first 2 shown]
	v_bfe_i32 v59, v8, 8, 8
	v_add3_u32 v0, v0, v73, v54
	v_mul_i32_i24_e32 v54, v253, v65
	v_mul_i32_i24_e32 v65, v58, v65
	v_add3_u32 v69, v69, v94, v95
	v_mul_i32_i24_e32 v95, v24, v13
	v_mul_i32_i24_e32 v94, v46, v82
	v_add3_u32 v1, v1, v11, v54
	v_mul_i32_i24_e32 v54, v253, v13
	v_add3_u32 v10, v10, v65, v62
	v_mul_i32_i24_e32 v13, v58, v13
	v_mul_i32_i24_e32 v62, v230, v81
	;; [unrolled: 1-line block ×6, first 2 shown]
	v_add3_u32 v12, v12, v13, v62
	v_mul_i32_i24_e32 v13, v234, v248
	v_add3_u32 v11, v55, v11, v54
	v_mul_i32_i24_e32 v54, v75, v236
	v_mul_i32_i24_e32 v55, v78, v235
	;; [unrolled: 1-line block ×3, first 2 shown]
	v_add3_u32 v13, v51, v13, v47
	v_mul_i32_i24_e32 v47, v253, v231
	v_mul_i32_i24_e32 v51, v78, v246
	v_add3_u32 v54, v61, v55, v54
	v_mul_i32_i24_e32 v55, v85, v240
	v_mul_i32_i24_e32 v85, v59, v226
	;; [unrolled: 3-line block ×3, first 2 shown]
	v_add3_u32 v5, v42, v55, v5
	v_bfe_i32 v42, v4, 0, 8
	v_bfe_i32 v55, v4, 8, 8
	v_mul_i32_i24_e32 v17, v17, v241
	v_add3_u32 v1, v1, v47, v49
	v_mul_i32_i24_e32 v47, v243, v225
	v_mul_i32_i24_e32 v49, v33, v226
	;; [unrolled: 1-line block ×5, first 2 shown]
	v_add3_u32 v17, v36, v63, v17
	v_add3_u32 v11, v11, v47, v49
	v_mul_i32_i24_e32 v47, v15, v231
	v_mul_i32_i24_e32 v49, v74, v45
	v_add3_u32 v61, v79, v61, v73
	v_mul_i32_i24_e32 v73, v42, v225
	v_mul_i32_i24_e32 v79, v89, v235
	v_bfe_i32 v36, v16, 0, 8
	v_add3_u32 v47, v54, v49, v47
	v_mul_i32_i24_e32 v49, v75, v248
	v_add3_u32 v73, v83, v73, v76
	v_mul_i32_i24_e32 v76, v41, v236
	v_mul_i32_i24_e32 v41, v41, v248
	;; [unrolled: 1-line block ×3, first 2 shown]
	v_add3_u32 v5, v5, v51, v49
	v_bfe_i32 v49, v4, 16, 8
	v_ashrrev_i32_e32 v4, 24, v4
	v_add3_u32 v76, v84, v79, v76
	v_mul_i32_i24_e32 v79, v34, v222
	v_mul_i32_i24_e32 v75, v91, v45
	;; [unrolled: 1-line block ×5, first 2 shown]
	v_add3_u32 v79, v87, v79, v80
	v_mul_i32_i24_e32 v80, v34, v225
	v_bfe_i32 v63, v16, 8, 8
	v_add3_u32 v51, v61, v51, v54
	v_mul_i32_i24_e32 v54, v49, v220
	v_mul_i32_i24_e32 v61, v4, v221
	v_add3_u32 v80, v88, v80, v82
	v_mul_i32_i24_e32 v82, v50, v236
	v_mul_i32_i24_e32 v50, v50, v248
	;; [unrolled: 1-line block ×3, first 2 shown]
	v_add3_u32 v54, v73, v54, v61
	v_mul_i32_i24_e32 v61, v18, v231
	v_add3_u32 v82, v90, v83, v82
	v_mul_i32_i24_e32 v83, v40, v222
	v_mul_i32_i24_e32 v68, v68, v240
	;; [unrolled: 1-line block ×3, first 2 shown]
	v_add3_u32 v61, v76, v62, v61
	v_mul_i32_i24_e32 v62, v89, v246
	v_add3_u32 v83, v92, v83, v84
	v_mul_i32_i24_e32 v84, v40, v225
	v_add3_u32 v28, v35, v68, v28
	v_bfe_i32 v35, v27, 0, 8
	v_add3_u32 v7, v7, v62, v41
	v_bfe_i32 v41, v6, 16, 8
	v_ashrrev_i32_e32 v6, 24, v6
	v_add3_u32 v2, v2, v84, v85
	v_mul_i32_i24_e32 v84, v39, v236
	v_mul_i32_i24_e32 v85, v103, v235
	v_mul_i32_i24_e32 v62, v41, v218
	v_mul_i32_i24_e32 v65, v6, v219
	v_mul_i32_i24_e32 v73, v6, v221
	v_mul_i32_i24_e32 v39, v39, v248
	v_add3_u32 v3, v3, v85, v84
	v_mul_i32_i24_e32 v84, v36, v222
	v_add3_u32 v62, v79, v62, v65
	v_mul_i32_i24_e32 v65, v41, v220
	v_mul_i32_i24_e32 v85, v63, v223
	v_bfe_i32 v68, v27, 8, 8
	v_add3_u32 v70, v70, v94, v95
	v_mul_i32_i24_e32 v94, v44, v251
	v_add3_u32 v65, v80, v65, v73
	v_mul_i32_i24_e32 v73, v20, v231
	;; [unrolled: 2-line block ×3, first 2 shown]
	v_mul_i32_i24_e32 v95, v30, v250
	v_mul_i32_i24_e32 v44, v44, v240
	v_add3_u32 v73, v82, v75, v73
	v_mul_i32_i24_e32 v75, v98, v246
	v_add3_u32 v66, v66, v85, v87
	v_mul_i32_i24_e32 v85, v38, v236
	v_mul_i32_i24_e32 v87, v105, v235
	;; [unrolled: 1-line block ×3, first 2 shown]
	v_add3_u32 v9, v9, v75, v50
	v_bfe_i32 v50, v8, 16, 8
	v_ashrrev_i32_e32 v8, 24, v8
	v_add3_u32 v67, v67, v87, v85
	v_mul_i32_i24_e32 v85, v35, v222
	v_mul_i32_i24_e32 v87, v68, v223
	v_mul_i32_i24_e32 v75, v50, v218
	v_mul_i32_i24_e32 v76, v8, v219
	v_mul_i32_i24_e32 v78, v8, v221
	v_add3_u32 v53, v53, v94, v95
	v_add3_u32 v69, v69, v85, v87
	v_mul_i32_i24_e32 v85, v35, v225
	v_add3_u32 v75, v83, v75, v76
	v_mul_i32_i24_e32 v76, v50, v220
	v_mul_i32_i24_e32 v87, v68, v226
	;; [unrolled: 1-line block ×5, first 2 shown]
	v_add3_u32 v2, v2, v76, v78
	v_mul_i32_i24_e32 v76, v22, v231
	v_mul_i32_i24_e32 v78, v48, v45
	v_add3_u32 v70, v70, v85, v87
	v_mul_i32_i24_e32 v85, v37, v236
	v_mul_i32_i24_e32 v87, v56, v235
	v_add3_u32 v30, v32, v44, v30
	v_add3_u32 v3, v3, v78, v76
	v_mul_i32_i24_e32 v76, v103, v246
	v_bfe_i32 v32, v29, 0, 8
	v_add3_u32 v53, v53, v87, v85
	v_bfe_i32 v44, v29, 8, 8
	v_mul_i32_i24_e32 v37, v37, v248
	v_add3_u32 v17, v17, v76, v39
	v_bfe_i32 v39, v16, 16, 8
	v_ashrrev_i32_e32 v16, 24, v16
	v_mul_i32_i24_e32 v85, v32, v222
	v_mul_i32_i24_e32 v87, v44, v223
	;; [unrolled: 1-line block ×6, first 2 shown]
	v_add3_u32 v71, v71, v85, v87
	v_mul_i32_i24_e32 v85, v32, v225
	v_mul_i32_i24_e32 v87, v44, v226
	v_add3_u32 v76, v84, v76, v78
	v_mul_i32_i24_e32 v78, v39, v220
	v_mul_i32_i24_e32 v18, v18, v64
	;; [unrolled: 1-line block ×3, first 2 shown]
	v_add3_u32 v72, v72, v85, v87
	v_cvt_f32_i32_e32 v10, v10
	v_add3_u32 v66, v66, v78, v79
	v_mul_i32_i24_e32 v78, v24, v231
	v_mul_i32_i24_e32 v79, v46, v45
	;; [unrolled: 1-line block ×3, first 2 shown]
	v_cvt_f32_i32_e32 v12, v12
	v_cvt_f32_i32_e32 v2, v2
	s_delay_alu instid0(VALU_DEP_4) | instskip(SKIP_1) | instid1(VALU_DEP_1)
	v_add3_u32 v67, v67, v79, v78
	v_mul_i32_i24_e32 v78, v105, v246
	v_add3_u32 v28, v28, v78, v38
	v_bfe_i32 v38, v27, 16, 8
	v_ashrrev_i32_e32 v27, 24, v27
	s_delay_alu instid0(VALU_DEP_2) | instskip(NEXT) | instid1(VALU_DEP_2)
	v_mul_i32_i24_e32 v78, v38, v218
	v_mul_i32_i24_e32 v79, v27, v219
	s_delay_alu instid0(VALU_DEP_1) | instskip(SKIP_2) | instid1(VALU_DEP_1)
	v_add3_u32 v69, v69, v78, v79
	v_mul_i32_i24_e32 v78, v38, v220
	v_mul_i32_i24_e32 v79, v27, v221
	v_add3_u32 v70, v70, v78, v79
	v_mul_i32_i24_e32 v78, v26, v231
	s_delay_alu instid0(VALU_DEP_1) | instskip(SKIP_1) | instid1(VALU_DEP_1)
	v_add3_u32 v45, v53, v45, v78
	v_mul_i32_i24_e32 v53, v56, v246
	v_add3_u32 v30, v30, v53, v37
	v_bfe_i32 v37, v29, 16, 8
	v_ashrrev_i32_e32 v29, 24, v29
	s_delay_alu instid0(VALU_DEP_2) | instskip(NEXT) | instid1(VALU_DEP_2)
	v_mul_i32_i24_e32 v53, v37, v218
	v_mul_i32_i24_e32 v56, v29, v219
	s_delay_alu instid0(VALU_DEP_1) | instskip(SKIP_2) | instid1(VALU_DEP_1)
	v_add3_u32 v53, v71, v53, v56
	v_mul_i32_i24_e32 v56, v37, v220
	v_mul_i32_i24_e32 v71, v29, v221
	v_add3_u32 v56, v72, v56, v71
	v_mul_i32_i24_e32 v71, v230, v246
	scratch_load_b32 v72, off, off offset:96 th:TH_LOAD_LU ; 4-byte Folded Reload
	v_add3_u32 v13, v13, v58, v71
	v_mul_i32_i24_e32 v58, v243, v199
	s_delay_alu instid0(VALU_DEP_1) | instskip(SKIP_2) | instid1(VALU_DEP_1)
	v_add3_u32 v0, v0, v58, v33
	v_mul_i32_i24_e32 v33, v60, v218
	v_mul_i32_i24_e32 v58, v238, v219
	v_add3_u32 v1, v1, v33, v58
	v_mul_i32_i24_e32 v33, v60, v220
	v_mul_i32_i24_e32 v58, v238, v221
	s_delay_alu instid0(VALU_DEP_3) | instskip(NEXT) | instid1(VALU_DEP_2)
	v_cvt_f32_i32_e32 v1, v1
	v_add3_u32 v11, v11, v33, v58
	v_mul_i32_i24_e32 v33, v199, v42
	v_mul_i32_i24_e32 v58, v25, v55
	s_delay_alu instid0(VALU_DEP_3) | instskip(NEXT) | instid1(VALU_DEP_2)
	v_cvt_f32_i32_e32 v11, v11
	v_add3_u32 v33, v47, v33, v58
	v_mul_i32_i24_e32 v47, v74, v43
	scratch_load_b32 v58, off, off offset:64 th:TH_LOAD_LU ; 4-byte Folded Reload
	v_add3_u32 v5, v5, v47, v15
	v_mul_i32_i24_e32 v15, v199, v34
	v_mul_i32_i24_e32 v47, v25, v52
	s_delay_alu instid0(VALU_DEP_1) | instskip(SKIP_1) | instid1(VALU_DEP_1)
	v_add3_u32 v15, v61, v15, v47
	v_mul_i32_i24_e32 v47, v86, v43
	v_add3_u32 v7, v7, v47, v18
	v_mul_i32_i24_e32 v18, v199, v40
	v_mul_i32_i24_e32 v47, v25, v59
	s_delay_alu instid0(VALU_DEP_1) | instskip(SKIP_1) | instid1(VALU_DEP_1)
	v_add3_u32 v18, v73, v18, v47
	v_mul_i32_i24_e32 v47, v91, v43
	v_add3_u32 v9, v9, v47, v20
	v_mul_i32_i24_e32 v20, v199, v36
	v_mul_i32_i24_e32 v47, v25, v63
	s_delay_alu instid0(VALU_DEP_1) | instskip(SKIP_2) | instid1(VALU_DEP_1)
	v_add3_u32 v3, v3, v20, v47
	v_mul_i32_i24_e32 v20, v22, v64
	v_mul_i32_i24_e32 v22, v48, v43
	v_add3_u32 v17, v17, v22, v20
	v_mul_i32_i24_e32 v20, v199, v35
	v_mul_i32_i24_e32 v22, v25, v68
	;; [unrolled: 1-line block ×3, first 2 shown]
	s_delay_alu instid0(VALU_DEP_2)
	v_add3_u32 v20, v67, v20, v22
	v_mul_i32_i24_e32 v22, v24, v64
	v_mul_i32_i24_e32 v24, v46, v43
	scratch_load_b32 v67, off, off offset:84 th:TH_LOAD_LU ; 4-byte Folded Reload
	v_add3_u32 v22, v28, v24, v22
	v_mul_i32_i24_e32 v24, v199, v32
	v_mul_i32_i24_e32 v28, v238, v198
	s_delay_alu instid0(VALU_DEP_2)
	v_add3_u32 v24, v45, v24, v25
	v_mul_i32_i24_e32 v25, v26, v64
	v_mul_i32_i24_e32 v26, v57, v43
	s_clause 0x2
	scratch_load_b32 v64, off, off offset:76 th:TH_LOAD_LU
	scratch_load_b32 v57, off, off offset:52 th:TH_LOAD_LU
	scratch_load_b32 v43, off, off offset:44 th:TH_LOAD_LU
	v_add3_u32 v25, v30, v26, v25
	v_mul_i32_i24_e32 v26, v60, v197
	v_mul_i32_i24_e32 v30, v23, v55
	scratch_load_b32 v60, off, off offset:72 th:TH_LOAD_LU ; 4-byte Folded Reload
	v_add3_u32 v0, v0, v26, v28
	v_mul_i32_i24_e32 v26, v197, v49
	v_mul_i32_i24_e32 v28, v198, v4
	;; [unrolled: 1-line block ×3, first 2 shown]
	s_delay_alu instid0(VALU_DEP_4) | instskip(NEXT) | instid1(VALU_DEP_3)
	v_cvt_f32_i32_e32 v0, v0
	v_add3_u32 v26, v33, v26, v28
	v_mul_i32_i24_e32 v28, v21, v42
	scratch_load_b32 v42, off, off offset:36 th:TH_LOAD_LU ; 4-byte Folded Reload
	v_add3_u32 v5, v5, v28, v30
	v_mul_i32_i24_e32 v28, v197, v41
	v_mul_i32_i24_e32 v30, v198, v6
	;; [unrolled: 1-line block ×3, first 2 shown]
	s_delay_alu instid0(VALU_DEP_2) | instskip(SKIP_2) | instid1(VALU_DEP_1)
	v_add3_u32 v15, v15, v28, v30
	v_mul_i32_i24_e32 v28, v21, v34
	v_mul_i32_i24_e32 v30, v23, v52
	v_add3_u32 v7, v7, v28, v30
	v_mul_i32_i24_e32 v28, v197, v50
	v_mul_i32_i24_e32 v30, v198, v8
	s_delay_alu instid0(VALU_DEP_1)
	v_add3_u32 v18, v18, v28, v30
	v_mul_i32_i24_e32 v28, v21, v40
	v_mul_i32_i24_e32 v30, v23, v59
	scratch_load_b32 v59, off, off offset:68 th:TH_LOAD_LU ; 4-byte Folded Reload
	v_add3_u32 v9, v9, v28, v30
	v_mul_i32_i24_e32 v28, v197, v39
	v_mul_i32_i24_e32 v30, v198, v16
	s_delay_alu instid0(VALU_DEP_1)
	v_add3_u32 v3, v3, v28, v30
	v_mul_i32_i24_e32 v28, v21, v36
	v_mul_i32_i24_e32 v30, v23, v63
	s_clause 0x1
	scratch_load_b32 v36, off, off offset:12 th:TH_LOAD_LU
	scratch_load_b32 v40, off, off offset:4 th:TH_LOAD_LU
	v_cvt_f32_i32_e32 v3, v3
	v_add3_u32 v17, v17, v28, v30
	v_mul_i32_i24_e32 v28, v197, v38
	v_mul_i32_i24_e32 v30, v198, v27
	s_delay_alu instid0(VALU_DEP_1)
	v_add3_u32 v20, v20, v28, v30
	v_mul_i32_i24_e32 v28, v21, v35
	v_mul_i32_i24_e32 v30, v23, v68
	;; [unrolled: 1-line block ×4, first 2 shown]
	s_clause 0x1
	scratch_load_b32 v35, off, off th:TH_LOAD_LU
	scratch_load_b32 v68, off, off offset:80 th:TH_LOAD_LU
	v_add3_u32 v22, v22, v28, v30
	v_mul_i32_i24_e32 v28, v197, v37
	v_add3_u32 v21, v25, v21, v23
	v_mul_i32_i24_e32 v23, v14, v49
	s_clause 0x3
	scratch_load_b32 v44, off, off offset:32 th:TH_LOAD_LU
	scratch_load_b32 v46, off, off offset:28 th:TH_LOAD_LU
	;; [unrolled: 1-line block ×4, first 2 shown]
	v_mul_i32_i24_e32 v30, v198, v29
	v_add3_u32 v4, v5, v23, v4
	v_mul_i32_i24_e32 v5, v14, v41
	s_delay_alu instid0(VALU_DEP_3) | instskip(NEXT) | instid1(VALU_DEP_2)
	v_add3_u32 v24, v24, v28, v30
	v_add3_u32 v5, v7, v5, v6
	v_mul_i32_i24_e32 v6, v14, v50
	v_mul_i32_i24_e32 v7, v19, v8
	;; [unrolled: 1-line block ×3, first 2 shown]
	s_delay_alu instid0(VALU_DEP_2)
	v_add3_u32 v6, v9, v6, v7
	v_mul_i32_i24_e32 v7, v14, v39
	v_mul_i32_i24_e32 v9, v19, v27
	scratch_load_b32 v39, off, off offset:24 th:TH_LOAD_LU ; 4-byte Folded Reload
	v_add3_u32 v7, v17, v7, v8
	v_mul_i32_i24_e32 v8, v14, v38
	scratch_load_b32 v38, off, off offset:20 th:TH_LOAD_LU ; 4-byte Folded Reload
	v_add3_u32 v8, v22, v8, v9
	v_mul_i32_i24_e32 v9, v14, v37
	s_clause 0x3
	scratch_load_b32 v37, off, off offset:16 th:TH_LOAD_LU
	scratch_load_b32 v41, off, off offset:8 th:TH_LOAD_LU
	;; [unrolled: 1-line block ×4, first 2 shown]
	v_mul_i32_i24_e32 v14, v19, v29
	s_delay_alu instid0(VALU_DEP_1) | instskip(SKIP_2) | instid1(VALU_DEP_1)
	v_add3_u32 v9, v21, v9, v14
	v_cvt_f32_i32_e32 v14, v31
	s_wait_loadcnt 0x1
	v_fma_mix_f32 v14, v16, v14, v16 op_sel:[0,0,1] op_sel_hi:[1,0,1]
	v_cvt_f32_i32_e32 v16, v77
	s_delay_alu instid0(VALU_DEP_2) | instskip(SKIP_3) | instid1(VALU_DEP_1)
	v_add_f32_e32 v57, v57, v14
	scratch_load_b32 v14, off, off offset:188 th:TH_LOAD_LU ; 4-byte Folded Reload
	s_wait_loadcnt 0x1
	v_fma_mix_f32 v16, v17, v16, v17 op_sel:[0,0,1] op_sel_hi:[1,0,1]
	v_add_f32_e32 v68, v68, v16
	scratch_load_b32 v16, off, off offset:200 th:TH_LOAD_LU ; 4-byte Folded Reload
	s_wait_loadcnt 0x1
	v_fma_mix_f32 v10, v14, v10, v14 op_sel:[0,0,1] op_sel_hi:[1,0,1]
	scratch_load_b32 v14, off, off offset:184 th:TH_LOAD_LU ; 4-byte Folded Reload
	s_wait_loadcnt 0x0
	v_fma_mix_f32 v12, v14, v12, v14 op_sel:[0,0,1] op_sel_hi:[1,0,1]
	v_cvt_f32_i32_e32 v14, v51
	s_delay_alu instid0(VALU_DEP_1)
	v_fma_mix_f32 v14, v16, v14, v16 op_sel:[0,0,1] op_sel_hi:[1,0,1]
	v_cvt_f32_i32_e32 v16, v54
	s_clause 0x6
	scratch_load_b32 v54, off, off offset:56 th:TH_LOAD_LU
	scratch_load_b32 v17, off, off offset:192 th:TH_LOAD_LU
	;; [unrolled: 1-line block ×7, first 2 shown]
	s_wait_loadcnt 0x5
	v_fma_mix_f32 v16, v17, v16, v17 op_sel:[0,0,1] op_sel_hi:[1,0,1]
	v_cvt_f32_i32_e32 v17, v62
	s_delay_alu instid0(VALU_DEP_2) | instskip(SKIP_1) | instid1(VALU_DEP_2)
	v_add_f32_e32 v54, v54, v16
	s_wait_loadcnt 0x4
	v_fma_mix_f32 v17, v19, v17, v19 op_sel:[0,0,1] op_sel_hi:[1,0,1]
	v_cvt_f32_i32_e32 v19, v65
	s_delay_alu instid0(VALU_DEP_2) | instskip(SKIP_1) | instid1(VALU_DEP_2)
	v_add_f32_e32 v124, v124, v17
	s_wait_loadcnt 0x1
	v_fma_mix_f32 v19, v21, v19, v21 op_sel:[0,0,1] op_sel_hi:[1,0,1]
	v_cvt_f32_i32_e32 v21, v75
	s_delay_alu instid0(VALU_DEP_2) | instskip(NEXT) | instid1(VALU_DEP_2)
	v_add_f32_e32 v137, v137, v19
	v_fma_mix_f32 v21, v22, v21, v22 op_sel:[0,0,1] op_sel_hi:[1,0,1]
	scratch_load_b32 v22, off, off offset:208 th:TH_LOAD_LU ; 4-byte Folded Reload
	v_add_f32_e32 v161, v161, v21
	s_wait_loadcnt 0x0
	v_fma_mix_f32 v2, v22, v2, v22 op_sel:[0,0,1] op_sel_hi:[1,0,1]
	v_cvt_f32_i32_e32 v22, v76
	s_delay_alu instid0(VALU_DEP_2) | instskip(NEXT) | instid1(VALU_DEP_2)
	v_add_f32_e32 v160, v160, v2
	v_fma_mix_f32 v22, v23, v22, v23 op_sel:[0,0,1] op_sel_hi:[1,0,1]
	v_cvt_f32_i32_e32 v23, v66
	s_delay_alu instid0(VALU_DEP_2) | instskip(NEXT) | instid1(VALU_DEP_2)
	v_add_f32_e32 v46, v46, v22
	v_fma_mix_f32 v23, v25, v23, v25 op_sel:[0,0,1] op_sel_hi:[1,0,1]
	v_cvt_f32_i32_e32 v25, v69
	s_clause 0x1
	scratch_load_b32 v69, off, off offset:88 th:TH_LOAD_LU
	scratch_load_b32 v27, off, off offset:236 th:TH_LOAD_LU
	v_add_f32_e32 v43, v43, v23
	s_wait_loadcnt 0x1
	v_add_f32_e32 v69, v69, v12
	s_wait_loadcnt 0x0
	v_fma_mix_f32 v25, v27, v25, v27 op_sel:[0,0,1] op_sel_hi:[1,0,1]
	v_cvt_f32_i32_e32 v27, v70
	s_clause 0x2
	scratch_load_b32 v70, off, off offset:92 th:TH_LOAD_LU
	scratch_load_b32 v28, off, off offset:240 th:TH_LOAD_LU
	;; [unrolled: 1-line block ×3, first 2 shown]
	v_add_f32_e32 v36, v36, v25
	s_wait_loadcnt 0x2
	v_add_f32_e32 v70, v70, v10
	s_wait_loadcnt 0x1
	v_fma_mix_f32 v27, v28, v27, v28 op_sel:[0,0,1] op_sel_hi:[1,0,1]
	v_cvt_f32_i32_e32 v28, v53
	v_cvt_f32_i32_e32 v10, v13
	s_delay_alu instid0(VALU_DEP_3) | instskip(SKIP_1) | instid1(VALU_DEP_3)
	v_add_f32_e32 v39, v39, v27
	s_wait_loadcnt 0x0
	v_fma_mix_f32 v28, v29, v28, v29 op_sel:[0,0,1] op_sel_hi:[1,0,1]
	v_cvt_f32_i32_e32 v29, v56
	s_clause 0x3
	scratch_load_b32 v56, off, off offset:60 th:TH_LOAD_LU
	scratch_load_b32 v30, off, off offset:228 th:TH_LOAD_LU
	;; [unrolled: 1-line block ×4, first 2 shown]
	v_add_f32_e32 v40, v40, v28
	s_wait_loadcnt 0x3
	v_add_f32_e32 v56, v56, v14
	scratch_load_b32 v14, off, off offset:108 th:TH_LOAD_LU ; 4-byte Folded Reload
	s_wait_loadcnt 0x2
	v_fma_mix_f32 v10, v12, v10, v12 op_sel:[0,0,1] op_sel_hi:[1,0,1]
	scratch_load_b32 v12, off, off offset:180 th:TH_LOAD_LU ; 4-byte Folded Reload
	s_wait_loadcnt 0x2
	v_fma_mix_f32 v0, v2, v0, v2 op_sel:[0,0,1] op_sel_hi:[1,0,1]
	scratch_load_b32 v2, off, off offset:152 th:TH_LOAD_LU ; 4-byte Folded Reload
	v_fma_mix_f32 v29, v30, v29, v30 op_sel:[0,0,1] op_sel_hi:[1,0,1]
	v_dual_add_f32 v72, v72, v10 :: v_dual_add_f32 v67, v67, v0
	v_cvt_f32_i32_e32 v0, v4
	s_wait_loadcnt 0x2
	s_delay_alu instid0(VALU_DEP_3)
	v_dual_add_f32 v35, v35, v29 :: v_dual_add_nc_u32 v14, 4, v14
	s_wait_loadcnt 0x1
	v_fma_mix_f32 v1, v12, v1, v12 op_sel:[0,0,1] op_sel_hi:[1,0,1]
	scratch_load_b32 v12, off, off offset:176 th:TH_LOAD_LU ; 4-byte Folded Reload
	v_add_f32_e32 v64, v64, v1
	v_cvt_f32_i32_e32 v1, v26
	s_wait_loadcnt 0x1
	s_delay_alu instid0(VALU_DEP_1)
	v_fma_mix_f32 v1, v2, v1, v2 op_sel:[0,0,1] op_sel_hi:[1,0,1]
	v_cvt_f32_i32_e32 v2, v15
	s_clause 0x2
	scratch_load_b32 v15, off, off offset:112 th:TH_LOAD_LU
	scratch_load_b32 v10, off, off offset:156 th:TH_LOAD_LU
	;; [unrolled: 1-line block ×3, first 2 shown]
	v_add_f32_e32 v59, v59, v1
	scratch_load_b32 v1, off, off offset:124 th:TH_LOAD_LU ; 4-byte Folded Reload
	s_wait_loadcnt 0x4
	v_fma_mix_f32 v11, v12, v11, v12 op_sel:[0,0,1] op_sel_hi:[1,0,1]
	s_clause 0x1
	scratch_load_b32 v12, off, off offset:172 th:TH_LOAD_LU
	scratch_load_b32 v4, off, off offset:132 th:TH_LOAD_LU
	v_add_f32_e32 v60, v60, v11
	scratch_load_b32 v11, off, off offset:160 th:TH_LOAD_LU ; 4-byte Folded Reload
	s_wait_loadcnt 0x6
	v_add_nc_u32_e32 v15, 4, v15
	s_wait_loadcnt 0x5
	v_fma_mix_f32 v2, v10, v2, v10 op_sel:[0,0,1] op_sel_hi:[1,0,1]
	v_cvt_f32_i32_e32 v10, v18
	s_delay_alu instid0(VALU_DEP_2)
	v_add_f32_e32 v138, v138, v2
	scratch_load_b32 v2, off, off offset:128 th:TH_LOAD_LU ; 4-byte Folded Reload
	s_wait_loadcnt 0x1
	v_fma_mix_f32 v10, v11, v10, v11 op_sel:[0,0,1] op_sel_hi:[1,0,1]
	scratch_load_b32 v11, off, off offset:164 th:TH_LOAD_LU ; 4-byte Folded Reload
	v_add_f32_e32 v136, v136, v10
	scratch_load_b32 v10, off, off offset:100 th:TH_LOAD_LU ; 4-byte Folded Reload
	s_wait_loadcnt 0x1
	v_fma_mix_f32 v3, v11, v3, v11 op_sel:[0,0,1] op_sel_hi:[1,0,1]
	v_cvt_f32_i32_e32 v11, v20
	s_delay_alu instid0(VALU_DEP_2) | instskip(NEXT) | instid1(VALU_DEP_2)
	v_add_f32_e32 v44, v44, v3
	v_fma_mix_f32 v11, v12, v11, v12 op_sel:[0,0,1] op_sel_hi:[1,0,1]
	v_cvt_f32_i32_e32 v3, v7
	v_cvt_f32_i32_e32 v12, v24
	s_delay_alu instid0(VALU_DEP_3)
	v_add_f32_e32 v42, v42, v11
	scratch_load_b32 v11, off, off offset:104 th:TH_LOAD_LU ; 4-byte Folded Reload
	v_fma_mix_f32 v0, v1, v0, v1 op_sel:[0,0,1] op_sel_hi:[1,0,1]
	v_cvt_f32_i32_e32 v1, v5
	scratch_load_b32 v5, off, off offset:144 th:TH_LOAD_LU ; 4-byte Folded Reload
	v_fma_mix_f32 v12, v13, v12, v13 op_sel:[0,0,1] op_sel_hi:[1,0,1]
	s_wait_loadcnt 0x2
	v_add_nc_u32_e32 v10, 4, v10
	v_add_f32_e32 v58, v58, v0
	v_fma_mix_f32 v1, v2, v1, v2 op_sel:[0,0,1] op_sel_hi:[1,0,1]
	v_cvt_f32_i32_e32 v2, v6
	scratch_load_b32 v6, off, off offset:140 th:TH_LOAD_LU ; 4-byte Folded Reload
	v_dual_add_f32 v38, v38, v12 :: v_dual_add_f32 v49, v49, v1
	v_fma_mix_f32 v2, v4, v2, v4 op_sel:[0,0,1] op_sel_hi:[1,0,1]
	scratch_load_b32 v4, off, off offset:136 th:TH_LOAD_LU ; 4-byte Folded Reload
	v_add_f32_e32 v55, v55, v2
	s_wait_loadcnt 0x3
	v_add_nc_u32_e32 v11, 4, v11
	s_wait_loadcnt 0x0
	v_fma_mix_f32 v3, v4, v3, v4 op_sel:[0,0,1] op_sel_hi:[1,0,1]
	v_cvt_f32_i32_e32 v4, v8
	s_delay_alu instid0(VALU_DEP_2) | instskip(NEXT) | instid1(VALU_DEP_2)
	v_add_f32_e32 v162, v162, v3
	v_fma_mix_f32 v4, v5, v4, v5 op_sel:[0,0,1] op_sel_hi:[1,0,1]
	v_cvt_f32_i32_e32 v5, v9
	s_delay_alu instid0(VALU_DEP_2) | instskip(NEXT) | instid1(VALU_DEP_2)
	v_add_f32_e32 v37, v37, v4
	v_fma_mix_f32 v5, v6, v5, v6 op_sel:[0,0,1] op_sel_hi:[1,0,1]
	s_delay_alu instid0(VALU_DEP_1)
	v_add_f32_e32 v41, v41, v5
	s_cbranch_scc1 .LBB119_9
; %bb.10:                               ;   in Loop: Header=BB119_7 Depth=1
	s_and_b32 s12, s5, -4
	s_wait_storecnt 0x0
	s_wait_alu 0xfffe
	s_cmp_eq_u32 s12, 4
	s_barrier_signal -1
	s_barrier_wait -1
	global_inv scope:SCOPE_SE
	s_cbranch_scc1 .LBB119_5
; %bb.11:                               ;   in Loop: Header=BB119_7 Depth=1
	s_clause 0x5
	scratch_load_b32 v0, off, off offset:476
	scratch_load_b64 v[17:18], off, off offset:284
	scratch_load_b32 v12, off, off offset:272
	scratch_load_b32 v1, off, off offset:256
	;; [unrolled: 1-line block ×4, first 2 shown]
	s_mov_b32 s12, 12
	scratch_load_b32 v13, off, off offset:276 ; 4-byte Folded Reload
	s_wait_loadcnt 0x6
	v_add_nc_u32_e32 v10, s10, v0
	scratch_load_b32 v0, off, off offset:252 ; 4-byte Folded Reload
	s_wait_loadcnt 0x4
	v_add_nc_u32_e32 v2, v10, v1
	;; [unrolled: 3-line block ×3, first 2 shown]
	v_add_nc_u32_e32 v8, v10, v7
	v_add_nc_u32_e32 v12, v10, v12
	v_mad_co_i64_i32 v[2:3], null, v2, 36, v[17:18]
	s_wait_loadcnt 0x2
	v_add_nc_u32_e32 v14, v10, v13
	scratch_load_b32 v13, off, off offset:332 th:TH_LOAD_LU ; 4-byte Folded Reload
	v_mad_co_i64_i32 v[8:9], null, v8, 36, v[17:18]
	v_mad_co_i64_i32 v[14:15], null, v14, 36, v[17:18]
	s_wait_loadcnt 0x2
	v_add_nc_u32_e32 v0, v10, v0
	s_wait_loadcnt 0x1
	v_add_nc_u32_e32 v4, v10, v1
	scratch_load_b32 v1, off, off offset:264 ; 4-byte Folded Reload
	v_mad_co_i64_i32 v[4:5], null, v4, 36, v[17:18]
	s_wait_loadcnt 0x1
	v_add_nc_u32_e32 v16, 4, v13
	v_mad_co_i64_i32 v[12:13], null, v12, 36, v[17:18]
	s_wait_loadcnt 0x0
	v_add_nc_u32_e32 v6, v10, v1
	v_mad_co_i64_i32 v[10:11], null, v11, 36, v[17:18]
	v_mad_co_i64_i32 v[0:1], null, v0, 36, v[17:18]
	s_delay_alu instid0(VALU_DEP_3)
	v_mad_co_i64_i32 v[6:7], null, v6, 36, v[17:18]
	v_mad_co_u64_u32 v[16:17], null, v16, 36, s[2:3]
	s_clause 0x8
	global_load_b32 v10, v[10:11], off offset:4
	global_load_b32 v0, v[0:1], off offset:4
	;; [unrolled: 1-line block ×8, first 2 shown]
	global_load_b32 v7, v[16:17], off
	s_clause 0x2
	scratch_load_b32 v157, off, off offset:292
	scratch_load_b32 v158, off, off offset:296
	;; [unrolled: 1-line block ×3, first 2 shown]
	s_wait_loadcnt 0x0
	v_mad_u32_u24 v163, 0x84, v8, 64
	s_clause 0x4
	scratch_load_b32 v9, off, off offset:492
	scratch_load_b32 v11, off, off offset:488
	;; [unrolled: 1-line block ×5, first 2 shown]
	s_wait_loadcnt 0x0
	ds_store_b32 v8, v10
	scratch_load_b32 v8, off, off offset:300 ; 4-byte Folded Reload
	s_wait_loadcnt 0x0
	ds_store_b32 v8, v0
	scratch_load_b32 v0, off, off offset:304 ; 4-byte Folded Reload
	;; [unrolled: 3-line block ×8, first 2 shown]
	s_wait_loadcnt 0x0
	ds_store_b32 v0, v7
	s_wait_dscnt 0x0
	s_barrier_signal -1
	s_barrier_wait -1
	global_inv scope:SCOPE_SE
.LBB119_12:                             ;   Parent Loop BB119_7 Depth=1
                                        ; =>  This Inner Loop Header: Depth=2
	s_clause 0x1c
	scratch_store_b32 off, v15, off offset:112
	scratch_store_b32 off, v14, off offset:108
	;; [unrolled: 1-line block ×28, first 2 shown]
	scratch_store_b32 off, v35, off
	ds_load_2addr_b32 v[4:5], v157 offset1:32
	ds_load_b32 v13, v9
	ds_load_b32 v12, v11
	;; [unrolled: 1-line block ×4, first 2 shown]
	ds_load_2addr_b32 v[8:9], v158 offset0:5 offset1:6
	v_add_nc_u32_e32 v38, 0x400, v158
	v_add_nc_u32_e32 v100, 0x1800, v158
	s_wait_alu 0xfffe
	s_add_co_i32 s12, s12, 4
	s_wait_alu 0xfffe
	s_cmp_lt_u32 s12, 28
	s_wait_dscnt 0x4
	v_pk_mul_f16 v0, v4, v13
	s_wait_dscnt 0x0
	v_bfe_i32 v209, v8, 16, 8
	scratch_store_b32 off, v0, off offset:120 ; 4-byte Folded Spill
	v_pk_mul_f16 v0, v4, v12
	v_ashrrev_i32_e32 v210, 24, v8
	v_bfe_i32 v214, v8, 0, 8
	v_ashrrev_i32_e32 v199, 24, v9
	v_bfe_i32 v200, v9, 16, 8
	scratch_store_b32 off, v0, off offset:116 ; 4-byte Folded Spill
	v_pk_mul_f16 v0, v4, v11
	ds_load_2addr_b32 v[27:28], v163 offset1:1
	ds_load_2addr_b32 v[6:7], v163 offset0:2 offset1:3
	ds_load_2addr_b32 v[15:16], v158 offset1:3
	ds_load_2addr_b32 v[29:30], v158 offset0:1 offset1:2
	v_bfe_i32 v202, v9, 0, 8
	scratch_store_b32 off, v0, off offset:188 ; 4-byte Folded Spill
	v_pk_mul_f16 v0, v4, v10
	scratch_store_b32 off, v0, off offset:184 ; 4-byte Folded Spill
	v_pk_mul_f16 v0, v13, v5
	;; [unrolled: 2-line block ×3, first 2 shown]
	s_wait_dscnt 0x3
	v_bfe_u32 v241, v27, 20, 4
	v_bfe_u32 v196, v27, 16, 4
	;; [unrolled: 1-line block ×3, first 2 shown]
	scratch_store_b32 off, v0, off offset:232 ; 4-byte Folded Spill
	v_pk_mul_f16 v0, v11, v5
	s_wait_dscnt 0x0
	v_bfe_i32 v223, v29, 16, 8
	v_bfe_u32 v213, v28, 20, 4
	v_lshrrev_b32_e32 v244, 28, v27
	v_bfe_u32 v197, v27, 24, 4
	scratch_store_b32 off, v0, off offset:180 ; 4-byte Folded Spill
	v_pk_mul_f16 v0, v10, v5
	ds_load_2addr_b32 v[4:5], v158 offset0:4 offset1:7
	v_mul_i32_i24_e32 v3, v209, v213
	v_bfe_u32 v232, v28, 24, 4
	v_lshrrev_b32_e32 v215, 28, v28
	scratch_store_b32 off, v0, off offset:176 ; 4-byte Folded Spill
	ds_load_2addr_b32 v[0:1], v157 offset0:64 offset1:96
	v_ashrrev_i32_e32 v226, 24, v29
	v_bfe_u32 v248, v27, 4, 4
	v_bfe_i32 v31, v15, 0, 8
	v_and_b32_e32 v198, 15, v27
	v_bfe_i32 v231, v29, 0, 8
	v_and_b32_e32 v228, 15, v28
	v_bfe_u32 v216, v28, 4, 4
	v_bfe_u32 v212, v6, 24, 4
	v_lshrrev_b32_e32 v203, 28, v6
	v_ashrrev_i32_e32 v205, 24, v30
	v_bfe_i32 v206, v30, 16, 8
	v_bfe_u32 v207, v6, 16, 4
	v_bfe_u32 v201, v6, 20, 4
	v_bfe_i32 v211, v30, 0, 8
	s_wait_dscnt 0x1
	v_bfe_i32 v236, v4, 16, 8
	v_ashrrev_i32_e32 v238, 24, v4
	v_bfe_i32 v237, v4, 0, 8
	v_and_b32_e32 v208, 15, v6
	v_bfe_u32 v204, v6, 4, 4
	s_wait_dscnt 0x0
	v_pk_mul_f16 v2, v13, v0
	v_lshrrev_b16 v4, 8, v4
	v_bfe_i32 v255, v29, 8, 8
	v_bfe_i32 v243, v16, 16, 8
	v_bfe_u32 v249, v7, 16, 4
	scratch_store_b32 off, v2, off offset:152 ; 4-byte Folded Spill
	v_pk_mul_f16 v2, v12, v0
	v_bfe_i32 v121, v4, 0, 8
	v_and_b32_e32 v4, 0xf0f0f0f, v28
	v_bfe_u32 v230, v7, 20, 4
	v_bfe_u32 v254, v7, 24, 4
	scratch_store_b32 off, v2, off offset:124 ; 4-byte Folded Spill
	v_pk_mul_f16 v2, v11, v0
	v_pk_mul_f16 v0, v10, v0
	v_lshrrev_b16 v4, 8, v4
	v_lshrrev_b32_e32 v234, 28, v7
	v_ashrrev_i32_e32 v246, 24, v16
	v_ashrrev_i32_e32 v229, 24, v5
	scratch_store_b32 off, v0, off offset:192 ; 4-byte Folded Spill
	v_pk_mul_f16 v0, v13, v1
	v_and_b32_e32 v122, 0xffff, v4
	v_bfe_i32 v253, v16, 0, 8
	v_and_b32_e32 v250, 15, v7
	v_bfe_i32 v233, v5, 0, 8
	scratch_store_b32 off, v0, off offset:156 ; 4-byte Folded Spill
	v_pk_mul_f16 v0, v12, v1
	scratch_store_b32 off, v2, off offset:200 ; 4-byte Folded Spill
	v_bfe_u32 v235, v7, 4, 4
	scratch_store_b32 off, v0, off offset:128 ; 4-byte Folded Spill
	v_pk_mul_f16 v0, v11, v1
	scratch_store_b32 off, v0, off offset:204 ; 4-byte Folded Spill
	v_pk_mul_f16 v0, v10, v1
	scratch_store_b32 off, v0, off offset:196 ; 4-byte Folded Spill
	ds_load_2addr_b32 v[0:1], v157 offset0:128 offset1:160
	s_wait_dscnt 0x0
	v_pk_mul_f16 v2, v13, v0
	scratch_store_b32 off, v2, off offset:160 ; 4-byte Folded Spill
	v_pk_mul_f16 v2, v12, v0
	scratch_store_b32 off, v2, off offset:132 ; 4-byte Folded Spill
	v_pk_mul_f16 v2, v11, v0
	v_pk_mul_f16 v0, v10, v0
	scratch_store_b32 off, v0, off offset:208 ; 4-byte Folded Spill
	v_pk_mul_f16 v0, v13, v1
	scratch_store_b32 off, v0, off offset:164 ; 4-byte Folded Spill
	v_pk_mul_f16 v0, v12, v1
	s_clause 0x1
	scratch_store_b32 off, v2, off offset:216
	scratch_store_b32 off, v0, off offset:136
	v_pk_mul_f16 v0, v11, v1
	scratch_store_b32 off, v0, off offset:220 ; 4-byte Folded Spill
	v_pk_mul_f16 v0, v10, v1
	scratch_store_b32 off, v0, off offset:212 ; 4-byte Folded Spill
	ds_load_2addr_b32 v[0:1], v157 offset0:192 offset1:224
	v_add_nc_u32_e32 v157, 4, v157
	s_wait_dscnt 0x0
	v_pk_mul_f16 v2, v13, v0
	scratch_store_b32 off, v2, off offset:172 ; 4-byte Folded Spill
	v_pk_mul_f16 v2, v13, v1
	scratch_store_b32 off, v2, off offset:168 ; 4-byte Folded Spill
	;; [unrolled: 2-line block ×3, first 2 shown]
	v_pk_mul_f16 v2, v12, v1
	v_mul_i32_i24_e32 v12, v214, v216
	scratch_store_b32 off, v2, off offset:140 ; 4-byte Folded Spill
	v_pk_mul_f16 v2, v11, v0
	v_pk_mul_f16 v0, v10, v0
	s_clause 0x1
	scratch_store_b32 off, v2, off offset:236
	scratch_store_b32 off, v0, off offset:240
	v_pk_mul_f16 v2, v11, v1
	v_pk_mul_f16 v0, v10, v1
	v_mul_i32_i24_e32 v1, v241, v236
	v_mul_i32_i24_e32 v10, v226, v232
	;; [unrolled: 1-line block ×3, first 2 shown]
	s_clause 0x1
	scratch_store_b32 off, v2, off offset:224
	scratch_store_b32 off, v0, off offset:228
	v_bfe_i32 v0, v15, 16, 8
	v_mul_i32_i24_e32 v2, v223, v227
	s_delay_alu instid0(VALU_DEP_2) | instskip(NEXT) | instid1(VALU_DEP_1)
	v_mad_i32_i24 v1, v196, v0, v1
	v_add3_u32 v2, v1, v2, v3
	v_ashrrev_i32_e32 v1, 24, v15
	v_mul_i32_i24_e32 v3, v244, v238
	s_delay_alu instid0(VALU_DEP_1) | instskip(NEXT) | instid1(VALU_DEP_1)
	v_mad_i32_i24 v3, v197, v1, v3
	v_add3_u32 v3, v3, v10, v11
	v_mul_i32_i24_e32 v10, v248, v237
	v_mul_i32_i24_e32 v11, v231, v228
	s_delay_alu instid0(VALU_DEP_2) | instskip(NEXT) | instid1(VALU_DEP_1)
	v_mad_i32_i24 v10, v198, v31, v10
	v_add3_u32 v10, v10, v11, v12
	v_mul_i32_i24_e32 v11, v205, v212
	v_mul_i32_i24_e32 v12, v199, v203
	s_delay_alu instid0(VALU_DEP_1) | instskip(SKIP_3) | instid1(VALU_DEP_2)
	v_add3_u32 v33, v3, v11, v12
	v_mul_i32_i24_e32 v3, v206, v207
	v_mul_i32_i24_e32 v11, v200, v201
	v_add_nc_u32_e32 v12, 0x1088, v163
	v_add3_u32 v35, v2, v3, v11
	v_mul_i32_i24_e32 v2, v211, v208
	v_mul_i32_i24_e32 v3, v202, v204
	s_delay_alu instid0(VALU_DEP_1) | instskip(SKIP_2) | instid1(VALU_DEP_2)
	v_add3_u32 v34, v10, v2, v3
	v_lshrrev_b16 v2, 8, v15
	v_add_nc_u32_e32 v10, 0x2100, v163
	v_bfe_i32 v32, v2, 0, 8
	v_add_nc_u32_e32 v2, 0x2108, v163
	ds_load_2addr_b32 v[54:55], v10 offset1:1
	ds_load_2addr_b32 v[10:11], v2 offset1:1
	ds_load_2addr_b32 v[56:57], v12 offset1:1
	s_wait_dscnt 0x2
	v_and_b32_e32 v221, 15, v54
	v_bfe_u32 v222, v54, 8, 4
	v_bfe_u32 v217, v54, 16, 4
	;; [unrolled: 1-line block ×3, first 2 shown]
	s_wait_dscnt 0x0
	v_bfe_u32 v143, v56, 16, 4
	v_mul_i32_i24_e32 v2, v31, v221
	v_and_b32_e32 v76, 15, v56
	v_mul_i32_i24_e32 v3, v0, v217
	v_mul_i32_i24_e32 v12, v1, v218
	v_bfe_u32 v127, v56, 24, 4
	v_mad_i32_i24 v2, v32, v222, v2
	v_bfe_u32 v42, v54, 12, 4
	v_bfe_u32 v43, v54, 4, 4
	;; [unrolled: 1-line block ×3, first 2 shown]
	v_lshrrev_b32_e32 v87, 28, v54
	v_add3_u32 v36, v2, v3, v12
	v_add_nc_u32_e32 v2, 0x3180, v163
	v_add_nc_u32_e32 v3, 0x414, v158
	;; [unrolled: 1-line block ×3, first 2 shown]
	ds_load_2addr_b32 v[58:59], v2 offset1:1
	ds_load_2addr_b32 v[64:65], v3 offset1:1
	;; [unrolled: 1-line block ×3, first 2 shown]
	v_bfe_u32 v251, v57, 24, 4
	v_bfe_u32 v135, v56, 4, 4
	v_and_b32_e32 v239, 15, v57
	v_bfe_u32 v142, v56, 20, 4
	v_bfe_u32 v240, v57, 16, 4
	;; [unrolled: 1-line block ×5, first 2 shown]
	v_lshrrev_b32_e32 v245, 28, v57
	v_and_b32_e32 v186, 15, v55
	v_bfe_u32 v187, v55, 16, 4
	s_wait_dscnt 0x2
	v_and_b32_e32 v224, 15, v58
	v_bfe_u32 v225, v58, 8, 4
	v_bfe_u32 v219, v58, 16, 4
	;; [unrolled: 1-line block ×3, first 2 shown]
	s_wait_dscnt 0x1
	v_bfe_i32 v149, v64, 16, 8
	v_mul_i32_i24_e32 v2, v31, v224
	v_bfe_i32 v80, v64, 0, 8
	v_mul_i32_i24_e32 v3, v0, v219
	v_mul_i32_i24_e32 v14, v1, v220
	v_ashrrev_i32_e32 v82, 24, v64
	v_mad_i32_i24 v2, v32, v225, v2
	v_bfe_u32 v45, v58, 12, 4
	v_bfe_u32 v46, v58, 4, 4
	;; [unrolled: 1-line block ×3, first 2 shown]
	v_lshrrev_b32_e32 v91, 28, v58
	v_add3_u32 v37, v2, v3, v14
	v_add_nc_u32_e32 v2, 0x1080, v163
	v_add_nc_u32_e32 v3, 0x404, v158
	ds_load_2addr_b32 v[68:69], v2 offset1:1
	ds_load_2addr_b32 v[70:71], v3 offset1:1
	ds_load_2addr_b32 v[60:61], v38 offset0:4 offset1:7
	ds_load_2addr_b32 v[23:24], v100 offset0:4 offset1:7
	v_bfe_i32 v58, v5, 16, 8
	ds_load_2addr_b32 v[62:63], v38 offset1:3
	v_bfe_i32 v128, v65, 16, 8
	v_bfe_u32 v168, v59, 8, 4
	v_bfe_u32 v169, v59, 24, 4
	v_and_b32_e32 v191, 15, v59
	v_bfe_u32 v192, v59, 16, 4
	v_add_nc_u32_e32 v163, 16, v163
	s_wait_dscnt 0x4
	v_bfe_u32 v150, v69, 16, 4
	s_wait_dscnt 0x3
	v_bfe_i32 v2, v70, 16, 8
	v_bfe_u32 v66, v68, 20, 4
	s_wait_dscnt 0x2
	v_bfe_i32 v72, v60, 16, 8
	v_bfe_u32 v131, v69, 20, 4
	v_bfe_i32 v129, v71, 16, 8
	v_mul_i32_i24_e32 v3, v2, v150
	v_and_b32_e32 v151, 15, v69
	v_bfe_u32 v73, v68, 4, 4
	v_mul_i32_i24_e32 v14, v149, v131
	v_mul_i32_i24_e32 v15, v129, v143
	v_mad_i32_i24 v3, v72, v66, v3
	v_bfe_i32 v74, v60, 0, 8
	v_bfe_u32 v134, v69, 4, 4
	v_bfe_i32 v130, v71, 0, 8
	v_bfe_u32 v79, v69, 24, 4
	v_add3_u32 v39, v3, v14, v15
	v_bfe_i32 v3, v70, 0, 8
	v_mul_i32_i24_e32 v15, v80, v134
	v_mul_i32_i24_e32 v17, v130, v76
	v_ashrrev_i32_e32 v83, 24, v70
	v_lshrrev_b32_e32 v67, 28, v68
	v_mul_i32_i24_e32 v14, v3, v151
	v_ashrrev_i32_e32 v77, 24, v60
	v_lshrrev_b32_e32 v132, 28, v69
	v_ashrrev_i32_e32 v133, 24, v71
	s_wait_dscnt 0x1
	v_bfe_i32 v109, v23, 8, 8
	v_mad_i32_i24 v14, v74, v73, v14
	v_bfe_i32 v110, v23, 0, 8
	v_bfe_i32 v113, v23, 16, 8
	v_ashrrev_i32_e32 v115, 24, v23
	s_wait_dscnt 0x0
	v_ashrrev_i32_e32 v81, 24, v63
	v_add3_u32 v40, v14, v15, v17
	v_mul_i32_i24_e32 v14, v83, v79
	v_mul_i32_i24_e32 v15, v82, v132
	;; [unrolled: 1-line block ×3, first 2 shown]
	v_bfe_i32 v141, v63, 16, 8
	v_bfe_i32 v252, v61, 16, 8
	v_mad_i32_i24 v14, v77, v67, v14
	v_bfe_i32 v242, v62, 0, 8
	s_delay_alu instid0(VALU_DEP_2)
	v_add3_u32 v41, v14, v15, v17
	v_add_nc_u32_e32 v14, 0x800, v158
	ds_load_2addr_b32 v[14:15], v14 offset0:4 offset1:7
	s_wait_dscnt 0x0
	v_bfe_i32 v84, v14, 8, 8
	v_bfe_i32 v85, v14, 0, 8
	v_bfe_i32 v88, v14, 16, 8
	v_ashrrev_i32_e32 v89, 24, v14
	s_delay_alu instid0(VALU_DEP_4) | instskip(NEXT) | instid1(VALU_DEP_3)
	v_mul_i32_i24_e32 v17, v84, v42
	v_mul_i32_i24_e32 v14, v88, v86
	s_delay_alu instid0(VALU_DEP_3) | instskip(NEXT) | instid1(VALU_DEP_3)
	v_mul_i32_i24_e32 v18, v89, v87
	v_mad_i32_i24 v17, v85, v43, v17
	s_delay_alu instid0(VALU_DEP_1) | instskip(SKIP_3) | instid1(VALU_DEP_3)
	v_add3_u32 v44, v17, v14, v18
	v_mul_i32_i24_e32 v14, v84, v45
	v_mul_i32_i24_e32 v17, v88, v90
	v_mul_i32_i24_e32 v18, v89, v91
	v_mad_i32_i24 v14, v85, v46, v14
	s_delay_alu instid0(VALU_DEP_1)
	v_add3_u32 v47, v14, v17, v18
	v_add_nc_u32_e32 v14, 0xc00, v158
	ds_load_2addr_b32 v[17:18], v14 offset0:4 offset1:7
	s_wait_dscnt 0x0
	v_bfe_i32 v92, v17, 8, 8
	v_bfe_i32 v93, v17, 0, 8
	v_bfe_i32 v94, v17, 16, 8
	v_ashrrev_i32_e32 v95, 24, v17
	s_delay_alu instid0(VALU_DEP_4) | instskip(NEXT) | instid1(VALU_DEP_3)
	v_mul_i32_i24_e32 v14, v92, v42
	v_mul_i32_i24_e32 v17, v94, v86
	s_delay_alu instid0(VALU_DEP_3) | instskip(NEXT) | instid1(VALU_DEP_3)
	v_mul_i32_i24_e32 v19, v95, v87
	v_mad_i32_i24 v14, v93, v43, v14
	s_delay_alu instid0(VALU_DEP_1) | instskip(SKIP_3) | instid1(VALU_DEP_3)
	v_add3_u32 v48, v14, v17, v19
	v_mul_i32_i24_e32 v14, v92, v45
	v_mul_i32_i24_e32 v17, v94, v90
	v_mul_i32_i24_e32 v19, v95, v91
	v_mad_i32_i24 v14, v93, v46, v14
	s_delay_alu instid0(VALU_DEP_1)
	;; [unrolled: 21-line block ×3, first 2 shown]
	v_add3_u32 v102, v14, v19, v21
	v_add_nc_u32_e32 v14, 0x1400, v158
	ds_load_2addr_b32 v[21:22], v14 offset0:4 offset1:7
	s_wait_dscnt 0x0
	v_bfe_i32 v103, v21, 8, 8
	v_bfe_i32 v104, v21, 0, 8
	;; [unrolled: 1-line block ×3, first 2 shown]
	v_ashrrev_i32_e32 v106, 24, v21
	s_delay_alu instid0(VALU_DEP_4) | instskip(NEXT) | instid1(VALU_DEP_3)
	v_mul_i32_i24_e32 v14, v103, v42
	v_mul_i32_i24_e32 v19, v105, v86
	s_delay_alu instid0(VALU_DEP_3) | instskip(NEXT) | instid1(VALU_DEP_3)
	v_mul_i32_i24_e32 v21, v106, v87
	v_mad_i32_i24 v14, v104, v43, v14
	s_delay_alu instid0(VALU_DEP_1) | instskip(SKIP_3) | instid1(VALU_DEP_3)
	v_add3_u32 v107, v14, v19, v21
	v_mul_i32_i24_e32 v14, v103, v45
	v_mul_i32_i24_e32 v19, v105, v90
	v_mul_i32_i24_e32 v21, v106, v91
	v_mad_i32_i24 v14, v104, v46, v14
	s_delay_alu instid0(VALU_DEP_1) | instskip(SKIP_3) | instid1(VALU_DEP_3)
	v_add3_u32 v108, v14, v19, v21
	v_mul_i32_i24_e32 v14, v109, v42
	v_mul_i32_i24_e32 v19, v113, v86
	;; [unrolled: 6-line block ×3, first 2 shown]
	v_mul_i32_i24_e32 v21, v115, v91
	v_mad_i32_i24 v14, v110, v46, v14
	s_delay_alu instid0(VALU_DEP_1)
	v_add3_u32 v112, v14, v19, v21
	v_add_nc_u32_e32 v14, 0x1c00, v158
	ds_load_2addr_b32 v[25:26], v14 offset0:4 offset1:7
	s_wait_dscnt 0x0
	v_bfe_i32 v114, v25, 8, 8
	v_bfe_i32 v116, v25, 0, 8
	;; [unrolled: 1-line block ×3, first 2 shown]
	v_ashrrev_i32_e32 v118, 24, v25
	s_delay_alu instid0(VALU_DEP_4) | instskip(NEXT) | instid1(VALU_DEP_3)
	v_mul_i32_i24_e32 v14, v114, v42
	v_mul_i32_i24_e32 v19, v117, v86
	s_delay_alu instid0(VALU_DEP_3) | instskip(NEXT) | instid1(VALU_DEP_3)
	v_mul_i32_i24_e32 v21, v118, v87
	v_mad_i32_i24 v14, v116, v43, v14
	s_delay_alu instid0(VALU_DEP_1) | instskip(SKIP_3) | instid1(VALU_DEP_3)
	v_add3_u32 v119, v14, v19, v21
	v_mul_i32_i24_e32 v14, v114, v45
	v_mul_i32_i24_e32 v19, v117, v90
	;; [unrolled: 1-line block ×3, first 2 shown]
	v_mad_i32_i24 v14, v116, v46, v14
	s_delay_alu instid0(VALU_DEP_1) | instskip(SKIP_4) | instid1(VALU_DEP_4)
	v_add3_u32 v120, v14, v19, v21
	v_lshrrev_b32_e32 v19, 4, v27
	v_and_b32_e32 v14, 0xf0f0f0f, v27
	v_and_b32_e32 v21, 15, v68
	v_mul_i32_i24_e32 v27, v81, v251
	v_lshrrev_b16 v19, 8, v19
	s_delay_alu instid0(VALU_DEP_4) | instskip(NEXT) | instid1(VALU_DEP_2)
	v_lshrrev_b16 v14, 8, v14
	v_and_b32_e32 v19, 15, v19
	s_delay_alu instid0(VALU_DEP_2) | instskip(SKIP_1) | instid1(VALU_DEP_3)
	v_and_b32_e32 v25, 0xffff, v14
	v_mul_i32_i24_e32 v14, v255, v122
	v_and_b32_e32 v123, 0xffff, v19
	s_delay_alu instid0(VALU_DEP_3) | instskip(NEXT) | instid1(VALU_DEP_2)
	v_mul_i32_i24_e32 v4, v25, v32
	v_mul_i32_i24_e32 v19, v123, v121
	s_delay_alu instid0(VALU_DEP_1) | instskip(SKIP_3) | instid1(VALU_DEP_2)
	v_add3_u32 v125, v4, v19, v14
	v_mul_i32_i24_e32 v4, v243, v249
	v_mul_i32_i24_e32 v14, v58, v230
	v_bfe_u32 v19, v68, 24, 4
	v_add3_u32 v75, v35, v4, v14
	v_mul_i32_i24_e32 v4, v246, v254
	v_mul_i32_i24_e32 v14, v229, v234
	s_delay_alu instid0(VALU_DEP_4) | instskip(NEXT) | instid1(VALU_DEP_2)
	v_mul_i32_i24_e32 v1, v19, v1
	v_add3_u32 v159, v33, v4, v14
	v_mul_i32_i24_e32 v4, v253, v250
	v_mul_i32_i24_e32 v14, v233, v235
	s_delay_alu instid0(VALU_DEP_1) | instskip(SKIP_2) | instid1(VALU_DEP_1)
	v_add3_u32 v78, v34, v4, v14
	v_mul_i32_i24_e32 v4, v237, v43
	v_mul_i32_i24_e32 v14, v121, v42
	v_add3_u32 v126, v36, v14, v4
	v_mul_i32_i24_e32 v4, v237, v46
	v_mul_i32_i24_e32 v14, v121, v45
	s_delay_alu instid0(VALU_DEP_1) | instskip(SKIP_3) | instid1(VALU_DEP_3)
	v_add3_u32 v139, v37, v14, v4
	v_and_b32_e32 v4, 0xf0f0f0f, v68
	v_mul_i32_i24_e32 v14, v21, v31
	v_add_nc_u32_e32 v37, 0x1814, v158
	v_lshrrev_b16 v4, 8, v4
	s_delay_alu instid0(VALU_DEP_1) | instskip(NEXT) | instid1(VALU_DEP_1)
	v_and_b32_e32 v23, 0xffff, v4
	v_mad_i32_i24 v4, v23, v32, v14
	v_bfe_u32 v14, v68, 16, 4
	v_mul_i32_i24_e32 v32, v77, v87
	s_delay_alu instid0(VALU_DEP_2) | instskip(NEXT) | instid1(VALU_DEP_1)
	v_mul_i32_i24_e32 v0, v14, v0
	v_add3_u32 v140, v4, v0, v1
	v_lshrrev_b32_e32 v1, 28, v56
	v_ashrrev_i32_e32 v4, 24, v65
	s_delay_alu instid0(VALU_DEP_1) | instskip(NEXT) | instid1(VALU_DEP_1)
	v_mul_i32_i24_e32 v0, v4, v1
	v_add3_u32 v145, v41, v0, v27
	v_bfe_i32 v27, v65, 0, 8
	v_bfe_i32 v0, v63, 0, 8
	;; [unrolled: 1-line block ×3, first 2 shown]
	s_delay_alu instid0(VALU_DEP_3) | instskip(NEXT) | instid1(VALU_DEP_3)
	v_mul_i32_i24_e32 v29, v27, v135
	v_mul_i32_i24_e32 v31, v0, v239
	s_delay_alu instid0(VALU_DEP_1) | instskip(SKIP_2) | instid1(VALU_DEP_1)
	v_add3_u32 v146, v40, v29, v31
	v_mul_i32_i24_e32 v29, v128, v142
	v_mul_i32_i24_e32 v31, v141, v240
	v_add3_u32 v144, v39, v29, v31
	v_lshrrev_b16 v29, 8, v60
	v_mul_i32_i24_e32 v31, v72, v86
	s_delay_alu instid0(VALU_DEP_2) | instskip(NEXT) | instid1(VALU_DEP_1)
	v_bfe_i32 v60, v29, 0, 8
	v_mul_i32_i24_e32 v29, v60, v42
	s_delay_alu instid0(VALU_DEP_1) | instskip(NEXT) | instid1(VALU_DEP_1)
	v_mad_i32_i24 v29, v74, v43, v29
	v_add3_u32 v147, v29, v31, v32
	v_mul_i32_i24_e32 v29, v60, v45
	v_mul_i32_i24_e32 v31, v72, v90
	;; [unrolled: 1-line block ×4, first 2 shown]
	s_delay_alu instid0(VALU_DEP_4) | instskip(NEXT) | instid1(VALU_DEP_1)
	v_mad_i32_i24 v29, v74, v46, v29
	v_add3_u32 v148, v29, v31, v32
	v_add_nc_u32_e32 v29, 0x804, v158
	v_add_nc_u32_e32 v32, 0xc14, v158
	;; [unrolled: 1-line block ×3, first 2 shown]
	ds_load_2addr_b32 v[53:54], v29 offset1:1
	ds_load_2addr_b32 v[33:34], v32 offset1:1
	;; [unrolled: 1-line block ×3, first 2 shown]
	v_add_nc_u32_e32 v32, 0x1414, v158
	s_wait_dscnt 0x2
	v_bfe_i32 v166, v53, 8, 8
	v_ashrrev_i32_e32 v167, 24, v53
	v_bfe_i32 v188, v53, 0, 8
	v_bfe_i32 v189, v53, 16, 8
	s_delay_alu instid0(VALU_DEP_4) | instskip(NEXT) | instid1(VALU_DEP_4)
	v_mul_i32_i24_e32 v29, v166, v164
	v_mul_i32_i24_e32 v31, v167, v165
	s_delay_alu instid0(VALU_DEP_4) | instskip(NEXT) | instid1(VALU_DEP_2)
	v_mul_i32_i24_e32 v53, v188, v186
	v_add3_u32 v156, v44, v31, v29
	v_mul_i32_i24_e32 v29, v166, v168
	v_mul_i32_i24_e32 v31, v167, v169
	s_delay_alu instid0(VALU_DEP_1)
	v_add3_u32 v170, v47, v31, v29
	v_add_nc_u32_e32 v29, 0xc04, v158
	ds_load_2addr_b32 v[51:52], v29 offset1:1
	s_wait_dscnt 0x0
	v_bfe_i32 v171, v51, 8, 8
	v_ashrrev_i32_e32 v172, 24, v51
	s_delay_alu instid0(VALU_DEP_2) | instskip(NEXT) | instid1(VALU_DEP_2)
	v_mul_i32_i24_e32 v29, v171, v164
	v_mul_i32_i24_e32 v31, v172, v165
	s_delay_alu instid0(VALU_DEP_1) | instskip(SKIP_2) | instid1(VALU_DEP_1)
	v_add3_u32 v173, v48, v31, v29
	v_mul_i32_i24_e32 v29, v171, v168
	v_mul_i32_i24_e32 v31, v172, v169
	v_add3_u32 v174, v49, v31, v29
	v_add_nc_u32_e32 v29, 0x1004, v158
	v_add_nc_u32_e32 v31, 0x1014, v158
	ds_load_2addr_b32 v[49:50], v29 offset1:1
	ds_load_2addr_b32 v[35:36], v32 offset1:1
	;; [unrolled: 1-line block ×3, first 2 shown]
	s_wait_dscnt 0x2
	v_bfe_i32 v175, v49, 8, 8
	v_ashrrev_i32_e32 v176, 24, v49
	s_delay_alu instid0(VALU_DEP_2) | instskip(NEXT) | instid1(VALU_DEP_2)
	v_mul_i32_i24_e32 v29, v175, v164
	v_mul_i32_i24_e32 v31, v176, v165
	s_delay_alu instid0(VALU_DEP_1) | instskip(SKIP_2) | instid1(VALU_DEP_1)
	v_add3_u32 v101, v101, v31, v29
	v_mul_i32_i24_e32 v29, v175, v168
	v_mul_i32_i24_e32 v31, v176, v169
	v_add3_u32 v102, v102, v31, v29
	v_add_nc_u32_e32 v29, 0x1404, v158
	ds_load_2addr_b32 v[47:48], v29 offset1:1
	s_wait_dscnt 0x0
	v_bfe_i32 v177, v47, 8, 8
	v_ashrrev_i32_e32 v178, 24, v47
	s_delay_alu instid0(VALU_DEP_2) | instskip(NEXT) | instid1(VALU_DEP_2)
	v_mul_i32_i24_e32 v29, v177, v164
	v_mul_i32_i24_e32 v31, v178, v165
	s_delay_alu instid0(VALU_DEP_1) | instskip(SKIP_2) | instid1(VALU_DEP_1)
	v_add3_u32 v107, v107, v31, v29
	v_mul_i32_i24_e32 v29, v177, v168
	v_mul_i32_i24_e32 v31, v178, v169
	v_add3_u32 v108, v108, v31, v29
	v_add_nc_u32_e32 v29, 0x1804, v158
	v_add_nc_u32_e32 v31, 0x1c14, v158
	ds_load_2addr_b32 v[45:46], v29 offset1:1
	ds_load_2addr_b32 v[31:32], v31 offset1:1
	;; [unrolled: 1-line block ×3, first 2 shown]
	s_wait_dscnt 0x2
	v_bfe_i32 v179, v45, 8, 8
	v_ashrrev_i32_e32 v180, 24, v45
	s_delay_alu instid0(VALU_DEP_2) | instskip(NEXT) | instid1(VALU_DEP_2)
	v_mul_i32_i24_e32 v29, v179, v164
	v_mul_i32_i24_e32 v43, v180, v165
	s_delay_alu instid0(VALU_DEP_1) | instskip(SKIP_2) | instid1(VALU_DEP_1)
	v_add3_u32 v111, v111, v43, v29
	v_mul_i32_i24_e32 v29, v179, v168
	v_mul_i32_i24_e32 v43, v180, v169
	v_add3_u32 v112, v112, v43, v29
	v_add_nc_u32_e32 v29, 0x1c04, v158
	ds_load_2addr_b32 v[43:44], v29 offset1:1
	s_wait_dscnt 0x0
	v_bfe_i32 v181, v43, 8, 8
	v_ashrrev_i32_e32 v182, 24, v43
	s_delay_alu instid0(VALU_DEP_2) | instskip(NEXT) | instid1(VALU_DEP_2)
	v_mul_i32_i24_e32 v29, v181, v164
	v_mul_i32_i24_e32 v152, v182, v165
	s_delay_alu instid0(VALU_DEP_1) | instskip(SKIP_2) | instid1(VALU_DEP_1)
	v_add3_u32 v119, v119, v152, v29
	v_mul_i32_i24_e32 v29, v181, v168
	v_mul_i32_i24_e32 v152, v182, v169
	v_add3_u32 v120, v120, v152, v29
	v_lshrrev_b32_e32 v29, 4, v28
	v_bfe_i32 v28, v30, 8, 8
	v_and_b32_e32 v30, 0xf0f0f0f, v6
	v_lshrrev_b32_e32 v6, 4, v6
	s_delay_alu instid0(VALU_DEP_4) | instskip(NEXT) | instid1(VALU_DEP_3)
	v_lshrrev_b16 v29, 8, v29
	v_lshrrev_b16 v30, 8, v30
	s_delay_alu instid0(VALU_DEP_3) | instskip(NEXT) | instid1(VALU_DEP_3)
	v_lshrrev_b16 v6, 8, v6
	v_and_b32_e32 v152, 15, v29
	s_delay_alu instid0(VALU_DEP_3) | instskip(NEXT) | instid1(VALU_DEP_3)
	v_and_b32_e32 v29, 0xffff, v30
	v_and_b32_e32 v6, 15, v6
	s_delay_alu instid0(VALU_DEP_3) | instskip(SKIP_1) | instid1(VALU_DEP_4)
	v_and_b32_e32 v30, 0xffff, v152
	v_bfe_i32 v152, v8, 8, 8
	v_mul_i32_i24_e32 v8, v28, v29
	s_delay_alu instid0(VALU_DEP_2) | instskip(NEXT) | instid1(VALU_DEP_1)
	v_mul_i32_i24_e32 v153, v152, v30
	v_add3_u32 v183, v125, v153, v8
	v_mul_i32_i24_e32 v8, v236, v86
	v_mul_i32_i24_e32 v86, v238, v87
	;; [unrolled: 1-line block ×3, first 2 shown]
	v_bfe_i32 v153, v64, 8, 8
	v_mul_i32_i24_e32 v125, v241, v88
	s_delay_alu instid0(VALU_DEP_4) | instskip(SKIP_2) | instid1(VALU_DEP_2)
	v_add3_u32 v86, v126, v8, v86
	v_mul_i32_i24_e32 v8, v236, v90
	v_mul_i32_i24_e32 v126, v244, v89
	v_add3_u32 v87, v139, v8, v87
	v_lshrrev_b32_e32 v8, 4, v68
	v_mul_i32_i24_e32 v68, v73, v237
	v_ashrrev_i32_e32 v237, 24, v62
	v_ashrrev_i32_e32 v139, 24, v61
	s_delay_alu instid0(VALU_DEP_4) | instskip(NEXT) | instid1(VALU_DEP_1)
	v_lshrrev_b16 v8, 8, v8
	v_and_b32_e32 v8, 15, v8
	s_delay_alu instid0(VALU_DEP_1) | instskip(NEXT) | instid1(VALU_DEP_1)
	v_and_b32_e32 v90, 0xffff, v8
	v_mul_i32_i24_e32 v8, v90, v121
	v_mul_i32_i24_e32 v121, v83, v169
	s_delay_alu instid0(VALU_DEP_2) | instskip(SKIP_3) | instid1(VALU_DEP_3)
	v_add3_u32 v68, v140, v8, v68
	v_mul_i32_i24_e32 v8, v60, v123
	v_mul_i32_i24_e32 v60, v60, v90
	v_bfe_i32 v140, v45, 0, 8
	v_mad_i32_i24 v8, v74, v248, v8
	v_mul_i32_i24_e32 v74, v77, v244
	s_delay_alu instid0(VALU_DEP_1) | instskip(SKIP_2) | instid1(VALU_DEP_2)
	v_add3_u32 v72, v8, v72, v74
	v_lshrrev_b32_e32 v8, 4, v69
	v_and_b32_e32 v69, 0xf0f0f0f, v69
	v_lshrrev_b16 v8, 8, v8
	s_delay_alu instid0(VALU_DEP_2) | instskip(NEXT) | instid1(VALU_DEP_2)
	v_lshrrev_b16 v69, 8, v69
	v_and_b32_e32 v8, 15, v8
	s_delay_alu instid0(VALU_DEP_2) | instskip(SKIP_1) | instid1(VALU_DEP_3)
	v_and_b32_e32 v91, 0xffff, v69
	v_bfe_i32 v69, v70, 8, 8
	v_and_b32_e32 v8, 0xffff, v8
	s_delay_alu instid0(VALU_DEP_2) | instskip(NEXT) | instid1(VALU_DEP_2)
	v_mul_i32_i24_e32 v64, v69, v91
	v_mul_i32_i24_e32 v70, v153, v8
	s_delay_alu instid0(VALU_DEP_1) | instskip(SKIP_2) | instid1(VALU_DEP_2)
	v_add3_u32 v70, v60, v64, v70
	v_bfe_i32 v60, v62, 16, 8
	v_bfe_u32 v64, v57, 20, 4
	v_mul_i32_i24_e32 v74, v60, v14
	s_delay_alu instid0(VALU_DEP_2) | instskip(NEXT) | instid1(VALU_DEP_1)
	v_mul_i32_i24_e32 v77, v252, v64
	v_add3_u32 v154, v144, v77, v74
	v_bfe_i32 v144, v61, 0, 8
	v_mul_i32_i24_e32 v74, v242, v21
	s_delay_alu instid0(VALU_DEP_2) | instskip(NEXT) | instid1(VALU_DEP_1)
	v_mul_i32_i24_e32 v77, v144, v247
	v_add3_u32 v155, v146, v77, v74
	v_mul_i32_i24_e32 v74, v237, v19
	v_mul_i32_i24_e32 v77, v139, v245
	v_bfe_i32 v146, v51, 0, 8
	s_delay_alu instid0(VALU_DEP_2) | instskip(SKIP_3) | instid1(VALU_DEP_2)
	v_add3_u32 v184, v145, v77, v74
	v_mul_i32_i24_e32 v74, v69, v164
	v_mul_i32_i24_e32 v77, v83, v165
	v_bfe_i32 v145, v49, 16, 8
	v_add3_u32 v74, v147, v77, v74
	v_mul_i32_i24_e32 v77, v69, v168
	v_bfe_i32 v147, v51, 16, 8
	v_mul_i32_i24_e32 v51, v146, v186
	s_delay_alu instid0(VALU_DEP_3) | instskip(SKIP_2) | instid1(VALU_DEP_2)
	v_add3_u32 v121, v148, v121, v77
	v_mul_i32_i24_e32 v77, v123, v84
	v_bfe_i32 v148, v43, 0, 8
	v_mad_i32_i24 v77, v248, v85, v77
	s_delay_alu instid0(VALU_DEP_1) | instskip(SKIP_3) | instid1(VALU_DEP_3)
	v_add3_u32 v185, v77, v125, v126
	v_mul_i32_i24_e32 v77, v189, v187
	v_mul_i32_i24_e32 v125, v244, v95
	v_bfe_i32 v126, v49, 0, 8
	v_add3_u32 v190, v156, v53, v77
	v_mul_i32_i24_e32 v53, v188, v191
	v_mul_i32_i24_e32 v77, v189, v192
	s_delay_alu instid0(VALU_DEP_4) | instskip(SKIP_2) | instid1(VALU_DEP_4)
	v_mul_i32_i24_e32 v49, v126, v186
	v_bfe_i32 v156, v45, 16, 8
	v_mul_i32_i24_e32 v45, v140, v186
	v_add3_u32 v170, v170, v53, v77
	v_mul_i32_i24_e32 v53, v123, v92
	v_mul_i32_i24_e32 v77, v241, v94
	s_delay_alu instid0(VALU_DEP_2) | instskip(NEXT) | instid1(VALU_DEP_1)
	v_mad_i32_i24 v53, v248, v93, v53
	v_add3_u32 v193, v53, v77, v125
	v_mul_i32_i24_e32 v53, v147, v187
	v_mul_i32_i24_e32 v77, v244, v99
	v_bfe_i32 v125, v47, 16, 8
	s_delay_alu instid0(VALU_DEP_3) | instskip(SKIP_2) | instid1(VALU_DEP_1)
	v_add3_u32 v173, v173, v51, v53
	v_mul_i32_i24_e32 v51, v146, v191
	v_mul_i32_i24_e32 v53, v147, v192
	v_add3_u32 v174, v174, v51, v53
	v_mul_i32_i24_e32 v51, v123, v96
	v_mul_i32_i24_e32 v53, v241, v98
	s_delay_alu instid0(VALU_DEP_2) | instskip(NEXT) | instid1(VALU_DEP_1)
	v_mad_i32_i24 v51, v248, v97, v51
	v_add3_u32 v194, v51, v53, v77
	v_mul_i32_i24_e32 v51, v145, v187
	v_mul_i32_i24_e32 v53, v145, v192
	;; [unrolled: 1-line block ×3, first 2 shown]
	s_delay_alu instid0(VALU_DEP_3) | instskip(SKIP_1) | instid1(VALU_DEP_1)
	v_add3_u32 v49, v101, v49, v51
	v_mul_i32_i24_e32 v51, v126, v191
	v_add3_u32 v101, v102, v51, v53
	v_mul_i32_i24_e32 v51, v123, v103
	v_mul_i32_i24_e32 v53, v241, v105
	s_delay_alu instid0(VALU_DEP_2) | instskip(NEXT) | instid1(VALU_DEP_1)
	v_mad_i32_i24 v51, v248, v104, v51
	v_add3_u32 v102, v51, v53, v77
	v_bfe_i32 v77, v47, 0, 8
	v_mul_i32_i24_e32 v51, v125, v187
	v_mul_i32_i24_e32 v53, v125, v192
	s_delay_alu instid0(VALU_DEP_3) | instskip(NEXT) | instid1(VALU_DEP_1)
	v_mul_i32_i24_e32 v47, v77, v186
	v_add3_u32 v47, v107, v47, v51
	v_mul_i32_i24_e32 v51, v77, v191
	s_delay_alu instid0(VALU_DEP_1) | instskip(SKIP_3) | instid1(VALU_DEP_3)
	v_add3_u32 v107, v108, v51, v53
	v_mul_i32_i24_e32 v51, v123, v109
	v_mul_i32_i24_e32 v53, v241, v113
	;; [unrolled: 1-line block ×3, first 2 shown]
	v_mad_i32_i24 v51, v248, v110, v51
	s_delay_alu instid0(VALU_DEP_1) | instskip(SKIP_2) | instid1(VALU_DEP_2)
	v_add3_u32 v108, v51, v53, v108
	v_mul_i32_i24_e32 v51, v156, v187
	v_mul_i32_i24_e32 v53, v156, v192
	v_add3_u32 v45, v111, v45, v51
	v_mul_i32_i24_e32 v51, v140, v191
	v_mul_i32_i24_e32 v111, v244, v118
	v_bfe_i32 v244, v9, 8, 8
	v_and_b32_e32 v9, 0xf0f0f0f, v7
	v_lshrrev_b32_e32 v7, 4, v7
	v_add3_u32 v195, v112, v51, v53
	v_mul_i32_i24_e32 v51, v123, v114
	v_mul_i32_i24_e32 v53, v241, v117
	v_lshrrev_b16 v9, 8, v9
	v_and_b32_e32 v241, 0xffff, v6
	v_lshrrev_b32_e32 v112, 28, v55
	v_mad_i32_i24 v51, v248, v116, v51
	v_bfe_i32 v248, v43, 16, 8
	v_mul_i32_i24_e32 v43, v148, v186
	s_delay_alu instid0(VALU_DEP_3)
	v_add3_u32 v123, v51, v53, v111
	v_mul_i32_i24_e32 v51, v90, v84
	v_mul_i32_i24_e32 v53, v90, v92
	;; [unrolled: 1-line block ×5, first 2 shown]
	v_mad_i32_i24 v85, v73, v85, v51
	v_mul_i32_i24_e32 v51, v248, v187
	v_mul_i32_i24_e32 v90, v90, v114
	v_mad_i32_i24 v93, v73, v93, v53
	v_mul_i32_i24_e32 v53, v248, v192
	v_mad_i32_i24 v84, v73, v97, v84
	v_add3_u32 v43, v119, v43, v51
	v_mul_i32_i24_e32 v51, v148, v191
	v_mad_i32_i24 v92, v73, v104, v92
	v_mad_i32_i24 v103, v73, v110, v96
	;; [unrolled: 1-line block ×3, first 2 shown]
	v_bfe_i32 v110, v41, 0, 8
	v_add3_u32 v90, v120, v51, v53
	v_bfe_i32 v51, v16, 8, 8
	v_and_b32_e32 v53, 0xffff, v9
	v_mul_i32_i24_e32 v9, v244, v241
	v_and_b32_e32 v16, 0xf0f0f0f, v56
	v_ashrrev_i32_e32 v111, 24, v41
	v_lshrrev_b32_e32 v114, 28, v59
	v_mul_i32_i24_e32 v6, v51, v53
	v_bfe_u32 v116, v59, 20, 4
	v_lshrrev_b16 v16, 8, v16
	s_delay_alu instid0(VALU_DEP_4) | instskip(NEXT) | instid1(VALU_DEP_4)
	v_mul_i32_i24_e32 v96, v111, v114
	v_add3_u32 v104, v183, v9, v6
	v_mul_i32_i24_e32 v6, v255, v164
	v_mul_i32_i24_e32 v9, v231, v186
	s_delay_alu instid0(VALU_DEP_1) | instskip(SKIP_2) | instid1(VALU_DEP_1)
	v_add3_u32 v86, v86, v6, v9
	v_mul_i32_i24_e32 v6, v255, v168
	v_mul_i32_i24_e32 v9, v231, v191
	v_add3_u32 v87, v87, v6, v9
	v_mul_i32_i24_e32 v6, v66, v236
	v_mul_i32_i24_e32 v9, v67, v238
	v_ashrrev_i32_e32 v236, 24, v37
	v_ashrrev_i32_e32 v238, 24, v31
	s_delay_alu instid0(VALU_DEP_3) | instskip(SKIP_4) | instid1(VALU_DEP_3)
	v_add3_u32 v68, v68, v6, v9
	v_mul_i32_i24_e32 v6, v83, v232
	v_mul_i32_i24_e32 v9, v69, v122
	;; [unrolled: 1-line block ×3, first 2 shown]
	v_bfe_u32 v89, v59, 4, 4
	v_add3_u32 v69, v72, v6, v9
	v_lshrrev_b32_e32 v6, 4, v56
	v_bfe_i32 v9, v71, 8, 8
	v_mul_i32_i24_e32 v72, v2, v192
	s_delay_alu instid0(VALU_DEP_3) | instskip(NEXT) | instid1(VALU_DEP_1)
	v_lshrrev_b16 v6, 8, v6
	v_and_b32_e32 v56, 15, v6
	v_and_b32_e32 v6, 0xffff, v16
	s_delay_alu instid0(VALU_DEP_2) | instskip(NEXT) | instid1(VALU_DEP_2)
	v_and_b32_e32 v56, 0xffff, v56
	v_mul_i32_i24_e32 v16, v9, v6
	s_delay_alu instid0(VALU_DEP_2) | instskip(NEXT) | instid1(VALU_DEP_1)
	v_mul_i32_i24_e32 v71, v65, v56
	v_add3_u32 v70, v70, v16, v71
	v_mul_i32_i24_e32 v16, v3, v186
	v_mul_i32_i24_e32 v71, v2, v187
	;; [unrolled: 1-line block ×3, first 2 shown]
	s_delay_alu instid0(VALU_DEP_2) | instskip(SKIP_3) | instid1(VALU_DEP_3)
	v_add3_u32 v71, v74, v16, v71
	v_mul_i32_i24_e32 v16, v3, v191
	v_mul_i32_i24_e32 v74, v166, v122
	;; [unrolled: 1-line block ×3, first 2 shown]
	v_add3_u32 v72, v121, v16, v72
	v_mul_i32_i24_e32 v16, v167, v232
	s_delay_alu instid0(VALU_DEP_1) | instskip(SKIP_2) | instid1(VALU_DEP_2)
	v_add3_u32 v74, v185, v16, v74
	v_mul_i32_i24_e32 v16, v66, v88
	v_mul_i32_i24_e32 v88, v111, v112
	v_add3_u32 v83, v85, v16, v83
	v_bfe_u32 v85, v55, 4, 4
	s_delay_alu instid0(VALU_DEP_1) | instskip(NEXT) | instid1(VALU_DEP_1)
	v_mul_i32_i24_e32 v16, v110, v85
	v_add3_u32 v88, v190, v88, v16
	v_mul_i32_i24_e32 v16, v110, v89
	s_delay_alu instid0(VALU_DEP_1) | instskip(SKIP_2) | instid1(VALU_DEP_1)
	v_add3_u32 v109, v170, v96, v16
	v_mul_i32_i24_e32 v16, v172, v232
	v_mul_i32_i24_e32 v96, v171, v122
	v_add3_u32 v119, v193, v16, v96
	v_mul_i32_i24_e32 v16, v66, v94
	v_mul_i32_i24_e32 v94, v67, v95
	v_ashrrev_i32_e32 v95, 24, v33
	s_delay_alu instid0(VALU_DEP_2) | instskip(SKIP_1) | instid1(VALU_DEP_3)
	v_add3_u32 v93, v93, v16, v94
	v_bfe_i32 v16, v33, 0, 8
	v_mul_i32_i24_e32 v96, v95, v112
	v_mul_i32_i24_e32 v97, v95, v114
	s_delay_alu instid0(VALU_DEP_3) | instskip(NEXT) | instid1(VALU_DEP_1)
	v_mul_i32_i24_e32 v94, v16, v85
	v_add3_u32 v94, v173, v96, v94
	v_mul_i32_i24_e32 v96, v16, v89
	s_delay_alu instid0(VALU_DEP_1) | instskip(SKIP_2) | instid1(VALU_DEP_1)
	v_add3_u32 v120, v174, v97, v96
	v_mul_i32_i24_e32 v96, v176, v232
	v_mul_i32_i24_e32 v97, v175, v122
	v_add3_u32 v121, v194, v96, v97
	v_mul_i32_i24_e32 v96, v66, v98
	v_mul_i32_i24_e32 v97, v67, v99
	s_delay_alu instid0(VALU_DEP_1) | instskip(SKIP_2) | instid1(VALU_DEP_2)
	v_add3_u32 v84, v84, v96, v97
	v_bfe_i32 v96, v39, 0, 8
	v_ashrrev_i32_e32 v97, 24, v39
	v_mul_i32_i24_e32 v98, v96, v85
	s_delay_alu instid0(VALU_DEP_2) | instskip(NEXT) | instid1(VALU_DEP_1)
	v_mul_i32_i24_e32 v99, v97, v112
	v_add3_u32 v98, v49, v99, v98
	v_mul_i32_i24_e32 v49, v96, v89
	v_mul_i32_i24_e32 v99, v97, v114
	s_delay_alu instid0(VALU_DEP_1) | instskip(SKIP_3) | instid1(VALU_DEP_2)
	v_add3_u32 v164, v101, v99, v49
	v_mul_i32_i24_e32 v49, v178, v232
	v_mul_i32_i24_e32 v99, v177, v122
	v_ashrrev_i32_e32 v101, 24, v35
	v_add3_u32 v102, v102, v49, v99
	v_mul_i32_i24_e32 v49, v66, v105
	v_mul_i32_i24_e32 v99, v67, v106
	s_delay_alu instid0(VALU_DEP_4) | instskip(SKIP_1) | instid1(VALU_DEP_3)
	v_mul_i32_i24_e32 v105, v101, v112
	v_bfe_i32 v106, v37, 0, 8
	v_add3_u32 v92, v92, v49, v99
	v_bfe_i32 v99, v35, 0, 8
	s_delay_alu instid0(VALU_DEP_1) | instskip(NEXT) | instid1(VALU_DEP_1)
	v_mul_i32_i24_e32 v49, v99, v85
	v_add3_u32 v105, v47, v105, v49
	v_mul_i32_i24_e32 v47, v99, v89
	v_mul_i32_i24_e32 v49, v101, v114
	s_delay_alu instid0(VALU_DEP_1) | instskip(SKIP_2) | instid1(VALU_DEP_1)
	v_add3_u32 v107, v107, v49, v47
	v_mul_i32_i24_e32 v47, v180, v232
	v_mul_i32_i24_e32 v49, v179, v122
	v_add3_u32 v168, v108, v47, v49
	v_mul_i32_i24_e32 v47, v66, v113
	v_mul_i32_i24_e32 v49, v67, v115
	v_bfe_u32 v115, v55, 20, 4
	v_bfe_i32 v113, v41, 16, 8
	s_delay_alu instid0(VALU_DEP_3) | instskip(SKIP_2) | instid1(VALU_DEP_1)
	v_add3_u32 v103, v103, v47, v49
	v_mul_i32_i24_e32 v47, v106, v85
	v_mul_i32_i24_e32 v49, v236, v112
	v_add3_u32 v170, v45, v49, v47
	v_mul_i32_i24_e32 v45, v106, v89
	v_mul_i32_i24_e32 v47, v236, v114
	v_bfe_i32 v49, v61, 8, 8
	v_bfe_i32 v61, v63, 8, 8
	;; [unrolled: 1-line block ×3, first 2 shown]
	s_delay_alu instid0(VALU_DEP_4) | instskip(SKIP_3) | instid1(VALU_DEP_2)
	v_add3_u32 v173, v195, v47, v45
	v_mul_i32_i24_e32 v45, v182, v232
	v_mul_i32_i24_e32 v47, v181, v122
	v_bfe_i32 v232, v31, 0, 8
	v_add3_u32 v122, v123, v45, v47
	v_mul_i32_i24_e32 v45, v66, v117
	v_mul_i32_i24_e32 v47, v67, v118
	s_delay_alu instid0(VALU_DEP_1) | instskip(SKIP_2) | instid1(VALU_DEP_1)
	v_add3_u32 v123, v73, v45, v47
	v_mul_i32_i24_e32 v45, v232, v85
	v_mul_i32_i24_e32 v47, v238, v112
	v_add3_u32 v174, v43, v47, v45
	v_bfe_i32 v47, v5, 8, 8
	v_lshrrev_b16 v5, 8, v7
	v_mul_i32_i24_e32 v7, v226, v165
	v_add3_u32 v165, v69, v3, v2
	v_lshrrev_b32_e32 v2, 4, v57
	v_mul_i32_i24_e32 v43, v232, v89
	v_mul_i32_i24_e32 v45, v238, v114
	v_and_b32_e32 v5, 15, v5
	v_and_b32_e32 v3, 0xf0f0f0f, v57
	v_lshrrev_b16 v2, 8, v2
	s_delay_alu instid0(VALU_DEP_4) | instskip(NEXT) | instid1(VALU_DEP_4)
	v_add3_u32 v90, v90, v45, v43
	v_and_b32_e32 v45, 0xffff, v5
	s_delay_alu instid0(VALU_DEP_4) | instskip(NEXT) | instid1(VALU_DEP_4)
	v_lshrrev_b16 v3, 8, v3
	v_and_b32_e32 v2, 15, v2
	s_delay_alu instid0(VALU_DEP_3) | instskip(NEXT) | instid1(VALU_DEP_3)
	v_mul_i32_i24_e32 v5, v47, v45
	v_and_b32_e32 v57, 0xffff, v3
	s_delay_alu instid0(VALU_DEP_3) | instskip(NEXT) | instid1(VALU_DEP_3)
	v_and_b32_e32 v43, 0xffff, v2
	v_add3_u32 v104, v104, v5, v159
	v_mul_i32_i24_e32 v5, v223, v187
	s_delay_alu instid0(VALU_DEP_4) | instskip(NEXT) | instid1(VALU_DEP_4)
	v_mul_i32_i24_e32 v2, v61, v57
	v_mul_i32_i24_e32 v3, v49, v43
	s_delay_alu instid0(VALU_DEP_3) | instskip(SKIP_1) | instid1(VALU_DEP_3)
	v_add3_u32 v86, v86, v5, v7
	v_mul_i32_i24_e32 v7, v226, v169
	v_add3_u32 v169, v70, v2, v3
	v_mul_i32_i24_e32 v2, v80, v85
	v_mul_i32_i24_e32 v3, v82, v112
	;; [unrolled: 1-line block ×4, first 2 shown]
	s_delay_alu instid0(VALU_DEP_3)
	v_add3_u32 v183, v71, v3, v2
	v_mul_i32_i24_e32 v2, v80, v89
	v_mul_i32_i24_e32 v3, v82, v114
	v_add3_u32 v87, v87, v5, v7
	v_mul_i32_i24_e32 v5, v231, v151
	v_mul_i32_i24_e32 v7, v255, v91
	v_bfe_i32 v231, v37, 16, 8
	v_add3_u32 v185, v72, v3, v2
	v_mul_i32_i24_e32 v2, v188, v228
	v_mul_i32_i24_e32 v3, v189, v227
	v_add3_u32 v159, v68, v7, v5
	v_mul_i32_i24_e32 v5, v147, v227
	v_mul_i32_i24_e32 v7, v171, v91
	s_delay_alu instid0(VALU_DEP_4) | instskip(SKIP_4) | instid1(VALU_DEP_3)
	v_add3_u32 v186, v74, v2, v3
	v_mul_i32_i24_e32 v2, v167, v79
	v_mul_i32_i24_e32 v3, v166, v91
	v_bfe_u32 v167, v59, 12, 4
	v_bfe_i32 v59, v39, 16, 8
	v_add3_u32 v166, v83, v2, v3
	v_bfe_u32 v83, v55, 12, 4
	v_bfe_i32 v55, v41, 8, 8
	v_mul_i32_i24_e32 v3, v113, v115
	v_bfe_i32 v41, v33, 16, 8
	s_delay_alu instid0(VALU_DEP_3) | instskip(NEXT) | instid1(VALU_DEP_1)
	v_mul_i32_i24_e32 v2, v55, v83
	v_add3_u32 v88, v88, v2, v3
	v_mul_i32_i24_e32 v2, v55, v167
	v_mul_i32_i24_e32 v3, v113, v116
	s_delay_alu instid0(VALU_DEP_1) | instskip(SKIP_1) | instid1(VALU_DEP_1)
	v_add3_u32 v2, v109, v2, v3
	v_mul_i32_i24_e32 v3, v146, v228
	v_add3_u32 v3, v119, v3, v5
	v_mul_i32_i24_e32 v5, v172, v79
	s_delay_alu instid0(VALU_DEP_1) | instskip(SKIP_2) | instid1(VALU_DEP_2)
	v_add3_u32 v66, v93, v5, v7
	v_bfe_i32 v5, v33, 8, 8
	v_mul_i32_i24_e32 v33, v41, v115
	v_mul_i32_i24_e32 v7, v5, v83
	s_delay_alu instid0(VALU_DEP_1) | instskip(SKIP_2) | instid1(VALU_DEP_1)
	v_add3_u32 v67, v94, v7, v33
	v_mul_i32_i24_e32 v7, v5, v167
	v_mul_i32_i24_e32 v33, v41, v116
	v_add3_u32 v68, v120, v7, v33
	v_mul_i32_i24_e32 v7, v126, v228
	v_mul_i32_i24_e32 v33, v145, v227
	s_delay_alu instid0(VALU_DEP_1) | instskip(SKIP_2) | instid1(VALU_DEP_1)
	v_add3_u32 v69, v121, v7, v33
	v_mul_i32_i24_e32 v7, v176, v79
	v_mul_i32_i24_e32 v33, v175, v91
	v_add3_u32 v70, v84, v7, v33
	v_bfe_i32 v7, v39, 8, 8
	v_mul_i32_i24_e32 v39, v59, v115
	v_mul_i32_i24_e32 v84, v149, v116
	s_delay_alu instid0(VALU_DEP_3) | instskip(NEXT) | instid1(VALU_DEP_1)
	v_mul_i32_i24_e32 v33, v7, v83
	v_add3_u32 v71, v98, v33, v39
	v_mul_i32_i24_e32 v33, v7, v167
	v_mul_i32_i24_e32 v39, v59, v116
	s_delay_alu instid0(VALU_DEP_1) | instskip(SKIP_3) | instid1(VALU_DEP_2)
	v_add3_u32 v72, v164, v33, v39
	v_mul_i32_i24_e32 v33, v77, v228
	v_mul_i32_i24_e32 v39, v125, v227
	;; [unrolled: 1-line block ×3, first 2 shown]
	v_add3_u32 v73, v102, v33, v39
	v_mul_i32_i24_e32 v33, v178, v79
	v_mul_i32_i24_e32 v39, v177, v91
	s_delay_alu instid0(VALU_DEP_1) | instskip(SKIP_2) | instid1(VALU_DEP_2)
	v_add3_u32 v74, v92, v33, v39
	v_bfe_i32 v39, v35, 8, 8
	v_mul_i32_i24_e32 v35, v63, v115
	v_mul_i32_i24_e32 v33, v39, v83
	s_delay_alu instid0(VALU_DEP_1) | instskip(SKIP_3) | instid1(VALU_DEP_2)
	v_add3_u32 v108, v105, v33, v35
	v_mul_i32_i24_e32 v33, v39, v167
	v_mul_i32_i24_e32 v35, v63, v116
	;; [unrolled: 1-line block ×3, first 2 shown]
	v_add3_u32 v109, v107, v33, v35
	v_mul_i32_i24_e32 v33, v140, v228
	v_mul_i32_i24_e32 v35, v156, v227
	v_bfe_i32 v107, v46, 8, 8
	s_delay_alu instid0(VALU_DEP_2) | instskip(SKIP_2) | instid1(VALU_DEP_1)
	v_add3_u32 v117, v168, v33, v35
	v_mul_i32_i24_e32 v33, v180, v79
	v_mul_i32_i24_e32 v35, v179, v91
	v_add3_u32 v118, v103, v33, v35
	v_bfe_i32 v35, v37, 8, 8
	v_mul_i32_i24_e32 v37, v231, v115
	s_delay_alu instid0(VALU_DEP_2) | instskip(NEXT) | instid1(VALU_DEP_1)
	v_mul_i32_i24_e32 v33, v35, v83
	v_add3_u32 v119, v170, v33, v37
	v_mul_i32_i24_e32 v33, v35, v167
	v_mul_i32_i24_e32 v37, v231, v116
	s_delay_alu instid0(VALU_DEP_1) | instskip(SKIP_4) | instid1(VALU_DEP_3)
	v_add3_u32 v120, v173, v33, v37
	v_mul_i32_i24_e32 v33, v148, v228
	v_mul_i32_i24_e32 v37, v248, v227
	v_bfe_i32 v227, v31, 16, 8
	v_bfe_u32 v228, v10, 8, 4
	v_add3_u32 v121, v122, v33, v37
	v_mul_i32_i24_e32 v33, v181, v91
	v_mul_i32_i24_e32 v37, v182, v79
	s_delay_alu instid0(VALU_DEP_1) | instskip(SKIP_2) | instid1(VALU_DEP_2)
	v_add3_u32 v122, v123, v37, v33
	v_bfe_i32 v37, v31, 8, 8
	v_mul_i32_i24_e32 v33, v227, v115
	v_mul_i32_i24_e32 v31, v37, v83
	s_delay_alu instid0(VALU_DEP_1) | instskip(SKIP_2) | instid1(VALU_DEP_1)
	v_add3_u32 v123, v174, v31, v33
	v_mul_i32_i24_e32 v31, v37, v167
	v_mul_i32_i24_e32 v33, v227, v116
	v_add3_u32 v255, v90, v31, v33
	v_add3_u32 v31, v78, v75, v104
	v_mul_i32_i24_e32 v33, v214, v85
	v_mul_i32_i24_e32 v75, v152, v83
	;; [unrolled: 1-line block ×5, first 2 shown]
	s_delay_alu instid0(VALU_DEP_4) | instskip(SKIP_2) | instid1(VALU_DEP_2)
	v_add3_u32 v75, v86, v33, v75
	v_mul_i32_i24_e32 v33, v214, v89
	v_mul_i32_i24_e32 v86, v189, v150
	v_add3_u32 v78, v87, v33, v78
	v_mul_i32_i24_e32 v33, v226, v79
	v_mul_i32_i24_e32 v79, v223, v150
	v_bfe_u32 v226, v10, 24, 4
	v_ashrrev_i32_e32 v223, 24, v54
	s_delay_alu instid0(VALU_DEP_3) | instskip(SKIP_2) | instid1(VALU_DEP_4)
	v_add3_u32 v79, v159, v79, v33
	v_mul_i32_i24_e32 v33, v80, v216
	v_mul_i32_i24_e32 v80, v82, v215
	;; [unrolled: 1-line block ×3, first 2 shown]
	s_delay_alu instid0(VALU_DEP_2) | instskip(SKIP_1) | instid1(VALU_DEP_1)
	v_add3_u32 v80, v165, v80, v33
	v_lshrrev_b16 v33, 8, v62
	v_bfe_i32 v33, v33, 0, 8
	s_delay_alu instid0(VALU_DEP_1) | instskip(NEXT) | instid1(VALU_DEP_1)
	v_mul_i32_i24_e32 v62, v33, v23
	v_add3_u32 v82, v169, v62, v184
	v_mul_i32_i24_e32 v62, v153, v83
	v_mul_i32_i24_e32 v83, v149, v115
	s_delay_alu instid0(VALU_DEP_1) | instskip(SKIP_1) | instid1(VALU_DEP_1)
	v_add3_u32 v83, v183, v62, v83
	v_mul_i32_i24_e32 v62, v153, v167
	v_add3_u32 v84, v185, v62, v84
	v_mul_i32_i24_e32 v62, v110, v216
	s_delay_alu instid0(VALU_DEP_1) | instskip(SKIP_1) | instid1(VALU_DEP_1)
	v_add3_u32 v85, v186, v85, v62
	v_mul_i32_i24_e32 v62, v188, v151
	v_add3_u32 v86, v166, v62, v86
	v_bfe_i32 v62, v54, 8, 8
	s_delay_alu instid0(VALU_DEP_1) | instskip(NEXT) | instid1(VALU_DEP_1)
	v_mul_i32_i24_e32 v87, v62, v228
	v_add3_u32 v87, v88, v89, v87
	v_bfe_u32 v88, v12, 8, 4
	v_bfe_u32 v89, v12, 24, 4
	s_delay_alu instid0(VALU_DEP_2) | instskip(NEXT) | instid1(VALU_DEP_2)
	v_mul_i32_i24_e32 v90, v62, v88
	v_mul_i32_i24_e32 v91, v223, v89
	s_delay_alu instid0(VALU_DEP_1) | instskip(SKIP_4) | instid1(VALU_DEP_3)
	v_add3_u32 v2, v2, v91, v90
	v_mul_i32_i24_e32 v90, v16, v216
	v_mul_i32_i24_e32 v91, v95, v215
	;; [unrolled: 1-line block ×4, first 2 shown]
	v_add3_u32 v3, v3, v91, v90
	v_mul_i32_i24_e32 v90, v146, v151
	v_mul_i32_i24_e32 v91, v147, v150
	s_delay_alu instid0(VALU_DEP_1) | instskip(SKIP_2) | instid1(VALU_DEP_3)
	v_add3_u32 v66, v66, v90, v91
	v_bfe_i32 v90, v52, 8, 8
	v_ashrrev_i32_e32 v91, 24, v52
	v_add3_u32 v16, v66, v95, v16
	s_delay_alu instid0(VALU_DEP_3) | instskip(NEXT) | instid1(VALU_DEP_3)
	v_mul_i32_i24_e32 v92, v90, v228
	v_mul_i32_i24_e32 v93, v91, v226
	v_bfe_i32 v66, v52, 0, 8
	v_bfe_i32 v52, v52, 16, 8
	s_delay_alu instid0(VALU_DEP_3) | instskip(SKIP_2) | instid1(VALU_DEP_1)
	v_add3_u32 v67, v67, v93, v92
	v_mul_i32_i24_e32 v92, v90, v88
	v_mul_i32_i24_e32 v93, v91, v89
	v_add3_u32 v68, v68, v93, v92
	v_mul_i32_i24_e32 v92, v96, v216
	v_mul_i32_i24_e32 v93, v97, v215
	s_delay_alu instid0(VALU_DEP_1) | instskip(SKIP_2) | instid1(VALU_DEP_1)
	v_add3_u32 v69, v69, v93, v92
	v_mul_i32_i24_e32 v92, v126, v151
	v_mul_i32_i24_e32 v93, v145, v150
	v_add3_u32 v70, v70, v92, v93
	v_bfe_i32 v92, v50, 8, 8
	v_ashrrev_i32_e32 v93, 24, v50
	s_delay_alu instid0(VALU_DEP_2) | instskip(NEXT) | instid1(VALU_DEP_2)
	v_mul_i32_i24_e32 v94, v92, v228
	v_mul_i32_i24_e32 v98, v93, v226
	s_delay_alu instid0(VALU_DEP_1) | instskip(SKIP_2) | instid1(VALU_DEP_1)
	v_add3_u32 v71, v71, v98, v94
	v_mul_i32_i24_e32 v94, v92, v88
	v_mul_i32_i24_e32 v98, v93, v89
	v_add3_u32 v72, v72, v98, v94
	v_mul_i32_i24_e32 v94, v99, v216
	v_mul_i32_i24_e32 v98, v101, v215
	s_delay_alu instid0(VALU_DEP_1) | instskip(SKIP_2) | instid1(VALU_DEP_2)
	v_add3_u32 v73, v73, v98, v94
	v_mul_i32_i24_e32 v94, v125, v150
	v_ashrrev_i32_e32 v98, 24, v48
	v_add3_u32 v74, v74, v77, v94
	v_bfe_i32 v94, v48, 8, 8
	s_delay_alu instid0(VALU_DEP_3) | instskip(SKIP_1) | instid1(VALU_DEP_3)
	v_mul_i32_i24_e32 v102, v98, v226
	v_mul_i32_i24_e32 v103, v98, v89
	;; [unrolled: 1-line block ×3, first 2 shown]
	s_delay_alu instid0(VALU_DEP_1) | instskip(SKIP_2) | instid1(VALU_DEP_2)
	v_add3_u32 v102, v108, v102, v77
	v_mul_i32_i24_e32 v77, v94, v88
	v_ashrrev_i32_e32 v108, 24, v46
	v_add3_u32 v103, v109, v103, v77
	v_mul_i32_i24_e32 v77, v106, v216
	s_delay_alu instid0(VALU_DEP_3) | instskip(NEXT) | instid1(VALU_DEP_2)
	v_mul_i32_i24_e32 v109, v108, v226
	v_add3_u32 v104, v117, v104, v77
	v_mul_i32_i24_e32 v77, v140, v151
	v_mul_i32_i24_e32 v117, v108, v89
	s_delay_alu instid0(VALU_DEP_2) | instskip(SKIP_2) | instid1(VALU_DEP_2)
	v_add3_u32 v105, v118, v77, v105
	v_mul_i32_i24_e32 v77, v107, v228
	v_mul_i32_i24_e32 v118, v238, v215
	v_add3_u32 v109, v119, v109, v77
	v_mul_i32_i24_e32 v77, v107, v88
	v_mul_i32_i24_e32 v119, v248, v150
	s_delay_alu instid0(VALU_DEP_2) | instskip(SKIP_2) | instid1(VALU_DEP_2)
	v_add3_u32 v117, v120, v117, v77
	v_mul_i32_i24_e32 v77, v232, v216
	v_bfe_i32 v120, v44, 8, 8
	v_add3_u32 v118, v121, v118, v77
	v_mul_i32_i24_e32 v77, v148, v151
	v_ashrrev_i32_e32 v121, 24, v44
	s_delay_alu instid0(VALU_DEP_2) | instskip(SKIP_1) | instid1(VALU_DEP_3)
	v_add3_u32 v119, v122, v77, v119
	v_mul_i32_i24_e32 v77, v120, v228
	v_mul_i32_i24_e32 v122, v121, v226
	s_delay_alu instid0(VALU_DEP_1) | instskip(SKIP_2) | instid1(VALU_DEP_1)
	v_add3_u32 v122, v123, v122, v77
	v_mul_i32_i24_e32 v77, v120, v88
	v_mul_i32_i24_e32 v123, v121, v89
	v_add3_u32 v123, v255, v123, v77
	v_mul_i32_i24_e32 v77, v209, v115
	s_delay_alu instid0(VALU_DEP_1) | instskip(SKIP_2) | instid1(VALU_DEP_1)
	v_add3_u32 v75, v75, v77, v112
	v_mul_i32_i24_e32 v77, v209, v116
	v_mul_i32_i24_e32 v112, v210, v114
	v_add3_u32 v78, v78, v77, v112
	v_mul_i32_i24_e32 v77, v214, v134
	v_mul_i32_i24_e32 v112, v152, v8
	s_delay_alu instid0(VALU_DEP_1) | instskip(SKIP_2) | instid1(VALU_DEP_1)
	v_add3_u32 v79, v79, v77, v112
	v_mul_i32_i24_e32 v77, v149, v213
	v_mul_i32_i24_e32 v112, v153, v30
	v_add3_u32 v80, v80, v112, v77
	v_add3_u32 v77, v155, v154, v82
	v_mul_i32_i24_e32 v82, v9, v228
	v_mul_i32_i24_e32 v112, v133, v226
	s_delay_alu instid0(VALU_DEP_1)
	v_add3_u32 v82, v83, v112, v82
	v_mul_i32_i24_e32 v83, v9, v88
	v_mul_i32_i24_e32 v112, v133, v89
	;; [unrolled: 1-line block ×5, first 2 shown]
	s_delay_alu instid0(VALU_DEP_4) | instskip(SKIP_3) | instid1(VALU_DEP_2)
	v_add3_u32 v83, v84, v112, v83
	v_mul_i32_i24_e32 v84, v113, v213
	v_mul_i32_i24_e32 v112, v55, v30
	;; [unrolled: 1-line block ×3, first 2 shown]
	v_add3_u32 v84, v85, v112, v84
	v_mul_i32_i24_e32 v85, v110, v134
	v_mul_i32_i24_e32 v110, v111, v132
	v_bfe_u32 v111, v10, 16, 4
	s_delay_alu instid0(VALU_DEP_2) | instskip(SKIP_3) | instid1(VALU_DEP_2)
	v_add3_u32 v85, v86, v110, v85
	v_bfe_i32 v86, v54, 0, 8
	v_bfe_i32 v54, v54, 16, 8
	v_and_b32_e32 v110, 15, v10
	v_mul_i32_i24_e32 v114, v54, v111
	s_delay_alu instid0(VALU_DEP_2) | instskip(SKIP_1) | instid1(VALU_DEP_2)
	v_mul_i32_i24_e32 v112, v86, v110
	v_mul_i32_i24_e32 v95, v66, v110
	v_add3_u32 v87, v87, v112, v114
	v_and_b32_e32 v112, 15, v12
	v_bfe_u32 v114, v12, 16, 4
	s_delay_alu instid0(VALU_DEP_2) | instskip(NEXT) | instid1(VALU_DEP_2)
	v_mul_i32_i24_e32 v115, v86, v112
	v_mul_i32_i24_e32 v116, v54, v114
	s_delay_alu instid0(VALU_DEP_1) | instskip(SKIP_4) | instid1(VALU_DEP_3)
	v_add3_u32 v2, v2, v115, v116
	v_mul_i32_i24_e32 v115, v41, v213
	v_mul_i32_i24_e32 v116, v5, v30
	v_mul_i32_i24_e32 v41, v41, v131
	v_mul_i32_i24_e32 v5, v5, v8
	v_add3_u32 v3, v3, v116, v115
	v_mul_i32_i24_e32 v115, v52, v111
	s_delay_alu instid0(VALU_DEP_3) | instskip(SKIP_1) | instid1(VALU_DEP_3)
	v_add3_u32 v5, v16, v5, v41
	v_bfe_i32 v41, v34, 0, 8
	v_add3_u32 v67, v67, v95, v115
	v_mul_i32_i24_e32 v95, v66, v112
	v_mul_i32_i24_e32 v115, v52, v114
	s_delay_alu instid0(VALU_DEP_1) | instskip(SKIP_4) | instid1(VALU_DEP_3)
	v_add3_u32 v68, v68, v95, v115
	v_mul_i32_i24_e32 v95, v59, v213
	v_mul_i32_i24_e32 v115, v7, v30
	v_mul_i32_i24_e32 v59, v59, v131
	v_mul_i32_i24_e32 v7, v7, v8
	v_add3_u32 v69, v69, v115, v95
	v_mul_i32_i24_e32 v95, v96, v134
	v_mul_i32_i24_e32 v96, v97, v132
	s_delay_alu instid0(VALU_DEP_1) | instskip(SKIP_2) | instid1(VALU_DEP_3)
	v_add3_u32 v70, v70, v96, v95
	v_bfe_i32 v95, v50, 0, 8
	v_bfe_i32 v50, v50, 16, 8
	v_add3_u32 v7, v70, v7, v59
	s_delay_alu instid0(VALU_DEP_3) | instskip(NEXT) | instid1(VALU_DEP_3)
	v_mul_i32_i24_e32 v96, v95, v110
	v_mul_i32_i24_e32 v97, v50, v111
	v_bfe_i32 v59, v40, 0, 8
	s_delay_alu instid0(VALU_DEP_2) | instskip(SKIP_2) | instid1(VALU_DEP_1)
	v_add3_u32 v71, v71, v96, v97
	v_mul_i32_i24_e32 v96, v95, v112
	v_mul_i32_i24_e32 v97, v50, v114
	v_add3_u32 v72, v72, v96, v97
	v_mul_i32_i24_e32 v96, v63, v213
	v_mul_i32_i24_e32 v97, v39, v30
	;; [unrolled: 1-line block ×4, first 2 shown]
	s_delay_alu instid0(VALU_DEP_3) | instskip(SKIP_2) | instid1(VALU_DEP_1)
	v_add3_u32 v73, v73, v97, v96
	v_mul_i32_i24_e32 v96, v99, v134
	v_mul_i32_i24_e32 v97, v101, v132
	v_add3_u32 v74, v74, v97, v96
	v_bfe_i32 v96, v48, 0, 8
	v_bfe_i32 v48, v48, 16, 8
	s_delay_alu instid0(VALU_DEP_3) | instskip(NEXT) | instid1(VALU_DEP_3)
	v_add3_u32 v39, v74, v39, v63
	v_mul_i32_i24_e32 v97, v96, v110
	s_delay_alu instid0(VALU_DEP_3) | instskip(SKIP_2) | instid1(VALU_DEP_3)
	v_mul_i32_i24_e32 v99, v48, v111
	v_mul_i32_i24_e32 v101, v48, v114
	v_bfe_i32 v63, v36, 0, 8
	v_add3_u32 v97, v102, v97, v99
	v_mul_i32_i24_e32 v99, v96, v112
	v_mul_i32_i24_e32 v102, v35, v30
	;; [unrolled: 1-line block ×5, first 2 shown]
	v_add3_u32 v99, v103, v99, v101
	v_mul_i32_i24_e32 v101, v231, v213
	v_mul_i32_i24_e32 v103, v236, v132
	v_bfe_i32 v37, v32, 0, 8
	s_delay_alu instid0(VALU_DEP_3) | instskip(SKIP_1) | instid1(VALU_DEP_1)
	v_add3_u32 v101, v104, v102, v101
	v_mul_i32_i24_e32 v102, v106, v134
	v_add3_u32 v102, v105, v103, v102
	v_bfe_i32 v103, v46, 0, 8
	v_bfe_i32 v46, v46, 16, 8
	s_delay_alu instid0(VALU_DEP_2) | instskip(NEXT) | instid1(VALU_DEP_2)
	v_mul_i32_i24_e32 v104, v103, v110
	v_mul_i32_i24_e32 v105, v46, v111
	;; [unrolled: 1-line block ×3, first 2 shown]
	s_delay_alu instid0(VALU_DEP_2) | instskip(SKIP_2) | instid1(VALU_DEP_2)
	v_add3_u32 v104, v109, v104, v105
	v_mul_i32_i24_e32 v105, v103, v112
	v_mul_i32_i24_e32 v109, v238, v132
	v_add3_u32 v105, v117, v105, v106
	v_mul_i32_i24_e32 v106, v227, v213
	s_delay_alu instid0(VALU_DEP_1) | instskip(SKIP_2) | instid1(VALU_DEP_2)
	v_add3_u32 v30, v118, v30, v106
	v_mul_i32_i24_e32 v106, v232, v134
	v_mul_i32_i24_e32 v118, v211, v110
	v_add3_u32 v106, v119, v109, v106
	v_bfe_i32 v109, v44, 0, 8
	v_bfe_i32 v44, v44, 16, 8
	s_delay_alu instid0(VALU_DEP_2) | instskip(NEXT) | instid1(VALU_DEP_2)
	v_mul_i32_i24_e32 v115, v109, v110
	v_mul_i32_i24_e32 v116, v44, v111
	;; [unrolled: 1-line block ×3, first 2 shown]
	s_delay_alu instid0(VALU_DEP_2) | instskip(SKIP_1) | instid1(VALU_DEP_1)
	v_add3_u32 v115, v122, v115, v116
	v_mul_i32_i24_e32 v116, v109, v112
	v_add3_u32 v116, v123, v116, v117
	v_mul_i32_i24_e32 v117, v28, v228
	v_mul_i32_i24_e32 v28, v28, v6
	s_delay_alu instid0(VALU_DEP_2) | instskip(SKIP_1) | instid1(VALU_DEP_1)
	v_add3_u32 v75, v75, v117, v118
	v_mul_i32_i24_e32 v117, v211, v112
	v_add3_u32 v78, v78, v88, v117
	v_mul_i32_i24_e32 v88, v210, v132
	v_mul_i32_i24_e32 v117, v209, v131
	s_delay_alu instid0(VALU_DEP_1) | instskip(SKIP_1) | instid1(VALU_DEP_1)
	v_add3_u32 v79, v79, v117, v88
	v_mul_i32_i24_e32 v88, v133, v212
	v_add3_u32 v9, v80, v88, v9
	v_mul_i32_i24_e32 v80, v130, v110
	v_mul_i32_i24_e32 v88, v129, v111
	v_ashrrev_i32_e32 v110, 24, v42
	v_mul_i32_i24_e32 v111, v206, v111
	s_delay_alu instid0(VALU_DEP_3) | instskip(SKIP_2) | instid1(VALU_DEP_1)
	v_add3_u32 v80, v82, v80, v88
	v_mul_i32_i24_e32 v82, v130, v112
	v_mul_i32_i24_e32 v88, v129, v114
	v_add3_u32 v82, v83, v82, v88
	v_mul_i32_i24_e32 v83, v223, v212
	v_mul_i32_i24_e32 v88, v62, v29
	;; [unrolled: 1-line block ×3, first 2 shown]
	s_delay_alu instid0(VALU_DEP_2) | instskip(SKIP_2) | instid1(VALU_DEP_2)
	v_add3_u32 v83, v84, v83, v88
	v_mul_i32_i24_e32 v84, v113, v131
	v_bfe_i32 v88, v42, 0, 8
	v_add3_u32 v55, v85, v55, v84
	v_bfe_u32 v84, v10, 4, 4
	v_lshrrev_b32_e32 v85, 28, v10
	s_delay_alu instid0(VALU_DEP_2) | instskip(NEXT) | instid1(VALU_DEP_2)
	v_mul_i32_i24_e32 v112, v88, v84
	v_mul_i32_i24_e32 v113, v110, v85
	;; [unrolled: 1-line block ×5, first 2 shown]
	s_delay_alu instid0(VALU_DEP_4) | instskip(SKIP_2) | instid1(VALU_DEP_2)
	v_add3_u32 v87, v87, v113, v112
	v_bfe_u32 v112, v12, 4, 4
	v_lshrrev_b32_e32 v113, 28, v12
	v_mul_i32_i24_e32 v117, v88, v112
	s_delay_alu instid0(VALU_DEP_2) | instskip(NEXT) | instid1(VALU_DEP_1)
	v_mul_i32_i24_e32 v118, v110, v113
	v_add3_u32 v2, v2, v118, v117
	v_mul_i32_i24_e32 v117, v91, v212
	v_mul_i32_i24_e32 v118, v90, v29
	;; [unrolled: 1-line block ×4, first 2 shown]
	s_delay_alu instid0(VALU_DEP_3) | instskip(SKIP_1) | instid1(VALU_DEP_3)
	v_add3_u32 v3, v3, v117, v118
	v_ashrrev_i32_e32 v117, 24, v34
	v_add3_u32 v90, v5, v91, v90
	v_bfe_i32 v91, v34, 8, 8
	v_bfe_i32 v34, v34, 16, 8
	s_delay_alu instid0(VALU_DEP_4) | instskip(NEXT) | instid1(VALU_DEP_1)
	v_mul_i32_i24_e32 v118, v117, v85
	v_add3_u32 v16, v67, v118, v16
	v_mul_i32_i24_e32 v67, v41, v112
	v_mul_i32_i24_e32 v118, v117, v113
	s_delay_alu instid0(VALU_DEP_1) | instskip(SKIP_3) | instid1(VALU_DEP_2)
	v_add3_u32 v67, v68, v118, v67
	v_mul_i32_i24_e32 v68, v93, v212
	v_mul_i32_i24_e32 v118, v92, v29
	;; [unrolled: 1-line block ×3, first 2 shown]
	v_add3_u32 v68, v69, v68, v118
	v_ashrrev_i32_e32 v69, 24, v40
	s_delay_alu instid0(VALU_DEP_1) | instskip(NEXT) | instid1(VALU_DEP_1)
	v_mul_i32_i24_e32 v118, v69, v85
	v_add3_u32 v70, v71, v118, v70
	v_mul_i32_i24_e32 v71, v59, v112
	v_mul_i32_i24_e32 v118, v69, v113
	s_delay_alu instid0(VALU_DEP_1) | instskip(SKIP_2) | instid1(VALU_DEP_1)
	v_add3_u32 v71, v72, v118, v71
	v_mul_i32_i24_e32 v72, v98, v212
	v_mul_i32_i24_e32 v118, v94, v29
	v_add3_u32 v72, v73, v72, v118
	v_ashrrev_i32_e32 v73, 24, v36
	s_delay_alu instid0(VALU_DEP_1) | instskip(NEXT) | instid1(VALU_DEP_1)
	v_mul_i32_i24_e32 v118, v73, v85
	v_add3_u32 v74, v97, v118, v74
	v_mul_i32_i24_e32 v97, v63, v112
	v_mul_i32_i24_e32 v118, v73, v113
	s_delay_alu instid0(VALU_DEP_1) | instskip(SKIP_3) | instid1(VALU_DEP_2)
	v_add3_u32 v97, v99, v118, v97
	v_mul_i32_i24_e32 v99, v108, v212
	v_mul_i32_i24_e32 v118, v107, v29
	;; [unrolled: 1-line block ×3, first 2 shown]
	v_add3_u32 v99, v101, v99, v118
	v_mul_i32_i24_e32 v101, v231, v131
	s_delay_alu instid0(VALU_DEP_1) | instskip(SKIP_2) | instid1(VALU_DEP_2)
	v_add3_u32 v35, v102, v35, v101
	v_bfe_i32 v101, v38, 0, 8
	v_ashrrev_i32_e32 v102, 24, v38
	v_mul_i32_i24_e32 v118, v101, v84
	s_delay_alu instid0(VALU_DEP_2) | instskip(NEXT) | instid1(VALU_DEP_1)
	v_mul_i32_i24_e32 v119, v102, v85
	v_add3_u32 v104, v104, v119, v118
	v_mul_i32_i24_e32 v118, v101, v112
	v_mul_i32_i24_e32 v119, v102, v113
	s_delay_alu instid0(VALU_DEP_1) | instskip(SKIP_1) | instid1(VALU_DEP_1)
	v_add3_u32 v105, v105, v119, v118
	v_mul_i32_i24_e32 v118, v121, v212
	v_add3_u32 v29, v30, v118, v29
	v_mul_i32_i24_e32 v30, v227, v131
	s_delay_alu instid0(VALU_DEP_1) | instskip(SKIP_2) | instid1(VALU_DEP_2)
	v_add3_u32 v8, v106, v8, v30
	v_ashrrev_i32_e32 v106, 24, v32
	v_mul_i32_i24_e32 v30, v37, v84
	v_mul_i32_i24_e32 v118, v106, v85
	s_delay_alu instid0(VALU_DEP_1) | instskip(SKIP_2) | instid1(VALU_DEP_1)
	v_add3_u32 v30, v115, v118, v30
	v_mul_i32_i24_e32 v115, v37, v112
	v_mul_i32_i24_e32 v118, v106, v113
	v_add3_u32 v115, v116, v118, v115
	v_mul_i32_i24_e32 v116, v205, v226
	s_delay_alu instid0(VALU_DEP_1) | instskip(SKIP_2) | instid1(VALU_DEP_2)
	v_add3_u32 v75, v75, v111, v116
	v_mul_i32_i24_e32 v111, v206, v114
	v_bfe_u32 v116, v13, 24, 4
	v_add3_u32 v78, v78, v111, v89
	v_mul_i32_i24_e32 v89, v211, v76
	s_delay_alu instid0(VALU_DEP_1) | instskip(SKIP_2) | instid1(VALU_DEP_1)
	v_add3_u32 v28, v79, v28, v89
	v_mul_i32_i24_e32 v79, v130, v208
	v_mul_i32_i24_e32 v89, v129, v207
	v_add3_u32 v9, v9, v79, v89
	v_mul_i32_i24_e32 v79, v27, v84
	v_mul_i32_i24_e32 v89, v4, v85
	;; [unrolled: 1-line block ×3, first 2 shown]
	s_delay_alu instid0(VALU_DEP_2) | instskip(SKIP_3) | instid1(VALU_DEP_2)
	v_add3_u32 v79, v80, v89, v79
	v_mul_i32_i24_e32 v80, v27, v112
	v_mul_i32_i24_e32 v89, v4, v113
	;; [unrolled: 1-line block ×3, first 2 shown]
	v_add3_u32 v80, v82, v89, v80
	v_mul_i32_i24_e32 v82, v86, v208
	v_mul_i32_i24_e32 v89, v54, v207
	s_delay_alu instid0(VALU_DEP_1) | instskip(SKIP_1) | instid1(VALU_DEP_1)
	v_add3_u32 v82, v83, v82, v89
	v_mul_i32_i24_e32 v83, v223, v127
	v_add3_u32 v55, v55, v83, v62
	v_bfe_i32 v62, v42, 8, 8
	v_bfe_i32 v42, v42, 16, 8
	v_bfe_u32 v83, v10, 12, 4
	v_bfe_u32 v10, v10, 20, 4
	s_delay_alu instid0(VALU_DEP_2) | instskip(NEXT) | instid1(VALU_DEP_2)
	v_mul_i32_i24_e32 v89, v62, v83
	v_mul_i32_i24_e32 v111, v42, v10
	;; [unrolled: 1-line block ×3, first 2 shown]
	s_delay_alu instid0(VALU_DEP_2) | instskip(SKIP_2) | instid1(VALU_DEP_2)
	v_add3_u32 v87, v87, v89, v111
	v_bfe_u32 v89, v12, 12, 4
	v_bfe_u32 v12, v12, 20, 4
	v_mul_i32_i24_e32 v111, v62, v89
	s_delay_alu instid0(VALU_DEP_2) | instskip(NEXT) | instid1(VALU_DEP_1)
	v_mul_i32_i24_e32 v114, v42, v12
	v_add3_u32 v2, v2, v111, v114
	v_mul_i32_i24_e32 v111, v66, v208
	v_mul_i32_i24_e32 v114, v52, v207
	s_delay_alu instid0(VALU_DEP_1) | instskip(SKIP_1) | instid1(VALU_DEP_1)
	v_add3_u32 v3, v3, v111, v114
	v_mul_i32_i24_e32 v111, v34, v10
	v_add3_u32 v16, v16, v5, v111
	v_mul_i32_i24_e32 v5, v91, v89
	v_mul_i32_i24_e32 v111, v34, v12
	s_delay_alu instid0(VALU_DEP_1) | instskip(SKIP_2) | instid1(VALU_DEP_1)
	v_add3_u32 v67, v67, v5, v111
	v_mul_i32_i24_e32 v5, v95, v208
	v_mul_i32_i24_e32 v111, v50, v207
	v_add3_u32 v68, v68, v5, v111
	v_mul_i32_i24_e32 v5, v93, v127
	v_bfe_i32 v93, v40, 8, 8
	v_bfe_i32 v40, v40, 16, 8
	s_delay_alu instid0(VALU_DEP_3) | instskip(NEXT) | instid1(VALU_DEP_3)
	v_add3_u32 v92, v7, v5, v92
	v_mul_i32_i24_e32 v5, v93, v83
	s_delay_alu instid0(VALU_DEP_3) | instskip(NEXT) | instid1(VALU_DEP_1)
	v_mul_i32_i24_e32 v7, v40, v10
	v_add3_u32 v70, v70, v5, v7
	v_mul_i32_i24_e32 v5, v93, v89
	v_mul_i32_i24_e32 v7, v40, v12
	s_delay_alu instid0(VALU_DEP_1) | instskip(SKIP_2) | instid1(VALU_DEP_1)
	v_add3_u32 v71, v71, v5, v7
	v_mul_i32_i24_e32 v5, v96, v208
	v_mul_i32_i24_e32 v7, v48, v207
	v_add3_u32 v72, v72, v5, v7
	v_mul_i32_i24_e32 v5, v98, v127
	v_mul_i32_i24_e32 v7, v94, v6
	v_bfe_i32 v94, v36, 8, 8
	v_bfe_i32 v36, v36, 16, 8
	s_delay_alu instid0(VALU_DEP_3) | instskip(NEXT) | instid1(VALU_DEP_3)
	v_add3_u32 v39, v39, v5, v7
	v_mul_i32_i24_e32 v5, v94, v83
	s_delay_alu instid0(VALU_DEP_3) | instskip(NEXT) | instid1(VALU_DEP_1)
	v_mul_i32_i24_e32 v7, v36, v10
	v_add3_u32 v74, v74, v5, v7
	v_mul_i32_i24_e32 v5, v94, v89
	v_mul_i32_i24_e32 v7, v36, v12
	s_delay_alu instid0(VALU_DEP_1) | instskip(SKIP_2) | instid1(VALU_DEP_1)
	v_add3_u32 v97, v97, v5, v7
	v_mul_i32_i24_e32 v5, v103, v208
	v_mul_i32_i24_e32 v7, v46, v207
	v_add3_u32 v98, v99, v5, v7
	v_mul_i32_i24_e32 v5, v108, v127
	v_mul_i32_i24_e32 v7, v107, v6
	v_bfe_i32 v99, v38, 8, 8
	v_bfe_i32 v38, v38, 16, 8
	v_bfe_i32 v108, v32, 8, 8
	v_bfe_i32 v32, v32, 16, 8
	v_add3_u32 v35, v35, v5, v7
	v_mul_i32_i24_e32 v5, v99, v83
	v_mul_i32_i24_e32 v7, v38, v10
	s_delay_alu instid0(VALU_DEP_1) | instskip(SKIP_2) | instid1(VALU_DEP_1)
	v_add3_u32 v104, v104, v5, v7
	v_mul_i32_i24_e32 v5, v99, v89
	v_mul_i32_i24_e32 v7, v38, v12
	v_add3_u32 v105, v105, v5, v7
	v_mul_i32_i24_e32 v5, v109, v208
	v_mul_i32_i24_e32 v7, v44, v207
	s_delay_alu instid0(VALU_DEP_1) | instskip(SKIP_2) | instid1(VALU_DEP_1)
	v_add3_u32 v29, v29, v5, v7
	v_mul_i32_i24_e32 v5, v120, v6
	v_mul_i32_i24_e32 v6, v121, v127
	;; [unrolled: 7-line block ×3, first 2 shown]
	v_add3_u32 v114, v115, v5, v6
	v_mul_i32_i24_e32 v5, v202, v84
	v_mul_i32_i24_e32 v6, v244, v83
	v_bfe_u32 v115, v13, 8, 4
	s_delay_alu instid0(VALU_DEP_2) | instskip(SKIP_2) | instid1(VALU_DEP_1)
	v_add3_u32 v75, v75, v5, v6
	v_mul_i32_i24_e32 v5, v202, v112
	v_mul_i32_i24_e32 v6, v244, v89
	v_add3_u32 v78, v78, v5, v6
	v_mul_i32_i24_e32 v5, v205, v127
	v_mul_i32_i24_e32 v6, v206, v143
	s_delay_alu instid0(VALU_DEP_1) | instskip(SKIP_1) | instid1(VALU_DEP_1)
	v_add3_u32 v84, v28, v6, v5
	v_mul_i32_i24_e32 v5, v27, v204
	v_add3_u32 v112, v9, v4, v5
	v_mul_i32_i24_e32 v4, v65, v83
	v_mul_i32_i24_e32 v5, v128, v10
	v_bfe_u32 v83, v11, 24, 4
	v_mul_i32_i24_e32 v10, v200, v10
	s_delay_alu instid0(VALU_DEP_3) | instskip(SKIP_2) | instid1(VALU_DEP_4)
	v_add3_u32 v79, v79, v4, v5
	v_mul_i32_i24_e32 v4, v65, v89
	v_mul_i32_i24_e32 v5, v128, v12
	v_add3_u32 v10, v75, v10, v85
	v_mul_i32_i24_e32 v12, v200, v12
	v_mul_i32_i24_e32 v75, v199, v113
	;; [unrolled: 1-line block ×3, first 2 shown]
	v_add3_u32 v80, v80, v4, v5
	v_mul_i32_i24_e32 v4, v88, v204
	v_mul_i32_i24_e32 v5, v110, v203
	v_add3_u32 v12, v78, v12, v75
	v_mul_i32_i24_e32 v75, v202, v135
	v_mul_i32_i24_e32 v78, v244, v56
	s_delay_alu instid0(VALU_DEP_4) | instskip(SKIP_2) | instid1(VALU_DEP_4)
	v_add3_u32 v82, v82, v5, v4
	v_mul_i32_i24_e32 v4, v86, v76
	v_mul_i32_i24_e32 v5, v54, v143
	v_add3_u32 v75, v84, v75, v78
	v_mul_i32_i24_e32 v78, v128, v201
	v_mul_i32_i24_e32 v84, v81, v83
	s_delay_alu instid0(VALU_DEP_4)
	v_add3_u32 v54, v55, v4, v5
	v_add_nc_u32_e32 v4, 0x800, v158
	v_bfe_u32 v55, v11, 8, 4
	v_add3_u32 v65, v112, v65, v78
	ds_load_2addr_b32 v[4:5], v4 offset1:3
	v_mul_i32_i24_e32 v78, v61, v55
	s_delay_alu instid0(VALU_DEP_1) | instskip(SKIP_3) | instid1(VALU_DEP_2)
	v_add3_u32 v78, v79, v84, v78
	v_mul_i32_i24_e32 v79, v61, v115
	v_mul_i32_i24_e32 v84, v81, v116
	;; [unrolled: 1-line block ×3, first 2 shown]
	v_add3_u32 v79, v80, v84, v79
	v_mul_i32_i24_e32 v80, v42, v201
	v_mul_i32_i24_e32 v84, v62, v241
	;; [unrolled: 1-line block ×4, first 2 shown]
	s_wait_dscnt 0x0
	v_bfe_i32 v86, v5, 8, 8
	v_ashrrev_i32_e32 v89, 24, v5
	v_add3_u32 v80, v82, v84, v80
	v_mul_i32_i24_e32 v82, v88, v135
	v_mul_i32_i24_e32 v84, v110, v1
	;; [unrolled: 1-line block ×4, first 2 shown]
	v_bfe_i32 v85, v5, 0, 8
	v_bfe_i32 v5, v5, 16, 8
	v_add3_u32 v54, v54, v84, v82
	v_and_b32_e32 v82, 15, v11
	v_add3_u32 v87, v87, v7, v6
	v_mul_i32_i24_e32 v6, v86, v115
	v_mul_i32_i24_e32 v7, v89, v116
	v_bfe_u32 v84, v11, 16, 4
	v_mul_i32_i24_e32 v88, v85, v82
	v_add3_u32 v42, v54, v62, v42
	v_bfe_u32 v54, v11, 4, 4
	v_add3_u32 v2, v2, v7, v6
	v_mul_i32_i24_e32 v6, v41, v204
	v_mul_i32_i24_e32 v7, v117, v203
	;; [unrolled: 1-line block ×4, first 2 shown]
	v_lshrrev_b32_e32 v62, 28, v11
	s_delay_alu instid0(VALU_DEP_4)
	v_add3_u32 v3, v3, v7, v6
	v_mul_i32_i24_e32 v6, v66, v76
	v_mul_i32_i24_e32 v7, v52, v143
	v_add3_u32 v87, v87, v88, v110
	v_and_b32_e32 v88, 15, v13
	v_bfe_u32 v110, v13, 16, 4
	s_delay_alu instid0(VALU_DEP_4) | instskip(SKIP_1) | instid1(VALU_DEP_4)
	v_add3_u32 v52, v90, v6, v7
	v_add_nc_u32_e32 v6, 0xc00, v158
	v_mul_i32_i24_e32 v112, v85, v88
	s_delay_alu instid0(VALU_DEP_4)
	v_mul_i32_i24_e32 v113, v5, v110
	ds_load_2addr_b32 v[6:7], v6 offset1:3
	v_add3_u32 v2, v2, v112, v113
	v_mul_i32_i24_e32 v112, v34, v201
	v_mul_i32_i24_e32 v113, v91, v241
	;; [unrolled: 1-line block ×3, first 2 shown]
	s_delay_alu instid0(VALU_DEP_2) | instskip(SKIP_1) | instid1(VALU_DEP_1)
	v_add3_u32 v3, v3, v113, v112
	v_mul_i32_i24_e32 v112, v117, v1
	v_add3_u32 v41, v52, v112, v41
	s_wait_dscnt 0x0
	v_bfe_i32 v66, v7, 8, 8
	v_ashrrev_i32_e32 v90, 24, v7
	v_bfe_i32 v52, v7, 0, 8
	v_bfe_i32 v7, v7, 16, 8
	s_delay_alu instid0(VALU_DEP_4) | instskip(NEXT) | instid1(VALU_DEP_4)
	v_mul_i32_i24_e32 v8, v66, v55
	v_mul_i32_i24_e32 v9, v90, v83
	s_delay_alu instid0(VALU_DEP_4) | instskip(NEXT) | instid1(VALU_DEP_4)
	v_mul_i32_i24_e32 v112, v52, v82
	v_mul_i32_i24_e32 v113, v7, v84
	s_delay_alu instid0(VALU_DEP_3) | instskip(SKIP_2) | instid1(VALU_DEP_3)
	v_add3_u32 v118, v16, v9, v8
	v_mul_i32_i24_e32 v8, v66, v115
	v_mul_i32_i24_e32 v9, v90, v116
	v_add3_u32 v112, v118, v112, v113
	v_mul_i32_i24_e32 v113, v52, v88
	s_delay_alu instid0(VALU_DEP_3) | instskip(SKIP_4) | instid1(VALU_DEP_3)
	v_add3_u32 v67, v67, v9, v8
	v_mul_i32_i24_e32 v8, v59, v204
	v_mul_i32_i24_e32 v9, v69, v203
	;; [unrolled: 1-line block ×4, first 2 shown]
	v_add3_u32 v68, v68, v9, v8
	v_mul_i32_i24_e32 v8, v95, v76
	v_mul_i32_i24_e32 v9, v50, v143
	s_delay_alu instid0(VALU_DEP_1)
	v_add3_u32 v50, v92, v8, v9
	ds_load_2addr_b32 v[8:9], v17 offset1:3
	v_add3_u32 v50, v50, v69, v59
	s_wait_dscnt 0x0
	v_bfe_i32 v92, v9, 8, 8
	v_ashrrev_i32_e32 v95, 24, v9
	v_bfe_i32 v59, v9, 0, 8
	v_bfe_i32 v9, v9, 16, 8
	s_delay_alu instid0(VALU_DEP_4) | instskip(NEXT) | instid1(VALU_DEP_4)
	v_mul_i32_i24_e32 v16, v92, v55
	v_mul_i32_i24_e32 v17, v95, v83
	s_delay_alu instid0(VALU_DEP_4) | instskip(NEXT) | instid1(VALU_DEP_2)
	v_mul_i32_i24_e32 v69, v59, v82
	v_add3_u32 v70, v70, v17, v16
	v_mul_i32_i24_e32 v16, v92, v115
	v_mul_i32_i24_e32 v17, v95, v116
	s_delay_alu instid0(VALU_DEP_1) | instskip(SKIP_3) | instid1(VALU_DEP_2)
	v_add3_u32 v71, v71, v17, v16
	v_mul_i32_i24_e32 v16, v63, v204
	v_mul_i32_i24_e32 v17, v73, v203
	;; [unrolled: 1-line block ×3, first 2 shown]
	v_add3_u32 v72, v72, v17, v16
	v_mul_i32_i24_e32 v16, v96, v76
	v_mul_i32_i24_e32 v17, v48, v143
	s_delay_alu instid0(VALU_DEP_1)
	v_add3_u32 v39, v39, v16, v17
	v_add_nc_u32_e32 v16, 0x1400, v158
	ds_load_2addr_b32 v[16:17], v16 offset1:3
	s_wait_dscnt 0x0
	v_bfe_i32 v48, v17, 8, 8
	v_ashrrev_i32_e32 v96, 24, v17
	s_delay_alu instid0(VALU_DEP_2) | instskip(NEXT) | instid1(VALU_DEP_2)
	v_mul_i32_i24_e32 v27, v48, v55
	v_mul_i32_i24_e32 v28, v96, v83
	s_delay_alu instid0(VALU_DEP_1) | instskip(SKIP_2) | instid1(VALU_DEP_1)
	v_add3_u32 v74, v74, v28, v27
	v_mul_i32_i24_e32 v27, v48, v115
	v_mul_i32_i24_e32 v28, v96, v116
	v_add3_u32 v97, v97, v28, v27
	v_mul_i32_i24_e32 v27, v101, v204
	v_mul_i32_i24_e32 v28, v102, v203
	s_delay_alu instid0(VALU_DEP_1) | instskip(SKIP_2) | instid1(VALU_DEP_1)
	v_add3_u32 v98, v98, v28, v27
	v_mul_i32_i24_e32 v27, v103, v76
	v_mul_i32_i24_e32 v28, v46, v143
	v_add3_u32 v35, v35, v27, v28
	ds_load_2addr_b32 v[27:28], v100 offset1:3
	s_wait_dscnt 0x0
	v_bfe_i32 v46, v28, 8, 8
	v_ashrrev_i32_e32 v100, 24, v28
	s_delay_alu instid0(VALU_DEP_2) | instskip(NEXT) | instid1(VALU_DEP_2)
	v_mul_i32_i24_e32 v30, v46, v55
	v_mul_i32_i24_e32 v103, v100, v83
	s_delay_alu instid0(VALU_DEP_1) | instskip(SKIP_2) | instid1(VALU_DEP_1)
	v_add3_u32 v103, v104, v103, v30
	v_mul_i32_i24_e32 v30, v46, v115
	v_mul_i32_i24_e32 v104, v100, v116
	v_add3_u32 v104, v105, v104, v30
	v_mul_i32_i24_e32 v30, v37, v204
	v_mul_i32_i24_e32 v105, v106, v203
	;; [unrolled: 1-line block ×3, first 2 shown]
	s_delay_alu instid0(VALU_DEP_2) | instskip(SKIP_2) | instid1(VALU_DEP_1)
	v_add3_u32 v105, v29, v105, v30
	v_mul_i32_i24_e32 v29, v109, v76
	v_mul_i32_i24_e32 v30, v44, v143
	v_add3_u32 v44, v107, v29, v30
	v_add_nc_u32_e32 v29, 0x1c00, v158
	v_add_nc_u32_e32 v158, 32, v158
	ds_load_2addr_b32 v[29:30], v29 offset1:3
	s_wait_dscnt 0x0
	v_bfe_i32 v76, v30, 8, 8
	v_ashrrev_i32_e32 v107, 24, v30
	s_delay_alu instid0(VALU_DEP_2) | instskip(NEXT) | instid1(VALU_DEP_2)
	v_mul_i32_i24_e32 v109, v76, v55
	v_mul_i32_i24_e32 v119, v107, v83
	;; [unrolled: 1-line block ×4, first 2 shown]
	s_delay_alu instid0(VALU_DEP_3) | instskip(SKIP_2) | instid1(VALU_DEP_1)
	v_add3_u32 v109, v111, v119, v109
	v_mul_i32_i24_e32 v111, v76, v115
	v_mul_i32_i24_e32 v119, v107, v116
	v_add3_u32 v111, v114, v119, v111
	v_mul_i32_i24_e32 v114, v7, v110
	s_delay_alu instid0(VALU_DEP_1) | instskip(SKIP_3) | instid1(VALU_DEP_2)
	v_add3_u32 v67, v67, v113, v114
	v_mul_i32_i24_e32 v113, v40, v201
	v_mul_i32_i24_e32 v114, v93, v241
	;; [unrolled: 1-line block ×3, first 2 shown]
	v_add3_u32 v68, v68, v114, v113
	v_mul_i32_i24_e32 v113, v9, v84
	s_delay_alu instid0(VALU_DEP_1) | instskip(SKIP_2) | instid1(VALU_DEP_1)
	v_add3_u32 v69, v70, v69, v113
	v_mul_i32_i24_e32 v70, v59, v88
	v_mul_i32_i24_e32 v113, v9, v110
	v_add3_u32 v70, v71, v70, v113
	v_mul_i32_i24_e32 v71, v36, v201
	v_mul_i32_i24_e32 v113, v94, v241
	;; [unrolled: 1-line block ×3, first 2 shown]
	s_delay_alu instid0(VALU_DEP_2) | instskip(SKIP_1) | instid1(VALU_DEP_1)
	v_add3_u32 v71, v72, v113, v71
	v_mul_i32_i24_e32 v72, v73, v1
	v_add3_u32 v39, v39, v72, v63
	v_bfe_i32 v63, v17, 0, 8
	v_bfe_i32 v17, v17, 16, 8
	s_delay_alu instid0(VALU_DEP_2) | instskip(NEXT) | instid1(VALU_DEP_2)
	v_mul_i32_i24_e32 v72, v63, v82
	v_mul_i32_i24_e32 v73, v17, v84
	s_delay_alu instid0(VALU_DEP_1) | instskip(SKIP_2) | instid1(VALU_DEP_1)
	v_add3_u32 v72, v74, v72, v73
	v_mul_i32_i24_e32 v73, v63, v88
	v_mul_i32_i24_e32 v74, v17, v110
	v_add3_u32 v73, v97, v73, v74
	v_mul_i32_i24_e32 v74, v38, v201
	v_mul_i32_i24_e32 v97, v99, v241
	;; [unrolled: 1-line block ×3, first 2 shown]
	s_delay_alu instid0(VALU_DEP_2) | instskip(SKIP_2) | instid1(VALU_DEP_1)
	v_add3_u32 v74, v98, v97, v74
	v_mul_i32_i24_e32 v97, v101, v135
	v_mul_i32_i24_e32 v98, v102, v1
	v_add3_u32 v35, v35, v98, v97
	v_bfe_i32 v97, v28, 0, 8
	v_bfe_i32 v28, v28, 16, 8
	s_delay_alu instid0(VALU_DEP_2) | instskip(NEXT) | instid1(VALU_DEP_2)
	v_mul_i32_i24_e32 v98, v97, v82
	v_mul_i32_i24_e32 v101, v28, v84
	;; [unrolled: 1-line block ×3, first 2 shown]
	s_delay_alu instid0(VALU_DEP_2) | instskip(SKIP_2) | instid1(VALU_DEP_2)
	v_add3_u32 v98, v103, v98, v101
	v_mul_i32_i24_e32 v101, v97, v88
	v_mul_i32_i24_e32 v103, v108, v241
	v_add3_u32 v101, v104, v101, v102
	v_mul_i32_i24_e32 v102, v32, v201
	v_mul_i32_i24_e32 v32, v32, v142
	s_delay_alu instid0(VALU_DEP_2) | instskip(SKIP_2) | instid1(VALU_DEP_2)
	v_add3_u32 v102, v105, v103, v102
	v_mul_i32_i24_e32 v103, v106, v1
	v_mul_i32_i24_e32 v1, v199, v1
	v_add3_u32 v37, v44, v103, v37
	v_bfe_i32 v44, v30, 0, 8
	v_bfe_i32 v30, v30, 16, 8
	s_delay_alu instid0(VALU_DEP_2) | instskip(NEXT) | instid1(VALU_DEP_2)
	v_mul_i32_i24_e32 v103, v44, v82
	v_mul_i32_i24_e32 v104, v30, v84
	;; [unrolled: 1-line block ×3, first 2 shown]
	s_delay_alu instid0(VALU_DEP_2) | instskip(SKIP_1) | instid1(VALU_DEP_1)
	v_add3_u32 v103, v109, v103, v104
	v_mul_i32_i24_e32 v104, v44, v88
	v_add3_u32 v104, v111, v104, v105
	v_mul_i32_i24_e32 v105, v253, v82
	s_delay_alu instid0(VALU_DEP_1) | instskip(SKIP_3) | instid1(VALU_DEP_2)
	v_add3_u32 v10, v10, v55, v105
	v_mul_i32_i24_e32 v55, v51, v115
	v_mul_i32_i24_e32 v105, v253, v88
	;; [unrolled: 1-line block ×3, first 2 shown]
	v_add3_u32 v12, v12, v55, v105
	v_mul_i32_i24_e32 v55, v200, v142
	s_delay_alu instid0(VALU_DEP_1) | instskip(SKIP_2) | instid1(VALU_DEP_2)
	v_add3_u32 v1, v75, v55, v1
	v_mul_i32_i24_e32 v55, v81, v254
	v_mul_i32_i24_e32 v75, v141, v110
	v_add3_u32 v55, v65, v55, v61
	v_mul_i32_i24_e32 v61, v0, v82
	v_mul_i32_i24_e32 v65, v141, v84
	;; [unrolled: 1-line block ×3, first 2 shown]
	v_lshrrev_b32_e32 v82, 28, v13
	s_delay_alu instid0(VALU_DEP_3)
	v_add3_u32 v61, v78, v61, v65
	v_mul_i32_i24_e32 v65, v0, v88
	v_mul_i32_i24_e32 v78, v86, v53
	v_add3_u32 v10, v10, v84, v83
	v_mul_i32_i24_e32 v83, v243, v110
	v_mul_i32_i24_e32 v84, v246, v116
	v_add3_u32 v65, v79, v65, v75
	v_mul_i32_i24_e32 v75, v89, v254
	v_ashrrev_i32_e32 v79, 24, v15
	v_mul_i32_i24_e32 v0, v0, v250
	v_add3_u32 v12, v12, v83, v84
	v_mul_i32_i24_e32 v83, v253, v239
	v_add3_u32 v75, v80, v75, v78
	v_bfe_i32 v78, v15, 0, 8
	v_mul_i32_i24_e32 v81, v79, v62
	v_mul_i32_i24_e32 v88, v79, v82
	v_add3_u32 v1, v1, v51, v83
	v_mul_i32_i24_e32 v51, v141, v249
	v_mul_i32_i24_e32 v80, v78, v54
	s_delay_alu instid0(VALU_DEP_2) | instskip(NEXT) | instid1(VALU_DEP_2)
	v_add3_u32 v0, v55, v0, v51
	v_add3_u32 v80, v87, v81, v80
	v_bfe_u32 v81, v13, 4, 4
	v_mul_i32_i24_e32 v51, v144, v54
	v_mul_i32_i24_e32 v55, v139, v62
	s_delay_alu instid0(VALU_DEP_3) | instskip(NEXT) | instid1(VALU_DEP_2)
	v_mul_i32_i24_e32 v87, v78, v81
	v_add3_u32 v51, v61, v55, v51
	v_mul_i32_i24_e32 v55, v144, v81
	v_mul_i32_i24_e32 v61, v139, v82
	s_delay_alu instid0(VALU_DEP_4)
	v_add3_u32 v2, v2, v88, v87
	v_mul_i32_i24_e32 v87, v90, v254
	v_mul_i32_i24_e32 v88, v66, v53
	;; [unrolled: 1-line block ×3, first 2 shown]
	v_add3_u32 v55, v65, v61, v55
	v_mul_i32_i24_e32 v61, v85, v250
	v_mul_i32_i24_e32 v65, v5, v249
	v_add3_u32 v3, v3, v87, v88
	v_mul_i32_i24_e32 v87, v91, v56
	v_mul_i32_i24_e32 v5, v5, v240
	s_delay_alu instid0(VALU_DEP_4)
	v_add3_u32 v61, v75, v61, v65
	v_mul_i32_i24_e32 v65, v89, v251
	v_mul_i32_i24_e32 v75, v86, v57
	v_add3_u32 v34, v41, v87, v34
	v_bfe_i32 v41, v18, 0, 8
	v_ashrrev_i32_e32 v87, 24, v18
	s_delay_alu instid0(VALU_DEP_4)
	v_add3_u32 v42, v42, v65, v75
	v_bfe_u32 v65, v11, 20, 4
	v_bfe_u32 v11, v11, 12, 4
	v_bfe_i32 v75, v15, 8, 8
	v_bfe_i32 v15, v15, 16, 8
	v_mul_i32_i24_e32 v88, v41, v54
	v_mul_i32_i24_e32 v91, v87, v62
	;; [unrolled: 1-line block ×5, first 2 shown]
	s_delay_alu instid0(VALU_DEP_4) | instskip(SKIP_1) | instid1(VALU_DEP_3)
	v_add3_u32 v88, v112, v91, v88
	v_mul_i32_i24_e32 v91, v41, v81
	v_add3_u32 v80, v80, v83, v84
	v_bfe_u32 v83, v13, 12, 4
	v_bfe_u32 v13, v13, 20, 4
	s_delay_alu instid0(VALU_DEP_4) | instskip(SKIP_4) | instid1(VALU_DEP_3)
	v_add3_u32 v67, v67, v105, v91
	v_mul_i32_i24_e32 v91, v95, v254
	v_mul_i32_i24_e32 v105, v92, v53
	;; [unrolled: 1-line block ×4, first 2 shown]
	v_add3_u32 v68, v68, v91, v105
	v_mul_i32_i24_e32 v91, v93, v56
	s_delay_alu instid0(VALU_DEP_3)
	v_add3_u32 v2, v2, v84, v86
	v_mul_i32_i24_e32 v84, v52, v250
	v_mul_i32_i24_e32 v86, v7, v249
	;; [unrolled: 1-line block ×3, first 2 shown]
	v_add3_u32 v40, v50, v91, v40
	v_bfe_i32 v50, v20, 0, 8
	v_ashrrev_i32_e32 v91, 24, v20
	v_add3_u32 v3, v3, v84, v86
	v_mul_i32_i24_e32 v84, v90, v251
	v_mul_i32_i24_e32 v7, v7, v240
	;; [unrolled: 1-line block ×4, first 2 shown]
	s_delay_alu instid0(VALU_DEP_4) | instskip(SKIP_2) | instid1(VALU_DEP_4)
	v_add3_u32 v34, v34, v84, v66
	v_bfe_i32 v66, v18, 8, 8
	v_bfe_i32 v18, v18, 16, 8
	v_add3_u32 v69, v69, v105, v93
	v_mul_i32_i24_e32 v93, v50, v81
	v_mul_i32_i24_e32 v105, v91, v82
	;; [unrolled: 1-line block ×4, first 2 shown]
	v_add3_u32 v7, v34, v52, v7
	v_bfe_i32 v34, v6, 0, 8
	v_add3_u32 v70, v70, v105, v93
	v_mul_i32_i24_e32 v93, v96, v254
	v_add3_u32 v84, v88, v84, v86
	v_mul_i32_i24_e32 v86, v66, v83
	v_mul_i32_i24_e32 v88, v18, v13
	;; [unrolled: 1-line block ×4, first 2 shown]
	v_bfe_i32 v52, v6, 8, 8
	s_delay_alu instid0(VALU_DEP_4)
	v_add3_u32 v67, v67, v86, v88
	v_mul_i32_i24_e32 v86, v59, v250
	v_mul_i32_i24_e32 v88, v9, v249
	v_add3_u32 v71, v71, v93, v105
	v_mul_i32_i24_e32 v93, v94, v56
	v_mul_i32_i24_e32 v59, v59, v239
	;; [unrolled: 1-line block ×3, first 2 shown]
	v_add3_u32 v68, v68, v86, v88
	v_mul_i32_i24_e32 v86, v95, v251
	v_mul_i32_i24_e32 v88, v92, v57
	v_add3_u32 v36, v39, v93, v36
	v_bfe_i32 v39, v22, 0, 8
	v_ashrrev_i32_e32 v93, 24, v22
	v_mul_i32_i24_e32 v92, v30, v249
	v_add3_u32 v40, v40, v86, v88
	v_bfe_i32 v86, v20, 8, 8
	v_bfe_i32 v20, v20, 16, 8
	v_mul_i32_i24_e32 v94, v39, v54
	v_mul_i32_i24_e32 v105, v93, v62
	v_add3_u32 v9, v40, v59, v9
	v_mul_i32_i24_e32 v88, v86, v11
	v_mul_i32_i24_e32 v89, v20, v65
	v_bfe_i32 v40, v8, 0, 8
	v_add3_u32 v72, v72, v105, v94
	v_mul_i32_i24_e32 v94, v39, v81
	v_mul_i32_i24_e32 v105, v93, v82
	v_add3_u32 v69, v69, v88, v89
	v_mul_i32_i24_e32 v88, v86, v83
	v_mul_i32_i24_e32 v89, v20, v13
	v_bfe_i32 v59, v8, 8, 8
	v_add3_u32 v73, v73, v105, v94
	v_mul_i32_i24_e32 v94, v100, v254
	v_mul_i32_i24_e32 v105, v46, v53
	v_add3_u32 v70, v70, v88, v89
	v_mul_i32_i24_e32 v88, v63, v250
	v_mul_i32_i24_e32 v89, v17, v249
	;; [unrolled: 1-line block ×3, first 2 shown]
	v_add3_u32 v74, v74, v94, v105
	v_mul_i32_i24_e32 v94, v99, v56
	v_mul_i32_i24_e32 v56, v108, v56
	v_add3_u32 v71, v71, v88, v89
	v_mul_i32_i24_e32 v88, v96, v251
	v_mul_i32_i24_e32 v53, v76, v53
	v_add3_u32 v35, v35, v94, v38
	v_bfe_i32 v38, v24, 0, 8
	v_ashrrev_i32_e32 v94, 24, v24
	v_add3_u32 v36, v36, v88, v48
	v_bfe_i32 v48, v22, 8, 8
	v_bfe_i32 v22, v22, 16, 8
	v_mul_i32_i24_e32 v99, v38, v54
	v_mul_i32_i24_e32 v105, v94, v62
	v_add3_u32 v32, v37, v56, v32
	v_mul_i32_i24_e32 v88, v48, v11
	v_mul_i32_i24_e32 v89, v22, v65
	v_bfe_i32 v37, v26, 0, 8
	v_add3_u32 v98, v98, v105, v99
	v_mul_i32_i24_e32 v99, v38, v81
	v_mul_i32_i24_e32 v105, v94, v82
	v_add3_u32 v72, v72, v88, v89
	v_mul_i32_i24_e32 v88, v48, v83
	v_mul_i32_i24_e32 v89, v22, v13
	v_ashrrev_i32_e32 v56, 24, v26
	v_add3_u32 v99, v101, v105, v99
	v_mul_i32_i24_e32 v101, v107, v254
	v_mul_i32_i24_e32 v57, v76, v57
	v_add3_u32 v73, v73, v88, v89
	v_mul_i32_i24_e32 v88, v97, v250
	v_mul_i32_i24_e32 v89, v28, v249
	;; [unrolled: 1-line block ×3, first 2 shown]
	v_add3_u32 v53, v102, v101, v53
	v_mul_i32_i24_e32 v101, v37, v54
	v_mul_i32_i24_e32 v102, v56, v62
	v_add3_u32 v74, v74, v88, v89
	v_mul_i32_i24_e32 v88, v100, v251
	v_add3_u32 v32, v32, v76, v57
	v_bfe_i32 v57, v26, 8, 8
	v_bfe_i32 v26, v26, 16, 8
	v_add3_u32 v101, v103, v102, v101
	v_add3_u32 v35, v35, v88, v46
	v_bfe_i32 v46, v24, 8, 8
	v_bfe_i32 v24, v24, 16, 8
	v_mul_i32_i24_e32 v102, v37, v81
	v_mul_i32_i24_e32 v103, v56, v82
	;; [unrolled: 1-line block ×6, first 2 shown]
	v_add3_u32 v102, v104, v103, v102
	v_mul_i32_i24_e32 v54, v233, v54
	v_mul_i32_i24_e32 v62, v229, v62
	v_add3_u32 v88, v98, v88, v89
	v_mul_i32_i24_e32 v89, v46, v83
	v_mul_i32_i24_e32 v63, v63, v239
	;; [unrolled: 1-line block ×5, first 2 shown]
	v_add3_u32 v89, v99, v89, v90
	v_mul_i32_i24_e32 v90, v44, v250
	v_add3_u32 v17, v36, v63, v17
	v_bfe_i32 v36, v16, 0, 8
	v_bfe_i32 v63, v16, 8, 8
	v_mul_i32_i24_e32 v44, v44, v239
	v_add3_u32 v53, v53, v90, v92
	v_mul_i32_i24_e32 v90, v26, v65
	v_mul_i32_i24_e32 v92, v26, v13
	s_delay_alu instid0(VALU_DEP_4) | instskip(SKIP_1) | instid1(VALU_DEP_4)
	v_add3_u32 v30, v32, v44, v30
	v_bfe_i32 v32, v29, 0, 8
	v_add3_u32 v76, v101, v76, v90
	v_mul_i32_i24_e32 v90, v57, v83
	v_bfe_i32 v44, v29, 8, 8
	s_delay_alu instid0(VALU_DEP_2) | instskip(SKIP_2) | instid1(VALU_DEP_2)
	v_add3_u32 v90, v102, v90, v92
	v_mul_i32_i24_e32 v92, v47, v11
	v_mul_i32_i24_e32 v11, v49, v11
	v_add3_u32 v10, v10, v54, v92
	v_mul_i32_i24_e32 v54, v233, v81
	v_mul_i32_i24_e32 v81, v47, v83
	;; [unrolled: 1-line block ×3, first 2 shown]
	s_delay_alu instid0(VALU_DEP_2) | instskip(SKIP_2) | instid1(VALU_DEP_1)
	v_add3_u32 v12, v12, v54, v81
	v_mul_i32_i24_e32 v54, v246, v251
	v_mul_i32_i24_e32 v81, v243, v240
	v_add3_u32 v1, v1, v81, v54
	v_mul_i32_i24_e32 v54, v144, v235
	v_mul_i32_i24_e32 v81, v139, v234
	s_delay_alu instid0(VALU_DEP_1) | instskip(SKIP_2) | instid1(VALU_DEP_2)
	v_add3_u32 v0, v0, v81, v54
	v_mul_i32_i24_e32 v54, v252, v65
	v_mul_i32_i24_e32 v65, v58, v65
	v_add3_u32 v11, v51, v11, v54
	v_mul_i32_i24_e32 v54, v252, v13
	s_delay_alu instid0(VALU_DEP_3)
	v_add3_u32 v10, v10, v65, v62
	v_mul_i32_i24_e32 v13, v58, v13
	v_mul_i32_i24_e32 v62, v229, v82
	;; [unrolled: 1-line block ×6, first 2 shown]
	v_add3_u32 v12, v12, v13, v62
	v_mul_i32_i24_e32 v13, v233, v247
	v_add3_u32 v51, v55, v51, v54
	v_mul_i32_i24_e32 v54, v78, v235
	v_mul_i32_i24_e32 v55, v79, v234
	v_cvt_f32_i32_e32 v10, v10
	v_add3_u32 v1, v1, v13, v47
	v_mul_i32_i24_e32 v13, v252, v230
	v_mul_i32_i24_e32 v47, v49, v45
	v_add3_u32 v54, v61, v55, v54
	v_mul_i32_i24_e32 v55, v85, v239
	v_mul_i32_i24_e32 v49, v75, v45
	v_cvt_f32_i32_e32 v12, v12
	v_add3_u32 v0, v0, v47, v13
	v_mul_i32_i24_e32 v13, v242, v221
	v_mul_i32_i24_e32 v47, v33, v222
	v_add3_u32 v5, v42, v55, v5
	v_bfe_i32 v42, v4, 0, 8
	v_bfe_i32 v55, v4, 8, 8
	s_delay_alu instid0(VALU_DEP_4)
	v_add3_u32 v11, v11, v13, v47
	v_mul_i32_i24_e32 v13, v242, v224
	v_mul_i32_i24_e32 v47, v33, v225
	;; [unrolled: 1-line block ×5, first 2 shown]
	s_delay_alu instid0(VALU_DEP_4)
	v_add3_u32 v13, v51, v13, v47
	v_mul_i32_i24_e32 v47, v15, v230
	v_mul_i32_i24_e32 v51, v79, v245
	v_add3_u32 v61, v80, v61, v81
	v_mul_i32_i24_e32 v80, v42, v224
	v_mul_i32_i24_e32 v81, v55, v225
	;; [unrolled: 3-line block ×3, first 2 shown]
	s_delay_alu instid0(VALU_DEP_4) | instskip(SKIP_1) | instid1(VALU_DEP_4)
	v_add3_u32 v2, v2, v80, v81
	v_mul_i32_i24_e32 v80, v41, v235
	v_add3_u32 v5, v5, v51, v49
	v_bfe_i32 v49, v4, 16, 8
	v_ashrrev_i32_e32 v4, 24, v4
	v_mul_i32_i24_e32 v81, v87, v234
	v_mul_i32_i24_e32 v41, v41, v247
	s_delay_alu instid0(VALU_DEP_4) | instskip(NEXT) | instid1(VALU_DEP_4)
	v_mul_i32_i24_e32 v51, v49, v217
	v_mul_i32_i24_e32 v54, v4, v218
	s_delay_alu instid0(VALU_DEP_4) | instskip(SKIP_2) | instid1(VALU_DEP_4)
	v_add3_u32 v3, v3, v81, v80
	v_mul_i32_i24_e32 v80, v34, v221
	v_mul_i32_i24_e32 v81, v52, v222
	v_add3_u32 v51, v61, v51, v54
	v_mul_i32_i24_e32 v54, v49, v219
	v_mul_i32_i24_e32 v61, v4, v220
	s_delay_alu instid0(VALU_DEP_4) | instskip(SKIP_1) | instid1(VALU_DEP_3)
	v_add3_u32 v80, v84, v80, v81
	v_mul_i32_i24_e32 v81, v34, v224
	v_add3_u32 v2, v2, v54, v61
	v_mul_i32_i24_e32 v54, v18, v230
	v_mul_i32_i24_e32 v61, v66, v45
	s_delay_alu instid0(VALU_DEP_4)
	v_add3_u32 v67, v67, v81, v83
	v_mul_i32_i24_e32 v81, v50, v235
	v_mul_i32_i24_e32 v83, v91, v234
	;; [unrolled: 1-line block ×3, first 2 shown]
	v_add3_u32 v3, v3, v61, v54
	v_mul_i32_i24_e32 v54, v87, v245
	v_cvt_f32_i32_e32 v2, v2
	v_add3_u32 v68, v68, v83, v81
	v_mul_i32_i24_e32 v81, v40, v221
	v_mul_i32_i24_e32 v83, v59, v222
	v_add3_u32 v7, v7, v54, v41
	v_bfe_i32 v41, v6, 16, 8
	v_ashrrev_i32_e32 v6, 24, v6
	s_delay_alu instid0(VALU_DEP_4) | instskip(SKIP_1) | instid1(VALU_DEP_4)
	v_add3_u32 v69, v69, v81, v83
	v_mul_i32_i24_e32 v81, v40, v224
	v_mul_i32_i24_e32 v54, v41, v217
	s_delay_alu instid0(VALU_DEP_4) | instskip(SKIP_2) | instid1(VALU_DEP_3)
	v_mul_i32_i24_e32 v61, v6, v218
	v_mul_i32_i24_e32 v62, v6, v220
	;; [unrolled: 1-line block ×3, first 2 shown]
	v_add3_u32 v54, v80, v54, v61
	v_mul_i32_i24_e32 v61, v41, v219
	s_delay_alu instid0(VALU_DEP_3)
	v_add3_u32 v70, v70, v81, v83
	v_mul_i32_i24_e32 v81, v39, v235
	v_mul_i32_i24_e32 v83, v93, v234
	;; [unrolled: 1-line block ×3, first 2 shown]
	v_add3_u32 v61, v67, v61, v62
	v_mul_i32_i24_e32 v62, v20, v230
	s_delay_alu instid0(VALU_DEP_4) | instskip(SKIP_2) | instid1(VALU_DEP_4)
	v_add3_u32 v71, v71, v83, v81
	v_mul_i32_i24_e32 v81, v36, v221
	v_mul_i32_i24_e32 v83, v63, v222
	v_add3_u32 v62, v68, v65, v62
	v_mul_i32_i24_e32 v65, v91, v245
	s_delay_alu instid0(VALU_DEP_3) | instskip(SKIP_1) | instid1(VALU_DEP_3)
	v_add3_u32 v72, v72, v81, v83
	v_mul_i32_i24_e32 v81, v36, v224
	v_add3_u32 v9, v9, v65, v50
	v_bfe_i32 v50, v8, 16, 8
	v_ashrrev_i32_e32 v8, 24, v8
	v_mul_i32_i24_e32 v83, v63, v225
	s_delay_alu instid0(VALU_DEP_3) | instskip(NEXT) | instid1(VALU_DEP_3)
	v_mul_i32_i24_e32 v65, v50, v217
	v_mul_i32_i24_e32 v67, v8, v218
	;; [unrolled: 1-line block ×3, first 2 shown]
	s_delay_alu instid0(VALU_DEP_4)
	v_add3_u32 v73, v73, v81, v83
	v_mul_i32_i24_e32 v81, v38, v235
	v_mul_i32_i24_e32 v83, v94, v234
	v_add3_u32 v65, v69, v65, v67
	v_mul_i32_i24_e32 v67, v50, v219
	v_mul_i32_i24_e32 v69, v48, v45
	;; [unrolled: 1-line block ×3, first 2 shown]
	v_add3_u32 v74, v74, v83, v81
	v_mul_i32_i24_e32 v81, v97, v239
	v_add3_u32 v67, v70, v67, v68
	v_mul_i32_i24_e32 v68, v22, v230
	s_delay_alu instid0(VALU_DEP_3) | instskip(SKIP_1) | instid1(VALU_DEP_3)
	v_add3_u32 v28, v35, v81, v28
	v_bfe_i32 v35, v27, 0, 8
	v_add3_u32 v68, v71, v69, v68
	v_mul_i32_i24_e32 v69, v93, v245
	v_bfe_i32 v81, v27, 8, 8
	s_delay_alu instid0(VALU_DEP_4) | instskip(NEXT) | instid1(VALU_DEP_3)
	v_mul_i32_i24_e32 v83, v35, v221
	v_add3_u32 v17, v17, v69, v39
	v_bfe_i32 v39, v16, 16, 8
	v_ashrrev_i32_e32 v16, 24, v16
	v_mul_i32_i24_e32 v84, v81, v222
	v_mul_i32_i24_e32 v85, v81, v225
	s_delay_alu instid0(VALU_DEP_4) | instskip(NEXT) | instid1(VALU_DEP_4)
	v_mul_i32_i24_e32 v69, v39, v217
	v_mul_i32_i24_e32 v70, v16, v218
	;; [unrolled: 1-line block ×3, first 2 shown]
	v_add3_u32 v83, v88, v83, v84
	v_mul_i32_i24_e32 v84, v35, v224
	v_mul_i32_i24_e32 v88, v56, v234
	v_add3_u32 v69, v72, v69, v70
	v_mul_i32_i24_e32 v70, v39, v219
	v_mul_i32_i24_e32 v72, v46, v45
	;; [unrolled: 3-line block ×5, first 2 shown]
	v_add3_u32 v71, v74, v72, v71
	v_mul_i32_i24_e32 v72, v94, v245
	s_delay_alu instid0(VALU_DEP_3) | instskip(SKIP_1) | instid1(VALU_DEP_3)
	v_add3_u32 v76, v76, v85, v88
	v_mul_i32_i24_e32 v85, v32, v224
	v_add3_u32 v28, v28, v72, v38
	v_bfe_i32 v38, v27, 16, 8
	v_ashrrev_i32_e32 v27, 24, v27
	v_mul_i32_i24_e32 v88, v44, v225
	s_delay_alu instid0(VALU_DEP_3) | instskip(NEXT) | instid1(VALU_DEP_3)
	v_mul_i32_i24_e32 v72, v38, v217
	v_mul_i32_i24_e32 v73, v27, v218
	;; [unrolled: 1-line block ×3, first 2 shown]
	s_delay_alu instid0(VALU_DEP_4) | instskip(NEXT) | instid1(VALU_DEP_3)
	v_add3_u32 v85, v90, v85, v88
	v_add3_u32 v72, v83, v72, v73
	v_mul_i32_i24_e32 v73, v38, v219
	s_delay_alu instid0(VALU_DEP_1) | instskip(SKIP_1) | instid1(VALU_DEP_1)
	v_add3_u32 v73, v84, v73, v74
	v_mul_i32_i24_e32 v74, v26, v230
	v_add3_u32 v45, v53, v45, v74
	v_mul_i32_i24_e32 v53, v56, v245
	s_delay_alu instid0(VALU_DEP_1) | instskip(SKIP_2) | instid1(VALU_DEP_2)
	v_add3_u32 v30, v30, v53, v37
	v_bfe_i32 v37, v29, 16, 8
	v_ashrrev_i32_e32 v29, 24, v29
	v_mul_i32_i24_e32 v53, v37, v217
	s_delay_alu instid0(VALU_DEP_2) | instskip(SKIP_1) | instid1(VALU_DEP_2)
	v_mul_i32_i24_e32 v56, v29, v218
	v_mul_i32_i24_e32 v74, v29, v220
	v_add3_u32 v53, v76, v53, v56
	v_mul_i32_i24_e32 v56, v37, v219
	s_delay_alu instid0(VALU_DEP_1) | instskip(SKIP_1) | instid1(VALU_DEP_1)
	v_add3_u32 v56, v85, v56, v74
	v_mul_i32_i24_e32 v74, v229, v245
	v_add3_u32 v1, v1, v58, v74
	v_mul_i32_i24_e32 v58, v242, v198
	s_delay_alu instid0(VALU_DEP_2) | instskip(NEXT) | instid1(VALU_DEP_2)
	v_cvt_f32_i32_e32 v1, v1
	v_add3_u32 v0, v0, v58, v33
	v_mul_i32_i24_e32 v33, v60, v217
	v_mul_i32_i24_e32 v58, v237, v218
	s_delay_alu instid0(VALU_DEP_1) | instskip(SKIP_2) | instid1(VALU_DEP_1)
	v_add3_u32 v11, v11, v33, v58
	v_mul_i32_i24_e32 v33, v60, v219
	v_mul_i32_i24_e32 v58, v237, v220
	v_add3_u32 v13, v13, v33, v58
	v_mul_i32_i24_e32 v33, v198, v42
	v_mul_i32_i24_e32 v58, v25, v55
	s_delay_alu instid0(VALU_DEP_1)
	v_add3_u32 v33, v47, v33, v58
	v_mul_i32_i24_e32 v47, v75, v43
	scratch_load_b32 v58, off, off offset:64 th:TH_LOAD_LU ; 4-byte Folded Reload
	v_add3_u32 v5, v5, v47, v15
	v_mul_i32_i24_e32 v15, v198, v34
	v_mul_i32_i24_e32 v47, v25, v52
	s_delay_alu instid0(VALU_DEP_1) | instskip(SKIP_2) | instid1(VALU_DEP_1)
	v_add3_u32 v3, v3, v15, v47
	v_mul_i32_i24_e32 v15, v18, v64
	v_mul_i32_i24_e32 v18, v66, v43
	v_add3_u32 v7, v7, v18, v15
	v_mul_i32_i24_e32 v15, v198, v40
	v_mul_i32_i24_e32 v18, v25, v59
	s_delay_alu instid0(VALU_DEP_1) | instskip(SKIP_2) | instid1(VALU_DEP_1)
	v_add3_u32 v15, v62, v15, v18
	v_mul_i32_i24_e32 v18, v20, v64
	v_mul_i32_i24_e32 v20, v86, v43
	v_add3_u32 v9, v9, v20, v18
	v_mul_i32_i24_e32 v18, v198, v36
	v_mul_i32_i24_e32 v20, v25, v63
	s_delay_alu instid0(VALU_DEP_1)
	v_add3_u32 v18, v68, v18, v20
	v_mul_i32_i24_e32 v20, v22, v64
	v_mul_i32_i24_e32 v22, v48, v43
	scratch_load_b32 v68, off, off offset:80 th:TH_LOAD_LU ; 4-byte Folded Reload
	v_add3_u32 v17, v17, v22, v20
	v_mul_i32_i24_e32 v20, v198, v35
	v_mul_i32_i24_e32 v22, v25, v81
	;; [unrolled: 1-line block ×3, first 2 shown]
	s_delay_alu instid0(VALU_DEP_2) | instskip(SKIP_2) | instid1(VALU_DEP_1)
	v_add3_u32 v20, v71, v20, v22
	v_mul_i32_i24_e32 v22, v24, v64
	v_mul_i32_i24_e32 v24, v46, v43
	v_add3_u32 v22, v28, v24, v22
	v_mul_i32_i24_e32 v24, v198, v32
	v_mul_i32_i24_e32 v28, v237, v197
	s_delay_alu instid0(VALU_DEP_2)
	v_add3_u32 v24, v45, v24, v25
	v_mul_i32_i24_e32 v25, v26, v64
	v_mul_i32_i24_e32 v26, v57, v43
	s_clause 0x2
	scratch_load_b32 v64, off, off offset:76 th:TH_LOAD_LU
	scratch_load_b32 v57, off, off offset:52 th:TH_LOAD_LU
	;; [unrolled: 1-line block ×3, first 2 shown]
	v_add3_u32 v25, v30, v26, v25
	v_mul_i32_i24_e32 v26, v60, v196
	v_mul_i32_i24_e32 v30, v23, v55
	scratch_load_b32 v60, off, off offset:72 th:TH_LOAD_LU ; 4-byte Folded Reload
	v_add3_u32 v0, v0, v26, v28
	v_mul_i32_i24_e32 v26, v196, v49
	v_mul_i32_i24_e32 v28, v197, v4
	;; [unrolled: 1-line block ×3, first 2 shown]
	s_delay_alu instid0(VALU_DEP_4) | instskip(NEXT) | instid1(VALU_DEP_3)
	v_cvt_f32_i32_e32 v0, v0
	v_add3_u32 v26, v33, v26, v28
	v_mul_i32_i24_e32 v28, v21, v42
	scratch_load_b32 v42, off, off offset:36 th:TH_LOAD_LU ; 4-byte Folded Reload
	v_add3_u32 v5, v5, v28, v30
	v_mul_i32_i24_e32 v28, v196, v41
	v_mul_i32_i24_e32 v30, v197, v6
	;; [unrolled: 1-line block ×3, first 2 shown]
	s_delay_alu instid0(VALU_DEP_2) | instskip(SKIP_2) | instid1(VALU_DEP_1)
	v_add3_u32 v3, v3, v28, v30
	v_mul_i32_i24_e32 v28, v21, v34
	v_mul_i32_i24_e32 v30, v23, v52
	v_add3_u32 v7, v7, v28, v30
	v_mul_i32_i24_e32 v28, v196, v50
	v_mul_i32_i24_e32 v30, v197, v8
	s_delay_alu instid0(VALU_DEP_1)
	v_add3_u32 v15, v15, v28, v30
	v_mul_i32_i24_e32 v28, v21, v40
	v_mul_i32_i24_e32 v30, v23, v59
	scratch_load_b32 v59, off, off offset:68 th:TH_LOAD_LU ; 4-byte Folded Reload
	v_add3_u32 v9, v9, v28, v30
	v_mul_i32_i24_e32 v28, v196, v39
	v_mul_i32_i24_e32 v30, v197, v16
	s_delay_alu instid0(VALU_DEP_1)
	v_add3_u32 v18, v18, v28, v30
	v_mul_i32_i24_e32 v28, v21, v36
	v_mul_i32_i24_e32 v30, v23, v63
	s_clause 0x1
	scratch_load_b32 v36, off, off offset:12 th:TH_LOAD_LU
	scratch_load_b32 v40, off, off offset:4 th:TH_LOAD_LU
	v_add3_u32 v17, v17, v28, v30
	v_mul_i32_i24_e32 v28, v196, v38
	v_mul_i32_i24_e32 v30, v197, v27
	s_delay_alu instid0(VALU_DEP_1)
	v_add3_u32 v20, v20, v28, v30
	v_mul_i32_i24_e32 v28, v21, v35
	v_mul_i32_i24_e32 v30, v23, v81
	;; [unrolled: 1-line block ×4, first 2 shown]
	s_clause 0x2
	scratch_load_b32 v35, off, off th:TH_LOAD_LU
	scratch_load_b32 v44, off, off offset:32 th:TH_LOAD_LU
	scratch_load_b32 v46, off, off offset:28 th:TH_LOAD_LU
	v_add3_u32 v22, v22, v28, v30
	v_mul_i32_i24_e32 v28, v196, v37
	v_add3_u32 v21, v25, v21, v23
	v_mul_i32_i24_e32 v23, v14, v49
	s_clause 0x1
	scratch_load_b32 v49, off, off offset:48 th:TH_LOAD_LU
	scratch_load_b32 v55, off, off offset:40 th:TH_LOAD_LU
	v_mul_i32_i24_e32 v30, v197, v29
	v_add3_u32 v4, v5, v23, v4
	v_mul_i32_i24_e32 v5, v14, v41
	s_delay_alu instid0(VALU_DEP_3) | instskip(NEXT) | instid1(VALU_DEP_2)
	v_add3_u32 v24, v24, v28, v30
	v_add3_u32 v5, v7, v5, v6
	v_mul_i32_i24_e32 v6, v14, v50
	v_mul_i32_i24_e32 v7, v19, v8
	;; [unrolled: 1-line block ×3, first 2 shown]
	s_delay_alu instid0(VALU_DEP_2)
	v_add3_u32 v6, v9, v6, v7
	v_mul_i32_i24_e32 v7, v14, v39
	v_mul_i32_i24_e32 v9, v19, v27
	scratch_load_b32 v39, off, off offset:24 th:TH_LOAD_LU ; 4-byte Folded Reload
	v_add3_u32 v7, v17, v7, v8
	v_mul_i32_i24_e32 v8, v14, v38
	scratch_load_b32 v38, off, off offset:20 th:TH_LOAD_LU ; 4-byte Folded Reload
	v_add3_u32 v8, v22, v8, v9
	v_mul_i32_i24_e32 v9, v14, v37
	s_clause 0x3
	scratch_load_b32 v37, off, off offset:16 th:TH_LOAD_LU
	scratch_load_b32 v41, off, off offset:8 th:TH_LOAD_LU
	;; [unrolled: 1-line block ×4, first 2 shown]
	v_mul_i32_i24_e32 v14, v19, v29
	s_delay_alu instid0(VALU_DEP_1) | instskip(SKIP_2) | instid1(VALU_DEP_1)
	v_add3_u32 v9, v21, v9, v14
	v_cvt_f32_i32_e32 v14, v31
	s_wait_loadcnt 0x1
	v_fma_mix_f32 v14, v16, v14, v16 op_sel:[0,0,1] op_sel_hi:[1,0,1]
	v_cvt_f32_i32_e32 v16, v77
	s_delay_alu instid0(VALU_DEP_2) | instskip(SKIP_3) | instid1(VALU_DEP_1)
	v_add_f32_e32 v57, v57, v14
	scratch_load_b32 v14, off, off offset:188 th:TH_LOAD_LU ; 4-byte Folded Reload
	s_wait_loadcnt 0x1
	v_fma_mix_f32 v16, v17, v16, v17 op_sel:[0,0,1] op_sel_hi:[1,0,1]
	v_add_f32_e32 v68, v68, v16
	scratch_load_b32 v16, off, off offset:200 th:TH_LOAD_LU ; 4-byte Folded Reload
	s_wait_loadcnt 0x1
	v_fma_mix_f32 v10, v14, v10, v14 op_sel:[0,0,1] op_sel_hi:[1,0,1]
	scratch_load_b32 v14, off, off offset:184 th:TH_LOAD_LU ; 4-byte Folded Reload
	s_wait_loadcnt 0x0
	v_fma_mix_f32 v12, v14, v12, v14 op_sel:[0,0,1] op_sel_hi:[1,0,1]
	v_cvt_f32_i32_e32 v14, v51
	s_delay_alu instid0(VALU_DEP_1)
	v_fma_mix_f32 v14, v16, v14, v16 op_sel:[0,0,1] op_sel_hi:[1,0,1]
	scratch_load_b32 v16, off, off offset:192 th:TH_LOAD_LU ; 4-byte Folded Reload
	s_wait_loadcnt 0x0
	v_fma_mix_f32 v2, v16, v2, v16 op_sel:[0,0,1] op_sel_hi:[1,0,1]
	v_cvt_f32_i32_e32 v16, v54
	s_clause 0x3
	scratch_load_b32 v54, off, off offset:56 th:TH_LOAD_LU
	scratch_load_b32 v17, off, off offset:204 th:TH_LOAD_LU
	;; [unrolled: 1-line block ×4, first 2 shown]
	s_wait_loadcnt 0x3
	v_add_f32_e32 v54, v54, v2
	s_wait_loadcnt 0x2
	v_fma_mix_f32 v16, v17, v16, v17 op_sel:[0,0,1] op_sel_hi:[1,0,1]
	v_cvt_f32_i32_e32 v17, v61
	s_delay_alu instid0(VALU_DEP_2) | instskip(SKIP_1) | instid1(VALU_DEP_2)
	v_add_f32_e32 v124, v124, v16
	s_wait_loadcnt 0x1
	v_fma_mix_f32 v17, v19, v17, v19 op_sel:[0,0,1] op_sel_hi:[1,0,1]
	v_cvt_f32_i32_e32 v19, v65
	s_delay_alu instid0(VALU_DEP_2) | instskip(SKIP_1) | instid1(VALU_DEP_2)
	v_add_f32_e32 v137, v137, v17
	s_wait_loadcnt 0x0
	v_fma_mix_f32 v19, v21, v19, v21 op_sel:[0,0,1] op_sel_hi:[1,0,1]
	v_cvt_f32_i32_e32 v21, v67
	s_clause 0x1
	scratch_load_b32 v67, off, off offset:84 th:TH_LOAD_LU
	scratch_load_b32 v22, off, off offset:208 th:TH_LOAD_LU
	v_add_f32_e32 v161, v161, v19
	s_wait_loadcnt 0x0
	v_fma_mix_f32 v21, v22, v21, v22 op_sel:[0,0,1] op_sel_hi:[1,0,1]
	v_cvt_f32_i32_e32 v22, v69
	s_clause 0x1
	scratch_load_b32 v69, off, off offset:88 th:TH_LOAD_LU
	scratch_load_b32 v23, off, off offset:220 th:TH_LOAD_LU
	s_wait_loadcnt 0x1
	v_dual_add_f32 v160, v160, v21 :: v_dual_add_f32 v69, v69, v12
	s_wait_loadcnt 0x0
	v_fma_mix_f32 v22, v23, v22, v23 op_sel:[0,0,1] op_sel_hi:[1,0,1]
	v_cvt_f32_i32_e32 v23, v70
	s_clause 0x1
	scratch_load_b32 v70, off, off offset:92 th:TH_LOAD_LU
	scratch_load_b32 v25, off, off offset:212 th:TH_LOAD_LU
	v_add_f32_e32 v46, v46, v22
	s_wait_loadcnt 0x1
	v_add_f32_e32 v70, v70, v10
	s_wait_loadcnt 0x0
	v_fma_mix_f32 v23, v25, v23, v25 op_sel:[0,0,1] op_sel_hi:[1,0,1]
	v_cvt_f32_i32_e32 v25, v72
	s_clause 0x3
	scratch_load_b32 v72, off, off offset:96 th:TH_LOAD_LU
	scratch_load_b32 v27, off, off offset:236 th:TH_LOAD_LU
	scratch_load_b32 v28, off, off offset:240 th:TH_LOAD_LU
	scratch_load_b32 v29, off, off offset:224 th:TH_LOAD_LU
	v_add_f32_e32 v43, v43, v23
	s_wait_loadcnt 0x2
	v_fma_mix_f32 v25, v27, v25, v27 op_sel:[0,0,1] op_sel_hi:[1,0,1]
	v_cvt_f32_i32_e32 v27, v73
	s_delay_alu instid0(VALU_DEP_2) | instskip(SKIP_1) | instid1(VALU_DEP_2)
	v_add_f32_e32 v36, v36, v25
	s_wait_loadcnt 0x1
	v_fma_mix_f32 v27, v28, v27, v28 op_sel:[0,0,1] op_sel_hi:[1,0,1]
	v_cvt_f32_i32_e32 v28, v53
	s_delay_alu instid0(VALU_DEP_2) | instskip(SKIP_1) | instid1(VALU_DEP_2)
	v_add_f32_e32 v39, v39, v27
	s_wait_loadcnt 0x0
	v_fma_mix_f32 v28, v29, v28, v29 op_sel:[0,0,1] op_sel_hi:[1,0,1]
	v_cvt_f32_i32_e32 v29, v56
	s_clause 0x4
	scratch_load_b32 v56, off, off offset:60 th:TH_LOAD_LU
	scratch_load_b32 v30, off, off offset:228 th:TH_LOAD_LU
	;; [unrolled: 1-line block ×5, first 2 shown]
	v_add_f32_e32 v40, v40, v28
	s_wait_loadcnt 0x4
	v_add_f32_e32 v56, v56, v14
	scratch_load_b32 v14, off, off offset:108 th:TH_LOAD_LU ; 4-byte Folded Reload
	s_wait_loadcnt 0x3
	v_fma_mix_f32 v1, v10, v1, v10 op_sel:[0,0,1] op_sel_hi:[1,0,1]
	v_cvt_f32_i32_e32 v10, v11
	scratch_load_b32 v11, off, off offset:180 th:TH_LOAD_LU ; 4-byte Folded Reload
	v_fma_mix_f32 v29, v30, v29, v30 op_sel:[0,0,1] op_sel_hi:[1,0,1]
	v_add_f32_e32 v72, v72, v1
	scratch_load_b32 v1, off, off offset:148 th:TH_LOAD_LU ; 4-byte Folded Reload
	s_wait_loadcnt 0x2
	v_dual_add_f32 v35, v35, v29 :: v_dual_add_nc_u32 v14, 4, v14
	s_wait_loadcnt 0x0
	v_fma_mix_f32 v0, v1, v0, v1 op_sel:[0,0,1] op_sel_hi:[1,0,1]
	v_cvt_f32_i32_e32 v1, v26
	s_delay_alu instid0(VALU_DEP_2) | instskip(NEXT) | instid1(VALU_DEP_2)
	v_add_f32_e32 v67, v67, v0
	v_fma_mix_f32 v1, v2, v1, v2 op_sel:[0,0,1] op_sel_hi:[1,0,1]
	v_cvt_f32_i32_e32 v2, v3
	scratch_load_b32 v3, off, off offset:156 th:TH_LOAD_LU ; 4-byte Folded Reload
	v_fma_mix_f32 v10, v11, v10, v11 op_sel:[0,0,1] op_sel_hi:[1,0,1]
	v_cvt_f32_i32_e32 v11, v13
	v_add_f32_e32 v59, v59, v1
	v_cvt_f32_i32_e32 v0, v4
	s_delay_alu instid0(VALU_DEP_4) | instskip(NEXT) | instid1(VALU_DEP_4)
	v_add_f32_e32 v64, v64, v10
	v_fma_mix_f32 v11, v12, v11, v12 op_sel:[0,0,1] op_sel_hi:[1,0,1]
	s_delay_alu instid0(VALU_DEP_1)
	v_add_f32_e32 v60, v60, v11
	s_wait_loadcnt 0x0
	v_fma_mix_f32 v2, v3, v2, v3 op_sel:[0,0,1] op_sel_hi:[1,0,1]
	v_cvt_f32_i32_e32 v3, v15
	s_clause 0x5
	scratch_load_b32 v15, off, off offset:112 th:TH_LOAD_LU
	scratch_load_b32 v10, off, off offset:160 th:TH_LOAD_LU
	;; [unrolled: 1-line block ×6, first 2 shown]
	v_add_f32_e32 v138, v138, v2
	scratch_load_b32 v2, off, off offset:132 th:TH_LOAD_LU ; 4-byte Folded Reload
	s_wait_loadcnt 0x6
	v_add_nc_u32_e32 v15, 4, v15
	s_wait_loadcnt 0x5
	v_fma_mix_f32 v3, v10, v3, v10 op_sel:[0,0,1] op_sel_hi:[1,0,1]
	v_cvt_f32_i32_e32 v10, v18
	s_delay_alu instid0(VALU_DEP_2) | instskip(SKIP_1) | instid1(VALU_DEP_2)
	v_add_f32_e32 v136, v136, v3
	s_wait_loadcnt 0x4
	v_fma_mix_f32 v10, v11, v10, v11 op_sel:[0,0,1] op_sel_hi:[1,0,1]
	v_cvt_f32_i32_e32 v11, v20
	scratch_load_b32 v3, off, off offset:136 th:TH_LOAD_LU ; 4-byte Folded Reload
	v_add_f32_e32 v44, v44, v10
	s_wait_loadcnt 0x4
	v_fma_mix_f32 v11, v12, v11, v12 op_sel:[0,0,1] op_sel_hi:[1,0,1]
	v_cvt_f32_i32_e32 v12, v24
	s_delay_alu instid0(VALU_DEP_2) | instskip(SKIP_1) | instid1(VALU_DEP_2)
	v_add_f32_e32 v42, v42, v11
	s_wait_loadcnt 0x3
	v_fma_mix_f32 v12, v13, v12, v13 op_sel:[0,0,1] op_sel_hi:[1,0,1]
	scratch_load_b32 v11, off, off offset:104 th:TH_LOAD_LU ; 4-byte Folded Reload
	s_wait_loadcnt 0x3
	v_fma_mix_f32 v13, v1, v0, v1 op_sel:[0,0,1] op_sel_hi:[1,0,1]
	scratch_load_b32 v1, off, off offset:128 th:TH_LOAD_LU ; 4-byte Folded Reload
	v_cvt_f32_i32_e32 v0, v5
	v_add_f32_e32 v38, v38, v12
	s_wait_loadcnt 0x1
	v_dual_add_f32 v58, v58, v13 :: v_dual_add_nc_u32 v11, 4, v11
	s_wait_loadcnt 0x0
	v_fma_mix_f32 v0, v1, v0, v1 op_sel:[0,0,1] op_sel_hi:[1,0,1]
	v_cvt_f32_i32_e32 v1, v6
	s_delay_alu instid0(VALU_DEP_2) | instskip(NEXT) | instid1(VALU_DEP_2)
	v_add_f32_e32 v49, v49, v0
	v_fma_mix_f32 v1, v2, v1, v2 op_sel:[0,0,1] op_sel_hi:[1,0,1]
	v_cvt_f32_i32_e32 v2, v7
	s_delay_alu instid0(VALU_DEP_2) | instskip(NEXT) | instid1(VALU_DEP_2)
	v_add_f32_e32 v55, v55, v1
	v_fma_mix_f32 v4, v3, v2, v3 op_sel:[0,0,1] op_sel_hi:[1,0,1]
	scratch_load_b32 v3, off, off offset:144 th:TH_LOAD_LU ; 4-byte Folded Reload
	v_cvt_f32_i32_e32 v2, v8
	v_add_f32_e32 v162, v162, v4
	s_wait_loadcnt 0x0
	s_delay_alu instid0(VALU_DEP_2)
	v_fma_mix_f32 v5, v3, v2, v3 op_sel:[0,0,1] op_sel_hi:[1,0,1]
	v_cvt_f32_i32_e32 v2, v9
	s_clause 0x1
	scratch_load_b32 v9, off, off offset:100 th:TH_LOAD_LU
	scratch_load_b32 v3, off, off offset:140 th:TH_LOAD_LU
	v_add_f32_e32 v37, v37, v5
	s_wait_loadcnt 0x1
	v_add_nc_u32_e32 v9, 4, v9
	s_wait_loadcnt 0x0
	v_fma_mix_f32 v6, v3, v2, v3 op_sel:[0,0,1] op_sel_hi:[1,0,1]
	s_delay_alu instid0(VALU_DEP_1)
	v_add_f32_e32 v41, v41, v6
	s_cbranch_scc1 .LBB119_12
; %bb.13:                               ;   in Loop: Header=BB119_7 Depth=1
	s_wait_storecnt 0x0
	s_barrier_signal -1
	s_barrier_wait -1
	global_inv scope:SCOPE_SE
	s_branch .LBB119_5
.LBB119_14:
	s_clause 0x1
	scratch_load_b32 v1, off, off offset:500 th:TH_LOAD_LU
	scratch_load_b32 v2, off, off offset:244 th:TH_LOAD_LU
.LBB119_15:
	scratch_load_b32 v0, off, off offset:496 ; 4-byte Folded Reload
	s_mov_b32 s0, exec_lo
	s_wait_loadcnt 0x0
	v_cmpx_gt_u32_e64 s4, v0
	s_cbranch_execz .LBB119_66
; %bb.16:
	v_dual_mov_b32 v3, v0 :: v_dual_add_nc_u32 v0, s14, v2
	s_delay_alu instid0(VALU_DEP_1) | instskip(NEXT) | instid1(VALU_DEP_2)
	v_mul_lo_u32 v5, v3, s6
	v_cmp_gt_u32_e32 vcc_lo, s6, v0
	s_and_saveexec_b32 s1, vcc_lo
	s_cbranch_execz .LBB119_18
; %bb.17:
	s_delay_alu instid0(VALU_DEP_2) | instskip(NEXT) | instid1(VALU_DEP_1)
	v_dual_mov_b32 v3, 0 :: v_dual_add_nc_u32 v2, v0, v5
	v_lshlrev_b64_e32 v[2:3], 2, v[2:3]
	s_wait_kmcnt 0x0
	s_delay_alu instid0(VALU_DEP_1) | instskip(NEXT) | instid1(VALU_DEP_1)
	v_add_co_u32 v2, s0, s8, v2
	v_add_co_ci_u32_e64 v3, null, s9, v3, s0
	global_store_b32 v[2:3], v57, off
.LBB119_18:
	s_or_b32 exec_lo, exec_lo, s1
	v_add_nc_u32_e32 v2, 32, v0
	s_delay_alu instid0(VALU_DEP_1)
	v_cmp_gt_u32_e64 s0, s6, v2
	s_and_saveexec_b32 s2, s0
	s_cbranch_execz .LBB119_20
; %bb.19:
	v_dual_mov_b32 v4, 0 :: v_dual_add_nc_u32 v3, v2, v5
	s_delay_alu instid0(VALU_DEP_1) | instskip(SKIP_1) | instid1(VALU_DEP_1)
	v_lshlrev_b64_e32 v[3:4], 2, v[3:4]
	s_wait_kmcnt 0x0
	v_add_co_u32 v3, s1, s8, v3
	s_wait_alu 0xf1ff
	s_delay_alu instid0(VALU_DEP_2)
	v_add_co_ci_u32_e64 v4, null, s9, v4, s1
	global_store_b32 v[3:4], v72, off
.LBB119_20:
	s_wait_alu 0xfffe
	s_or_b32 exec_lo, exec_lo, s2
	v_add_nc_u32_e32 v3, 64, v0
	s_delay_alu instid0(VALU_DEP_1)
	v_cmp_gt_u32_e64 s1, s6, v3
	s_and_saveexec_b32 s3, s1
	s_cbranch_execz .LBB119_22
; %bb.21:
	v_dual_mov_b32 v7, 0 :: v_dual_add_nc_u32 v6, v3, v5
	s_delay_alu instid0(VALU_DEP_1) | instskip(SKIP_1) | instid1(VALU_DEP_1)
	v_lshlrev_b64_e32 v[6:7], 2, v[6:7]
	s_wait_kmcnt 0x0
	v_add_co_u32 v6, s2, s8, v6
	s_wait_alu 0xf1ff
	s_delay_alu instid0(VALU_DEP_2)
	v_add_co_ci_u32_e64 v7, null, s9, v7, s2
	global_store_b32 v[6:7], v70, off
.LBB119_22:
	s_wait_alu 0xfffe
	;; [unrolled: 18-line block ×3, first 2 shown]
	s_or_b32 exec_lo, exec_lo, s5
	v_add3_u32 v5, v1, s7, 8
	s_delay_alu instid0(VALU_DEP_1)
	v_cmp_gt_u32_e64 s3, s4, v5
	s_and_b32 exec_lo, exec_lo, s3
	s_cbranch_execz .LBB119_66
; %bb.25:
	v_mul_lo_u32 v5, v5, s6
	s_and_saveexec_b32 s5, vcc_lo
	s_cbranch_execnz .LBB119_67
; %bb.26:
	s_wait_alu 0xfffe
	s_or_b32 exec_lo, exec_lo, s5
	s_and_saveexec_b32 s5, s0
	s_cbranch_execnz .LBB119_68
.LBB119_27:
	s_wait_alu 0xfffe
	s_or_b32 exec_lo, exec_lo, s5
	s_and_saveexec_b32 s5, s1
	s_cbranch_execnz .LBB119_69
.LBB119_28:
	s_wait_alu 0xfffe
	s_or_b32 exec_lo, exec_lo, s5
	s_and_saveexec_b32 s5, s2
	s_cbranch_execz .LBB119_30
.LBB119_29:
	v_dual_mov_b32 v6, 0 :: v_dual_add_nc_u32 v5, v5, v4
	s_delay_alu instid0(VALU_DEP_1) | instskip(SKIP_1) | instid1(VALU_DEP_1)
	v_lshlrev_b64_e32 v[5:6], 2, v[5:6]
	s_wait_kmcnt 0x0
	v_add_co_u32 v5, s3, s8, v5
	s_wait_alu 0xf1ff
	s_delay_alu instid0(VALU_DEP_2)
	v_add_co_ci_u32_e64 v6, null, s9, v6, s3
	global_store_b32 v[5:6], v60, off
.LBB119_30:
	s_wait_alu 0xfffe
	s_or_b32 exec_lo, exec_lo, s5
	v_add3_u32 v5, v1, s7, 16
	s_delay_alu instid0(VALU_DEP_1)
	v_cmp_gt_u32_e64 s3, s4, v5
	s_and_b32 exec_lo, exec_lo, s3
	s_cbranch_execz .LBB119_66
; %bb.31:
	v_mul_lo_u32 v5, v5, s6
	s_and_saveexec_b32 s5, vcc_lo
	s_cbranch_execnz .LBB119_70
; %bb.32:
	s_wait_alu 0xfffe
	s_or_b32 exec_lo, exec_lo, s5
	s_and_saveexec_b32 s5, s0
	s_cbranch_execnz .LBB119_71
.LBB119_33:
	s_wait_alu 0xfffe
	s_or_b32 exec_lo, exec_lo, s5
	s_and_saveexec_b32 s5, s1
	s_cbranch_execnz .LBB119_72
.LBB119_34:
	s_wait_alu 0xfffe
	s_or_b32 exec_lo, exec_lo, s5
	s_and_saveexec_b32 s5, s2
	s_cbranch_execz .LBB119_36
.LBB119_35:
	v_dual_mov_b32 v6, 0 :: v_dual_add_nc_u32 v5, v5, v4
	s_delay_alu instid0(VALU_DEP_1) | instskip(SKIP_1) | instid1(VALU_DEP_1)
	v_lshlrev_b64_e32 v[5:6], 2, v[5:6]
	s_wait_kmcnt 0x0
	v_add_co_u32 v5, s3, s8, v5
	s_wait_alu 0xf1ff
	s_delay_alu instid0(VALU_DEP_2)
	v_add_co_ci_u32_e64 v6, null, s9, v6, s3
	global_store_b32 v[5:6], v54, off
.LBB119_36:
	s_wait_alu 0xfffe
	s_or_b32 exec_lo, exec_lo, s5
	v_add3_u32 v5, v1, s7, 24
	s_delay_alu instid0(VALU_DEP_1)
	v_cmp_gt_u32_e64 s3, s4, v5
	s_and_b32 exec_lo, exec_lo, s3
	s_cbranch_execz .LBB119_66
; %bb.37:
	v_mul_lo_u32 v5, v5, s6
	s_and_saveexec_b32 s5, vcc_lo
	s_cbranch_execnz .LBB119_73
; %bb.38:
	s_wait_alu 0xfffe
	s_or_b32 exec_lo, exec_lo, s5
	s_and_saveexec_b32 s5, s0
	s_cbranch_execnz .LBB119_74
.LBB119_39:
	s_wait_alu 0xfffe
	s_or_b32 exec_lo, exec_lo, s5
	s_and_saveexec_b32 s5, s1
	s_cbranch_execnz .LBB119_75
.LBB119_40:
	s_wait_alu 0xfffe
	s_or_b32 exec_lo, exec_lo, s5
	s_and_saveexec_b32 s5, s2
	s_cbranch_execz .LBB119_42
.LBB119_41:
	v_dual_mov_b32 v6, 0 :: v_dual_add_nc_u32 v5, v5, v4
	s_delay_alu instid0(VALU_DEP_1) | instskip(SKIP_1) | instid1(VALU_DEP_1)
	v_lshlrev_b64_e32 v[5:6], 2, v[5:6]
	s_wait_kmcnt 0x0
	v_add_co_u32 v5, s3, s8, v5
	s_wait_alu 0xf1ff
	s_delay_alu instid0(VALU_DEP_2)
	v_add_co_ci_u32_e64 v6, null, s9, v6, s3
	global_store_b32 v[5:6], v137, off
.LBB119_42:
	s_wait_alu 0xfffe
	s_or_b32 exec_lo, exec_lo, s5
	v_add3_u32 v5, v1, s7, 32
	s_delay_alu instid0(VALU_DEP_1)
	v_cmp_gt_u32_e64 s3, s4, v5
	s_and_b32 exec_lo, exec_lo, s3
	s_cbranch_execz .LBB119_66
; %bb.43:
	v_mul_lo_u32 v5, v5, s6
	s_and_saveexec_b32 s5, vcc_lo
	s_cbranch_execnz .LBB119_76
; %bb.44:
	s_wait_alu 0xfffe
	s_or_b32 exec_lo, exec_lo, s5
	s_and_saveexec_b32 s5, s0
	s_cbranch_execnz .LBB119_77
.LBB119_45:
	s_wait_alu 0xfffe
	s_or_b32 exec_lo, exec_lo, s5
	s_and_saveexec_b32 s5, s1
	s_cbranch_execnz .LBB119_78
.LBB119_46:
	s_wait_alu 0xfffe
	s_or_b32 exec_lo, exec_lo, s5
	s_and_saveexec_b32 s5, s2
	s_cbranch_execz .LBB119_48
.LBB119_47:
	v_dual_mov_b32 v6, 0 :: v_dual_add_nc_u32 v5, v5, v4
	s_delay_alu instid0(VALU_DEP_1) | instskip(SKIP_1) | instid1(VALU_DEP_1)
	v_lshlrev_b64_e32 v[5:6], 2, v[5:6]
	s_wait_kmcnt 0x0
	v_add_co_u32 v5, s3, s8, v5
	s_wait_alu 0xf1ff
	s_delay_alu instid0(VALU_DEP_2)
	v_add_co_ci_u32_e64 v6, null, s9, v6, s3
	global_store_b32 v[5:6], v160, off
.LBB119_48:
	s_wait_alu 0xfffe
	s_or_b32 exec_lo, exec_lo, s5
	v_add3_u32 v5, v1, s7, 40
	s_delay_alu instid0(VALU_DEP_1)
	v_cmp_gt_u32_e64 s3, s4, v5
	s_and_b32 exec_lo, exec_lo, s3
	s_cbranch_execz .LBB119_66
; %bb.49:
	v_mul_lo_u32 v5, v5, s6
	s_and_saveexec_b32 s5, vcc_lo
	s_cbranch_execnz .LBB119_79
; %bb.50:
	s_wait_alu 0xfffe
	s_or_b32 exec_lo, exec_lo, s5
	s_and_saveexec_b32 s5, s0
	s_cbranch_execnz .LBB119_80
.LBB119_51:
	s_wait_alu 0xfffe
	s_or_b32 exec_lo, exec_lo, s5
	s_and_saveexec_b32 s5, s1
	s_cbranch_execnz .LBB119_81
.LBB119_52:
	s_wait_alu 0xfffe
	s_or_b32 exec_lo, exec_lo, s5
	s_and_saveexec_b32 s5, s2
	s_cbranch_execz .LBB119_54
.LBB119_53:
	v_dual_mov_b32 v6, 0 :: v_dual_add_nc_u32 v5, v5, v4
	s_delay_alu instid0(VALU_DEP_1) | instskip(SKIP_1) | instid1(VALU_DEP_1)
	v_lshlrev_b64_e32 v[5:6], 2, v[5:6]
	s_wait_kmcnt 0x0
	v_add_co_u32 v5, s3, s8, v5
	s_wait_alu 0xf1ff
	s_delay_alu instid0(VALU_DEP_2)
	v_add_co_ci_u32_e64 v6, null, s9, v6, s3
	global_store_b32 v[5:6], v43, off
.LBB119_54:
	s_wait_alu 0xfffe
	s_or_b32 exec_lo, exec_lo, s5
	v_add3_u32 v5, v1, s7, 48
	s_delay_alu instid0(VALU_DEP_1)
	v_cmp_gt_u32_e64 s3, s4, v5
	s_and_b32 exec_lo, exec_lo, s3
	s_cbranch_execz .LBB119_66
; %bb.55:
	v_mul_lo_u32 v5, v5, s6
	s_and_saveexec_b32 s5, vcc_lo
	s_cbranch_execnz .LBB119_82
; %bb.56:
	s_wait_alu 0xfffe
	s_or_b32 exec_lo, exec_lo, s5
	s_and_saveexec_b32 s5, s0
	s_cbranch_execnz .LBB119_83
.LBB119_57:
	s_wait_alu 0xfffe
	s_or_b32 exec_lo, exec_lo, s5
	s_and_saveexec_b32 s5, s1
	s_cbranch_execnz .LBB119_84
.LBB119_58:
	s_wait_alu 0xfffe
	s_or_b32 exec_lo, exec_lo, s5
	s_and_saveexec_b32 s5, s2
	s_cbranch_execz .LBB119_60
.LBB119_59:
	v_dual_mov_b32 v6, 0 :: v_dual_add_nc_u32 v5, v5, v4
	s_delay_alu instid0(VALU_DEP_1) | instskip(SKIP_1) | instid1(VALU_DEP_1)
	v_lshlrev_b64_e32 v[5:6], 2, v[5:6]
	s_wait_kmcnt 0x0
	v_add_co_u32 v5, s3, s8, v5
	s_wait_alu 0xf1ff
	s_delay_alu instid0(VALU_DEP_2)
	v_add_co_ci_u32_e64 v6, null, s9, v6, s3
	global_store_b32 v[5:6], v39, off
.LBB119_60:
	s_wait_alu 0xfffe
	s_or_b32 exec_lo, exec_lo, s5
	v_add3_u32 v1, v1, s7, 56
	s_delay_alu instid0(VALU_DEP_1)
	v_cmp_gt_u32_e64 s3, s4, v1
	s_and_b32 exec_lo, exec_lo, s3
	s_cbranch_execz .LBB119_66
; %bb.61:
	v_mul_lo_u32 v1, v1, s6
	s_and_saveexec_b32 s3, vcc_lo
	s_cbranch_execnz .LBB119_85
; %bb.62:
	s_wait_alu 0xfffe
	s_or_b32 exec_lo, exec_lo, s3
	s_and_saveexec_b32 s3, s0
	s_cbranch_execnz .LBB119_86
.LBB119_63:
	s_wait_alu 0xfffe
	s_or_b32 exec_lo, exec_lo, s3
	s_and_saveexec_b32 s0, s1
	s_cbranch_execnz .LBB119_87
.LBB119_64:
	s_wait_alu 0xfffe
	s_or_b32 exec_lo, exec_lo, s0
	s_delay_alu instid0(SALU_CYCLE_1)
	s_and_b32 exec_lo, exec_lo, s2
	s_cbranch_execz .LBB119_66
.LBB119_65:
	v_dual_mov_b32 v1, 0 :: v_dual_add_nc_u32 v0, v1, v4
	s_delay_alu instid0(VALU_DEP_1) | instskip(SKIP_1) | instid1(VALU_DEP_1)
	v_lshlrev_b64_e32 v[0:1], 2, v[0:1]
	s_wait_kmcnt 0x0
	v_add_co_u32 v0, vcc_lo, s8, v0
	s_wait_alu 0xfffd
	s_delay_alu instid0(VALU_DEP_2)
	v_add_co_ci_u32_e64 v1, null, s9, v1, vcc_lo
	global_store_b32 v[0:1], v35, off
.LBB119_66:
	s_nop 0
	s_sendmsg sendmsg(MSG_DEALLOC_VGPRS)
	s_endpgm
.LBB119_67:
	s_delay_alu instid0(VALU_DEP_1) | instskip(NEXT) | instid1(VALU_DEP_1)
	v_dual_mov_b32 v7, 0 :: v_dual_add_nc_u32 v6, v5, v0
	v_lshlrev_b64_e32 v[6:7], 2, v[6:7]
	s_wait_kmcnt 0x0
	s_delay_alu instid0(VALU_DEP_1) | instskip(SKIP_1) | instid1(VALU_DEP_2)
	v_add_co_u32 v6, s3, s8, v6
	s_wait_alu 0xf1ff
	v_add_co_ci_u32_e64 v7, null, s9, v7, s3
	global_store_b32 v[6:7], v67, off
	s_wait_alu 0xfffe
	s_or_b32 exec_lo, exec_lo, s5
	s_and_saveexec_b32 s5, s0
	s_cbranch_execz .LBB119_27
.LBB119_68:
	s_delay_alu instid0(VALU_DEP_1) | instskip(NEXT) | instid1(VALU_DEP_1)
	v_dual_mov_b32 v7, 0 :: v_dual_add_nc_u32 v6, v5, v2
	v_lshlrev_b64_e32 v[6:7], 2, v[6:7]
	s_wait_kmcnt 0x0
	s_delay_alu instid0(VALU_DEP_1) | instskip(SKIP_1) | instid1(VALU_DEP_2)
	v_add_co_u32 v6, s3, s8, v6
	s_wait_alu 0xf1ff
	v_add_co_ci_u32_e64 v7, null, s9, v7, s3
	global_store_b32 v[6:7], v68, off
	s_wait_alu 0xfffe
	s_or_b32 exec_lo, exec_lo, s5
	s_and_saveexec_b32 s5, s1
	s_cbranch_execz .LBB119_28
.LBB119_69:
	v_dual_mov_b32 v7, 0 :: v_dual_add_nc_u32 v6, v5, v3
	s_delay_alu instid0(VALU_DEP_1) | instskip(SKIP_1) | instid1(VALU_DEP_1)
	v_lshlrev_b64_e32 v[6:7], 2, v[6:7]
	s_wait_kmcnt 0x0
	v_add_co_u32 v6, s3, s8, v6
	s_wait_alu 0xf1ff
	s_delay_alu instid0(VALU_DEP_2)
	v_add_co_ci_u32_e64 v7, null, s9, v7, s3
	global_store_b32 v[6:7], v64, off
	s_wait_alu 0xfffe
	s_or_b32 exec_lo, exec_lo, s5
	s_and_saveexec_b32 s5, s2
	s_cbranch_execnz .LBB119_29
	s_branch .LBB119_30
.LBB119_70:
	s_delay_alu instid0(VALU_DEP_1) | instskip(NEXT) | instid1(VALU_DEP_1)
	v_dual_mov_b32 v7, 0 :: v_dual_add_nc_u32 v6, v5, v0
	v_lshlrev_b64_e32 v[6:7], 2, v[6:7]
	s_wait_kmcnt 0x0
	s_delay_alu instid0(VALU_DEP_1) | instskip(SKIP_1) | instid1(VALU_DEP_2)
	v_add_co_u32 v6, s3, s8, v6
	s_wait_alu 0xf1ff
	v_add_co_ci_u32_e64 v7, null, s9, v7, s3
	global_store_b32 v[6:7], v59, off
	s_wait_alu 0xfffe
	s_or_b32 exec_lo, exec_lo, s5
	s_and_saveexec_b32 s5, s0
	s_cbranch_execz .LBB119_33
.LBB119_71:
	s_delay_alu instid0(VALU_DEP_1) | instskip(NEXT) | instid1(VALU_DEP_1)
	v_dual_mov_b32 v7, 0 :: v_dual_add_nc_u32 v6, v5, v2
	v_lshlrev_b64_e32 v[6:7], 2, v[6:7]
	s_wait_kmcnt 0x0
	s_delay_alu instid0(VALU_DEP_1) | instskip(SKIP_1) | instid1(VALU_DEP_2)
	v_add_co_u32 v6, s3, s8, v6
	s_wait_alu 0xf1ff
	v_add_co_ci_u32_e64 v7, null, s9, v7, s3
	global_store_b32 v[6:7], v58, off
	s_wait_alu 0xfffe
	s_or_b32 exec_lo, exec_lo, s5
	s_and_saveexec_b32 s5, s1
	s_cbranch_execz .LBB119_34
.LBB119_72:
	v_dual_mov_b32 v7, 0 :: v_dual_add_nc_u32 v6, v5, v3
	s_delay_alu instid0(VALU_DEP_1) | instskip(SKIP_1) | instid1(VALU_DEP_1)
	v_lshlrev_b64_e32 v[6:7], 2, v[6:7]
	s_wait_kmcnt 0x0
	v_add_co_u32 v6, s3, s8, v6
	s_wait_alu 0xf1ff
	s_delay_alu instid0(VALU_DEP_2)
	v_add_co_ci_u32_e64 v7, null, s9, v7, s3
	global_store_b32 v[6:7], v56, off
	s_wait_alu 0xfffe
	s_or_b32 exec_lo, exec_lo, s5
	s_and_saveexec_b32 s5, s2
	s_cbranch_execnz .LBB119_35
	s_branch .LBB119_36
.LBB119_73:
	s_delay_alu instid0(VALU_DEP_1) | instskip(NEXT) | instid1(VALU_DEP_1)
	v_dual_mov_b32 v7, 0 :: v_dual_add_nc_u32 v6, v5, v0
	v_lshlrev_b64_e32 v[6:7], 2, v[6:7]
	s_wait_kmcnt 0x0
	s_delay_alu instid0(VALU_DEP_1) | instskip(SKIP_1) | instid1(VALU_DEP_2)
	v_add_co_u32 v6, s3, s8, v6
	s_wait_alu 0xf1ff
	v_add_co_ci_u32_e64 v7, null, s9, v7, s3
	global_store_b32 v[6:7], v138, off
	s_wait_alu 0xfffe
	s_or_b32 exec_lo, exec_lo, s5
	s_and_saveexec_b32 s5, s0
	s_cbranch_execz .LBB119_39
.LBB119_74:
	s_delay_alu instid0(VALU_DEP_1) | instskip(NEXT) | instid1(VALU_DEP_1)
	v_dual_mov_b32 v7, 0 :: v_dual_add_nc_u32 v6, v5, v2
	v_lshlrev_b64_e32 v[6:7], 2, v[6:7]
	s_wait_kmcnt 0x0
	s_delay_alu instid0(VALU_DEP_1) | instskip(SKIP_1) | instid1(VALU_DEP_2)
	v_add_co_u32 v6, s3, s8, v6
	s_wait_alu 0xf1ff
	v_add_co_ci_u32_e64 v7, null, s9, v7, s3
	global_store_b32 v[6:7], v49, off
	s_wait_alu 0xfffe
	s_or_b32 exec_lo, exec_lo, s5
	s_and_saveexec_b32 s5, s1
	s_cbranch_execz .LBB119_40
.LBB119_75:
	v_dual_mov_b32 v7, 0 :: v_dual_add_nc_u32 v6, v5, v3
	s_delay_alu instid0(VALU_DEP_1) | instskip(SKIP_1) | instid1(VALU_DEP_1)
	v_lshlrev_b64_e32 v[6:7], 2, v[6:7]
	s_wait_kmcnt 0x0
	v_add_co_u32 v6, s3, s8, v6
	s_wait_alu 0xf1ff
	s_delay_alu instid0(VALU_DEP_2)
	v_add_co_ci_u32_e64 v7, null, s9, v7, s3
	global_store_b32 v[6:7], v124, off
	s_wait_alu 0xfffe
	s_or_b32 exec_lo, exec_lo, s5
	s_and_saveexec_b32 s5, s2
	s_cbranch_execnz .LBB119_41
	s_branch .LBB119_42
.LBB119_76:
	s_delay_alu instid0(VALU_DEP_1) | instskip(NEXT) | instid1(VALU_DEP_1)
	v_dual_mov_b32 v7, 0 :: v_dual_add_nc_u32 v6, v5, v0
	v_lshlrev_b64_e32 v[6:7], 2, v[6:7]
	s_wait_kmcnt 0x0
	s_delay_alu instid0(VALU_DEP_1) | instskip(SKIP_1) | instid1(VALU_DEP_2)
	v_add_co_u32 v6, s3, s8, v6
	s_wait_alu 0xf1ff
	v_add_co_ci_u32_e64 v7, null, s9, v7, s3
	global_store_b32 v[6:7], v136, off
	s_wait_alu 0xfffe
	s_or_b32 exec_lo, exec_lo, s5
	s_and_saveexec_b32 s5, s0
	s_cbranch_execz .LBB119_45
.LBB119_77:
	s_delay_alu instid0(VALU_DEP_1) | instskip(NEXT) | instid1(VALU_DEP_1)
	v_dual_mov_b32 v7, 0 :: v_dual_add_nc_u32 v6, v5, v2
	v_lshlrev_b64_e32 v[6:7], 2, v[6:7]
	s_wait_kmcnt 0x0
	s_delay_alu instid0(VALU_DEP_1) | instskip(SKIP_1) | instid1(VALU_DEP_2)
	v_add_co_u32 v6, s3, s8, v6
	s_wait_alu 0xf1ff
	v_add_co_ci_u32_e64 v7, null, s9, v7, s3
	global_store_b32 v[6:7], v55, off
	s_wait_alu 0xfffe
	s_or_b32 exec_lo, exec_lo, s5
	s_and_saveexec_b32 s5, s1
	s_cbranch_execz .LBB119_46
.LBB119_78:
	v_dual_mov_b32 v7, 0 :: v_dual_add_nc_u32 v6, v5, v3
	s_delay_alu instid0(VALU_DEP_1) | instskip(SKIP_1) | instid1(VALU_DEP_1)
	v_lshlrev_b64_e32 v[6:7], 2, v[6:7]
	s_wait_kmcnt 0x0
	v_add_co_u32 v6, s3, s8, v6
	s_wait_alu 0xf1ff
	s_delay_alu instid0(VALU_DEP_2)
	v_add_co_ci_u32_e64 v7, null, s9, v7, s3
	global_store_b32 v[6:7], v161, off
	s_wait_alu 0xfffe
	s_or_b32 exec_lo, exec_lo, s5
	s_and_saveexec_b32 s5, s2
	s_cbranch_execnz .LBB119_47
	s_branch .LBB119_48
.LBB119_79:
	s_delay_alu instid0(VALU_DEP_1) | instskip(NEXT) | instid1(VALU_DEP_1)
	v_dual_mov_b32 v7, 0 :: v_dual_add_nc_u32 v6, v5, v0
	v_lshlrev_b64_e32 v[6:7], 2, v[6:7]
	s_wait_kmcnt 0x0
	s_delay_alu instid0(VALU_DEP_1) | instskip(SKIP_1) | instid1(VALU_DEP_2)
	v_add_co_u32 v6, s3, s8, v6
	s_wait_alu 0xf1ff
	v_add_co_ci_u32_e64 v7, null, s9, v7, s3
	global_store_b32 v[6:7], v44, off
	s_wait_alu 0xfffe
	s_or_b32 exec_lo, exec_lo, s5
	s_and_saveexec_b32 s5, s0
	s_cbranch_execz .LBB119_51
.LBB119_80:
	s_delay_alu instid0(VALU_DEP_1) | instskip(NEXT) | instid1(VALU_DEP_1)
	v_dual_mov_b32 v7, 0 :: v_dual_add_nc_u32 v6, v5, v2
	v_lshlrev_b64_e32 v[6:7], 2, v[6:7]
	s_wait_kmcnt 0x0
	s_delay_alu instid0(VALU_DEP_1) | instskip(SKIP_1) | instid1(VALU_DEP_2)
	v_add_co_u32 v6, s3, s8, v6
	s_wait_alu 0xf1ff
	v_add_co_ci_u32_e64 v7, null, s9, v7, s3
	global_store_b32 v[6:7], v162, off
	s_wait_alu 0xfffe
	s_or_b32 exec_lo, exec_lo, s5
	s_and_saveexec_b32 s5, s1
	s_cbranch_execz .LBB119_52
.LBB119_81:
	v_dual_mov_b32 v7, 0 :: v_dual_add_nc_u32 v6, v5, v3
	s_delay_alu instid0(VALU_DEP_1) | instskip(SKIP_1) | instid1(VALU_DEP_1)
	v_lshlrev_b64_e32 v[6:7], 2, v[6:7]
	s_wait_kmcnt 0x0
	v_add_co_u32 v6, s3, s8, v6
	s_wait_alu 0xf1ff
	s_delay_alu instid0(VALU_DEP_2)
	v_add_co_ci_u32_e64 v7, null, s9, v7, s3
	global_store_b32 v[6:7], v46, off
	s_wait_alu 0xfffe
	s_or_b32 exec_lo, exec_lo, s5
	s_and_saveexec_b32 s5, s2
	s_cbranch_execnz .LBB119_53
	s_branch .LBB119_54
.LBB119_82:
	s_delay_alu instid0(VALU_DEP_1) | instskip(NEXT) | instid1(VALU_DEP_1)
	v_dual_mov_b32 v7, 0 :: v_dual_add_nc_u32 v6, v5, v0
	v_lshlrev_b64_e32 v[6:7], 2, v[6:7]
	s_wait_kmcnt 0x0
	s_delay_alu instid0(VALU_DEP_1) | instskip(SKIP_1) | instid1(VALU_DEP_2)
	v_add_co_u32 v6, s3, s8, v6
	s_wait_alu 0xf1ff
	v_add_co_ci_u32_e64 v7, null, s9, v7, s3
	global_store_b32 v[6:7], v42, off
	s_wait_alu 0xfffe
	s_or_b32 exec_lo, exec_lo, s5
	s_and_saveexec_b32 s5, s0
	s_cbranch_execz .LBB119_57
.LBB119_83:
	s_delay_alu instid0(VALU_DEP_1) | instskip(NEXT) | instid1(VALU_DEP_1)
	v_dual_mov_b32 v7, 0 :: v_dual_add_nc_u32 v6, v5, v2
	v_lshlrev_b64_e32 v[6:7], 2, v[6:7]
	s_wait_kmcnt 0x0
	s_delay_alu instid0(VALU_DEP_1) | instskip(SKIP_1) | instid1(VALU_DEP_2)
	v_add_co_u32 v6, s3, s8, v6
	s_wait_alu 0xf1ff
	v_add_co_ci_u32_e64 v7, null, s9, v7, s3
	global_store_b32 v[6:7], v37, off
	s_wait_alu 0xfffe
	s_or_b32 exec_lo, exec_lo, s5
	s_and_saveexec_b32 s5, s1
	s_cbranch_execz .LBB119_58
.LBB119_84:
	v_dual_mov_b32 v7, 0 :: v_dual_add_nc_u32 v6, v5, v3
	s_delay_alu instid0(VALU_DEP_1) | instskip(SKIP_1) | instid1(VALU_DEP_1)
	v_lshlrev_b64_e32 v[6:7], 2, v[6:7]
	s_wait_kmcnt 0x0
	v_add_co_u32 v6, s3, s8, v6
	s_wait_alu 0xf1ff
	s_delay_alu instid0(VALU_DEP_2)
	v_add_co_ci_u32_e64 v7, null, s9, v7, s3
	global_store_b32 v[6:7], v36, off
	s_wait_alu 0xfffe
	s_or_b32 exec_lo, exec_lo, s5
	s_and_saveexec_b32 s5, s2
	s_cbranch_execnz .LBB119_59
	s_branch .LBB119_60
.LBB119_85:
	s_delay_alu instid0(VALU_DEP_1) | instskip(NEXT) | instid1(VALU_DEP_1)
	v_dual_mov_b32 v6, 0 :: v_dual_add_nc_u32 v5, v1, v0
	v_lshlrev_b64_e32 v[5:6], 2, v[5:6]
	s_wait_kmcnt 0x0
	s_delay_alu instid0(VALU_DEP_1) | instskip(SKIP_1) | instid1(VALU_DEP_2)
	v_add_co_u32 v5, vcc_lo, s8, v5
	s_wait_alu 0xfffd
	v_add_co_ci_u32_e64 v6, null, s9, v6, vcc_lo
	global_store_b32 v[5:6], v38, off
	s_wait_alu 0xfffe
	s_or_b32 exec_lo, exec_lo, s3
	s_and_saveexec_b32 s3, s0
	s_cbranch_execz .LBB119_63
.LBB119_86:
	s_delay_alu instid0(VALU_DEP_1) | instskip(NEXT) | instid1(VALU_DEP_1)
	v_dual_mov_b32 v6, 0 :: v_dual_add_nc_u32 v5, v1, v2
	v_lshlrev_b64_e32 v[5:6], 2, v[5:6]
	s_wait_kmcnt 0x0
	s_delay_alu instid0(VALU_DEP_1) | instskip(SKIP_1) | instid1(VALU_DEP_2)
	v_add_co_u32 v5, vcc_lo, s8, v5
	s_wait_alu 0xfffd
	v_add_co_ci_u32_e64 v6, null, s9, v6, vcc_lo
	global_store_b32 v[5:6], v41, off
	s_wait_alu 0xfffe
	s_or_b32 exec_lo, exec_lo, s3
	s_and_saveexec_b32 s0, s1
	s_cbranch_execz .LBB119_64
.LBB119_87:
	v_dual_mov_b32 v3, 0 :: v_dual_add_nc_u32 v2, v1, v3
	s_delay_alu instid0(VALU_DEP_1) | instskip(SKIP_1) | instid1(VALU_DEP_1)
	v_lshlrev_b64_e32 v[2:3], 2, v[2:3]
	s_wait_kmcnt 0x0
	v_add_co_u32 v2, vcc_lo, s8, v2
	s_wait_alu 0xfffd
	s_delay_alu instid0(VALU_DEP_2) | instskip(SKIP_3) | instid1(SALU_CYCLE_1)
	v_add_co_ci_u32_e64 v3, null, s9, v3, vcc_lo
	global_store_b32 v[2:3], v40, off
	s_wait_alu 0xfffe
	s_or_b32 exec_lo, exec_lo, s0
	s_and_b32 exec_lo, exec_lo, s2
	s_cbranch_execnz .LBB119_65
	s_branch .LBB119_66
	.section	.rodata,"a",@progbits
	.p2align	6, 0x0
	.amdhsa_kernel _ZL12mul_mat_q4_1IfLb0EEvPKvS1_PT_iiiii
		.amdhsa_group_segment_fixed_size 30336
		.amdhsa_private_segment_fixed_size 508
		.amdhsa_kernarg_size 44
		.amdhsa_user_sgpr_count 2
		.amdhsa_user_sgpr_dispatch_ptr 0
		.amdhsa_user_sgpr_queue_ptr 0
		.amdhsa_user_sgpr_kernarg_segment_ptr 1
		.amdhsa_user_sgpr_dispatch_id 0
		.amdhsa_user_sgpr_private_segment_size 0
		.amdhsa_wavefront_size32 1
		.amdhsa_uses_dynamic_stack 0
		.amdhsa_enable_private_segment 1
		.amdhsa_system_sgpr_workgroup_id_x 1
		.amdhsa_system_sgpr_workgroup_id_y 1
		.amdhsa_system_sgpr_workgroup_id_z 0
		.amdhsa_system_sgpr_workgroup_info 0
		.amdhsa_system_vgpr_workitem_id 1
		.amdhsa_next_free_vgpr 256
		.amdhsa_next_free_sgpr 17
		.amdhsa_reserve_vcc 1
		.amdhsa_float_round_mode_32 0
		.amdhsa_float_round_mode_16_64 0
		.amdhsa_float_denorm_mode_32 3
		.amdhsa_float_denorm_mode_16_64 3
		.amdhsa_fp16_overflow 0
		.amdhsa_workgroup_processor_mode 1
		.amdhsa_memory_ordered 1
		.amdhsa_forward_progress 1
		.amdhsa_inst_pref_size 255
		.amdhsa_round_robin_scheduling 0
		.amdhsa_exception_fp_ieee_invalid_op 0
		.amdhsa_exception_fp_denorm_src 0
		.amdhsa_exception_fp_ieee_div_zero 0
		.amdhsa_exception_fp_ieee_overflow 0
		.amdhsa_exception_fp_ieee_underflow 0
		.amdhsa_exception_fp_ieee_inexact 0
		.amdhsa_exception_int_div_zero 0
	.end_amdhsa_kernel
	.section	.text._ZL12mul_mat_q4_1IfLb0EEvPKvS1_PT_iiiii,"axG",@progbits,_ZL12mul_mat_q4_1IfLb0EEvPKvS1_PT_iiiii,comdat
.Lfunc_end119:
	.size	_ZL12mul_mat_q4_1IfLb0EEvPKvS1_PT_iiiii, .Lfunc_end119-_ZL12mul_mat_q4_1IfLb0EEvPKvS1_PT_iiiii
                                        ; -- End function
	.set _ZL12mul_mat_q4_1IfLb0EEvPKvS1_PT_iiiii.num_vgpr, 256
	.set _ZL12mul_mat_q4_1IfLb0EEvPKvS1_PT_iiiii.num_agpr, 0
	.set _ZL12mul_mat_q4_1IfLb0EEvPKvS1_PT_iiiii.numbered_sgpr, 17
	.set _ZL12mul_mat_q4_1IfLb0EEvPKvS1_PT_iiiii.num_named_barrier, 0
	.set _ZL12mul_mat_q4_1IfLb0EEvPKvS1_PT_iiiii.private_seg_size, 508
	.set _ZL12mul_mat_q4_1IfLb0EEvPKvS1_PT_iiiii.uses_vcc, 1
	.set _ZL12mul_mat_q4_1IfLb0EEvPKvS1_PT_iiiii.uses_flat_scratch, 1
	.set _ZL12mul_mat_q4_1IfLb0EEvPKvS1_PT_iiiii.has_dyn_sized_stack, 0
	.set _ZL12mul_mat_q4_1IfLb0EEvPKvS1_PT_iiiii.has_recursion, 0
	.set _ZL12mul_mat_q4_1IfLb0EEvPKvS1_PT_iiiii.has_indirect_call, 0
	.section	.AMDGPU.csdata,"",@progbits
; Kernel info:
; codeLenInByte = 39276
; TotalNumSgprs: 19
; NumVgprs: 256
; ScratchSize: 508
; MemoryBound: 0
; FloatMode: 240
; IeeeMode: 1
; LDSByteSize: 30336 bytes/workgroup (compile time only)
; SGPRBlocks: 0
; VGPRBlocks: 31
; NumSGPRsForWavesPerEU: 19
; NumVGPRsForWavesPerEU: 256
; Occupancy: 5
; WaveLimiterHint : 0
; COMPUTE_PGM_RSRC2:SCRATCH_EN: 1
; COMPUTE_PGM_RSRC2:USER_SGPR: 2
; COMPUTE_PGM_RSRC2:TRAP_HANDLER: 0
; COMPUTE_PGM_RSRC2:TGID_X_EN: 1
; COMPUTE_PGM_RSRC2:TGID_Y_EN: 1
; COMPUTE_PGM_RSRC2:TGID_Z_EN: 0
; COMPUTE_PGM_RSRC2:TIDIG_COMP_CNT: 1
	.section	.text._ZL12mul_mat_q4_1IfLb1EEvPKvS1_PT_iiiii,"axG",@progbits,_ZL12mul_mat_q4_1IfLb1EEvPKvS1_PT_iiiii,comdat
	.globl	_ZL12mul_mat_q4_1IfLb1EEvPKvS1_PT_iiiii ; -- Begin function _ZL12mul_mat_q4_1IfLb1EEvPKvS1_PT_iiiii
	.p2align	8
	.type	_ZL12mul_mat_q4_1IfLb1EEvPKvS1_PT_iiiii,@function
_ZL12mul_mat_q4_1IfLb1EEvPKvS1_PT_iiiii: ; @_ZL12mul_mat_q4_1IfLb1EEvPKvS1_PT_iiiii
; %bb.0:
	s_clause 0x1
	s_load_b128 s[4:7], s[0:1], 0x18
	s_load_b32 s12, s[0:1], 0x28
	v_bfe_u32 v1, v0, 10, 10
	s_lshl_b32 s13, ttmp7, 6
	scratch_store_b32 off, v1, off offset:584 ; 4-byte Folded Spill
	v_and_b32_e32 v1, 0x3ff, v0
	scratch_store_b32 off, v1, off offset:208 ; 4-byte Folded Spill
	s_wait_kmcnt 0x0
	s_cmp_gt_i32 s4, 31
	s_cbranch_scc1 .LBB120_2
; %bb.1:
	v_bfe_u32 v1, v0, 10, 10
	v_and_b32_e32 v2, 0x3ff, v0
	s_mov_b32 s2, 0
	s_delay_alu instid0(VALU_DEP_2)
	v_add_nc_u32_e32 v3, s13, v1
	s_branch .LBB120_3
.LBB120_2:
	s_mov_b32 s2, -1
                                        ; implicit-def: $vgpr1
                                        ; implicit-def: $vgpr2
                                        ; implicit-def: $vgpr3
.LBB120_3:
	s_load_b64 s[8:9], s[0:1], 0x10
	v_dual_mov_b32 v32, 0 :: v_dual_mov_b32 v111, 0
	v_dual_mov_b32 v106, 0 :: v_dual_mov_b32 v35, 0
	;; [unrolled: 1-line block ×15, first 2 shown]
	v_mov_b32_e32 v198, 0
	v_mov_b32_e32 v36, 0
	s_and_not1_b32 vcc_lo, exec_lo, s2
	s_lshl_b32 s14, ttmp9, 7
	s_cbranch_vccnz .LBB120_15
; %bb.4:
	v_dual_mov_b32 v39, 0 :: v_dual_and_b32 v34, 0x3ff, v0
	v_bfe_u32 v33, v0, 10, 10
	s_not_b32 s16, s14
	s_ashr_i32 s10, s4, 31
	s_add_co_i32 s5, s5, s16
	s_lshr_b32 s10, s10, 27
	v_dual_mov_b32 v36, 0 :: v_dual_lshlrev_b32 v1, 2, v34
	v_dual_mov_b32 v105, 0 :: v_dual_add_nc_u32 v20, 8, v33
	v_min_i32_e32 v2, s5, v33
	v_dual_mov_b32 v198, 0 :: v_dual_add_nc_u32 v21, 16, v33
	s_add_co_i32 s4, s4, s10
	s_delay_alu instid0(VALU_DEP_3)
	v_min_i32_e32 v3, s5, v20
	s_wait_alu 0xfffe
	s_ashr_i32 s15, s4, 5
	v_mad_co_u64_u32 v[46:47], null, 0x84, v2, v[1:2]
	v_mul_lo_u32 v45, v2, s15
	v_min_i32_e32 v2, s5, v21
	v_dual_mov_b32 v43, 0 :: v_dual_add_nc_u32 v22, 24, v33
	v_dual_mov_b32 v66, 0 :: v_dual_add_nc_u32 v23, 32, v33
	s_delay_alu instid0(VALU_DEP_3)
	v_mad_co_u64_u32 v[48:49], null, 0x84, v3, v[1:2]
	v_mul_lo_u32 v47, v3, s15
	v_mul_lo_u32 v49, v2, s15
	v_min_i32_e32 v3, s5, v22
	v_mad_co_u64_u32 v[51:52], null, 0x84, v2, v[1:2]
	v_min_i32_e32 v2, s5, v23
	v_dual_mov_b32 v117, 0 :: v_dual_add_nc_u32 v24, 40, v33
	v_dual_mov_b32 v50, 0 :: v_dual_add_nc_u32 v25, 48, v33
	s_delay_alu instid0(VALU_DEP_3) | instskip(SKIP_1) | instid1(VALU_DEP_4)
	v_mad_co_u64_u32 v[53:54], null, 0x84, v3, v[1:2]
	v_mul_lo_u32 v52, v3, s15
	v_min_i32_e32 v3, s5, v24
	v_mul_lo_u32 v54, v2, s15
	v_mad_co_u64_u32 v[55:56], null, 0x84, v2, v[1:2]
	v_min_i32_e32 v2, s5, v25
	s_delay_alu instid0(VALU_DEP_4) | instskip(SKIP_2) | instid1(VALU_DEP_3)
	v_mul_lo_u32 v56, v3, s15
	v_dual_mov_b32 v109, 0 :: v_dual_add_nc_u32 v26, 56, v33
	s_ashr_i32 s11, s7, 31
	v_mad_co_u64_u32 v[58:59], null, 0x84, v3, v[1:2]
	v_dual_mov_b32 v120, 0 :: v_dual_add_nc_u32 v3, 64, v33
	s_delay_alu instid0(VALU_DEP_3) | instskip(SKIP_2) | instid1(VALU_DEP_4)
	v_min_i32_e32 v4, s5, v26
	v_mul_lo_u32 v59, v2, s15
	v_mad_co_u64_u32 v[60:61], null, 0x84, v2, v[1:2]
	v_min_i32_e32 v2, s5, v3
	s_lshr_b32 s4, s11, 27
	v_dual_mov_b32 v110, 0 :: v_dual_add_nc_u32 v15, s13, v33
	s_wait_alu 0xfffe
	s_add_co_i32 s4, s7, s4
	s_add_co_i32 s7, s6, -1
	v_mad_co_u64_u32 v[62:63], null, 0x84, v4, v[1:2]
	v_mul_lo_u32 v63, v2, s15
	v_mad_co_u64_u32 v[68:69], null, 0x84, v2, v[1:2]
	v_cvt_f64_i32_e32 v[2:3], s7
	v_dual_mov_b32 v79, 0 :: v_dual_add_nc_u32 v6, 8, v15
	v_add_nc_u32_e32 v16, 0x48, v33
	v_dual_mov_b32 v37, 0 :: v_dual_add_nc_u32 v8, 16, v15
	v_dual_mov_b32 v107, 0 :: v_dual_add_nc_u32 v10, 24, v15
	v_add_nc_u32_e32 v12, 32, v15
	v_dual_mov_b32 v101, 0 :: v_dual_add_nc_u32 v14, 40, v15
	v_dual_mov_b32 v74, 0 :: v_dual_add_nc_u32 v17, 48, v15
	;; [unrolled: 1-line block ×3, first 2 shown]
	v_mul_lo_u32 v61, v4, s15
	v_cvt_f64_u32_e32 v[4:5], v15
	v_cvt_f64_u32_e32 v[6:7], v6
	;; [unrolled: 1-line block ×5, first 2 shown]
	v_min_i32_e32 v28, s5, v16
	v_cvt_f64_u32_e32 v[16:17], v17
	v_cvt_f64_u32_e32 v[18:19], v18
	v_bfe_u32 v30, v0, 3, 7
	scratch_store_b32 off, v15, off offset:588 ; 4-byte Folded Spill
	v_cvt_f64_u32_e32 v[14:15], v14
	v_dual_mov_b32 v84, 0 :: v_dual_add_nc_u32 v27, 0x50, v33
	v_dual_mov_b32 v38, 0 :: v_dual_add_nc_u32 v29, 0x58, v33
	v_mul_lo_u32 v69, v28, s15
	s_delay_alu instid0(VALU_DEP_3)
	v_min_i32_e32 v27, s5, v27
	v_mov_b32_e32 v64, 0
	scratch_store_b32 off, v30, off offset:444 ; 4-byte Folded Spill
	v_dual_mov_b32 v112, 0 :: v_dual_add_nc_u32 v31, 0x78, v33
	v_mul_lo_u32 v73, v27, s15
	v_mad_co_u64_u32 v[70:71], null, 0x84, v28, v[1:2]
	v_min_i32_e32 v28, s5, v29
	v_add_nc_u32_e32 v29, 0x60, v33
	v_mad_co_u64_u32 v[75:76], null, 0x84, v27, v[1:2]
	v_add_nc_u32_e32 v27, 0x68, v33
	s_delay_alu instid0(VALU_DEP_4) | instskip(NEXT) | instid1(VALU_DEP_4)
	v_mad_co_u64_u32 v[77:78], null, 0x84, v28, v[1:2]
	v_min_i32_e32 v29, s5, v29
	v_mul_lo_u32 v76, v28, s15
	s_delay_alu instid0(VALU_DEP_4)
	v_min_i32_e32 v27, s5, v27
	v_lshl_add_u32 v28, v33, 2, v30
	v_dual_mov_b32 v104, 0 :: v_dual_and_b32 v85, 7, v0
	v_mad_co_u64_u32 v[80:81], null, 0x84, v29, v[1:2]
	v_min_num_f64_e32 v[4:5], v[4:5], v[2:3]
	v_min_num_f64_e32 v[6:7], v[6:7], v[2:3]
	v_mad_co_u64_u32 v[82:83], null, 0x84, v27, v[1:2]
	v_min_num_f64_e32 v[8:9], v[8:9], v[2:3]
	v_min_num_f64_e32 v[10:11], v[10:11], v[2:3]
	;; [unrolled: 1-line block ×4, first 2 shown]
	v_min_i32_e32 v30, s5, v28
	v_min_num_f64_e32 v[14:15], v[14:15], v[2:3]
	v_min_num_f64_e32 v[2:3], v[18:19], v[2:3]
	v_mul_lo_u32 v81, v27, s15
	v_mul_lo_u32 v78, v29, s15
	v_ashrrev_i32_e32 v27, 31, v30
	v_dual_mov_b32 v42, 0 :: v_dual_add_nc_u32 v29, 0x70, v33
	v_dual_mov_b32 v35, 0 :: v_dual_add_nc_u32 v32, 32, v28
	s_delay_alu instid0(VALU_DEP_3) | instskip(NEXT) | instid1(VALU_DEP_3)
	v_lshrrev_b32_e32 v27, 30, v27
	v_min_i32_e32 v29, s5, v29
	v_min_i32_e32 v18, s5, v31
	v_dual_mov_b32 v40, 0 :: v_dual_mov_b32 v111, 0
	s_delay_alu instid0(VALU_DEP_4) | instskip(NEXT) | instid1(VALU_DEP_4)
	v_add_nc_u32_e32 v19, v30, v27
	v_mul_lo_u32 v83, v29, s15
	v_min_i32_e32 v27, s5, v32
	v_add_nc_u32_e32 v32, 64, v28
	s_delay_alu instid0(VALU_DEP_4)
	v_dual_mov_b32 v106, 0 :: v_dual_and_b32 v19, -4, v19
	v_add_nc_u32_e32 v28, 0x60, v28
	v_bfe_u32 v41, v0, 2, 8
	v_ashrrev_i32_e32 v31, 31, v27
	v_mul_lo_u32 v90, v27, s15
	s_wait_alu 0xfffe
	s_ashr_i32 s4, s4, 5
	s_load_b128 s[0:3], s[0:1], 0x0
	v_dual_mov_b32 v65, 0 :: v_dual_and_b32 v44, 12, v1
	v_lshrrev_b32_e32 v31, 30, v31
	v_cvt_i32_f64_e32 v4, v[4:5]
	v_cvt_i32_f64_e32 v6, v[6:7]
	v_min_i32_e32 v5, s5, v28
	v_and_b32_e32 v28, 31, v0
	v_cvt_i32_f64_e32 v8, v[8:9]
	v_cvt_i32_f64_e32 v10, v[10:11]
	;; [unrolled: 1-line block ×3, first 2 shown]
	v_ashrrev_i32_e32 v11, 31, v5
	v_add_nc_u32_e32 v31, v27, v31
	v_cvt_i32_f64_e32 v13, v[14:15]
	v_mad_co_u64_u32 v[86:87], null, 0x84, v29, v[1:2]
	v_lshlrev_b32_e32 v29, 2, v85
	v_mul_lo_u32 v87, v18, s15
	v_mad_co_u64_u32 v[88:89], null, 0x84, v18, v[1:2]
	v_cvt_i32_f64_e32 v3, v[2:3]
	s_delay_alu instid0(VALU_DEP_4)
	v_add3_u32 v18, v19, v29, 0x6200
	v_min_i32_e32 v19, s5, v32
	v_cvt_i32_f64_e32 v14, v[16:17]
	v_lshrrev_b32_e32 v11, 30, v11
	v_lshlrev_b32_e32 v15, 5, v27
	v_and_b32_e32 v9, -4, v31
	v_ashrrev_i32_e32 v32, 31, v19
	v_mul_lo_u32 v91, v19, s15
	v_add_nc_u32_e32 v11, v5, v11
	v_lshlrev_b32_e32 v17, 5, v19
	v_and_b32_e32 v1, 28, v1
	v_lshrrev_b32_e32 v7, 30, v32
	s_delay_alu instid0(VALU_DEP_4) | instskip(SKIP_2) | instid1(VALU_DEP_4)
	v_dual_mov_b32 v32, 0 :: v_dual_and_b32 v11, -4, v11
	v_add3_u32 v9, v9, v29, 0x6200
	v_mul_lo_u32 v89, v30, s15
	v_add_nc_u32_e32 v7, v19, v7
	v_lshlrev_b32_e32 v30, 5, v30
	v_add3_u32 v11, v11, v29, 0x6200
	v_mul_lo_u32 v92, v5, s15
	v_lshlrev_b32_e32 v5, 5, v5
	v_and_b32_e32 v2, -4, v7
	v_lshl_add_u32 v7, v33, 3, v41
	s_mul_i32 s10, s15, s14
	v_add_nc_u32_e32 v93, v18, v30
	s_ashr_i32 s11, s10, 31
	v_add3_u32 v16, v2, v29, 0x6200
	v_and_b32_e32 v7, 63, v7
	v_and_b32_e32 v2, 3, v0
	;; [unrolled: 1-line block ×3, first 2 shown]
	v_add_nc_u32_e32 v94, v9, v15
	v_add_nc_u32_e32 v95, v16, v17
	v_or_b32_e32 v19, s13, v7
	v_lshlrev_b32_e32 v27, 2, v2
	v_dual_mov_b32 v71, 0 :: v_dual_add_nc_u32 v96, v11, v5
	s_mul_u64 s[10:11], s[10:11], 20
	s_delay_alu instid0(VALU_DEP_3) | instskip(NEXT) | instid1(VALU_DEP_3)
	v_min_i32_e32 v19, s7, v19
	v_lshl_or_b32 v7, v7, 4, v27
	v_lshl_or_b32 v27, v28, 2, 0x4200
	s_mov_b32 s5, 0
	s_wait_kmcnt 0x0
	s_add_nc_u64 s[0:1], s[0:1], s[10:11]
	v_mad_co_u64_u32 v[28:29], null, v19, s4, v[2:3]
	v_add_nc_u32_e32 v2, 0x7280, v7
	v_mul_lo_u32 v7, s4, v10
	v_mul_lo_u32 v10, s4, v13
	v_mul_lo_u32 v3, s4, v3
	v_add_nc_u32_e32 v13, 64, v34
	scratch_store_b32 off, v2, off offset:212 ; 4-byte Folded Spill
	v_mul_lo_u32 v2, s4, v4
	v_mul_lo_u32 v4, s4, v6
	;; [unrolled: 1-line block ×5, first 2 shown]
	v_add_nc_u32_e32 v14, 32, v34
	s_clause 0x6
	scratch_store_b32 off, v7, off offset:228
	scratch_store_b32 off, v10, off offset:236
	;; [unrolled: 1-line block ×7, first 2 shown]
	v_lshlrev_b32_e32 v6, 7, v21
	v_add_nc_u32_e32 v3, 0x60, v34
	v_and_b32_e32 v21, 0x1fc, v14
	v_lshrrev_b32_e32 v14, 3, v14
	scratch_store_b64 off, v[28:29], off offset:524 ; 8-byte Folded Spill
	v_lshlrev_b32_e32 v4, 7, v20
	v_lshlrev_b32_e32 v20, 5, v34
	v_and_b32_e32 v3, 0x1fc, v3
	v_and_b32_e32 v13, 0x1fc, v13
	scratch_store_b32 off, v14, off offset:564 ; 4-byte Folded Spill
	v_lshlrev_b32_e32 v2, 7, v33
	v_add_nc_u32_e32 v14, v20, v21
	v_add_nc_u32_e32 v3, v20, v3
	;; [unrolled: 1-line block ×4, first 2 shown]
	v_add_co_u32 v20, s4, s2, v1
	s_delay_alu instid0(VALU_DEP_4)
	v_add_nc_u32_e32 v1, 0x6e00, v3
	s_wait_alu 0xf1ff
	v_add_co_ci_u32_e64 v21, null, s3, 0, s4
	scratch_store_b32 off, v12, off offset:240 ; 4-byte Folded Spill
	v_lshlrev_b32_e32 v7, 7, v22
	scratch_store_b32 off, v1, off offset:532 ; 4-byte Folded Spill
	v_add_nc_u32_e32 v1, 0x6a00, v13
	v_lshlrev_b32_e32 v8, 7, v23
	v_lshlrev_b32_e32 v10, 7, v24
	;; [unrolled: 1-line block ×4, first 2 shown]
	scratch_store_b32 off, v1, off offset:536 ; 4-byte Folded Spill
	v_dual_mov_b32 v34, 0 :: v_dual_add_nc_u32 v1, 0x6600, v14
	s_add_co_i32 s7, s15, 3
	s_wait_alu 0xfffe
	s_mov_b32 s4, s5
	scratch_store_b32 off, v1, off offset:540 ; 4-byte Folded Spill
	v_add_nc_u32_e32 v1, 0x6200, v0
	v_add_nc_u32_e32 v0, 0x6210, v0
	s_clause 0x1
	scratch_store_b32 off, v1, off offset:544
	scratch_store_b32 off, v0, off offset:580
	v_lshl_add_u32 v1, v33, 4, 0x7280
	scratch_store_b64 off, v[20:21], off offset:248 ; 8-byte Folded Spill
	v_dual_mov_b32 v33, 0 :: v_dual_add_nc_u32 v0, v27, v2
	scratch_store_b32 off, v1, off offset:256 ; 4-byte Folded Spill
	v_add_nc_u32_e32 v1, 0x4200, v2
	scratch_store_b32 off, v0, off offset:264 ; 4-byte Folded Spill
	v_add_nc_u32_e32 v0, v27, v4
	;; [unrolled: 2-line block ×8, first 2 shown]
	s_clause 0x1
	scratch_store_b32 off, v1, off offset:576
	scratch_store_b32 off, v0, off offset:280
	v_add_nc_u32_e32 v0, v27, v10
	scratch_store_b32 off, v0, off offset:284 ; 4-byte Folded Spill
	v_add_nc_u32_e32 v0, v27, v12
	scratch_store_b32 off, v0, off offset:288 ; 4-byte Folded Spill
	v_add_nc_u32_e32 v0, v27, v19
	s_clause 0x1f
	scratch_store_b32 off, v0, off offset:292
	scratch_store_b32 off, v41, off offset:300
	;; [unrolled: 1-line block ×4, first 2 shown]
	scratch_store_b64 off, v[46:47], off offset:312
	scratch_store_b32 off, v47, off offset:320
	scratch_store_b64 off, v[48:49], off offset:324
	scratch_store_b32 off, v49, off offset:332
	;; [unrolled: 2-line block ×14, first 2 shown]
	s_clause 0xb
	scratch_store_b32 off, v85, off offset:484
	scratch_store_b64 off, v[86:87], off offset:488
	scratch_store_b32 off, v87, off offset:496
	scratch_store_b64 off, v[88:89], off offset:500
	scratch_store_b32 off, v89, off offset:508
	scratch_store_b32 off, v90, off offset:512
	;; [unrolled: 1-line block ×8, first 2 shown]
	s_branch .LBB120_7
.LBB120_5:                              ;   in Loop: Header=BB120_7 Depth=1
	s_clause 0x1b
	scratch_load_b32 v41, off, off offset:300
	scratch_load_b32 v44, off, off offset:304
	;; [unrolled: 1-line block ×3, first 2 shown]
	scratch_load_b64 v[46:47], off, off offset:312
	scratch_load_b64 v[48:49], off, off offset:324
	;; [unrolled: 1-line block ×10, first 2 shown]
	scratch_load_b32 v73, off, off offset:428
	scratch_load_b64 v[75:76], off, off offset:432
	scratch_load_b64 v[77:78], off, off offset:448
	;; [unrolled: 1-line block ×4, first 2 shown]
	scratch_load_b32 v85, off, off offset:484
	scratch_load_b64 v[86:87], off, off offset:488
	scratch_load_b64 v[88:89], off, off offset:500
	scratch_load_b32 v90, off, off offset:512
	scratch_load_b32 v91, off, off offset:516
	;; [unrolled: 1-line block ×7, first 2 shown]
	s_wait_loadcnt 0x18
	scratch_load_b32 v47, off, off offset:320 ; 4-byte Folded Reload
	s_wait_loadcnt 0x18
	scratch_load_b32 v49, off, off offset:332 ; 4-byte Folded Reload
	;; [unrolled: 2-line block ×15, first 2 shown]
	v_mov_b32_e32 v70, v0
.LBB120_6:                              ;   in Loop: Header=BB120_7 Depth=1
	s_add_co_i32 s4, s4, 8
	s_add_co_i32 s7, s7, -8
	s_wait_alu 0xfffe
	s_cmp_ge_i32 s4, s15
	s_cbranch_scc1 .LBB120_14
.LBB120_7:                              ; =>This Loop Header: Depth=1
                                        ;     Child Loop BB120_9 Depth 2
                                        ;     Child Loop BB120_12 Depth 2
	s_wait_alu 0xfffe
	s_mul_u64 s[10:11], s[4:5], 20
	s_cmp_gt_u32 s7, 3
	s_wait_alu 0xfffe
	s_add_nc_u64 s[10:11], s[0:1], s[10:11]
	s_wait_alu 0xfffe
	v_mad_co_u64_u32 v[0:1], null, v41, 20, s[10:11]
	s_delay_alu instid0(VALU_DEP_1)
	v_mad_co_i64_i32 v[2:3], null, v45, 20, v[0:1]
	s_wait_loadcnt 0xe
	v_mad_co_i64_i32 v[4:5], null, v47, 20, v[0:1]
	s_wait_loadcnt 0xd
	v_mad_co_i64_i32 v[6:7], null, v49, 20, v[0:1]
	s_wait_loadcnt 0xc
	v_mad_co_i64_i32 v[8:9], null, v52, 20, v[0:1]
	s_delay_alu instid0(VALU_DEP_4)
	v_add_co_u32 v2, vcc_lo, v2, v44
	s_wait_loadcnt 0xb
	v_mad_co_i64_i32 v[10:11], null, v54, 20, v[0:1]
	s_wait_alu 0xfffd
	v_add_co_ci_u32_e64 v3, null, 0, v3, vcc_lo
	v_add_co_u32 v4, vcc_lo, v4, v44
	s_wait_loadcnt 0xa
	v_mad_co_i64_i32 v[12:13], null, v56, 20, v[0:1]
	s_wait_alu 0xfffd
	v_add_co_ci_u32_e64 v5, null, 0, v5, vcc_lo
	;; [unrolled: 5-line block ×4, first 2 shown]
	v_add_co_u32 v10, vcc_lo, v10, v44
	s_wait_alu 0xfffd
	v_add_co_ci_u32_e64 v11, null, 0, v11, vcc_lo
	v_add_co_u32 v12, vcc_lo, v12, v44
	s_wait_alu 0xfffd
	v_add_co_ci_u32_e64 v13, null, 0, v13, vcc_lo
	;; [unrolled: 3-line block ×3, first 2 shown]
	v_add_co_u32 v16, vcc_lo, v16, v44
	s_wait_loadcnt 0x7
	v_mad_co_i64_i32 v[18:19], null, v63, 20, v[0:1]
	s_wait_alu 0xfffd
	v_add_co_ci_u32_e64 v17, null, 0, v17, vcc_lo
	s_clause 0x7
	global_load_b32 v24, v[2:3], off offset:4
	global_load_b32 v25, v[4:5], off offset:4
	global_load_b32 v26, v[6:7], off offset:4
	global_load_b32 v27, v[8:9], off offset:4
	global_load_b32 v28, v[10:11], off offset:4
	global_load_b32 v29, v[12:13], off offset:4
	global_load_b32 v30, v[14:15], off offset:4
	global_load_b32 v31, v[16:17], off offset:4
	s_wait_loadcnt 0xe
	v_mad_co_i64_i32 v[2:3], null, v69, 20, v[0:1]
	v_mad_co_i64_i32 v[6:7], null, v73, 20, v[0:1]
	s_wait_loadcnt 0xd
	v_mad_co_i64_i32 v[8:9], null, v76, 20, v[0:1]
	v_add_co_u32 v4, vcc_lo, v18, v44
	s_wait_loadcnt 0xc
	v_mad_co_i64_i32 v[10:11], null, v78, 20, v[0:1]
	s_wait_alu 0xfffd
	v_add_co_ci_u32_e64 v5, null, 0, v19, vcc_lo
	v_add_co_u32 v2, vcc_lo, v2, v44
	s_wait_loadcnt 0xb
	v_mad_co_i64_i32 v[12:13], null, v81, 20, v[0:1]
	s_wait_alu 0xfffd
	v_add_co_ci_u32_e64 v3, null, 0, v3, vcc_lo
	;; [unrolled: 5-line block ×4, first 2 shown]
	v_add_co_u32 v10, vcc_lo, v10, v44
	v_mad_co_u64_u32 v[16:17], null, v85, 20, s[10:11]
	s_wait_alu 0xfffd
	v_add_co_ci_u32_e64 v11, null, 0, v11, vcc_lo
	v_add_co_u32 v12, vcc_lo, v12, v44
	s_wait_alu 0xfffd
	v_add_co_ci_u32_e64 v13, null, 0, v13, vcc_lo
	v_add_co_u32 v14, vcc_lo, v14, v44
	s_wait_alu 0xfffd
	v_add_co_ci_u32_e64 v15, null, 0, v15, vcc_lo
	v_add_co_u32 v0, vcc_lo, v0, v44
	s_wait_alu 0xfffd
	v_add_co_ci_u32_e64 v1, null, 0, v1, vcc_lo
	s_wait_loadcnt 0x8
	v_mad_co_i64_i32 v[18:19], null, v89, 20, v[16:17]
	v_mad_co_i64_i32 v[20:21], null, v90, 20, v[16:17]
	;; [unrolled: 1-line block ×4, first 2 shown]
	s_clause 0xb
	global_load_b32 v4, v[4:5], off offset:4
	global_load_b32 v2, v[2:3], off offset:4
	;; [unrolled: 1-line block ×8, first 2 shown]
	global_load_b32 v1, v[18:19], off
	global_load_b32 v9, v[20:21], off
	;; [unrolled: 1-line block ×4, first 2 shown]
	s_wait_loadcnt 0x13
	ds_store_b32 v46, v24
	s_wait_loadcnt 0x12
	ds_store_b32 v48, v25
	;; [unrolled: 2-line block ×20, first 2 shown]
	s_cbranch_scc0 .LBB120_6
; %bb.8:                                ;   in Loop: Header=BB120_7 Depth=1
	s_clause 0x4
	scratch_load_b32 v0, off, off offset:444
	scratch_load_b32 v9, off, off offset:244
	;; [unrolled: 1-line block ×3, first 2 shown]
	scratch_load_b64 v[15:16], off, off offset:248
	scratch_load_b32 v11, off, off offset:236
	s_mov_b32 s10, -4
	s_wait_loadcnt 0x4
	v_add_nc_u32_e32 v8, s4, v0
	scratch_load_b64 v[0:1], off, off offset:524 ; 8-byte Folded Reload
	s_wait_loadcnt 0x0
	scratch_load_b32 v1, off, off offset:220 ; 4-byte Folded Reload
	v_add_nc_u32_e32 v9, v8, v9
	v_add_nc_u32_e32 v10, v8, v10
	v_add_nc_u32_e32 v12, v8, v11
	scratch_load_b32 v11, off, off offset:240 ; 4-byte Folded Reload
	v_mad_co_i64_i32 v[12:13], null, v12, 36, v[15:16]
	v_add_nc_u32_e32 v17, s4, v0
	scratch_load_b32 v0, off, off offset:216 ; 4-byte Folded Reload
	s_wait_loadcnt 0x2
	v_add_nc_u32_e32 v2, v8, v1
	scratch_load_b32 v1, off, off offset:224 ; 4-byte Folded Reload
	scratch_store_b32 off, v17, off offset:296 ; 4-byte Folded Spill
	v_mad_co_i64_i32 v[2:3], null, v2, 36, v[15:16]
	s_wait_loadcnt 0x2
	v_add_nc_u32_e32 v14, v8, v11
	v_mad_co_i64_i32 v[10:11], null, v10, 36, v[15:16]
	s_wait_loadcnt 0x1
	v_add_nc_u32_e32 v0, v8, v0
	s_wait_loadcnt 0x0
	v_add_nc_u32_e32 v4, v8, v1
	scratch_load_b32 v1, off, off offset:228 ; 4-byte Folded Reload
	v_mad_co_i64_i32 v[4:5], null, v4, 36, v[15:16]
	s_wait_loadcnt 0x0
	v_add_nc_u32_e32 v6, v8, v1
	v_mad_co_i64_i32 v[8:9], null, v9, 36, v[15:16]
	v_mad_co_i64_i32 v[0:1], null, v0, 36, v[15:16]
	s_delay_alu instid0(VALU_DEP_3)
	v_mad_co_i64_i32 v[6:7], null, v6, 36, v[15:16]
	v_mad_co_i64_i32 v[14:15], null, v14, 36, v[15:16]
	v_mad_co_u64_u32 v[16:17], null, v17, 36, s[2:3]
	s_clause 0x8
	global_load_b32 v8, v[8:9], off offset:4
	global_load_b32 v0, v[0:1], off offset:4
	;; [unrolled: 1-line block ×8, first 2 shown]
	global_load_b32 v7, v[16:17], off
	s_clause 0x2
	scratch_load_b32 v160, off, off offset:260
	scratch_load_b32 v161, off, off offset:256
	;; [unrolled: 1-line block ×3, first 2 shown]
	s_wait_loadcnt 0x0
	v_mul_u32_u24_e32 v166, 0x84, v9
	s_clause 0x4
	scratch_load_b32 v162, off, off offset:544
	scratch_load_b32 v163, off, off offset:540
	;; [unrolled: 1-line block ×5, first 2 shown]
	s_wait_loadcnt 0x0
	ds_store_b32 v9, v8
	scratch_load_b32 v8, off, off offset:264 ; 4-byte Folded Reload
	s_wait_loadcnt 0x0
	ds_store_b32 v8, v0
	scratch_load_b32 v0, off, off offset:268 ; 4-byte Folded Reload
	;; [unrolled: 3-line block ×8, first 2 shown]
	s_wait_loadcnt 0x0
	ds_store_b32 v0, v7
	s_wait_storecnt_dscnt 0x0
	s_barrier_signal -1
	s_barrier_wait -1
	global_inv scope:SCOPE_SE
.LBB120_9:                              ;   Parent Loop BB120_7 Depth=1
                                        ; =>  This Inner Loop Header: Depth=2
	s_clause 0x13
	scratch_store_b32 off, v111, off offset:76
	scratch_store_b32 off, v112, off offset:72
	;; [unrolled: 1-line block ×19, first 2 shown]
	scratch_store_b32 off, v36, off
	ds_load_b32 v3, v162
	ds_load_b32 v2, v163
	;; [unrolled: 1-line block ×4, first 2 shown]
	ds_load_2addr_b32 v[4:5], v161 offset1:32
	ds_load_2addr_b32 v[20:21], v160 offset0:4 offset1:7
	ds_load_2addr_b32 v[36:37], v166 offset1:1
	ds_load_2addr_b32 v[38:39], v160 offset0:1 offset1:2
	ds_load_2addr_b32 v[57:58], v166 offset0:2 offset1:3
	;; [unrolled: 1-line block ×3, first 2 shown]
	ds_load_2addr_b32 v[22:23], v160 offset1:3
	v_mov_b32_e32 v104, v79
	v_add_nc_u32_e32 v44, 0x400, v160
	v_add_nc_u32_e32 v165, 4, v165
	;; [unrolled: 1-line block ×5, first 2 shown]
	s_wait_alu 0xfffe
	s_add_co_i32 s10, s10, 4
	v_dual_mov_b32 v120, v110 :: v_dual_mov_b32 v117, v109
	v_mov_b32_e32 v112, v107
	v_mov_b32_e32 v110, v105
	s_wait_alu 0xfffe
	s_cmp_lt_u32 s10, 12
	v_mov_b32_e32 v111, v106
	s_wait_dscnt 0x6
	v_pk_mul_f16 v6, v4, v3
	s_wait_dscnt 0x5
	v_bfe_i32 v56, v20, 16, 8
	s_wait_dscnt 0x4
	v_bfe_u32 v213, v36, 20, 4
	v_bfe_u32 v199, v36, 16, 4
	s_wait_dscnt 0x3
	v_bfe_i32 v206, v38, 16, 8
	scratch_store_b32 off, v6, off offset:152 ; 4-byte Folded Spill
	v_pk_mul_f16 v6, v4, v2
	s_wait_dscnt 0x0
	v_bfe_i32 v40, v22, 16, 8
	v_bfe_u32 v207, v37, 16, 4
	v_bfe_i32 v236, v52, 16, 8
	v_bfe_u32 v239, v37, 20, 4
	scratch_store_b32 off, v6, off offset:132 ; 4-byte Folded Spill
	v_pk_mul_f16 v6, v4, v1
	v_pk_mul_f16 v4, v4, v0
	v_ashrrev_i32_e32 v7, 24, v20
	v_bfe_u32 v200, v36, 24, 4
	v_bfe_u32 v12, v37, 24, 4
	v_lshrrev_b32_e32 v253, 28, v37
	scratch_store_b32 off, v4, off offset:144 ; 4-byte Folded Spill
	v_pk_mul_f16 v4, v3, v5
	scratch_store_b32 off, v6, off offset:148 ; 4-byte Folded Spill
	v_ashrrev_i32_e32 v175, 24, v38
	v_ashrrev_i32_e32 v238, 24, v52
	v_bfe_u32 v8, v36, 4, 4
	scratch_store_b32 off, v4, off offset:104 ; 4-byte Folded Spill
	v_pk_mul_f16 v4, v2, v5
	v_and_b32_e32 v201, 15, v36
	v_bfe_i32 v14, v38, 0, 8
	v_and_b32_e32 v170, 15, v37
	v_bfe_i32 v252, v52, 0, 8
	scratch_store_b32 off, v4, off offset:196 ; 4-byte Folded Spill
	v_pk_mul_f16 v4, v1, v5
	v_bfe_u32 v144, v57, 24, 4
	v_mul_i32_i24_e32 v10, v14, v170
	v_lshrrev_b32_e32 v233, 28, v57
	v_ashrrev_i32_e32 v241, 24, v39
	scratch_store_b32 off, v4, off offset:140 ; 4-byte Folded Spill
	v_pk_mul_f16 v4, v0, v5
	v_ashrrev_i32_e32 v216, 24, v53
	v_bfe_i32 v243, v39, 16, 8
	v_bfe_u32 v245, v57, 16, 4
	v_bfe_i32 v218, v53, 16, 8
	scratch_store_b32 off, v4, off offset:136 ; 4-byte Folded Spill
	ds_load_2addr_b32 v[4:5], v161 offset0:64 offset1:96
	v_bfe_u32 v221, v57, 20, 4
	v_bfe_i32 v143, v39, 0, 8
	v_and_b32_e32 v247, 15, v57
	v_bfe_i32 v232, v53, 0, 8
	v_bfe_u32 v234, v57, 4, 4
	v_bfe_i32 v180, v38, 8, 8
	v_bfe_i32 v226, v23, 16, 8
	v_bfe_u32 v229, v58, 16, 4
	v_bfe_u32 v212, v58, 20, 4
	;; [unrolled: 1-line block ×3, first 2 shown]
	v_lshrrev_b32_e32 v215, 28, v58
	v_ashrrev_i32_e32 v228, 24, v23
	v_bfe_i32 v237, v23, 0, 8
	v_and_b32_e32 v230, 15, v58
	v_bfe_i32 v214, v21, 0, 8
	v_bfe_u32 v217, v58, 4, 4
	v_mov_b32_e32 v109, v34
	v_dual_mov_b32 v107, v101 :: v_dual_add_nc_u32 v18, 0x1088, v166
	s_wait_dscnt 0x0
	v_pk_mul_f16 v6, v3, v4
	v_dual_mov_b32 v105, v74 :: v_dual_mov_b32 v106, v71
	v_mov_b32_e32 v101, v84
	scratch_store_b32 off, v6, off offset:108 ; 4-byte Folded Spill
	v_pk_mul_f16 v6, v2, v4
	scratch_store_b32 off, v6, off offset:80 ; 4-byte Folded Spill
	v_pk_mul_f16 v6, v1, v4
	v_pk_mul_f16 v4, v0, v4
	scratch_store_b32 off, v4, off offset:156 ; 4-byte Folded Spill
	v_pk_mul_f16 v4, v3, v5
	scratch_store_b32 off, v4, off offset:112 ; 4-byte Folded Spill
	v_pk_mul_f16 v4, v2, v5
	s_clause 0x1
	scratch_store_b32 off, v6, off offset:164
	scratch_store_b32 off, v4, off offset:84
	v_pk_mul_f16 v4, v1, v5
	scratch_store_b32 off, v4, off offset:168 ; 4-byte Folded Spill
	v_pk_mul_f16 v4, v0, v5
	scratch_store_b32 off, v4, off offset:160 ; 4-byte Folded Spill
	ds_load_2addr_b32 v[4:5], v161 offset0:128 offset1:160
	s_wait_dscnt 0x0
	v_pk_mul_f16 v6, v3, v4
	scratch_store_b32 off, v6, off offset:116 ; 4-byte Folded Spill
	v_pk_mul_f16 v6, v2, v4
	scratch_store_b32 off, v6, off offset:88 ; 4-byte Folded Spill
	v_pk_mul_f16 v6, v1, v4
	v_pk_mul_f16 v4, v0, v4
	scratch_store_b32 off, v4, off offset:172 ; 4-byte Folded Spill
	v_pk_mul_f16 v4, v3, v5
	scratch_store_b32 off, v4, off offset:120 ; 4-byte Folded Spill
	v_pk_mul_f16 v4, v2, v5
	s_clause 0x1
	scratch_store_b32 off, v6, off offset:180
	scratch_store_b32 off, v4, off offset:92
	v_pk_mul_f16 v4, v1, v5
	scratch_store_b32 off, v4, off offset:184 ; 4-byte Folded Spill
	v_pk_mul_f16 v4, v0, v5
	scratch_store_b32 off, v4, off offset:176 ; 4-byte Folded Spill
	ds_load_2addr_b32 v[4:5], v161 offset0:192 offset1:224
	v_add_nc_u32_e32 v161, 4, v161
	s_wait_dscnt 0x0
	v_pk_mul_f16 v6, v3, v4
	v_pk_mul_f16 v3, v3, v5
	scratch_store_b32 off, v3, off offset:124 ; 4-byte Folded Spill
	v_pk_mul_f16 v3, v2, v4
	v_pk_mul_f16 v2, v2, v5
	scratch_store_b32 off, v6, off offset:128 ; 4-byte Folded Spill
	v_lshrrev_b32_e32 v6, 28, v36
	s_clause 0x1
	scratch_store_b32 off, v3, off offset:100
	scratch_store_b32 off, v2, off offset:96
	v_pk_mul_f16 v2, v1, v4
	v_pk_mul_f16 v1, v1, v5
	v_mul_i32_i24_e32 v3, v238, v253
	s_clause 0x1
	scratch_store_b32 off, v2, off offset:200
	scratch_store_b32 off, v1, off offset:188
	v_pk_mul_f16 v1, v0, v4
	v_pk_mul_f16 v0, v0, v5
	v_mul_i32_i24_e32 v2, v236, v239
	s_clause 0x1
	scratch_store_b32 off, v1, off offset:204
	scratch_store_b32 off, v0, off offset:192
	v_mul_i32_i24_e32 v0, v213, v56
	v_mul_i32_i24_e32 v1, v206, v207
	s_delay_alu instid0(VALU_DEP_2) | instskip(NEXT) | instid1(VALU_DEP_1)
	v_mad_i32_i24 v0, v199, v40, v0
	v_add3_u32 v4, v0, v1, v2
	v_ashrrev_i32_e32 v2, 24, v22
	v_mul_i32_i24_e32 v0, v6, v7
	v_mul_i32_i24_e32 v1, v175, v12
	s_delay_alu instid0(VALU_DEP_2) | instskip(NEXT) | instid1(VALU_DEP_1)
	v_mad_i32_i24 v0, v200, v2, v0
	v_add3_u32 v5, v0, v1, v3
	v_bfe_i32 v1, v20, 0, 8
	v_bfe_i32 v3, v22, 0, 8
	v_lshrrev_b16 v20, 8, v20
	s_delay_alu instid0(VALU_DEP_3) | instskip(NEXT) | instid1(VALU_DEP_1)
	v_mul_i32_i24_e32 v0, v8, v1
	v_mad_i32_i24 v9, v201, v3, v0
	v_bfe_u32 v0, v37, 4, 4
	s_delay_alu instid0(VALU_DEP_1) | instskip(NEXT) | instid1(VALU_DEP_1)
	v_mul_i32_i24_e32 v11, v252, v0
	v_add3_u32 v9, v9, v10, v11
	v_mul_i32_i24_e32 v10, v241, v144
	v_mul_i32_i24_e32 v11, v216, v233
	s_delay_alu instid0(VALU_DEP_1) | instskip(SKIP_2) | instid1(VALU_DEP_1)
	v_add3_u32 v11, v5, v10, v11
	v_mul_i32_i24_e32 v5, v243, v245
	v_mul_i32_i24_e32 v10, v218, v221
	v_add3_u32 v13, v4, v5, v10
	v_mul_i32_i24_e32 v4, v143, v247
	v_mul_i32_i24_e32 v5, v232, v234
	s_delay_alu instid0(VALU_DEP_1) | instskip(SKIP_1) | instid1(VALU_DEP_1)
	v_add3_u32 v41, v9, v4, v5
	v_lshrrev_b16 v4, 8, v22
	v_bfe_i32 v22, v4, 0, 8
	v_add_nc_u32_e32 v4, 0x2100, v166
	ds_load_2addr_b32 v[59:60], v4 offset1:1
	s_wait_dscnt 0x0
	v_and_b32_e32 v208, 15, v59
	v_bfe_u32 v209, v59, 8, 4
	v_bfe_u32 v202, v59, 16, 4
	;; [unrolled: 1-line block ×4, first 2 shown]
	v_mul_i32_i24_e32 v4, v3, v208
	v_bfe_u32 v49, v59, 4, 4
	v_mul_i32_i24_e32 v5, v40, v202
	v_mul_i32_i24_e32 v9, v2, v203
	v_bfe_u32 v95, v59, 20, 4
	v_mad_i32_i24 v4, v22, v209, v4
	v_lshrrev_b32_e32 v97, 28, v59
	v_bfe_u32 v185, v60, 8, 4
	v_bfe_u32 v186, v60, 24, 4
	;; [unrolled: 1-line block ×3, first 2 shown]
	v_add3_u32 v42, v4, v5, v9
	v_add_nc_u32_e32 v4, 0x3180, v166
	ds_load_2addr_b32 v[61:62], v4 offset1:1
	s_wait_dscnt 0x0
	v_and_b32_e32 v210, 15, v61
	v_bfe_u32 v211, v61, 8, 4
	v_bfe_u32 v204, v61, 16, 4
	;; [unrolled: 1-line block ×4, first 2 shown]
	v_mul_i32_i24_e32 v4, v3, v210
	v_bfe_u32 v51, v61, 4, 4
	v_mul_i32_i24_e32 v5, v40, v204
	v_mul_i32_i24_e32 v9, v2, v205
	v_bfe_u32 v98, v61, 20, 4
	v_mad_i32_i24 v4, v22, v211, v4
	v_lshrrev_b32_e32 v99, 28, v61
	v_ashrrev_i32_e32 v61, 24, v21
	v_bfe_u32 v190, v62, 8, 4
	v_bfe_u32 v191, v62, 24, 4
	v_add3_u32 v43, v4, v5, v9
	v_add_nc_u32_e32 v4, 0x1080, v166
	v_add_nc_u32_e32 v9, 0x404, v160
	ds_load_2addr_b32 v[4:5], v4 offset1:1
	ds_load_2addr_b32 v[54:55], v9 offset1:1
	ds_load_2addr_b32 v[63:64], v44 offset0:4 offset1:7
	v_bfe_u32 v75, v62, 16, 4
	v_bfe_u32 v85, v62, 4, 4
	s_wait_dscnt 0x2
	v_bfe_u32 v136, v5, 16, 4
	s_wait_dscnt 0x1
	v_bfe_i32 v15, v54, 16, 8
	v_bfe_u32 v16, v4, 20, 4
	s_wait_dscnt 0x0
	v_bfe_i32 v69, v63, 16, 8
	v_bfe_u32 v128, v5, 20, 4
	v_bfe_i32 v116, v55, 16, 8
	v_mul_i32_i24_e32 v9, v15, v136
	v_and_b32_e32 v154, 15, v5
	v_bfe_u32 v89, v4, 4, 4
	v_bfe_i32 v93, v63, 0, 8
	v_bfe_u32 v135, v5, 4, 4
	v_mad_i32_i24 v17, v69, v16, v9
	v_add_nc_u32_e32 v9, 0x414, v160
	ds_load_2addr_b32 v[9:10], v9 offset1:1
	ds_load_2addr_b32 v[65:66], v18 offset1:1
	v_bfe_i32 v80, v55, 0, 8
	v_bfe_u32 v177, v5, 24, 4
	v_ashrrev_i32_e32 v102, 24, v54
	v_ashrrev_i32_e32 v94, 24, v63
	v_lshrrev_b32_e32 v133, 28, v5
	v_ashrrev_i32_e32 v134, 24, v55
	ds_load_2addr_b32 v[67:68], v44 offset1:3
	v_bfe_i32 v235, v64, 16, 8
	v_bfe_i32 v249, v64, 0, 8
	v_ashrrev_i32_e32 v250, 24, v64
	v_bfe_i32 v64, v64, 8, 8
	s_wait_dscnt 0x2
	v_bfe_i32 v152, v9, 16, 8
	s_wait_dscnt 0x1
	v_bfe_u32 v248, v65, 16, 4
	v_bfe_i32 v176, v9, 0, 8
	v_and_b32_e32 v251, 15, v65
	v_bfe_u32 v139, v65, 24, 4
	v_mul_i32_i24_e32 v18, v152, v128
	v_mul_i32_i24_e32 v19, v116, v248
	v_ashrrev_i32_e32 v178, 24, v9
	v_mul_i32_i24_e32 v24, v80, v251
	v_mul_i32_i24_e32 v25, v134, v139
	v_lshrrev_b32_e32 v254, 28, v65
	v_add3_u32 v45, v17, v18, v19
	v_bfe_i32 v18, v54, 0, 8
	v_mul_i32_i24_e32 v19, v176, v135
	v_bfe_u32 v231, v66, 24, 4
	v_ashrrev_i32_e32 v131, 24, v10
	s_wait_dscnt 0x0
	v_ashrrev_i32_e32 v255, 24, v68
	v_mul_i32_i24_e32 v17, v18, v154
	v_bfe_u32 v145, v65, 4, 4
	v_bfe_i32 v132, v10, 0, 8
	v_and_b32_e32 v222, 15, v66
	v_bfe_i32 v242, v68, 0, 8
	v_mad_i32_i24 v17, v93, v89, v17
	v_bfe_u32 v246, v65, 20, 4
	v_bfe_i32 v140, v10, 16, 8
	v_bfe_u32 v223, v66, 16, 4
	v_bfe_i32 v244, v68, 16, 8
	v_add3_u32 v46, v17, v19, v24
	v_lshrrev_b32_e32 v19, 28, v4
	v_mul_i32_i24_e32 v17, v102, v177
	v_mul_i32_i24_e32 v24, v178, v133
	v_bfe_u32 v219, v66, 20, 4
	v_bfe_i32 v224, v67, 0, 8
	v_bfe_u32 v227, v66, 4, 4
	v_mad_i32_i24 v17, v94, v19, v17
	v_lshrrev_b32_e32 v225, 28, v66
	v_ashrrev_i32_e32 v220, 24, v67
	v_bfe_i32 v68, v68, 8, 8
	s_delay_alu instid0(VALU_DEP_4)
	v_add3_u32 v47, v17, v24, v25
	v_add_nc_u32_e32 v17, 0x800, v160
	ds_load_2addr_b32 v[24:25], v17 offset0:4 offset1:7
	s_wait_dscnt 0x0
	v_bfe_i32 v100, v24, 8, 8
	v_bfe_i32 v103, v24, 0, 8
	v_bfe_i32 v108, v24, 16, 8
	v_ashrrev_i32_e32 v113, 24, v24
	s_delay_alu instid0(VALU_DEP_4) | instskip(NEXT) | instid1(VALU_DEP_3)
	v_mul_i32_i24_e32 v17, v100, v48
	v_mul_i32_i24_e32 v24, v108, v95
	s_delay_alu instid0(VALU_DEP_3) | instskip(NEXT) | instid1(VALU_DEP_3)
	v_mul_i32_i24_e32 v26, v113, v97
	v_mad_i32_i24 v17, v103, v49, v17
	s_delay_alu instid0(VALU_DEP_1) | instskip(SKIP_3) | instid1(VALU_DEP_3)
	v_add3_u32 v81, v17, v24, v26
	v_mul_i32_i24_e32 v17, v100, v50
	v_mul_i32_i24_e32 v24, v108, v98
	v_mul_i32_i24_e32 v26, v113, v99
	v_mad_i32_i24 v17, v103, v51, v17
	s_delay_alu instid0(VALU_DEP_1)
	v_add3_u32 v114, v17, v24, v26
	v_add_nc_u32_e32 v17, 0xc00, v160
	ds_load_2addr_b32 v[26:27], v17 offset0:4 offset1:7
	s_wait_dscnt 0x0
	v_bfe_i32 v115, v26, 8, 8
	v_bfe_i32 v118, v26, 0, 8
	v_bfe_i32 v119, v26, 16, 8
	v_ashrrev_i32_e32 v121, 24, v26
	s_delay_alu instid0(VALU_DEP_4) | instskip(NEXT) | instid1(VALU_DEP_3)
	v_mul_i32_i24_e32 v17, v115, v48
	v_mul_i32_i24_e32 v24, v119, v95
	s_delay_alu instid0(VALU_DEP_3) | instskip(NEXT) | instid1(VALU_DEP_3)
	v_mul_i32_i24_e32 v26, v121, v97
	v_mad_i32_i24 v17, v118, v49, v17
	s_delay_alu instid0(VALU_DEP_1) | instskip(SKIP_3) | instid1(VALU_DEP_3)
	v_add3_u32 v122, v17, v24, v26
	v_mul_i32_i24_e32 v17, v115, v50
	v_mul_i32_i24_e32 v24, v119, v98
	v_mul_i32_i24_e32 v26, v121, v99
	v_mad_i32_i24 v17, v118, v51, v17
	s_delay_alu instid0(VALU_DEP_1)
	;; [unrolled: 21-line block ×3, first 2 shown]
	v_add3_u32 v130, v17, v24, v26
	v_add_nc_u32_e32 v17, 0x1400, v160
	ds_load_2addr_b32 v[30:31], v17 offset0:4 offset1:7
	v_add_nc_u32_e32 v17, 0x1800, v160
	ds_load_2addr_b32 v[32:33], v17 offset0:4 offset1:7
	v_add_nc_u32_e32 v17, 0x1c00, v160
	ds_load_2addr_b32 v[34:35], v17 offset0:4 offset1:7
	s_wait_dscnt 0x2
	v_bfe_i32 v147, v30, 8, 8
	v_bfe_i32 v148, v30, 0, 8
	v_bfe_i32 v149, v30, 16, 8
	v_ashrrev_i32_e32 v150, 24, v30
	s_delay_alu instid0(VALU_DEP_4)
	v_mul_i32_i24_e32 v24, v147, v48
	s_wait_dscnt 0x1
	v_bfe_i32 v153, v32, 8, 8
	v_mul_i32_i24_e32 v26, v149, v95
	v_mul_i32_i24_e32 v28, v150, v97
	v_bfe_i32 v155, v32, 0, 8
	v_mad_i32_i24 v24, v148, v49, v24
	v_bfe_i32 v159, v32, 16, 8
	v_ashrrev_i32_e32 v167, 24, v32
	s_wait_dscnt 0x0
	v_bfe_i32 v168, v34, 8, 8
	v_bfe_i32 v169, v34, 0, 8
	v_add3_u32 v142, v24, v26, v28
	v_mul_i32_i24_e32 v24, v147, v50
	v_mul_i32_i24_e32 v26, v149, v98
	;; [unrolled: 1-line block ×3, first 2 shown]
	v_bfe_i32 v171, v34, 16, 8
	v_ashrrev_i32_e32 v172, 24, v34
	v_mad_i32_i24 v24, v148, v51, v24
	v_bfe_i32 v34, v21, 16, 8
	s_delay_alu instid0(VALU_DEP_2) | instskip(SKIP_3) | instid1(VALU_DEP_3)
	v_add3_u32 v151, v24, v26, v28
	v_mul_i32_i24_e32 v24, v153, v48
	v_mul_i32_i24_e32 v26, v159, v95
	v_mul_i32_i24_e32 v28, v167, v97
	v_mad_i32_i24 v24, v155, v49, v24
	s_delay_alu instid0(VALU_DEP_1) | instskip(SKIP_3) | instid1(VALU_DEP_3)
	v_add3_u32 v156, v24, v26, v28
	v_mul_i32_i24_e32 v24, v153, v50
	v_mul_i32_i24_e32 v26, v159, v98
	v_mul_i32_i24_e32 v28, v167, v99
	v_mad_i32_i24 v24, v155, v51, v24
	s_delay_alu instid0(VALU_DEP_1) | instskip(SKIP_3) | instid1(VALU_DEP_3)
	;; [unrolled: 6-line block ×3, first 2 shown]
	v_add3_u32 v158, v24, v26, v28
	v_mul_i32_i24_e32 v24, v168, v50
	v_mul_i32_i24_e32 v26, v171, v98
	;; [unrolled: 1-line block ×3, first 2 shown]
	v_mad_i32_i24 v24, v169, v51, v24
	s_delay_alu instid0(VALU_DEP_1) | instskip(SKIP_2) | instid1(VALU_DEP_2)
	v_add3_u32 v173, v24, v26, v28
	v_lshrrev_b32_e32 v26, 4, v36
	v_and_b32_e32 v28, 15, v4
	v_lshrrev_b16 v26, 8, v26
	s_delay_alu instid0(VALU_DEP_2) | instskip(NEXT) | instid1(VALU_DEP_2)
	v_mul_i32_i24_e32 v3, v28, v3
	v_and_b32_e32 v26, 15, v26
	s_delay_alu instid0(VALU_DEP_1) | instskip(SKIP_4) | instid1(VALU_DEP_4)
	v_and_b32_e32 v179, 0xffff, v26
	v_and_b32_e32 v24, 0xf0f0f0f, v36
	v_bfe_i32 v36, v20, 0, 8
	v_and_b32_e32 v20, 0xf0f0f0f, v37
	v_lshrrev_b32_e32 v37, 4, v37
	v_lshrrev_b16 v24, 8, v24
	s_delay_alu instid0(VALU_DEP_4) | instskip(NEXT) | instid1(VALU_DEP_4)
	v_mul_i32_i24_e32 v26, v179, v36
	v_lshrrev_b16 v20, 8, v20
	s_delay_alu instid0(VALU_DEP_4) | instskip(NEXT) | instid1(VALU_DEP_4)
	v_lshrrev_b16 v37, 8, v37
	v_and_b32_e32 v32, 0xffff, v24
	s_delay_alu instid0(VALU_DEP_3) | instskip(NEXT) | instid1(VALU_DEP_3)
	v_and_b32_e32 v174, 0xffff, v20
	v_and_b32_e32 v37, 15, v37
	s_delay_alu instid0(VALU_DEP_3) | instskip(NEXT) | instid1(VALU_DEP_3)
	v_mul_i32_i24_e32 v20, v32, v22
	v_mul_i32_i24_e32 v24, v180, v174
	s_delay_alu instid0(VALU_DEP_1) | instskip(SKIP_3) | instid1(VALU_DEP_2)
	v_add3_u32 v38, v20, v26, v24
	v_mul_i32_i24_e32 v20, v226, v229
	v_mul_i32_i24_e32 v24, v34, v212
	v_bfe_u32 v26, v4, 24, 4
	v_add3_u32 v20, v13, v20, v24
	v_mul_i32_i24_e32 v13, v228, v240
	v_mul_i32_i24_e32 v24, v61, v215
	s_delay_alu instid0(VALU_DEP_4) | instskip(NEXT) | instid1(VALU_DEP_2)
	v_mul_i32_i24_e32 v2, v26, v2
	v_add3_u32 v181, v11, v13, v24
	v_mul_i32_i24_e32 v11, v237, v230
	v_mul_i32_i24_e32 v13, v214, v217
	;; [unrolled: 1-line block ×3, first 2 shown]
	s_delay_alu instid0(VALU_DEP_2) | instskip(SKIP_3) | instid1(VALU_DEP_2)
	v_add3_u32 v59, v41, v11, v13
	v_mul_i32_i24_e32 v11, v1, v49
	v_mul_i32_i24_e32 v13, v36, v48
	;; [unrolled: 1-line block ×3, first 2 shown]
	v_add3_u32 v11, v42, v13, v11
	v_mul_i32_i24_e32 v13, v1, v51
	v_mul_i32_i24_e32 v42, v94, v97
	;; [unrolled: 1-line block ×3, first 2 shown]
	s_delay_alu instid0(VALU_DEP_3) | instskip(SKIP_1) | instid1(VALU_DEP_1)
	v_add3_u32 v13, v43, v24, v13
	v_and_b32_e32 v24, 0xf0f0f0f, v4
	v_lshrrev_b16 v24, 8, v24
	s_delay_alu instid0(VALU_DEP_1) | instskip(SKIP_2) | instid1(VALU_DEP_3)
	v_and_b32_e32 v30, 0xffff, v24
	v_bfe_u32 v24, v4, 16, 4
	v_lshrrev_b32_e32 v4, 4, v4
	v_mad_i32_i24 v3, v30, v22, v3
	s_delay_alu instid0(VALU_DEP_3) | instskip(SKIP_1) | instid1(VALU_DEP_4)
	v_mul_i32_i24_e32 v22, v24, v40
	v_mul_i32_i24_e32 v40, v242, v222
	v_lshrrev_b16 v4, 8, v4
	s_delay_alu instid0(VALU_DEP_3) | instskip(SKIP_2) | instid1(VALU_DEP_4)
	v_add3_u32 v2, v3, v22, v2
	v_mul_i32_i24_e32 v3, v131, v254
	v_mul_i32_i24_e32 v22, v255, v231
	v_and_b32_e32 v4, 15, v4
	s_delay_alu instid0(VALU_DEP_2) | instskip(SKIP_1) | instid1(VALU_DEP_1)
	v_add3_u32 v3, v47, v3, v22
	v_mul_i32_i24_e32 v22, v132, v145
	v_add3_u32 v22, v46, v22, v40
	v_mul_i32_i24_e32 v40, v140, v246
	s_delay_alu instid0(VALU_DEP_1) | instskip(SKIP_2) | instid1(VALU_DEP_2)
	v_add3_u32 v182, v45, v40, v41
	v_lshrrev_b16 v40, 8, v63
	v_mul_i32_i24_e32 v41, v69, v95
	v_bfe_i32 v63, v40, 0, 8
	s_delay_alu instid0(VALU_DEP_1) | instskip(NEXT) | instid1(VALU_DEP_1)
	v_mul_i32_i24_e32 v40, v63, v48
	v_mad_i32_i24 v40, v93, v49, v40
	s_delay_alu instid0(VALU_DEP_1) | instskip(SKIP_3) | instid1(VALU_DEP_3)
	v_add3_u32 v183, v40, v41, v42
	v_mul_i32_i24_e32 v40, v63, v50
	v_mul_i32_i24_e32 v41, v69, v98
	;; [unrolled: 1-line block ×3, first 2 shown]
	v_mad_i32_i24 v40, v93, v51, v40
	s_delay_alu instid0(VALU_DEP_1)
	v_add3_u32 v184, v40, v41, v42
	v_add_nc_u32_e32 v40, 0x804, v160
	ds_load_2addr_b32 v[50:51], v40 offset1:1
	s_wait_dscnt 0x0
	v_bfe_i32 v187, v50, 8, 8
	v_ashrrev_i32_e32 v188, 24, v50
	v_bfe_i32 v138, v50, 16, 8
	s_delay_alu instid0(VALU_DEP_3) | instskip(NEXT) | instid1(VALU_DEP_3)
	v_mul_i32_i24_e32 v40, v187, v185
	v_mul_i32_i24_e32 v41, v188, v186
	s_delay_alu instid0(VALU_DEP_1) | instskip(SKIP_2) | instid1(VALU_DEP_1)
	v_add3_u32 v189, v81, v41, v40
	v_mul_i32_i24_e32 v40, v187, v190
	v_mul_i32_i24_e32 v41, v188, v191
	v_add3_u32 v114, v114, v41, v40
	v_add_nc_u32_e32 v40, 0xc04, v160
	ds_load_2addr_b32 v[48:49], v40 offset1:1
	s_wait_dscnt 0x0
	v_bfe_i32 v192, v48, 8, 8
	v_ashrrev_i32_e32 v193, 24, v48
	s_delay_alu instid0(VALU_DEP_2) | instskip(NEXT) | instid1(VALU_DEP_2)
	v_mul_i32_i24_e32 v40, v192, v185
	v_mul_i32_i24_e32 v41, v193, v186
	s_delay_alu instid0(VALU_DEP_1) | instskip(SKIP_2) | instid1(VALU_DEP_1)
	v_add3_u32 v122, v122, v41, v40
	v_mul_i32_i24_e32 v40, v192, v190
	v_mul_i32_i24_e32 v41, v193, v191
	v_add3_u32 v123, v123, v41, v40
	v_add_nc_u32_e32 v40, 0x1004, v160
	ds_load_2addr_b32 v[46:47], v40 offset1:1
	s_wait_dscnt 0x0
	v_bfe_i32 v194, v46, 8, 8
	v_ashrrev_i32_e32 v195, 24, v46
	s_delay_alu instid0(VALU_DEP_2) | instskip(NEXT) | instid1(VALU_DEP_2)
	;; [unrolled: 13-line block ×4, first 2 shown]
	v_mul_i32_i24_e32 v40, v71, v185
	v_mul_i32_i24_e32 v41, v146, v186
	s_delay_alu instid0(VALU_DEP_1) | instskip(SKIP_4) | instid1(VALU_DEP_3)
	v_add3_u32 v72, v156, v41, v40
	v_mul_i32_i24_e32 v40, v71, v190
	v_mul_i32_i24_e32 v41, v146, v191
	v_bfe_i32 v156, v39, 8, 8
	v_and_b32_e32 v39, 0xf0f0f0f, v57
	v_add3_u32 v73, v157, v41, v40
	v_add_nc_u32_e32 v40, 0x1c04, v160
	s_delay_alu instid0(VALU_DEP_3)
	v_lshrrev_b16 v39, 8, v39
	ds_load_2addr_b32 v[40:41], v40 offset1:1
	v_and_b32_e32 v157, 0xffff, v39
	s_wait_dscnt 0x0
	v_bfe_i32 v141, v40, 8, 8
	v_ashrrev_i32_e32 v91, 24, v40
	s_delay_alu instid0(VALU_DEP_2) | instskip(NEXT) | instid1(VALU_DEP_2)
	v_mul_i32_i24_e32 v81, v141, v185
	v_mul_i32_i24_e32 v142, v91, v186
	s_delay_alu instid0(VALU_DEP_1) | instskip(SKIP_2) | instid1(VALU_DEP_1)
	v_add3_u32 v137, v158, v142, v81
	v_mul_i32_i24_e32 v81, v141, v190
	v_mul_i32_i24_e32 v142, v91, v191
	v_add3_u32 v173, v173, v142, v81
	v_and_b32_e32 v142, 0xffff, v37
	v_bfe_i32 v81, v52, 8, 8
	v_mul_i32_i24_e32 v37, v156, v157
	v_bfe_i32 v52, v54, 8, 8
	s_delay_alu instid0(VALU_DEP_3) | instskip(NEXT) | instid1(VALU_DEP_1)
	v_mul_i32_i24_e32 v39, v81, v142
	v_add3_u32 v37, v38, v39, v37
	v_mul_i32_i24_e32 v38, v56, v95
	v_mul_i32_i24_e32 v39, v7, v97
	v_mul_i32_i24_e32 v97, v6, v150
	s_delay_alu instid0(VALU_DEP_2)
	v_add3_u32 v11, v11, v38, v39
	v_mul_i32_i24_e32 v38, v56, v98
	v_mul_i32_i24_e32 v39, v7, v99
	v_bfe_i32 v99, v48, 0, 8
	v_bfe_i32 v98, v46, 0, 8
	v_mul_i32_i24_e32 v7, v19, v7
	s_delay_alu instid0(VALU_DEP_4) | instskip(SKIP_1) | instid1(VALU_DEP_1)
	v_add3_u32 v13, v13, v38, v39
	v_and_b32_e32 v38, 0xffff, v4
	v_mul_i32_i24_e32 v4, v38, v36
	s_delay_alu instid0(VALU_DEP_1) | instskip(SKIP_4) | instid1(VALU_DEP_4)
	v_add3_u32 v36, v2, v4, v1
	v_mul_i32_i24_e32 v1, v63, v179
	v_mul_i32_i24_e32 v2, v69, v213
	;; [unrolled: 1-line block ×3, first 2 shown]
	v_bfe_i32 v94, v9, 8, 8
	v_mad_i32_i24 v1, v93, v8, v1
	v_and_b32_e32 v93, 15, v60
	s_delay_alu instid0(VALU_DEP_2) | instskip(SKIP_3) | instid1(VALU_DEP_3)
	v_add3_u32 v39, v1, v2, v4
	v_lshrrev_b32_e32 v1, 4, v5
	v_and_b32_e32 v2, 0xf0f0f0f, v5
	v_bfe_i32 v5, v48, 16, 8
	v_lshrrev_b16 v1, 8, v1
	s_delay_alu instid0(VALU_DEP_3) | instskip(NEXT) | instid1(VALU_DEP_2)
	v_lshrrev_b16 v2, 8, v2
	v_and_b32_e32 v1, 15, v1
	s_delay_alu instid0(VALU_DEP_2) | instskip(NEXT) | instid1(VALU_DEP_2)
	v_and_b32_e32 v74, 0xffff, v2
	v_and_b32_e32 v158, 0xffff, v1
	v_mul_i32_i24_e32 v1, v63, v38
	s_delay_alu instid0(VALU_DEP_3) | instskip(SKIP_1) | instid1(VALU_DEP_4)
	v_mul_i32_i24_e32 v2, v52, v74
	v_bfe_i32 v63, v67, 16, 8
	v_mul_i32_i24_e32 v4, v94, v158
	s_delay_alu instid0(VALU_DEP_1) | instskip(NEXT) | instid1(VALU_DEP_3)
	v_add3_u32 v9, v1, v2, v4
	v_mul_i32_i24_e32 v1, v63, v24
	v_mul_i32_i24_e32 v2, v235, v219
	;; [unrolled: 1-line block ×3, first 2 shown]
	s_delay_alu instid0(VALU_DEP_2) | instskip(SKIP_1) | instid1(VALU_DEP_1)
	v_add3_u32 v1, v182, v2, v1
	v_mul_i32_i24_e32 v2, v224, v28
	v_add3_u32 v95, v22, v4, v2
	v_mul_i32_i24_e32 v2, v220, v26
	v_mul_i32_i24_e32 v4, v250, v225
	s_delay_alu instid0(VALU_DEP_1) | instskip(SKIP_3) | instid1(VALU_DEP_2)
	v_add3_u32 v182, v3, v4, v2
	v_mul_i32_i24_e32 v2, v52, v185
	v_mul_i32_i24_e32 v3, v102, v186
	v_mul_i32_i24_e32 v4, v6, v113
	v_add3_u32 v22, v183, v3, v2
	v_mul_i32_i24_e32 v2, v52, v190
	v_mul_i32_i24_e32 v3, v102, v191
	v_bfe_u32 v183, v60, 16, 4
	s_delay_alu instid0(VALU_DEP_2) | instskip(SKIP_3) | instid1(VALU_DEP_3)
	v_add3_u32 v54, v184, v3, v2
	v_mul_i32_i24_e32 v2, v179, v100
	v_mul_i32_i24_e32 v3, v213, v108
	v_bfe_i32 v184, v50, 0, 8
	v_mad_i32_i24 v2, v8, v103, v2
	s_delay_alu instid0(VALU_DEP_1) | instskip(NEXT) | instid1(VALU_DEP_3)
	v_add3_u32 v69, v2, v3, v4
	v_mul_i32_i24_e32 v2, v184, v93
	v_mul_i32_i24_e32 v3, v138, v183
	;; [unrolled: 1-line block ×3, first 2 shown]
	s_delay_alu instid0(VALU_DEP_2) | instskip(SKIP_2) | instid1(VALU_DEP_2)
	v_add3_u32 v50, v189, v2, v3
	v_and_b32_e32 v189, 15, v62
	v_mul_i32_i24_e32 v3, v138, v75
	v_mul_i32_i24_e32 v2, v184, v189
	s_delay_alu instid0(VALU_DEP_1) | instskip(SKIP_2) | instid1(VALU_DEP_2)
	v_add3_u32 v114, v114, v2, v3
	v_mul_i32_i24_e32 v2, v179, v115
	v_mul_i32_i24_e32 v3, v213, v119
	v_mad_i32_i24 v2, v8, v118, v2
	s_delay_alu instid0(VALU_DEP_1) | instskip(SKIP_3) | instid1(VALU_DEP_2)
	v_add3_u32 v76, v2, v3, v4
	v_mul_i32_i24_e32 v2, v99, v93
	v_mul_i32_i24_e32 v3, v5, v183
	;; [unrolled: 1-line block ×3, first 2 shown]
	v_add3_u32 v48, v122, v2, v3
	v_mul_i32_i24_e32 v2, v99, v189
	v_mul_i32_i24_e32 v3, v5, v75
	s_delay_alu instid0(VALU_DEP_1) | instskip(SKIP_2) | instid1(VALU_DEP_2)
	v_add3_u32 v122, v123, v2, v3
	v_mul_i32_i24_e32 v2, v179, v124
	v_mul_i32_i24_e32 v3, v213, v126
	v_mad_i32_i24 v2, v8, v125, v2
	s_delay_alu instid0(VALU_DEP_1) | instskip(SKIP_2) | instid1(VALU_DEP_2)
	v_add3_u32 v123, v2, v3, v4
	v_bfe_i32 v4, v46, 16, 8
	v_mul_i32_i24_e32 v2, v98, v93
	v_mul_i32_i24_e32 v3, v4, v183
	s_delay_alu instid0(VALU_DEP_1) | instskip(SKIP_4) | instid1(VALU_DEP_3)
	v_add3_u32 v46, v129, v2, v3
	v_mul_i32_i24_e32 v2, v98, v189
	v_mul_i32_i24_e32 v3, v4, v75
	v_mul_i32_i24_e32 v129, v6, v167
	v_mul_i32_i24_e32 v6, v6, v172
	v_add3_u32 v77, v130, v2, v3
	v_mul_i32_i24_e32 v2, v179, v147
	v_mul_i32_i24_e32 v3, v213, v149
	s_delay_alu instid0(VALU_DEP_2) | instskip(NEXT) | instid1(VALU_DEP_1)
	v_mad_i32_i24 v2, v8, v148, v2
	v_add3_u32 v78, v2, v3, v97
	v_bfe_i32 v97, v44, 0, 8
	v_bfe_i32 v3, v44, 16, 8
	s_delay_alu instid0(VALU_DEP_2) | instskip(NEXT) | instid1(VALU_DEP_2)
	v_mul_i32_i24_e32 v2, v97, v93
	v_mul_i32_i24_e32 v44, v3, v183
	s_delay_alu instid0(VALU_DEP_1) | instskip(SKIP_2) | instid1(VALU_DEP_1)
	v_add3_u32 v70, v70, v2, v44
	v_mul_i32_i24_e32 v2, v97, v189
	v_mul_i32_i24_e32 v44, v3, v75
	v_add3_u32 v79, v151, v2, v44
	v_mul_i32_i24_e32 v2, v179, v153
	v_mul_i32_i24_e32 v44, v213, v159
	s_delay_alu instid0(VALU_DEP_2) | instskip(NEXT) | instid1(VALU_DEP_1)
	v_mad_i32_i24 v2, v8, v155, v2
	v_add3_u32 v82, v2, v44, v129
	v_bfe_i32 v44, v42, 0, 8
	v_bfe_i32 v2, v42, 16, 8
	s_delay_alu instid0(VALU_DEP_2) | instskip(NEXT) | instid1(VALU_DEP_2)
	v_mul_i32_i24_e32 v42, v44, v93
	v_mul_i32_i24_e32 v129, v2, v183
	s_delay_alu instid0(VALU_DEP_1) | instskip(SKIP_2) | instid1(VALU_DEP_1)
	v_add3_u32 v72, v72, v42, v129
	v_mul_i32_i24_e32 v42, v44, v189
	v_mul_i32_i24_e32 v129, v2, v75
	v_add3_u32 v73, v73, v42, v129
	v_mul_i32_i24_e32 v42, v179, v168
	s_delay_alu instid0(VALU_DEP_1) | instskip(SKIP_3) | instid1(VALU_DEP_3)
	v_mad_i32_i24 v8, v8, v169, v42
	v_mul_i32_i24_e32 v42, v213, v171
	v_bfe_i32 v213, v23, 8, 8
	v_lshrrev_b32_e32 v23, 4, v57
	v_add3_u32 v179, v8, v42, v6
	v_mul_i32_i24_e32 v6, v38, v100
	v_mul_i32_i24_e32 v42, v38, v124
	;; [unrolled: 1-line block ×6, first 2 shown]
	v_mad_i32_i24 v103, v89, v103, v6
	v_mad_i32_i24 v124, v89, v125, v42
	;; [unrolled: 1-line block ×3, first 2 shown]
	v_bfe_i32 v100, v40, 0, 8
	v_bfe_i32 v6, v40, 16, 8
	v_mad_i32_i24 v8, v89, v118, v8
	v_mad_i32_i24 v115, v89, v155, v115
	;; [unrolled: 1-line block ×3, first 2 shown]
	v_mul_i32_i24_e32 v38, v100, v93
	v_mul_i32_i24_e32 v40, v6, v183
	v_lshrrev_b16 v23, 8, v23
	v_bfe_i32 v153, v53, 8, 8
	v_bfe_i32 v155, v10, 8, 8
	v_and_b32_e32 v10, 0xf0f0f0f, v65
	v_add3_u32 v137, v137, v38, v40
	v_mul_i32_i24_e32 v38, v100, v189
	v_mul_i32_i24_e32 v40, v6, v75
	v_and_b32_e32 v23, 15, v23
	v_lshrrev_b16 v10, 8, v10
	v_bfe_i32 v42, v55, 8, 8
	v_lshrrev_b32_e32 v118, 28, v60
	v_add3_u32 v147, v173, v38, v40
	v_and_b32_e32 v38, 0xf0f0f0f, v58
	v_and_b32_e32 v151, 0xffff, v23
	;; [unrolled: 1-line block ×3, first 2 shown]
	s_delay_alu instid0(VALU_DEP_3) | instskip(NEXT) | instid1(VALU_DEP_1)
	v_lshrrev_b16 v38, 8, v38
	v_and_b32_e32 v129, 0xffff, v38
	s_delay_alu instid0(VALU_DEP_4) | instskip(NEXT) | instid1(VALU_DEP_2)
	v_mul_i32_i24_e32 v38, v153, v151
	v_mul_i32_i24_e32 v23, v213, v129
	s_delay_alu instid0(VALU_DEP_1) | instskip(SKIP_2) | instid1(VALU_DEP_1)
	v_add3_u32 v148, v37, v38, v23
	v_mul_i32_i24_e32 v23, v180, v185
	v_mul_i32_i24_e32 v37, v14, v93
	v_add3_u32 v168, v11, v23, v37
	v_mul_i32_i24_e32 v11, v180, v190
	v_mul_i32_i24_e32 v23, v14, v189
	;; [unrolled: 1-line block ×3, first 2 shown]
	s_delay_alu instid0(VALU_DEP_2) | instskip(SKIP_2) | instid1(VALU_DEP_2)
	v_add3_u32 v169, v13, v11, v23
	v_mul_i32_i24_e32 v11, v16, v56
	v_lshrrev_b32_e32 v13, 28, v62
	v_add3_u32 v173, v36, v11, v7
	v_mul_i32_i24_e32 v7, v102, v12
	v_mul_i32_i24_e32 v11, v52, v174
	s_delay_alu instid0(VALU_DEP_1) | instskip(SKIP_2) | instid1(VALU_DEP_2)
	v_add3_u32 v185, v39, v7, v11
	v_lshrrev_b32_e32 v7, 4, v65
	v_bfe_i32 v65, v21, 8, 8
	v_lshrrev_b16 v7, 8, v7
	s_delay_alu instid0(VALU_DEP_1) | instskip(NEXT) | instid1(VALU_DEP_1)
	v_and_b32_e32 v7, 15, v7
	v_and_b32_e32 v130, 0xffff, v7
	v_mul_i32_i24_e32 v7, v42, v40
	s_delay_alu instid0(VALU_DEP_2) | instskip(NEXT) | instid1(VALU_DEP_1)
	v_mul_i32_i24_e32 v10, v155, v130
	v_add3_u32 v190, v9, v7, v10
	v_mul_i32_i24_e32 v7, v18, v93
	v_mul_i32_i24_e32 v9, v15, v183
	s_delay_alu instid0(VALU_DEP_1) | instskip(SKIP_3) | instid1(VALU_DEP_2)
	v_add3_u32 v93, v22, v7, v9
	v_mul_i32_i24_e32 v7, v18, v189
	v_mul_i32_i24_e32 v9, v15, v75
	;; [unrolled: 1-line block ×3, first 2 shown]
	v_add3_u32 v189, v54, v7, v9
	v_mul_i32_i24_e32 v7, v188, v12
	v_mul_i32_i24_e32 v9, v187, v174
	s_delay_alu instid0(VALU_DEP_1) | instskip(SKIP_2) | instid1(VALU_DEP_1)
	v_add3_u32 v69, v69, v7, v9
	v_mul_i32_i24_e32 v7, v16, v108
	v_mul_i32_i24_e32 v9, v19, v113
	v_add3_u32 v83, v103, v7, v9
	v_add_nc_u32_e32 v7, 0x814, v160
	ds_load_2addr_b32 v[22:23], v7 offset1:1
	s_wait_dscnt 0x0
	v_bfe_i32 v102, v22, 0, 8
	v_ashrrev_i32_e32 v7, 24, v22
	s_delay_alu instid0(VALU_DEP_2) | instskip(NEXT) | instid1(VALU_DEP_2)
	v_mul_i32_i24_e32 v9, v102, v84
	v_mul_i32_i24_e32 v10, v7, v118
	s_delay_alu instid0(VALU_DEP_1) | instskip(SKIP_2) | instid1(VALU_DEP_1)
	v_add3_u32 v50, v50, v10, v9
	v_mul_i32_i24_e32 v9, v102, v85
	v_mul_i32_i24_e32 v10, v7, v13
	v_add3_u32 v86, v114, v10, v9
	v_mul_i32_i24_e32 v9, v193, v12
	v_mul_i32_i24_e32 v10, v192, v174
	s_delay_alu instid0(VALU_DEP_1) | instskip(SKIP_3) | instid1(VALU_DEP_2)
	v_add3_u32 v76, v76, v9, v10
	v_mul_i32_i24_e32 v9, v16, v119
	v_mul_i32_i24_e32 v10, v19, v121
	v_bfe_i32 v119, v22, 8, 8
	v_add3_u32 v121, v8, v9, v10
	v_add_nc_u32_e32 v8, 0xc14, v160
	ds_load_2addr_b32 v[36:37], v8 offset1:1
	s_wait_dscnt 0x0
	v_bfe_i32 v103, v36, 0, 8
	v_ashrrev_i32_e32 v8, 24, v36
	s_delay_alu instid0(VALU_DEP_2) | instskip(NEXT) | instid1(VALU_DEP_2)
	v_mul_i32_i24_e32 v9, v103, v84
	v_mul_i32_i24_e32 v10, v8, v118
	s_delay_alu instid0(VALU_DEP_1) | instskip(SKIP_2) | instid1(VALU_DEP_1)
	v_add3_u32 v87, v48, v10, v9
	v_mul_i32_i24_e32 v9, v103, v85
	v_mul_i32_i24_e32 v10, v8, v13
	v_add3_u32 v122, v122, v10, v9
	v_mul_i32_i24_e32 v9, v195, v12
	v_mul_i32_i24_e32 v10, v194, v174
	s_delay_alu instid0(VALU_DEP_1) | instskip(SKIP_4) | instid1(VALU_DEP_3)
	v_add3_u32 v88, v123, v9, v10
	v_mul_i32_i24_e32 v9, v16, v126
	v_mul_i32_i24_e32 v10, v19, v127
	v_bfe_i32 v123, v22, 16, 8
	v_bfe_i32 v22, v36, 8, 8
	v_add3_u32 v90, v124, v9, v10
	v_add_nc_u32_e32 v9, 0x1014, v160
	v_bfe_u32 v124, v62, 20, 4
	ds_load_2addr_b32 v[38:39], v9 offset1:1
	s_wait_dscnt 0x0
	v_bfe_i32 v108, v38, 0, 8
	v_ashrrev_i32_e32 v9, 24, v38
	s_delay_alu instid0(VALU_DEP_2) | instskip(NEXT) | instid1(VALU_DEP_2)
	v_mul_i32_i24_e32 v10, v108, v84
	v_mul_i32_i24_e32 v11, v9, v118
	s_delay_alu instid0(VALU_DEP_1) | instskip(SKIP_2) | instid1(VALU_DEP_1)
	v_add3_u32 v92, v46, v11, v10
	v_mul_i32_i24_e32 v10, v108, v85
	v_mul_i32_i24_e32 v11, v9, v13
	v_add3_u32 v77, v77, v11, v10
	v_mul_i32_i24_e32 v10, v197, v12
	v_mul_i32_i24_e32 v11, v196, v174
	s_delay_alu instid0(VALU_DEP_1) | instskip(SKIP_2) | instid1(VALU_DEP_1)
	v_add3_u32 v78, v78, v10, v11
	v_mul_i32_i24_e32 v10, v16, v149
	v_mul_i32_i24_e32 v11, v19, v150
	v_add3_u32 v96, v125, v10, v11
	v_add_nc_u32_e32 v10, 0x1414, v160
	ds_load_2addr_b32 v[52:53], v10 offset1:1
	s_wait_dscnt 0x0
	v_bfe_i32 v113, v52, 0, 8
	v_ashrrev_i32_e32 v10, 24, v52
	s_delay_alu instid0(VALU_DEP_2) | instskip(NEXT) | instid1(VALU_DEP_2)
	v_mul_i32_i24_e32 v11, v113, v84
	v_mul_i32_i24_e32 v46, v10, v118
	s_delay_alu instid0(VALU_DEP_1) | instskip(SKIP_2) | instid1(VALU_DEP_1)
	v_add3_u32 v70, v70, v46, v11
	v_mul_i32_i24_e32 v11, v113, v85
	v_mul_i32_i24_e32 v46, v10, v13
	v_add3_u32 v79, v79, v46, v11
	v_mul_i32_i24_e32 v11, v146, v12
	v_mul_i32_i24_e32 v46, v71, v174
	;; [unrolled: 1-line block ×3, first 2 shown]
	s_delay_alu instid0(VALU_DEP_2) | instskip(SKIP_2) | instid1(VALU_DEP_1)
	v_add3_u32 v82, v82, v11, v46
	v_mul_i32_i24_e32 v11, v16, v159
	v_mul_i32_i24_e32 v46, v19, v167
	v_add3_u32 v167, v115, v11, v46
	v_add_nc_u32_e32 v11, 0x1814, v160
	ds_load_2addr_b32 v[54:55], v11 offset1:1
	s_wait_dscnt 0x0
	v_bfe_i32 v114, v54, 0, 8
	v_ashrrev_i32_e32 v11, 24, v54
	s_delay_alu instid0(VALU_DEP_2) | instskip(NEXT) | instid1(VALU_DEP_2)
	v_mul_i32_i24_e32 v46, v114, v84
	v_mul_i32_i24_e32 v48, v11, v118
	s_delay_alu instid0(VALU_DEP_1) | instskip(SKIP_2) | instid1(VALU_DEP_1)
	v_add3_u32 v72, v72, v48, v46
	v_mul_i32_i24_e32 v46, v114, v85
	v_mul_i32_i24_e32 v48, v11, v13
	v_add3_u32 v73, v73, v48, v46
	v_mul_i32_i24_e32 v46, v141, v174
	s_delay_alu instid0(VALU_DEP_1) | instskip(SKIP_2) | instid1(VALU_DEP_1)
	v_add3_u32 v174, v179, v12, v46
	v_mul_i32_i24_e32 v12, v16, v171
	v_mul_i32_i24_e32 v16, v19, v172
	v_add3_u32 v171, v89, v12, v16
	v_add_nc_u32_e32 v12, 0x1c14, v160
	ds_load_2addr_b32 v[56:57], v12 offset1:1
	s_wait_dscnt 0x0
	v_bfe_i32 v115, v56, 0, 8
	v_ashrrev_i32_e32 v12, 24, v56
	s_delay_alu instid0(VALU_DEP_2) | instskip(NEXT) | instid1(VALU_DEP_2)
	v_mul_i32_i24_e32 v16, v115, v84
	v_mul_i32_i24_e32 v19, v12, v118
	s_delay_alu instid0(VALU_DEP_1) | instskip(SKIP_2) | instid1(VALU_DEP_1)
	v_add3_u32 v137, v137, v19, v16
	v_mul_i32_i24_e32 v16, v115, v85
	v_mul_i32_i24_e32 v19, v12, v13
	v_add3_u32 v172, v147, v19, v16
	v_lshrrev_b32_e32 v16, 4, v58
	v_mul_i32_i24_e32 v19, v175, v186
	s_delay_alu instid0(VALU_DEP_2) | instskip(NEXT) | instid1(VALU_DEP_1)
	v_lshrrev_b16 v16, 8, v16
	v_and_b32_e32 v16, 15, v16
	s_delay_alu instid0(VALU_DEP_1) | instskip(NEXT) | instid1(VALU_DEP_1)
	v_and_b32_e32 v48, 0xffff, v16
	v_mul_i32_i24_e32 v16, v65, v48
	s_delay_alu instid0(VALU_DEP_1) | instskip(SKIP_1) | instid1(VALU_DEP_1)
	v_add3_u32 v21, v148, v16, v181
	v_mul_i32_i24_e32 v16, v206, v183
	v_add3_u32 v179, v168, v16, v19
	v_mul_i32_i24_e32 v16, v206, v75
	v_mul_i32_i24_e32 v19, v175, v191
	s_delay_alu instid0(VALU_DEP_1) | instskip(SKIP_1) | instid1(VALU_DEP_1)
	v_add3_u32 v75, v169, v16, v19
	v_mul_i32_i24_e32 v16, v180, v74
	v_add3_u32 v180, v173, v16, v14
	v_mul_i32_i24_e32 v14, v18, v170
	v_bfe_u32 v16, v60, 20, 4
	s_delay_alu instid0(VALU_DEP_2) | instskip(SKIP_2) | instid1(VALU_DEP_2)
	v_add3_u32 v181, v185, v14, v15
	v_lshrrev_b32_e32 v14, 4, v66
	v_and_b32_e32 v15, 0xf0f0f0f, v66
	v_lshrrev_b16 v14, 8, v14
	s_delay_alu instid0(VALU_DEP_2) | instskip(NEXT) | instid1(VALU_DEP_2)
	v_lshrrev_b16 v15, 8, v15
	v_and_b32_e32 v14, 15, v14
	s_delay_alu instid0(VALU_DEP_2) | instskip(NEXT) | instid1(VALU_DEP_2)
	v_and_b32_e32 v66, 0xffff, v15
	v_and_b32_e32 v46, 0xffff, v14
	s_delay_alu instid0(VALU_DEP_2) | instskip(NEXT) | instid1(VALU_DEP_2)
	v_mul_i32_i24_e32 v14, v68, v66
	v_mul_i32_i24_e32 v15, v64, v46
	s_delay_alu instid0(VALU_DEP_1) | instskip(SKIP_2) | instid1(VALU_DEP_1)
	v_add3_u32 v183, v190, v14, v15
	v_mul_i32_i24_e32 v14, v176, v84
	v_mul_i32_i24_e32 v15, v178, v118
	v_add3_u32 v185, v93, v15, v14
	v_mul_i32_i24_e32 v14, v176, v85
	v_mul_i32_i24_e32 v15, v178, v13
	;; [unrolled: 1-line block ×3, first 2 shown]
	s_delay_alu instid0(VALU_DEP_2) | instskip(SKIP_2) | instid1(VALU_DEP_1)
	v_add3_u32 v186, v189, v15, v14
	v_mul_i32_i24_e32 v14, v184, v170
	v_mul_i32_i24_e32 v15, v138, v207
	v_add3_u32 v189, v69, v14, v15
	v_mul_i32_i24_e32 v14, v188, v177
	v_mul_i32_i24_e32 v15, v187, v74
	v_bfe_u32 v187, v60, 12, 4
	v_bfe_u32 v188, v62, 12, 4
	v_bfe_i32 v62, v36, 16, 8
	v_bfe_i32 v36, v38, 8, 8
	v_add3_u32 v83, v83, v14, v15
	v_mul_i32_i24_e32 v14, v119, v187
	v_mul_i32_i24_e32 v15, v123, v16
	v_bfe_i32 v60, v54, 8, 8
	s_delay_alu instid0(VALU_DEP_2) | instskip(SKIP_2) | instid1(VALU_DEP_1)
	v_add3_u32 v58, v50, v14, v15
	v_mul_i32_i24_e32 v14, v119, v188
	v_mul_i32_i24_e32 v15, v123, v124
	v_add3_u32 v125, v86, v14, v15
	v_mul_i32_i24_e32 v14, v99, v170
	v_mul_i32_i24_e32 v15, v5, v207
	;; [unrolled: 1-line block ×5, first 2 shown]
	s_delay_alu instid0(VALU_DEP_4) | instskip(SKIP_2) | instid1(VALU_DEP_1)
	v_add3_u32 v126, v76, v14, v15
	v_mul_i32_i24_e32 v14, v193, v177
	v_mul_i32_i24_e32 v15, v192, v74
	v_add3_u32 v127, v121, v14, v15
	v_mul_i32_i24_e32 v14, v22, v187
	v_mul_i32_i24_e32 v15, v62, v16
	v_bfe_i32 v121, v52, 16, 8
	s_delay_alu instid0(VALU_DEP_2) | instskip(SKIP_2) | instid1(VALU_DEP_4)
	v_add3_u32 v147, v87, v14, v15
	v_mul_i32_i24_e32 v14, v22, v188
	v_mul_i32_i24_e32 v15, v62, v124
	;; [unrolled: 1-line block ×4, first 2 shown]
	s_delay_alu instid0(VALU_DEP_3) | instskip(SKIP_3) | instid1(VALU_DEP_2)
	v_add3_u32 v148, v122, v14, v15
	v_mul_i32_i24_e32 v14, v98, v170
	v_mul_i32_i24_e32 v15, v4, v207
	;; [unrolled: 1-line block ×3, first 2 shown]
	v_add3_u32 v149, v88, v14, v15
	v_mul_i32_i24_e32 v14, v195, v177
	v_mul_i32_i24_e32 v15, v194, v74
	s_delay_alu instid0(VALU_DEP_1) | instskip(SKIP_3) | instid1(VALU_DEP_3)
	v_add3_u32 v150, v90, v14, v15
	v_bfe_i32 v14, v38, 16, 8
	v_mul_i32_i24_e32 v15, v36, v187
	v_bfe_i32 v38, v52, 8, 8
	v_mul_i32_i24_e32 v18, v14, v16
	s_delay_alu instid0(VALU_DEP_1) | instskip(SKIP_3) | instid1(VALU_DEP_2)
	v_add3_u32 v89, v92, v15, v18
	v_mul_i32_i24_e32 v15, v36, v188
	v_mul_i32_i24_e32 v18, v14, v124
	v_bfe_i32 v92, v41, 8, 8
	v_add3_u32 v122, v77, v15, v18
	v_mul_i32_i24_e32 v15, v97, v170
	v_mul_i32_i24_e32 v18, v3, v207
	;; [unrolled: 1-line block ×3, first 2 shown]
	s_delay_alu instid0(VALU_DEP_2) | instskip(SKIP_2) | instid1(VALU_DEP_1)
	v_add3_u32 v159, v78, v15, v18
	v_mul_i32_i24_e32 v15, v197, v177
	v_mul_i32_i24_e32 v18, v196, v74
	v_add3_u32 v18, v96, v15, v18
	v_mul_i32_i24_e32 v15, v38, v187
	s_delay_alu instid0(VALU_DEP_1) | instskip(SKIP_1) | instid1(VALU_DEP_1)
	v_add3_u32 v19, v70, v15, v19
	v_mul_i32_i24_e32 v15, v38, v188
	v_add3_u32 v93, v79, v15, v50
	v_mul_i32_i24_e32 v15, v44, v170
	v_mul_i32_i24_e32 v50, v2, v207
	;; [unrolled: 1-line block ×6, first 2 shown]
	v_add3_u32 v69, v82, v15, v50
	v_mul_i32_i24_e32 v15, v146, v177
	v_mul_i32_i24_e32 v50, v71, v74
	v_ashrrev_i32_e32 v82, 24, v47
	s_delay_alu instid0(VALU_DEP_2)
	v_add3_u32 v167, v167, v15, v50
	v_bfe_i32 v15, v54, 16, 8
	v_mul_i32_i24_e32 v50, v60, v187
	v_bfe_i32 v54, v56, 8, 8
	v_bfe_i32 v56, v56, 16, 8
	v_add3_u32 v2, v167, v44, v2
	v_mul_i32_i24_e32 v52, v15, v16
	v_bfe_i32 v44, v43, 8, 8
	s_delay_alu instid0(VALU_DEP_2) | instskip(SKIP_2) | instid1(VALU_DEP_1)
	v_add3_u32 v168, v72, v50, v52
	v_mul_i32_i24_e32 v50, v60, v188
	v_mul_i32_i24_e32 v52, v15, v124
	v_add3_u32 v169, v73, v50, v52
	v_mul_i32_i24_e32 v50, v100, v170
	v_mul_i32_i24_e32 v52, v6, v207
	;; [unrolled: 1-line block ×3, first 2 shown]
	s_delay_alu instid0(VALU_DEP_2) | instskip(SKIP_4) | instid1(VALU_DEP_3)
	v_add3_u32 v207, v174, v50, v52
	v_mul_i32_i24_e32 v50, v141, v74
	v_mul_i32_i24_e32 v52, v91, v177
	;; [unrolled: 1-line block ×4, first 2 shown]
	v_add3_u32 v170, v171, v52, v50
	v_mul_i32_i24_e32 v50, v54, v187
	v_mul_i32_i24_e32 v52, v56, v16
	s_delay_alu instid0(VALU_DEP_1) | instskip(SKIP_2) | instid1(VALU_DEP_1)
	v_add3_u32 v171, v137, v50, v52
	v_mul_i32_i24_e32 v50, v54, v188
	v_mul_i32_i24_e32 v52, v56, v124
	v_add3_u32 v172, v172, v50, v52
	v_add3_u32 v50, v59, v20, v21
	v_mul_i32_i24_e32 v20, v252, v84
	v_mul_i32_i24_e32 v21, v81, v187
	s_delay_alu instid0(VALU_DEP_1) | instskip(SKIP_3) | instid1(VALU_DEP_2)
	v_add3_u32 v173, v179, v20, v21
	v_mul_i32_i24_e32 v20, v252, v85
	v_mul_i32_i24_e32 v21, v81, v188
	;; [unrolled: 1-line block ×3, first 2 shown]
	v_add3_u32 v174, v75, v20, v21
	v_mul_i32_i24_e32 v20, v175, v177
	v_mul_i32_i24_e32 v21, v206, v136
	v_ashrrev_i32_e32 v75, 24, v49
	s_delay_alu instid0(VALU_DEP_2) | instskip(SKIP_3) | instid1(VALU_DEP_2)
	v_add3_u32 v206, v180, v21, v20
	v_mul_i32_i24_e32 v20, v176, v0
	v_mul_i32_i24_e32 v21, v178, v253
	v_bfe_i32 v180, v51, 8, 8
	v_add3_u32 v175, v181, v21, v20
	v_lshrrev_b16 v20, 8, v67
	v_mul_i32_i24_e32 v21, v152, v16
	v_ashrrev_i32_e32 v181, 24, v51
	s_delay_alu instid0(VALU_DEP_3) | instskip(NEXT) | instid1(VALU_DEP_1)
	v_bfe_i32 v52, v20, 0, 8
	v_mul_i32_i24_e32 v20, v52, v30
	s_delay_alu instid0(VALU_DEP_1) | instskip(SKIP_1) | instid1(VALU_DEP_1)
	v_add3_u32 v67, v183, v20, v182
	v_mul_i32_i24_e32 v20, v94, v187
	v_add3_u32 v176, v185, v20, v21
	v_mul_i32_i24_e32 v20, v94, v188
	v_mul_i32_i24_e32 v21, v152, v124
	;; [unrolled: 1-line block ×3, first 2 shown]
	s_delay_alu instid0(VALU_DEP_2) | instskip(SKIP_3) | instid1(VALU_DEP_2)
	v_add3_u32 v177, v186, v20, v21
	v_mul_i32_i24_e32 v20, v102, v0
	v_mul_i32_i24_e32 v21, v7, v253
	;; [unrolled: 1-line block ×3, first 2 shown]
	v_add3_u32 v178, v189, v21, v20
	v_mul_i32_i24_e32 v20, v184, v154
	v_mul_i32_i24_e32 v21, v138, v136
	s_delay_alu instid0(VALU_DEP_1)
	v_add3_u32 v179, v83, v20, v21
	v_add_nc_u32_e32 v20, 0x2108, v166
	ds_load_2addr_b32 v[20:21], v20 offset1:1
	s_wait_dscnt 0x0
	v_bfe_u32 v183, v20, 8, 4
	v_bfe_u32 v182, v20, 24, 4
	s_delay_alu instid0(VALU_DEP_2) | instskip(NEXT) | instid1(VALU_DEP_2)
	v_mul_i32_i24_e32 v59, v180, v183
	v_mul_i32_i24_e32 v70, v181, v182
	;; [unrolled: 1-line block ×4, first 2 shown]
	s_delay_alu instid0(VALU_DEP_3)
	v_add3_u32 v184, v58, v70, v59
	v_add_nc_u32_e32 v58, 0x3188, v166
	v_add_nc_u32_e32 v166, 16, v166
	ds_load_2addr_b32 v[58:59], v58 offset1:1
	s_wait_dscnt 0x0
	v_bfe_u32 v70, v58, 8, 4
	v_bfe_u32 v71, v58, 24, 4
	s_delay_alu instid0(VALU_DEP_2) | instskip(NEXT) | instid1(VALU_DEP_2)
	v_mul_i32_i24_e32 v72, v180, v70
	v_mul_i32_i24_e32 v73, v181, v71
	;; [unrolled: 1-line block ×4, first 2 shown]
	s_delay_alu instid0(VALU_DEP_3) | instskip(SKIP_2) | instid1(VALU_DEP_2)
	v_add3_u32 v72, v125, v73, v72
	v_mul_i32_i24_e32 v73, v103, v0
	v_mul_i32_i24_e32 v103, v103, v135
	v_add3_u32 v73, v126, v74, v73
	v_mul_i32_i24_e32 v74, v99, v154
	v_and_b32_e32 v99, 15, v20
	s_delay_alu instid0(VALU_DEP_2) | instskip(SKIP_1) | instid1(VALU_DEP_2)
	v_add3_u32 v5, v127, v74, v5
	v_bfe_i32 v74, v49, 8, 8
	v_add3_u32 v5, v5, v8, v103
	s_delay_alu instid0(VALU_DEP_2) | instskip(SKIP_2) | instid1(VALU_DEP_3)
	v_mul_i32_i24_e32 v76, v74, v183
	v_bfe_i32 v8, v49, 0, 8
	v_bfe_i32 v49, v49, 16, 8
	v_add3_u32 v76, v147, v77, v76
	v_mul_i32_i24_e32 v77, v74, v70
	s_delay_alu instid0(VALU_DEP_4) | instskip(NEXT) | instid1(VALU_DEP_2)
	v_mul_i32_i24_e32 v103, v8, v99
	v_add3_u32 v77, v148, v78, v77
	v_mul_i32_i24_e32 v78, v108, v0
	s_delay_alu instid0(VALU_DEP_1) | instskip(SKIP_2) | instid1(VALU_DEP_2)
	v_add3_u32 v78, v149, v79, v78
	v_mul_i32_i24_e32 v79, v98, v154
	v_mul_i32_i24_e32 v98, v119, v142
	v_add3_u32 v4, v150, v79, v4
	v_bfe_i32 v79, v47, 8, 8
	s_delay_alu instid0(VALU_DEP_1) | instskip(NEXT) | instid1(VALU_DEP_1)
	v_mul_i32_i24_e32 v83, v79, v183
	v_add3_u32 v83, v89, v84, v83
	v_mul_i32_i24_e32 v84, v79, v70
	v_mul_i32_i24_e32 v89, v11, v253
	;; [unrolled: 1-line block ×3, first 2 shown]
	s_delay_alu instid0(VALU_DEP_3) | instskip(SKIP_2) | instid1(VALU_DEP_2)
	v_add3_u32 v84, v122, v85, v84
	v_mul_i32_i24_e32 v85, v113, v0
	v_bfe_u32 v122, v58, 16, 4
	v_add3_u32 v85, v159, v86, v85
	v_mul_i32_i24_e32 v86, v97, v154
	s_delay_alu instid0(VALU_DEP_1) | instskip(SKIP_2) | instid1(VALU_DEP_2)
	v_add3_u32 v3, v18, v86, v3
	v_bfe_i32 v18, v45, 8, 8
	v_ashrrev_i32_e32 v86, 24, v45
	v_mul_i32_i24_e32 v87, v18, v183
	s_delay_alu instid0(VALU_DEP_2) | instskip(NEXT) | instid1(VALU_DEP_1)
	v_mul_i32_i24_e32 v88, v86, v182
	v_add3_u32 v19, v19, v88, v87
	v_mul_i32_i24_e32 v87, v18, v70
	v_mul_i32_i24_e32 v88, v86, v71
	s_delay_alu instid0(VALU_DEP_1) | instskip(SKIP_3) | instid1(VALU_DEP_3)
	v_add3_u32 v87, v93, v88, v87
	v_mul_i32_i24_e32 v88, v114, v0
	v_mul_i32_i24_e32 v0, v115, v0
	v_ashrrev_i32_e32 v93, 24, v41
	v_add3_u32 v69, v69, v89, v88
	v_ashrrev_i32_e32 v88, 24, v43
	v_mul_i32_i24_e32 v89, v44, v183
	s_delay_alu instid0(VALU_DEP_4) | instskip(SKIP_1) | instid1(VALU_DEP_4)
	v_mul_i32_i24_e32 v96, v93, v182
	v_mul_i32_i24_e32 v97, v93, v71
	v_mul_i32_i24_e32 v90, v88, v182
	v_mul_i32_i24_e32 v91, v88, v71
	s_delay_alu instid0(VALU_DEP_2) | instskip(SKIP_1) | instid1(VALU_DEP_1)
	v_add3_u32 v89, v168, v90, v89
	v_mul_i32_i24_e32 v90, v44, v70
	v_add3_u32 v90, v169, v91, v90
	v_mul_i32_i24_e32 v91, v12, v253
	v_mul_i32_i24_e32 v12, v12, v133
	s_delay_alu instid0(VALU_DEP_2) | instskip(SKIP_2) | instid1(VALU_DEP_2)
	v_add3_u32 v91, v207, v91, v0
	v_mul_i32_i24_e32 v0, v100, v154
	v_bfe_u32 v100, v20, 16, 4
	v_add3_u32 v6, v170, v0, v6
	v_mul_i32_i24_e32 v0, v92, v183
	s_delay_alu instid0(VALU_DEP_1) | instskip(SKIP_1) | instid1(VALU_DEP_1)
	v_add3_u32 v96, v171, v96, v0
	v_mul_i32_i24_e32 v0, v92, v70
	v_add3_u32 v97, v172, v97, v0
	v_mul_i32_i24_e32 v0, v236, v16
	v_mul_i32_i24_e32 v16, v238, v118
	s_delay_alu instid0(VALU_DEP_1) | instskip(SKIP_1) | instid1(VALU_DEP_1)
	v_add3_u32 v16, v173, v0, v16
	v_mul_i32_i24_e32 v0, v236, v124
	v_add3_u32 v13, v174, v0, v13
	v_mul_i32_i24_e32 v0, v252, v135
	s_delay_alu instid0(VALU_DEP_1) | instskip(SKIP_1) | instid1(VALU_DEP_1)
	v_add3_u32 v81, v206, v0, v81
	v_mul_i32_i24_e32 v0, v152, v239
	v_add3_u32 v94, v175, v94, v0
	v_add3_u32 v0, v95, v1, v67
	v_mul_i32_i24_e32 v1, v42, v183
	v_mul_i32_i24_e32 v67, v134, v182
	;; [unrolled: 1-line block ×4, first 2 shown]
	v_cvt_f32_i32_e32 v0, v0
	s_delay_alu instid0(VALU_DEP_4) | instskip(SKIP_3) | instid1(VALU_DEP_3)
	v_add3_u32 v1, v176, v67, v1
	v_mul_i32_i24_e32 v67, v42, v70
	v_mul_i32_i24_e32 v70, v156, v70
	;; [unrolled: 1-line block ×3, first 2 shown]
	v_add3_u32 v67, v177, v95, v67
	v_mul_i32_i24_e32 v95, v123, v239
	s_delay_alu instid0(VALU_DEP_1) | instskip(SKIP_1) | instid1(VALU_DEP_1)
	v_add3_u32 v95, v178, v98, v95
	v_mul_i32_i24_e32 v98, v102, v135
	v_add3_u32 v7, v179, v7, v98
	v_bfe_i32 v98, v51, 0, 8
	v_bfe_i32 v51, v51, 16, 8
	s_delay_alu instid0(VALU_DEP_2) | instskip(NEXT) | instid1(VALU_DEP_2)
	v_mul_i32_i24_e32 v102, v98, v99
	v_mul_i32_i24_e32 v118, v51, v100
	;; [unrolled: 1-line block ×3, first 2 shown]
	s_delay_alu instid0(VALU_DEP_2) | instskip(SKIP_1) | instid1(VALU_DEP_1)
	v_add3_u32 v102, v184, v102, v118
	v_and_b32_e32 v118, 15, v58
	v_mul_i32_i24_e32 v124, v98, v118
	s_delay_alu instid0(VALU_DEP_1) | instskip(SKIP_4) | instid1(VALU_DEP_3)
	v_add3_u32 v72, v72, v124, v125
	v_mul_i32_i24_e32 v124, v62, v239
	v_mul_i32_i24_e32 v125, v22, v142
	;; [unrolled: 1-line block ×4, first 2 shown]
	v_add3_u32 v73, v73, v125, v124
	v_mul_i32_i24_e32 v124, v49, v100
	s_delay_alu instid0(VALU_DEP_3) | instskip(SKIP_1) | instid1(VALU_DEP_3)
	v_add3_u32 v5, v5, v22, v62
	v_bfe_i32 v62, v37, 0, 8
	v_add3_u32 v76, v76, v103, v124
	v_mul_i32_i24_e32 v103, v8, v118
	v_mul_i32_i24_e32 v124, v49, v122
	s_delay_alu instid0(VALU_DEP_1) | instskip(SKIP_4) | instid1(VALU_DEP_3)
	v_add3_u32 v77, v77, v103, v124
	v_mul_i32_i24_e32 v103, v14, v239
	v_mul_i32_i24_e32 v124, v36, v142
	;; [unrolled: 1-line block ×4, first 2 shown]
	v_add3_u32 v78, v78, v124, v103
	v_mul_i32_i24_e32 v103, v108, v135
	s_delay_alu instid0(VALU_DEP_1) | instskip(SKIP_2) | instid1(VALU_DEP_3)
	v_add3_u32 v4, v4, v9, v103
	v_bfe_i32 v9, v47, 0, 8
	v_bfe_i32 v47, v47, 16, 8
	v_add3_u32 v4, v4, v36, v14
	s_delay_alu instid0(VALU_DEP_3) | instskip(NEXT) | instid1(VALU_DEP_3)
	v_mul_i32_i24_e32 v103, v9, v99
	v_mul_i32_i24_e32 v108, v47, v100
	v_bfe_i32 v14, v39, 0, 8
	s_delay_alu instid0(VALU_DEP_2) | instskip(SKIP_2) | instid1(VALU_DEP_1)
	v_add3_u32 v83, v83, v103, v108
	v_mul_i32_i24_e32 v103, v9, v118
	v_mul_i32_i24_e32 v108, v47, v122
	v_add3_u32 v84, v84, v103, v108
	v_mul_i32_i24_e32 v103, v121, v239
	v_mul_i32_i24_e32 v108, v38, v142
	v_mul_i32_i24_e32 v38, v38, v158
	s_delay_alu instid0(VALU_DEP_2) | instskip(SKIP_1) | instid1(VALU_DEP_1)
	v_add3_u32 v85, v85, v108, v103
	v_mul_i32_i24_e32 v103, v113, v135
	v_add3_u32 v3, v3, v10, v103
	v_bfe_i32 v10, v45, 0, 8
	v_bfe_i32 v45, v45, 16, 8
	s_delay_alu instid0(VALU_DEP_2) | instskip(NEXT) | instid1(VALU_DEP_2)
	v_mul_i32_i24_e32 v103, v10, v99
	v_mul_i32_i24_e32 v108, v45, v100
	s_delay_alu instid0(VALU_DEP_1) | instskip(SKIP_2) | instid1(VALU_DEP_1)
	v_add3_u32 v19, v19, v103, v108
	v_mul_i32_i24_e32 v103, v10, v118
	v_mul_i32_i24_e32 v108, v45, v122
	v_add3_u32 v87, v87, v103, v108
	v_mul_i32_i24_e32 v103, v15, v239
	v_mul_i32_i24_e32 v108, v60, v142
	;; [unrolled: 1-line block ×4, first 2 shown]
	s_delay_alu instid0(VALU_DEP_3) | instskip(SKIP_1) | instid1(VALU_DEP_1)
	v_add3_u32 v69, v69, v108, v103
	v_mul_i32_i24_e32 v103, v114, v135
	v_add3_u32 v2, v2, v11, v103
	v_bfe_i32 v11, v43, 0, 8
	v_bfe_i32 v43, v43, 16, 8
	s_delay_alu instid0(VALU_DEP_3) | instskip(NEXT) | instid1(VALU_DEP_3)
	v_add3_u32 v2, v2, v60, v15
	v_mul_i32_i24_e32 v103, v11, v99
	s_delay_alu instid0(VALU_DEP_3) | instskip(SKIP_2) | instid1(VALU_DEP_3)
	v_mul_i32_i24_e32 v108, v43, v100
	v_bfe_i32 v15, v55, 0, 8
	v_ashrrev_i32_e32 v60, 24, v55
	v_add3_u32 v89, v89, v103, v108
	v_mul_i32_i24_e32 v103, v11, v118
	v_mul_i32_i24_e32 v108, v43, v122
	s_delay_alu instid0(VALU_DEP_1) | instskip(SKIP_4) | instid1(VALU_DEP_3)
	v_add3_u32 v90, v90, v103, v108
	v_mul_i32_i24_e32 v103, v56, v239
	v_mul_i32_i24_e32 v108, v54, v142
	;; [unrolled: 1-line block ×4, first 2 shown]
	v_add3_u32 v91, v91, v108, v103
	v_mul_i32_i24_e32 v103, v115, v135
	s_delay_alu instid0(VALU_DEP_1) | instskip(SKIP_2) | instid1(VALU_DEP_3)
	v_add3_u32 v6, v6, v12, v103
	v_bfe_i32 v12, v41, 0, 8
	v_bfe_i32 v103, v41, 16, 8
	v_add3_u32 v6, v6, v54, v56
	s_delay_alu instid0(VALU_DEP_3) | instskip(NEXT) | instid1(VALU_DEP_3)
	v_mul_i32_i24_e32 v41, v12, v99
	v_mul_i32_i24_e32 v108, v103, v100
	v_bfe_i32 v54, v57, 0, 8
	v_ashrrev_i32_e32 v56, 24, v57
	s_delay_alu instid0(VALU_DEP_3) | instskip(SKIP_2) | instid1(VALU_DEP_1)
	v_add3_u32 v41, v96, v41, v108
	v_mul_i32_i24_e32 v96, v12, v118
	v_mul_i32_i24_e32 v108, v103, v122
	v_add3_u32 v96, v97, v96, v108
	v_mul_i32_i24_e32 v97, v156, v183
	v_mul_i32_i24_e32 v108, v143, v99
	s_delay_alu instid0(VALU_DEP_1) | instskip(SKIP_1) | instid1(VALU_DEP_1)
	v_add3_u32 v16, v16, v97, v108
	v_mul_i32_i24_e32 v97, v143, v118
	v_add3_u32 v13, v13, v70, v97
	v_mul_i32_i24_e32 v70, v238, v133
	v_mul_i32_i24_e32 v97, v236, v128
	s_delay_alu instid0(VALU_DEP_1) | instskip(SKIP_2) | instid1(VALU_DEP_2)
	v_add3_u32 v70, v81, v97, v70
	v_mul_i32_i24_e32 v81, v134, v144
	v_bfe_i32 v97, v23, 0, 8
	v_add3_u32 v42, v94, v81, v42
	v_mul_i32_i24_e32 v81, v80, v99
	v_mul_i32_i24_e32 v94, v116, v100
	v_ashrrev_i32_e32 v99, 24, v23
	s_delay_alu instid0(VALU_DEP_2) | instskip(SKIP_2) | instid1(VALU_DEP_1)
	v_add3_u32 v1, v1, v81, v94
	v_mul_i32_i24_e32 v81, v80, v118
	v_mul_i32_i24_e32 v94, v116, v122
	v_add3_u32 v67, v67, v81, v94
	v_mul_i32_i24_e32 v81, v181, v144
	v_mul_i32_i24_e32 v94, v180, v157
	s_delay_alu instid0(VALU_DEP_1) | instskip(SKIP_2) | instid1(VALU_DEP_1)
	v_add3_u32 v81, v95, v81, v94
	v_mul_i32_i24_e32 v94, v123, v128
	v_mul_i32_i24_e32 v95, v119, v158
	v_add3_u32 v7, v7, v95, v94
	v_bfe_u32 v94, v20, 4, 4
	v_lshrrev_b32_e32 v95, 28, v20
	s_delay_alu instid0(VALU_DEP_2) | instskip(NEXT) | instid1(VALU_DEP_2)
	v_mul_i32_i24_e32 v108, v97, v94
	v_mul_i32_i24_e32 v113, v99, v95
	;; [unrolled: 1-line block ×4, first 2 shown]
	s_delay_alu instid0(VALU_DEP_3) | instskip(SKIP_2) | instid1(VALU_DEP_2)
	v_add3_u32 v102, v102, v113, v108
	v_bfe_u32 v108, v58, 4, 4
	v_lshrrev_b32_e32 v113, 28, v58
	v_mul_i32_i24_e32 v114, v97, v108
	s_delay_alu instid0(VALU_DEP_2) | instskip(NEXT) | instid1(VALU_DEP_1)
	v_mul_i32_i24_e32 v115, v99, v113
	v_add3_u32 v72, v72, v115, v114
	v_mul_i32_i24_e32 v114, v75, v144
	v_mul_i32_i24_e32 v115, v74, v157
	;; [unrolled: 1-line block ×4, first 2 shown]
	s_delay_alu instid0(VALU_DEP_3) | instskip(SKIP_1) | instid1(VALU_DEP_3)
	v_add3_u32 v73, v73, v114, v115
	v_ashrrev_i32_e32 v114, 24, v37
	v_add3_u32 v5, v5, v75, v74
	v_bfe_i32 v74, v37, 8, 8
	v_bfe_i32 v75, v37, 16, 8
	s_delay_alu instid0(VALU_DEP_4) | instskip(NEXT) | instid1(VALU_DEP_1)
	v_mul_i32_i24_e32 v115, v114, v95
	v_add3_u32 v22, v76, v115, v22
	v_mul_i32_i24_e32 v76, v62, v108
	v_mul_i32_i24_e32 v115, v114, v113
	s_delay_alu instid0(VALU_DEP_1) | instskip(SKIP_2) | instid1(VALU_DEP_1)
	v_add3_u32 v76, v77, v115, v76
	v_mul_i32_i24_e32 v77, v82, v144
	v_mul_i32_i24_e32 v115, v79, v157
	v_add3_u32 v77, v78, v77, v115
	v_ashrrev_i32_e32 v78, 24, v39
	s_delay_alu instid0(VALU_DEP_1) | instskip(NEXT) | instid1(VALU_DEP_1)
	v_mul_i32_i24_e32 v115, v78, v95
	v_add3_u32 v36, v83, v115, v36
	v_mul_i32_i24_e32 v83, v14, v108
	v_mul_i32_i24_e32 v115, v78, v113
	s_delay_alu instid0(VALU_DEP_1) | instskip(SKIP_3) | instid1(VALU_DEP_2)
	v_add3_u32 v83, v84, v115, v83
	v_mul_i32_i24_e32 v84, v86, v144
	v_mul_i32_i24_e32 v115, v18, v157
	;; [unrolled: 1-line block ×3, first 2 shown]
	v_add3_u32 v84, v85, v84, v115
	v_mul_i32_i24_e32 v85, v121, v128
	v_ashrrev_i32_e32 v115, 24, v53
	s_delay_alu instid0(VALU_DEP_2) | instskip(SKIP_1) | instid1(VALU_DEP_3)
	v_add3_u32 v3, v3, v38, v85
	v_bfe_i32 v85, v53, 0, 8
	v_mul_i32_i24_e32 v118, v115, v95
	s_delay_alu instid0(VALU_DEP_2) | instskip(NEXT) | instid1(VALU_DEP_1)
	v_mul_i32_i24_e32 v38, v85, v94
	v_add3_u32 v19, v19, v118, v38
	v_mul_i32_i24_e32 v38, v85, v108
	v_mul_i32_i24_e32 v118, v115, v113
	s_delay_alu instid0(VALU_DEP_1) | instskip(SKIP_2) | instid1(VALU_DEP_1)
	v_add3_u32 v38, v87, v118, v38
	v_mul_i32_i24_e32 v87, v88, v144
	v_mul_i32_i24_e32 v118, v44, v157
	v_add3_u32 v69, v69, v87, v118
	v_mul_i32_i24_e32 v87, v15, v94
	v_mul_i32_i24_e32 v118, v60, v95
	s_delay_alu instid0(VALU_DEP_1) | instskip(SKIP_2) | instid1(VALU_DEP_1)
	v_add3_u32 v87, v89, v118, v87
	v_mul_i32_i24_e32 v89, v15, v108
	;; [unrolled: 7-line block ×3, first 2 shown]
	v_mul_i32_i24_e32 v118, v56, v95
	v_add3_u32 v41, v41, v118, v91
	v_mul_i32_i24_e32 v91, v54, v108
	v_mul_i32_i24_e32 v118, v56, v113
	s_delay_alu instid0(VALU_DEP_1) | instskip(SKIP_3) | instid1(VALU_DEP_2)
	v_add3_u32 v91, v96, v118, v91
	v_mul_i32_i24_e32 v96, v243, v100
	v_mul_i32_i24_e32 v100, v241, v182
	v_bfe_u32 v118, v59, 24, 4
	v_add3_u32 v16, v16, v96, v100
	v_mul_i32_i24_e32 v96, v243, v122
	s_delay_alu instid0(VALU_DEP_1) | instskip(SKIP_2) | instid1(VALU_DEP_1)
	v_add3_u32 v13, v13, v96, v71
	v_mul_i32_i24_e32 v71, v143, v251
	v_mul_i32_i24_e32 v96, v156, v40
	v_add3_u32 v70, v70, v96, v71
	v_mul_i32_i24_e32 v71, v80, v247
	v_mul_i32_i24_e32 v80, v116, v245
	s_delay_alu instid0(VALU_DEP_1) | instskip(SKIP_3) | instid1(VALU_DEP_2)
	v_add3_u32 v42, v42, v71, v80
	v_mul_i32_i24_e32 v71, v132, v94
	v_mul_i32_i24_e32 v80, v131, v95
	;; [unrolled: 1-line block ×3, first 2 shown]
	v_add3_u32 v1, v1, v80, v71
	v_mul_i32_i24_e32 v71, v132, v108
	v_mul_i32_i24_e32 v80, v131, v113
	s_delay_alu instid0(VALU_DEP_1) | instskip(SKIP_2) | instid1(VALU_DEP_1)
	v_add3_u32 v67, v67, v80, v71
	v_mul_i32_i24_e32 v71, v98, v247
	v_mul_i32_i24_e32 v80, v51, v245
	v_add3_u32 v71, v81, v71, v80
	v_mul_i32_i24_e32 v80, v181, v139
	v_mul_i32_i24_e32 v81, v180, v40
	s_delay_alu instid0(VALU_DEP_1) | instskip(SKIP_4) | instid1(VALU_DEP_2)
	v_add3_u32 v7, v7, v80, v81
	v_bfe_i32 v80, v23, 8, 8
	v_bfe_i32 v81, v23, 16, 8
	v_bfe_u32 v23, v20, 12, 4
	v_bfe_u32 v20, v20, 20, 4
	v_mul_i32_i24_e32 v96, v80, v23
	s_delay_alu instid0(VALU_DEP_2) | instskip(SKIP_1) | instid1(VALU_DEP_2)
	v_mul_i32_i24_e32 v100, v81, v20
	v_mul_i32_i24_e32 v37, v74, v23
	v_add3_u32 v96, v102, v96, v100
	v_bfe_u32 v100, v58, 12, 4
	v_bfe_u32 v58, v58, 20, 4
	s_delay_alu instid0(VALU_DEP_2) | instskip(NEXT) | instid1(VALU_DEP_2)
	v_mul_i32_i24_e32 v102, v80, v100
	v_mul_i32_i24_e32 v116, v81, v58
	s_delay_alu instid0(VALU_DEP_1) | instskip(SKIP_3) | instid1(VALU_DEP_2)
	v_add3_u32 v72, v72, v102, v116
	v_mul_i32_i24_e32 v102, v8, v247
	v_mul_i32_i24_e32 v116, v49, v245
	;; [unrolled: 1-line block ×3, first 2 shown]
	v_add3_u32 v73, v73, v102, v116
	v_mul_i32_i24_e32 v102, v75, v20
	s_delay_alu instid0(VALU_DEP_1) | instskip(SKIP_2) | instid1(VALU_DEP_1)
	v_add3_u32 v102, v22, v37, v102
	v_mul_i32_i24_e32 v22, v74, v100
	v_mul_i32_i24_e32 v37, v75, v58
	v_add3_u32 v76, v76, v22, v37
	v_mul_i32_i24_e32 v22, v9, v247
	v_mul_i32_i24_e32 v37, v47, v245
	;; [unrolled: 1-line block ×3, first 2 shown]
	s_delay_alu instid0(VALU_DEP_2) | instskip(SKIP_4) | instid1(VALU_DEP_3)
	v_add3_u32 v77, v77, v22, v37
	v_mul_i32_i24_e32 v22, v82, v139
	v_mul_i32_i24_e32 v37, v79, v40
	v_bfe_i32 v79, v39, 8, 8
	v_bfe_i32 v82, v39, 16, 8
	v_add3_u32 v4, v4, v22, v37
	s_delay_alu instid0(VALU_DEP_3) | instskip(NEXT) | instid1(VALU_DEP_3)
	v_mul_i32_i24_e32 v22, v79, v23
	v_mul_i32_i24_e32 v37, v82, v20
	s_delay_alu instid0(VALU_DEP_1) | instskip(SKIP_2) | instid1(VALU_DEP_1)
	v_add3_u32 v116, v36, v22, v37
	v_mul_i32_i24_e32 v22, v79, v100
	v_mul_i32_i24_e32 v36, v82, v58
	v_add3_u32 v83, v83, v22, v36
	v_mul_i32_i24_e32 v22, v10, v247
	v_mul_i32_i24_e32 v36, v45, v245
	;; [unrolled: 1-line block ×3, first 2 shown]
	s_delay_alu instid0(VALU_DEP_2) | instskip(SKIP_1) | instid1(VALU_DEP_1)
	v_add3_u32 v84, v84, v22, v36
	v_mul_i32_i24_e32 v22, v86, v139
	v_add3_u32 v3, v3, v22, v18
	v_bfe_i32 v18, v53, 8, 8
	v_bfe_i32 v53, v53, 16, 8
	s_delay_alu instid0(VALU_DEP_2) | instskip(NEXT) | instid1(VALU_DEP_2)
	v_mul_i32_i24_e32 v22, v18, v23
	v_mul_i32_i24_e32 v36, v53, v20
	s_delay_alu instid0(VALU_DEP_1) | instskip(SKIP_2) | instid1(VALU_DEP_1)
	v_add3_u32 v19, v19, v22, v36
	v_mul_i32_i24_e32 v22, v18, v100
	v_mul_i32_i24_e32 v36, v53, v58
	v_add3_u32 v86, v38, v22, v36
	v_mul_i32_i24_e32 v22, v11, v247
	v_mul_i32_i24_e32 v36, v43, v245
	;; [unrolled: 1-line block ×3, first 2 shown]
	s_delay_alu instid0(VALU_DEP_2) | instskip(SKIP_4) | instid1(VALU_DEP_3)
	v_add3_u32 v69, v69, v22, v36
	v_mul_i32_i24_e32 v22, v88, v139
	v_mul_i32_i24_e32 v36, v44, v40
	v_bfe_i32 v88, v55, 8, 8
	v_bfe_i32 v55, v55, 16, 8
	v_add3_u32 v2, v2, v22, v36
	s_delay_alu instid0(VALU_DEP_3) | instskip(NEXT) | instid1(VALU_DEP_3)
	v_mul_i32_i24_e32 v22, v88, v23
	v_mul_i32_i24_e32 v36, v55, v20
	s_delay_alu instid0(VALU_DEP_1) | instskip(SKIP_2) | instid1(VALU_DEP_1)
	v_add3_u32 v44, v87, v22, v36
	v_mul_i32_i24_e32 v22, v88, v100
	v_mul_i32_i24_e32 v36, v55, v58
	v_add3_u32 v87, v89, v22, v36
	v_mul_i32_i24_e32 v22, v12, v247
	v_mul_i32_i24_e32 v36, v103, v245
	;; [unrolled: 1-line block ×3, first 2 shown]
	s_delay_alu instid0(VALU_DEP_2) | instskip(SKIP_4) | instid1(VALU_DEP_3)
	v_add3_u32 v89, v90, v22, v36
	v_mul_i32_i24_e32 v22, v92, v40
	v_mul_i32_i24_e32 v36, v93, v139
	v_bfe_i32 v90, v57, 8, 8
	v_bfe_i32 v57, v57, 16, 8
	v_add3_u32 v6, v6, v36, v22
	s_delay_alu instid0(VALU_DEP_3) | instskip(NEXT) | instid1(VALU_DEP_3)
	v_mul_i32_i24_e32 v22, v90, v23
	v_mul_i32_i24_e32 v36, v57, v20
	s_delay_alu instid0(VALU_DEP_1) | instskip(SKIP_2) | instid1(VALU_DEP_1)
	v_add3_u32 v92, v41, v22, v36
	v_mul_i32_i24_e32 v22, v90, v100
	v_mul_i32_i24_e32 v36, v57, v58
	v_add3_u32 v91, v91, v22, v36
	v_mul_i32_i24_e32 v22, v232, v94
	v_mul_i32_i24_e32 v36, v153, v23
	v_bfe_u32 v94, v21, 24, 4
	s_delay_alu instid0(VALU_DEP_2) | instskip(SKIP_3) | instid1(VALU_DEP_2)
	v_add3_u32 v16, v16, v22, v36
	v_mul_i32_i24_e32 v22, v232, v108
	v_mul_i32_i24_e32 v36, v153, v100
	v_bfe_u32 v108, v59, 8, 4
	v_add3_u32 v13, v13, v22, v36
	v_mul_i32_i24_e32 v22, v241, v139
	v_mul_i32_i24_e32 v36, v243, v248
	s_delay_alu instid0(VALU_DEP_1) | instskip(SKIP_2) | instid1(VALU_DEP_1)
	v_add3_u32 v70, v70, v36, v22
	v_mul_i32_i24_e32 v22, v132, v234
	v_mul_i32_i24_e32 v36, v131, v233
	v_add3_u32 v93, v42, v36, v22
	v_mul_i32_i24_e32 v22, v155, v23
	v_mul_i32_i24_e32 v23, v140, v20
	;; [unrolled: 1-line block ×3, first 2 shown]
	s_delay_alu instid0(VALU_DEP_2) | instskip(SKIP_2) | instid1(VALU_DEP_4)
	v_add3_u32 v1, v1, v22, v23
	v_mul_i32_i24_e32 v22, v155, v100
	v_mul_i32_i24_e32 v23, v140, v58
	v_add3_u32 v16, v16, v20, v95
	v_mul_i32_i24_e32 v20, v218, v58
	v_mul_i32_i24_e32 v58, v216, v113
	s_delay_alu instid0(VALU_DEP_4) | instskip(SKIP_2) | instid1(VALU_DEP_4)
	v_add3_u32 v67, v67, v22, v23
	v_mul_i32_i24_e32 v22, v97, v234
	v_mul_i32_i24_e32 v23, v99, v233
	v_add3_u32 v13, v13, v20, v58
	v_mul_i32_i24_e32 v20, v232, v145
	v_mul_i32_i24_e32 v58, v153, v130
	s_delay_alu instid0(VALU_DEP_4)
	v_add3_u32 v71, v71, v23, v22
	v_mul_i32_i24_e32 v22, v98, v251
	v_mul_i32_i24_e32 v23, v51, v248
	v_bfe_u32 v51, v21, 8, 4
	v_add3_u32 v20, v70, v20, v58
	v_mul_i32_i24_e32 v58, v140, v221
	v_mul_i32_i24_e32 v70, v155, v151
	v_add3_u32 v7, v7, v22, v23
	v_add_nc_u32_e32 v22, 0x800, v160
	s_delay_alu instid0(VALU_DEP_3) | instskip(SKIP_3) | instid1(VALU_DEP_1)
	v_add3_u32 v58, v93, v70, v58
	v_mul_i32_i24_e32 v70, v68, v51
	ds_load_2addr_b32 v[22:23], v22 offset1:3
	v_mul_i32_i24_e32 v93, v255, v94
	v_add3_u32 v1, v1, v93, v70
	v_mul_i32_i24_e32 v70, v68, v108
	v_mul_i32_i24_e32 v93, v255, v118
	;; [unrolled: 1-line block ×3, first 2 shown]
	s_delay_alu instid0(VALU_DEP_2)
	v_add3_u32 v67, v67, v93, v70
	v_mul_i32_i24_e32 v70, v81, v221
	v_mul_i32_i24_e32 v93, v80, v151
	s_wait_dscnt 0x0
	v_bfe_i32 v98, v23, 8, 8
	v_ashrrev_i32_e32 v100, 24, v23
	s_delay_alu instid0(VALU_DEP_3)
	v_add3_u32 v70, v71, v93, v70
	v_mul_i32_i24_e32 v71, v97, v145
	v_mul_i32_i24_e32 v93, v99, v254
	;; [unrolled: 1-line block ×4, first 2 shown]
	v_bfe_i32 v95, v23, 0, 8
	v_bfe_i32 v23, v23, 16, 8
	v_add3_u32 v7, v7, v93, v71
	v_and_b32_e32 v71, 15, v21
	v_add3_u32 v96, v96, v37, v36
	v_mul_i32_i24_e32 v36, v98, v108
	v_mul_i32_i24_e32 v37, v100, v118
	v_bfe_u32 v93, v21, 16, 4
	v_mul_i32_i24_e32 v97, v95, v71
	s_delay_alu instid0(VALU_DEP_3) | instskip(SKIP_4) | instid1(VALU_DEP_3)
	v_add3_u32 v72, v72, v37, v36
	v_mul_i32_i24_e32 v36, v62, v234
	v_mul_i32_i24_e32 v37, v114, v233
	;; [unrolled: 1-line block ×4, first 2 shown]
	v_add3_u32 v73, v73, v37, v36
	v_mul_i32_i24_e32 v36, v49, v248
	s_delay_alu instid0(VALU_DEP_4) | instskip(SKIP_2) | instid1(VALU_DEP_4)
	v_add3_u32 v96, v96, v97, v99
	v_and_b32_e32 v97, 15, v59
	v_bfe_u32 v99, v59, 16, 4
	v_add3_u32 v5, v5, v8, v36
	v_add_nc_u32_e32 v8, 0xc00, v160
	s_delay_alu instid0(VALU_DEP_3) | instskip(SKIP_4) | instid1(VALU_DEP_2)
	v_mul_i32_i24_e32 v113, v23, v99
	ds_load_2addr_b32 v[36:37], v8 offset1:3
	s_wait_dscnt 0x0
	v_bfe_i32 v8, v37, 8, 8
	v_ashrrev_i32_e32 v49, 24, v37
	v_mul_i32_i24_e32 v38, v8, v51
	s_delay_alu instid0(VALU_DEP_2) | instskip(NEXT) | instid1(VALU_DEP_1)
	v_mul_i32_i24_e32 v39, v49, v94
	v_add3_u32 v102, v102, v39, v38
	v_mul_i32_i24_e32 v38, v8, v108
	v_mul_i32_i24_e32 v39, v49, v118
	s_delay_alu instid0(VALU_DEP_1) | instskip(SKIP_4) | instid1(VALU_DEP_3)
	v_add3_u32 v76, v76, v39, v38
	v_mul_i32_i24_e32 v38, v14, v234
	v_mul_i32_i24_e32 v39, v78, v233
	;; [unrolled: 1-line block ×4, first 2 shown]
	v_add3_u32 v77, v77, v39, v38
	v_mul_i32_i24_e32 v38, v47, v248
	s_delay_alu instid0(VALU_DEP_1) | instskip(SKIP_1) | instid1(VALU_DEP_2)
	v_add3_u32 v4, v4, v9, v38
	v_add_nc_u32_e32 v9, 0x1000, v160
	v_add3_u32 v4, v4, v78, v14
	ds_load_2addr_b32 v[38:39], v9 offset1:3
	s_wait_dscnt 0x0
	v_bfe_i32 v9, v39, 8, 8
	v_ashrrev_i32_e32 v47, 24, v39
	v_bfe_i32 v14, v39, 0, 8
	v_bfe_i32 v39, v39, 16, 8
	s_delay_alu instid0(VALU_DEP_4) | instskip(NEXT) | instid1(VALU_DEP_4)
	v_mul_i32_i24_e32 v40, v9, v51
	v_mul_i32_i24_e32 v41, v47, v94
	s_delay_alu instid0(VALU_DEP_4) | instskip(NEXT) | instid1(VALU_DEP_2)
	v_mul_i32_i24_e32 v78, v14, v71
	v_add3_u32 v116, v116, v41, v40
	v_mul_i32_i24_e32 v40, v9, v108
	v_mul_i32_i24_e32 v41, v47, v118
	s_delay_alu instid0(VALU_DEP_1) | instskip(SKIP_3) | instid1(VALU_DEP_2)
	v_add3_u32 v83, v83, v41, v40
	v_mul_i32_i24_e32 v40, v85, v234
	v_mul_i32_i24_e32 v41, v115, v233
	;; [unrolled: 1-line block ×3, first 2 shown]
	v_add3_u32 v84, v84, v41, v40
	v_mul_i32_i24_e32 v40, v45, v248
	s_delay_alu instid0(VALU_DEP_1)
	v_add3_u32 v3, v3, v10, v40
	v_add_nc_u32_e32 v10, 0x1400, v160
	ds_load_2addr_b32 v[40:41], v10 offset1:3
	s_wait_dscnt 0x0
	v_bfe_i32 v10, v41, 8, 8
	v_ashrrev_i32_e32 v119, 24, v41
	s_delay_alu instid0(VALU_DEP_2) | instskip(NEXT) | instid1(VALU_DEP_2)
	v_mul_i32_i24_e32 v42, v10, v51
	v_mul_i32_i24_e32 v45, v119, v94
	s_delay_alu instid0(VALU_DEP_1) | instskip(SKIP_2) | instid1(VALU_DEP_1)
	v_add3_u32 v19, v19, v45, v42
	v_mul_i32_i24_e32 v42, v10, v108
	v_mul_i32_i24_e32 v45, v119, v118
	v_add3_u32 v86, v86, v45, v42
	v_mul_i32_i24_e32 v42, v15, v234
	v_mul_i32_i24_e32 v45, v60, v233
	;; [unrolled: 1-line block ×4, first 2 shown]
	s_delay_alu instid0(VALU_DEP_3) | instskip(SKIP_1) | instid1(VALU_DEP_1)
	v_add3_u32 v69, v69, v45, v42
	v_mul_i32_i24_e32 v42, v43, v248
	v_add3_u32 v2, v2, v11, v42
	v_add_nc_u32_e32 v11, 0x1800, v160
	v_add_nc_u32_e32 v160, 32, v160
	s_delay_alu instid0(VALU_DEP_3)
	v_add3_u32 v2, v2, v60, v15
	ds_load_2addr_b32 v[42:43], v11 offset1:3
	s_wait_dscnt 0x0
	v_bfe_i32 v11, v43, 8, 8
	v_ashrrev_i32_e32 v121, 24, v43
	v_bfe_i32 v15, v43, 0, 8
	v_bfe_i32 v43, v43, 16, 8
	s_delay_alu instid0(VALU_DEP_4) | instskip(NEXT) | instid1(VALU_DEP_4)
	v_mul_i32_i24_e32 v45, v11, v51
	v_mul_i32_i24_e32 v122, v121, v94
	s_delay_alu instid0(VALU_DEP_4) | instskip(NEXT) | instid1(VALU_DEP_2)
	v_mul_i32_i24_e32 v60, v15, v71
	v_add3_u32 v122, v44, v122, v45
	v_mul_i32_i24_e32 v44, v11, v108
	v_mul_i32_i24_e32 v45, v121, v118
	s_delay_alu instid0(VALU_DEP_1) | instskip(SKIP_4) | instid1(VALU_DEP_3)
	v_add3_u32 v87, v87, v45, v44
	v_mul_i32_i24_e32 v44, v54, v234
	v_mul_i32_i24_e32 v45, v56, v233
	;; [unrolled: 1-line block ×4, first 2 shown]
	v_add3_u32 v89, v89, v45, v44
	v_mul_i32_i24_e32 v44, v103, v248
	s_delay_alu instid0(VALU_DEP_1)
	v_add3_u32 v6, v6, v12, v44
	ds_load_2addr_b32 v[44:45], v17 offset1:3
	v_add3_u32 v6, v6, v56, v54
	s_wait_dscnt 0x0
	v_bfe_i32 v12, v45, 8, 8
	v_ashrrev_i32_e32 v17, 24, v45
	v_bfe_i32 v54, v45, 0, 8
	v_bfe_i32 v45, v45, 16, 8
	s_delay_alu instid0(VALU_DEP_4) | instskip(NEXT) | instid1(VALU_DEP_4)
	v_mul_i32_i24_e32 v103, v12, v51
	v_mul_i32_i24_e32 v123, v17, v94
	s_delay_alu instid0(VALU_DEP_4) | instskip(SKIP_2) | instid1(VALU_DEP_4)
	v_mul_i32_i24_e32 v56, v54, v71
	v_mul_i32_i24_e32 v51, v213, v51
	v_mul_i32_i24_e32 v94, v228, v94
	v_add3_u32 v92, v92, v123, v103
	v_mul_i32_i24_e32 v103, v12, v108
	v_mul_i32_i24_e32 v123, v17, v118
	s_delay_alu instid0(VALU_DEP_1) | instskip(SKIP_1) | instid1(VALU_DEP_1)
	v_add3_u32 v91, v91, v123, v103
	v_mul_i32_i24_e32 v103, v95, v97
	v_add3_u32 v72, v72, v103, v113
	v_mul_i32_i24_e32 v103, v75, v221
	v_mul_i32_i24_e32 v113, v74, v151
	;; [unrolled: 1-line block ×4, first 2 shown]
	s_delay_alu instid0(VALU_DEP_3) | instskip(SKIP_1) | instid1(VALU_DEP_1)
	v_add3_u32 v73, v73, v113, v103
	v_mul_i32_i24_e32 v103, v114, v254
	v_add3_u32 v5, v5, v103, v62
	v_bfe_i32 v62, v37, 0, 8
	v_bfe_i32 v37, v37, 16, 8
	s_delay_alu instid0(VALU_DEP_3) | instskip(NEXT) | instid1(VALU_DEP_3)
	v_add3_u32 v5, v5, v74, v75
	v_mul_i32_i24_e32 v103, v62, v71
	s_delay_alu instid0(VALU_DEP_3) | instskip(SKIP_2) | instid1(VALU_DEP_3)
	v_mul_i32_i24_e32 v113, v37, v93
	v_bfe_i32 v74, v27, 0, 8
	v_ashrrev_i32_e32 v75, 24, v27
	v_add3_u32 v102, v102, v103, v113
	v_mul_i32_i24_e32 v103, v62, v97
	v_mul_i32_i24_e32 v113, v37, v99
	s_delay_alu instid0(VALU_DEP_1) | instskip(SKIP_4) | instid1(VALU_DEP_3)
	v_add3_u32 v76, v76, v103, v113
	v_mul_i32_i24_e32 v103, v82, v221
	v_mul_i32_i24_e32 v113, v79, v151
	;; [unrolled: 1-line block ×4, first 2 shown]
	v_add3_u32 v77, v77, v113, v103
	v_mul_i32_i24_e32 v103, v39, v93
	v_mul_i32_i24_e32 v113, v39, v99
	s_delay_alu instid0(VALU_DEP_4) | instskip(SKIP_4) | instid1(VALU_DEP_1)
	v_add3_u32 v4, v4, v79, v82
	v_bfe_i32 v79, v29, 0, 8
	v_ashrrev_i32_e32 v82, 24, v29
	v_add3_u32 v78, v116, v78, v103
	v_mul_i32_i24_e32 v103, v14, v97
	v_add3_u32 v83, v83, v103, v113
	v_mul_i32_i24_e32 v103, v53, v221
	v_mul_i32_i24_e32 v113, v18, v151
	;; [unrolled: 1-line block ×4, first 2 shown]
	s_delay_alu instid0(VALU_DEP_3) | instskip(SKIP_1) | instid1(VALU_DEP_1)
	v_add3_u32 v84, v84, v113, v103
	v_mul_i32_i24_e32 v103, v115, v254
	v_add3_u32 v3, v3, v103, v85
	v_bfe_i32 v85, v41, 0, 8
	v_bfe_i32 v41, v41, 16, 8
	s_delay_alu instid0(VALU_DEP_3) | instskip(NEXT) | instid1(VALU_DEP_3)
	v_add3_u32 v3, v3, v18, v53
	v_mul_i32_i24_e32 v103, v85, v71
	s_delay_alu instid0(VALU_DEP_3) | instskip(SKIP_2) | instid1(VALU_DEP_3)
	v_mul_i32_i24_e32 v113, v41, v93
	v_bfe_i32 v18, v31, 0, 8
	v_ashrrev_i32_e32 v53, 24, v31
	v_add3_u32 v19, v19, v103, v113
	v_mul_i32_i24_e32 v103, v85, v97
	v_mul_i32_i24_e32 v113, v41, v99
	s_delay_alu instid0(VALU_DEP_1) | instskip(SKIP_4) | instid1(VALU_DEP_3)
	v_add3_u32 v86, v86, v103, v113
	v_mul_i32_i24_e32 v103, v55, v221
	v_mul_i32_i24_e32 v113, v88, v151
	;; [unrolled: 1-line block ×4, first 2 shown]
	v_add3_u32 v69, v69, v113, v103
	v_mul_i32_i24_e32 v103, v43, v93
	v_mul_i32_i24_e32 v113, v43, v99
	s_delay_alu instid0(VALU_DEP_4) | instskip(SKIP_4) | instid1(VALU_DEP_1)
	v_add3_u32 v2, v2, v88, v55
	v_bfe_i32 v55, v33, 0, 8
	v_ashrrev_i32_e32 v88, 24, v33
	v_add3_u32 v60, v122, v60, v103
	v_mul_i32_i24_e32 v103, v15, v97
	v_add3_u32 v87, v87, v103, v113
	v_mul_i32_i24_e32 v103, v57, v221
	v_mul_i32_i24_e32 v113, v90, v151
	;; [unrolled: 1-line block ×4, first 2 shown]
	s_delay_alu instid0(VALU_DEP_3) | instskip(SKIP_1) | instid1(VALU_DEP_3)
	v_add3_u32 v89, v89, v113, v103
	v_mul_i32_i24_e32 v103, v45, v93
	v_add3_u32 v6, v6, v90, v57
	v_bfe_i32 v57, v35, 0, 8
	v_ashrrev_i32_e32 v90, 24, v35
	s_delay_alu instid0(VALU_DEP_4) | instskip(SKIP_2) | instid1(VALU_DEP_1)
	v_add3_u32 v56, v92, v56, v103
	v_mul_i32_i24_e32 v92, v54, v97
	v_mul_i32_i24_e32 v103, v45, v99
	v_add3_u32 v91, v91, v92, v103
	v_mul_i32_i24_e32 v92, v237, v71
	s_delay_alu instid0(VALU_DEP_1) | instskip(SKIP_2) | instid1(VALU_DEP_1)
	v_add3_u32 v16, v16, v51, v92
	v_mul_i32_i24_e32 v51, v213, v108
	v_mul_i32_i24_e32 v92, v237, v97
	v_add3_u32 v13, v13, v51, v92
	v_mul_i32_i24_e32 v51, v216, v254
	v_mul_i32_i24_e32 v92, v218, v246
	s_delay_alu instid0(VALU_DEP_1) | instskip(SKIP_1) | instid1(VALU_DEP_1)
	v_add3_u32 v20, v20, v92, v51
	v_mul_i32_i24_e32 v51, v255, v240
	v_add3_u32 v51, v58, v51, v68
	v_mul_i32_i24_e32 v58, v242, v71
	v_mul_i32_i24_e32 v68, v244, v93
	v_mul_i32_i24_e32 v93, v226, v93
	v_bfe_i32 v71, v25, 0, 8
	s_delay_alu instid0(VALU_DEP_3)
	v_add3_u32 v1, v1, v58, v68
	v_mul_i32_i24_e32 v58, v242, v97
	v_mul_i32_i24_e32 v68, v244, v99
	v_add3_u32 v16, v16, v93, v94
	v_mul_i32_i24_e32 v93, v226, v99
	v_mul_i32_i24_e32 v94, v228, v118
	s_delay_alu instid0(VALU_DEP_4) | instskip(SKIP_2) | instid1(VALU_DEP_4)
	v_add3_u32 v58, v67, v58, v68
	v_mul_i32_i24_e32 v67, v100, v240
	v_mul_i32_i24_e32 v68, v98, v129
	v_add3_u32 v13, v13, v93, v94
	v_mul_i32_i24_e32 v93, v237, v222
	v_mul_i32_i24_e32 v94, v213, v66
	s_delay_alu instid0(VALU_DEP_4)
	v_add3_u32 v67, v70, v67, v68
	v_mul_i32_i24_e32 v68, v81, v246
	v_mul_i32_i24_e32 v70, v80, v130
	v_ashrrev_i32_e32 v80, 24, v25
	v_add3_u32 v20, v20, v94, v93
	v_mul_i32_i24_e32 v93, v242, v230
	v_mul_i32_i24_e32 v94, v244, v229
	v_add3_u32 v7, v7, v70, v68
	v_bfe_u32 v68, v21, 4, 4
	v_lshrrev_b32_e32 v70, 28, v21
	s_delay_alu instid0(VALU_DEP_4) | instskip(NEXT) | instid1(VALU_DEP_3)
	v_add3_u32 v51, v51, v93, v94
	v_mul_i32_i24_e32 v81, v71, v68
	s_delay_alu instid0(VALU_DEP_3) | instskip(SKIP_2) | instid1(VALU_DEP_3)
	v_mul_i32_i24_e32 v92, v80, v70
	v_mul_i32_i24_e32 v93, v249, v68
	;; [unrolled: 1-line block ×3, first 2 shown]
	v_add3_u32 v81, v96, v92, v81
	v_bfe_u32 v92, v59, 4, 4
	v_lshrrev_b32_e32 v96, 28, v59
	s_delay_alu instid0(VALU_DEP_4) | instskip(NEXT) | instid1(VALU_DEP_3)
	v_add3_u32 v1, v1, v94, v93
	v_mul_i32_i24_e32 v97, v71, v92
	s_delay_alu instid0(VALU_DEP_3) | instskip(SKIP_2) | instid1(VALU_DEP_3)
	v_mul_i32_i24_e32 v103, v80, v96
	v_mul_i32_i24_e32 v93, v249, v92
	;; [unrolled: 1-line block ×3, first 2 shown]
	v_add3_u32 v72, v72, v103, v97
	v_mul_i32_i24_e32 v97, v49, v240
	v_mul_i32_i24_e32 v103, v8, v129
	s_delay_alu instid0(VALU_DEP_4)
	v_add3_u32 v58, v58, v94, v93
	v_mul_i32_i24_e32 v93, v95, v230
	v_mul_i32_i24_e32 v94, v23, v229
	;; [unrolled: 1-line block ×3, first 2 shown]
	v_add3_u32 v73, v73, v97, v103
	v_mul_i32_i24_e32 v97, v74, v68
	v_mul_i32_i24_e32 v103, v75, v70
	v_add3_u32 v67, v67, v93, v94
	v_mul_i32_i24_e32 v93, v100, v231
	v_mul_i32_i24_e32 v94, v98, v66
	;; [unrolled: 1-line block ×3, first 2 shown]
	v_add3_u32 v97, v102, v103, v97
	v_mul_i32_i24_e32 v102, v74, v92
	v_mul_i32_i24_e32 v103, v75, v96
	v_add3_u32 v7, v7, v93, v94
	v_bfe_u32 v93, v21, 20, 4
	v_bfe_u32 v21, v21, 12, 4
	v_bfe_i32 v94, v25, 8, 8
	v_bfe_i32 v25, v25, 16, 8
	v_add3_u32 v76, v76, v103, v102
	v_mul_i32_i24_e32 v102, v47, v240
	v_mul_i32_i24_e32 v103, v9, v129
	;; [unrolled: 1-line block ×4, first 2 shown]
	v_add3_u32 v5, v5, v49, v8
	v_bfe_i32 v8, v27, 8, 8
	v_add3_u32 v77, v77, v102, v103
	v_mul_i32_i24_e32 v102, v79, v68
	v_mul_i32_i24_e32 v103, v82, v70
	v_add3_u32 v81, v81, v98, v99
	v_bfe_u32 v98, v59, 12, 4
	v_bfe_u32 v59, v59, 20, 4
	v_bfe_i32 v27, v27, 16, 8
	v_add3_u32 v78, v78, v103, v102
	v_mul_i32_i24_e32 v102, v79, v92
	v_mul_i32_i24_e32 v103, v82, v96
	;; [unrolled: 1-line block ×6, first 2 shown]
	v_add3_u32 v83, v83, v103, v102
	v_mul_i32_i24_e32 v102, v119, v240
	v_mul_i32_i24_e32 v103, v10, v129
	v_add3_u32 v72, v72, v99, v100
	v_mul_i32_i24_e32 v99, v62, v230
	v_mul_i32_i24_e32 v100, v37, v229
	;; [unrolled: 1-line block ×3, first 2 shown]
	v_add3_u32 v84, v84, v102, v103
	v_mul_i32_i24_e32 v102, v18, v68
	v_mul_i32_i24_e32 v103, v53, v70
	v_add3_u32 v73, v73, v99, v100
	v_mul_i32_i24_e32 v99, v27, v93
	v_add3_u32 v4, v4, v47, v9
	v_bfe_i32 v9, v29, 8, 8
	v_add3_u32 v19, v19, v103, v102
	v_mul_i32_i24_e32 v102, v18, v92
	v_mul_i32_i24_e32 v103, v53, v96
	v_add3_u32 v49, v97, v49, v99
	v_mul_i32_i24_e32 v97, v8, v98
	v_mul_i32_i24_e32 v99, v27, v59
	v_bfe_i32 v29, v29, 16, 8
	v_add3_u32 v86, v86, v103, v102
	v_mul_i32_i24_e32 v102, v121, v240
	v_mul_i32_i24_e32 v103, v11, v129
	v_add3_u32 v76, v76, v97, v99
	v_mul_i32_i24_e32 v97, v14, v230
	v_mul_i32_i24_e32 v99, v39, v229
	v_mul_i32_i24_e32 v47, v9, v21
	v_add3_u32 v69, v69, v102, v103
	v_mul_i32_i24_e32 v102, v55, v68
	v_mul_i32_i24_e32 v103, v88, v70
	v_add3_u32 v77, v77, v97, v99
	v_mul_i32_i24_e32 v97, v29, v93
	v_mul_i32_i24_e32 v10, v10, v66
	v_mul_i32_i24_e32 v11, v11, v66
	;; [unrolled: 7-line block ×4, first 2 shown]
	v_mul_i32_i24_e32 v17, v17, v231
	v_add3_u32 v89, v89, v102, v103
	v_mul_i32_i24_e32 v102, v57, v68
	v_mul_i32_i24_e32 v103, v90, v70
	v_add3_u32 v83, v84, v83, v97
	v_mul_i32_i24_e32 v84, v119, v231
	v_add3_u32 v6, v6, v17, v12
	v_bfe_i32 v12, v35, 8, 8
	v_bfe_i32 v17, v35, 16, 8
	v_add3_u32 v56, v56, v103, v102
	v_mul_i32_i24_e32 v102, v57, v92
	v_mul_i32_i24_e32 v103, v90, v96
	v_add3_u32 v3, v3, v84, v10
	v_bfe_i32 v10, v31, 8, 8
	v_bfe_i32 v31, v31, 16, 8
	v_mul_i32_i24_e32 v35, v12, v21
	v_mul_i32_i24_e32 v66, v17, v93
	v_add3_u32 v91, v91, v103, v102
	v_mul_i32_i24_e32 v84, v10, v21
	v_mul_i32_i24_e32 v97, v31, v93
	;; [unrolled: 1-line block ×3, first 2 shown]
	v_add3_u32 v35, v56, v35, v66
	v_mul_i32_i24_e32 v56, v12, v98
	v_mul_i32_i24_e32 v66, v17, v59
	v_add3_u32 v19, v19, v84, v97
	v_mul_i32_i24_e32 v84, v10, v98
	v_mul_i32_i24_e32 v97, v31, v59
	;; [unrolled: 1-line block ×3, first 2 shown]
	v_add3_u32 v56, v91, v56, v66
	v_mul_i32_i24_e32 v66, v214, v68
	v_mul_i32_i24_e32 v68, v65, v21
	v_add3_u32 v84, v86, v84, v97
	v_mul_i32_i24_e32 v86, v15, v230
	v_mul_i32_i24_e32 v97, v43, v229
	v_add3_u32 v5, v5, v62, v37
	v_add3_u32 v16, v16, v66, v68
	v_mul_i32_i24_e32 v66, v214, v92
	v_mul_i32_i24_e32 v68, v65, v98
	v_add3_u32 v69, v69, v86, v97
	v_mul_i32_i24_e32 v86, v121, v231
	v_bfe_i32 v37, v36, 0, 8
	v_bfe_i32 v62, v36, 8, 8
	v_add3_u32 v13, v13, v66, v68
	v_mul_i32_i24_e32 v66, v228, v231
	v_mul_i32_i24_e32 v68, v226, v223
	v_add3_u32 v2, v2, v86, v11
	v_bfe_i32 v11, v33, 8, 8
	v_mul_i32_i24_e32 v14, v14, v222
	v_mul_i32_i24_e32 v39, v39, v223
	v_add3_u32 v20, v20, v68, v66
	v_mul_i32_i24_e32 v66, v249, v217
	v_mul_i32_i24_e32 v68, v250, v215
	;; [unrolled: 1-line block ×4, first 2 shown]
	v_add3_u32 v4, v4, v14, v39
	v_bfe_i32 v14, v38, 0, 8
	v_add3_u32 v51, v51, v68, v66
	v_mul_i32_i24_e32 v66, v235, v93
	v_bfe_i32 v39, v38, 8, 8
	v_mul_i32_i24_e32 v41, v41, v223
	v_bfe_i32 v33, v33, 16, 8
	v_mul_i32_i24_e32 v15, v15, v222
	v_add3_u32 v1, v1, v21, v66
	v_mul_i32_i24_e32 v21, v64, v98
	v_mul_i32_i24_e32 v66, v235, v59
	;; [unrolled: 1-line block ×6, first 2 shown]
	v_add3_u32 v21, v58, v21, v66
	v_mul_i32_i24_e32 v58, v71, v217
	v_mul_i32_i24_e32 v66, v80, v215
	v_add3_u32 v2, v2, v15, v43
	v_bfe_i32 v15, v42, 0, 8
	v_bfe_i32 v43, v42, 8, 8
	v_add3_u32 v60, v60, v86, v97
	v_add3_u32 v58, v67, v66, v58
	v_mul_i32_i24_e32 v66, v95, v222
	v_mul_i32_i24_e32 v86, v11, v98
	;; [unrolled: 1-line block ×5, first 2 shown]
	v_add3_u32 v7, v7, v66, v23
	v_bfe_i32 v23, v22, 0, 8
	v_bfe_i32 v66, v22, 8, 8
	v_add3_u32 v86, v87, v86, v97
	v_mul_i32_i24_e32 v87, v54, v230
	v_mul_i32_i24_e32 v97, v45, v229
	;; [unrolled: 1-line block ×6, first 2 shown]
	v_add3_u32 v87, v89, v87, v97
	s_delay_alu instid0(VALU_DEP_4)
	v_add3_u32 v67, v81, v67, v68
	v_mul_i32_i24_e32 v68, v23, v210
	v_mul_i32_i24_e32 v81, v66, v211
	v_add3_u32 v6, v6, v54, v45
	v_bfe_i32 v45, v44, 0, 8
	v_bfe_i32 v54, v44, 8, 8
	s_delay_alu instid0(VALU_DEP_4) | instskip(SKIP_2) | instid1(VALU_DEP_1)
	v_add3_u32 v68, v72, v68, v81
	v_mul_i32_i24_e32 v72, v74, v217
	v_mul_i32_i24_e32 v81, v75, v215
	v_add3_u32 v72, v73, v81, v72
	v_mul_i32_i24_e32 v73, v37, v208
	v_mul_i32_i24_e32 v81, v62, v209
	s_delay_alu instid0(VALU_DEP_1) | instskip(SKIP_2) | instid1(VALU_DEP_1)
	v_add3_u32 v49, v49, v73, v81
	v_mul_i32_i24_e32 v73, v37, v210
	v_mul_i32_i24_e32 v81, v62, v211
	v_add3_u32 v73, v76, v73, v81
	v_mul_i32_i24_e32 v76, v79, v217
	v_mul_i32_i24_e32 v81, v82, v215
	s_delay_alu instid0(VALU_DEP_1) | instskip(SKIP_2) | instid1(VALU_DEP_1)
	v_add3_u32 v76, v77, v81, v76
	v_mul_i32_i24_e32 v77, v14, v208
	v_mul_i32_i24_e32 v81, v39, v209
	v_add3_u32 v47, v47, v77, v81
	v_mul_i32_i24_e32 v77, v14, v210
	v_mul_i32_i24_e32 v81, v39, v211
	s_delay_alu instid0(VALU_DEP_1) | instskip(SKIP_4) | instid1(VALU_DEP_3)
	v_add3_u32 v77, v78, v77, v81
	v_mul_i32_i24_e32 v78, v18, v217
	v_mul_i32_i24_e32 v81, v53, v215
	;; [unrolled: 1-line block ×4, first 2 shown]
	v_add3_u32 v78, v83, v81, v78
	v_mul_i32_i24_e32 v81, v85, v222
	s_delay_alu instid0(VALU_DEP_1) | instskip(SKIP_2) | instid1(VALU_DEP_3)
	v_add3_u32 v3, v3, v81, v41
	v_bfe_i32 v41, v40, 0, 8
	v_bfe_i32 v81, v40, 8, 8
	v_add3_u32 v3, v3, v53, v18
	s_delay_alu instid0(VALU_DEP_3) | instskip(NEXT) | instid1(VALU_DEP_3)
	v_mul_i32_i24_e32 v83, v41, v208
	v_mul_i32_i24_e32 v85, v81, v209
	v_bfe_i32 v18, v40, 16, 8
	v_ashrrev_i32_e32 v40, 24, v40
	s_delay_alu instid0(VALU_DEP_3) | instskip(SKIP_3) | instid1(VALU_DEP_2)
	v_add3_u32 v19, v19, v83, v85
	v_mul_i32_i24_e32 v83, v41, v210
	v_mul_i32_i24_e32 v85, v81, v211
	v_mul_i32_i24_e32 v53, v18, v202
	v_add3_u32 v83, v84, v83, v85
	v_mul_i32_i24_e32 v84, v55, v217
	v_mul_i32_i24_e32 v85, v88, v215
	v_mul_i32_i24_e32 v55, v55, v227
	s_delay_alu instid0(VALU_DEP_2) | instskip(SKIP_2) | instid1(VALU_DEP_1)
	v_add3_u32 v69, v69, v85, v84
	v_mul_i32_i24_e32 v84, v15, v208
	v_mul_i32_i24_e32 v85, v43, v209
	v_add3_u32 v60, v60, v84, v85
	v_mul_i32_i24_e32 v84, v15, v210
	v_mul_i32_i24_e32 v85, v43, v211
	s_delay_alu instid0(VALU_DEP_1) | instskip(SKIP_3) | instid1(VALU_DEP_2)
	v_add3_u32 v84, v86, v84, v85
	v_mul_i32_i24_e32 v85, v57, v217
	v_mul_i32_i24_e32 v86, v90, v215
	;; [unrolled: 1-line block ×3, first 2 shown]
	v_add3_u32 v85, v87, v86, v85
	v_mul_i32_i24_e32 v86, v45, v208
	v_mul_i32_i24_e32 v87, v54, v209
	s_delay_alu instid0(VALU_DEP_1) | instskip(SKIP_2) | instid1(VALU_DEP_1)
	v_add3_u32 v35, v35, v86, v87
	v_mul_i32_i24_e32 v86, v45, v210
	v_mul_i32_i24_e32 v87, v54, v211
	v_add3_u32 v56, v56, v86, v87
	v_mul_i32_i24_e32 v86, v34, v93
	v_mul_i32_i24_e32 v34, v34, v219
	s_delay_alu instid0(VALU_DEP_2) | instskip(SKIP_2) | instid1(VALU_DEP_2)
	v_add3_u32 v16, v16, v86, v70
	v_mul_i32_i24_e32 v70, v61, v96
	v_mul_i32_i24_e32 v61, v61, v225
	v_add3_u32 v13, v13, v59, v70
	v_mul_i32_i24_e32 v59, v214, v227
	v_mul_i32_i24_e32 v70, v75, v225
	;; [unrolled: 1-line block ×4, first 2 shown]
	v_cvt_f32_i32_e32 v13, v13
	v_add3_u32 v20, v20, v59, v65
	v_mul_i32_i24_e32 v59, v235, v212
	s_delay_alu instid0(VALU_DEP_2) | instskip(NEXT) | instid1(VALU_DEP_2)
	v_add3_u32 v20, v20, v34, v61
	v_add3_u32 v51, v51, v64, v59
	v_mul_i32_i24_e32 v59, v224, v208
	v_mul_i32_i24_e32 v64, v52, v209
	;; [unrolled: 1-line block ×3, first 2 shown]
	s_delay_alu instid0(VALU_DEP_2) | instskip(SKIP_3) | instid1(VALU_DEP_2)
	v_add3_u32 v1, v1, v59, v64
	v_mul_i32_i24_e32 v59, v224, v210
	v_mul_i32_i24_e32 v64, v52, v211
	v_mul_i32_i24_e32 v52, v52, v32
	v_add3_u32 v21, v21, v59, v64
	v_mul_i32_i24_e32 v59, v25, v212
	v_mul_i32_i24_e32 v64, v94, v48
	s_delay_alu instid0(VALU_DEP_4)
	v_add3_u32 v34, v51, v34, v52
	v_mul_i32_i24_e32 v51, v63, v202
	v_mul_i32_i24_e32 v52, v220, v203
	;; [unrolled: 1-line block ×3, first 2 shown]
	v_add3_u32 v58, v58, v64, v59
	v_mul_i32_i24_e32 v59, v71, v227
	v_mul_i32_i24_e32 v64, v80, v225
	v_add3_u32 v1, v1, v51, v52
	v_mul_i32_i24_e32 v51, v63, v204
	v_mul_i32_i24_e32 v52, v220, v205
	s_delay_alu instid0(VALU_DEP_4) | instskip(SKIP_2) | instid1(VALU_DEP_4)
	v_add3_u32 v7, v7, v64, v59
	v_bfe_i32 v59, v22, 16, 8
	v_ashrrev_i32_e32 v22, 24, v22
	v_add3_u32 v21, v21, v51, v52
	v_mul_i32_i24_e32 v51, v201, v23
	v_mul_i32_i24_e32 v52, v32, v66
	;; [unrolled: 1-line block ×5, first 2 shown]
	v_cvt_f32_i32_e32 v1, v1
	v_add3_u32 v51, v58, v51, v52
	v_mul_i32_i24_e32 v52, v94, v46
	v_add3_u32 v64, v67, v64, v65
	v_mul_i32_i24_e32 v65, v59, v204
	v_mul_i32_i24_e32 v67, v22, v205
	s_delay_alu instid0(VALU_DEP_4) | instskip(SKIP_2) | instid1(VALU_DEP_4)
	v_add3_u32 v7, v7, v52, v25
	v_mul_i32_i24_e32 v25, v201, v37
	v_mul_i32_i24_e32 v52, v32, v62
	v_add3_u32 v65, v68, v65, v67
	v_mul_i32_i24_e32 v67, v27, v212
	v_mul_i32_i24_e32 v68, v8, v48
	;; [unrolled: 1-line block ×4, first 2 shown]
	s_delay_alu instid0(VALU_DEP_3) | instskip(SKIP_3) | instid1(VALU_DEP_4)
	v_add3_u32 v67, v72, v68, v67
	v_mul_i32_i24_e32 v68, v74, v227
	v_mul_i32_i24_e32 v72, v9, v48
	;; [unrolled: 1-line block ×3, first 2 shown]
	v_add3_u32 v25, v67, v25, v52
	s_delay_alu instid0(VALU_DEP_4) | instskip(SKIP_2) | instid1(VALU_DEP_3)
	v_add3_u32 v5, v5, v70, v68
	v_bfe_i32 v68, v36, 16, 8
	v_ashrrev_i32_e32 v36, 24, v36
	v_add3_u32 v5, v5, v8, v27
	s_delay_alu instid0(VALU_DEP_3) | instskip(NEXT) | instid1(VALU_DEP_3)
	v_mul_i32_i24_e32 v70, v68, v202
	v_mul_i32_i24_e32 v71, v36, v203
	;; [unrolled: 1-line block ×5, first 2 shown]
	s_delay_alu instid0(VALU_DEP_4) | instskip(SKIP_2) | instid1(VALU_DEP_1)
	v_add3_u32 v49, v49, v70, v71
	v_mul_i32_i24_e32 v70, v68, v204
	v_mul_i32_i24_e32 v71, v36, v205
	v_add3_u32 v70, v73, v70, v71
	v_mul_i32_i24_e32 v71, v29, v212
	v_mul_i32_i24_e32 v73, v82, v225
	s_delay_alu instid0(VALU_DEP_2)
	v_add3_u32 v71, v76, v72, v71
	v_mul_i32_i24_e32 v72, v79, v227
	v_mul_i32_i24_e32 v76, v11, v48
	;; [unrolled: 1-line block ×4, first 2 shown]
	v_add3_u32 v8, v71, v8, v27
	v_add3_u32 v4, v4, v73, v72
	v_bfe_i32 v72, v38, 16, 8
	v_ashrrev_i32_e32 v38, 24, v38
	v_mul_i32_i24_e32 v27, v29, v219
	v_mul_i32_i24_e32 v12, v12, v46
	v_mov_b32_e32 v71, v106
	v_mul_i32_i24_e32 v73, v72, v202
	v_mul_i32_i24_e32 v74, v38, v203
	v_add3_u32 v4, v4, v9, v27
	v_mul_i32_i24_e32 v9, v201, v41
	v_mul_i32_i24_e32 v27, v32, v81
	v_mov_b32_e32 v106, v111
	v_add3_u32 v47, v47, v73, v74
	v_mul_i32_i24_e32 v73, v72, v204
	v_mul_i32_i24_e32 v74, v38, v205
	v_mov_b32_e32 v79, v104
	s_delay_alu instid0(VALU_DEP_2) | instskip(SKIP_1) | instid1(VALU_DEP_1)
	v_add3_u32 v73, v77, v73, v74
	v_mul_i32_i24_e32 v74, v31, v212
	v_add3_u32 v74, v78, v75, v74
	v_mul_i32_i24_e32 v75, v40, v203
	s_delay_alu instid0(VALU_DEP_2) | instskip(NEXT) | instid1(VALU_DEP_2)
	v_add3_u32 v9, v74, v9, v27
	v_add3_u32 v19, v19, v53, v75
	v_mul_i32_i24_e32 v53, v18, v204
	v_mul_i32_i24_e32 v75, v40, v205
	;; [unrolled: 1-line block ×3, first 2 shown]
	v_dual_mov_b32 v74, v105 :: v_dual_mov_b32 v105, v110
	v_mov_b32_e32 v110, v120
	s_delay_alu instid0(VALU_DEP_4)
	v_add3_u32 v53, v83, v53, v75
	v_mul_i32_i24_e32 v75, v33, v212
	v_add3_u32 v3, v3, v10, v27
	v_mul_i32_i24_e32 v10, v201, v15
	v_mul_i32_i24_e32 v27, v32, v43
	v_cvt_f32_i32_e32 v19, v19
	v_add3_u32 v69, v69, v76, v75
	v_mul_i32_i24_e32 v75, v88, v225
	s_delay_alu instid0(VALU_DEP_2) | instskip(NEXT) | instid1(VALU_DEP_2)
	v_add3_u32 v10, v69, v10, v27
	v_add3_u32 v2, v2, v75, v55
	v_bfe_i32 v55, v42, 16, 8
	v_ashrrev_i32_e32 v42, 24, v42
	v_mul_i32_i24_e32 v27, v33, v219
	scratch_load_b32 v33, off, off offset:56 th:TH_LOAD_LU ; 4-byte Folded Reload
	v_mul_i32_i24_e32 v75, v55, v202
	v_mul_i32_i24_e32 v76, v42, v203
	v_add3_u32 v2, v2, v11, v27
	v_mul_i32_i24_e32 v11, v201, v45
	v_mul_i32_i24_e32 v27, v32, v54
	scratch_load_b32 v32, off, off offset:12 th:TH_LOAD_LU ; 4-byte Folded Reload
	v_add3_u32 v60, v60, v75, v76
	v_mul_i32_i24_e32 v75, v55, v204
	v_mul_i32_i24_e32 v76, v42, v205
	s_delay_alu instid0(VALU_DEP_1) | instskip(SKIP_4) | instid1(VALU_DEP_4)
	v_add3_u32 v75, v84, v75, v76
	v_mul_i32_i24_e32 v76, v17, v212
	v_mul_i32_i24_e32 v17, v17, v219
	v_dual_mov_b32 v84, v101 :: v_dual_mov_b32 v101, v107
	v_mov_b32_e32 v107, v112
	v_add3_u32 v48, v85, v48, v76
	v_mul_i32_i24_e32 v76, v90, v225
	s_delay_alu instid0(VALU_DEP_2) | instskip(NEXT) | instid1(VALU_DEP_2)
	v_add3_u32 v11, v48, v11, v27
	v_add3_u32 v6, v6, v76, v57
	v_mul_i32_i24_e32 v27, v200, v22
	v_bfe_i32 v57, v44, 16, 8
	v_ashrrev_i32_e32 v44, 24, v44
	s_delay_alu instid0(VALU_DEP_4) | instskip(SKIP_4) | instid1(VALU_DEP_3)
	v_add3_u32 v6, v6, v12, v17
	v_mul_i32_i24_e32 v12, v63, v199
	v_mul_i32_i24_e32 v17, v220, v200
	;; [unrolled: 1-line block ×4, first 2 shown]
	v_add3_u32 v12, v34, v12, v17
	v_mul_i32_i24_e32 v17, v199, v59
	s_delay_alu instid0(VALU_DEP_3) | instskip(SKIP_2) | instid1(VALU_DEP_4)
	v_add3_u32 v35, v35, v76, v77
	v_mul_i32_i24_e32 v76, v57, v204
	v_dual_mov_b32 v34, v109 :: v_dual_mov_b32 v109, v117
	v_add3_u32 v17, v51, v17, v27
	v_mul_i32_i24_e32 v27, v30, v66
	s_clause 0x4
	scratch_load_b32 v111, off, off offset:76 th:TH_LOAD_LU
	scratch_load_b32 v112, off, off offset:72 th:TH_LOAD_LU
	;; [unrolled: 1-line block ×5, first 2 shown]
	v_mul_i32_i24_e32 v77, v44, v205
	v_add3_u32 v7, v7, v23, v27
	v_mul_i32_i24_e32 v23, v199, v68
	v_mul_i32_i24_e32 v27, v200, v36
	s_delay_alu instid0(VALU_DEP_4) | instskip(NEXT) | instid1(VALU_DEP_2)
	v_add3_u32 v56, v56, v76, v77
	v_add3_u32 v23, v25, v23, v27
	v_mul_i32_i24_e32 v25, v28, v37
	v_mul_i32_i24_e32 v27, v30, v62
	scratch_load_b32 v37, off, off offset:8 th:TH_LOAD_LU ; 4-byte Folded Reload
	v_add3_u32 v5, v5, v25, v27
	v_mul_i32_i24_e32 v25, v199, v72
	v_mul_i32_i24_e32 v27, v200, v38
	s_delay_alu instid0(VALU_DEP_1)
	v_add3_u32 v8, v8, v25, v27
	v_mul_i32_i24_e32 v25, v30, v39
	scratch_load_b32 v39, off, off offset:20 th:TH_LOAD_LU ; 4-byte Folded Reload
	v_cvt_f32_i32_e32 v8, v8
	v_add3_u32 v4, v4, v14, v25
	v_mul_i32_i24_e32 v14, v199, v18
	v_mul_i32_i24_e32 v25, v200, v40
	s_delay_alu instid0(VALU_DEP_1) | instskip(SKIP_2) | instid1(VALU_DEP_3)
	v_add3_u32 v9, v9, v14, v25
	v_mul_i32_i24_e32 v14, v28, v41
	v_mul_i32_i24_e32 v25, v30, v81
	v_cvt_f32_i32_e32 v9, v9
	s_delay_alu instid0(VALU_DEP_2) | instskip(SKIP_2) | instid1(VALU_DEP_1)
	v_add3_u32 v3, v3, v14, v25
	v_mul_i32_i24_e32 v14, v199, v55
	v_mul_i32_i24_e32 v25, v200, v42
	v_add3_u32 v10, v10, v14, v25
	v_mul_i32_i24_e32 v14, v28, v15
	v_mul_i32_i24_e32 v15, v30, v43
	scratch_load_b32 v43, off, off offset:32 th:TH_LOAD_LU ; 4-byte Folded Reload
	v_cvt_f32_i32_e32 v10, v10
	v_add3_u32 v2, v2, v14, v15
	v_mul_i32_i24_e32 v14, v199, v57
	v_mul_i32_i24_e32 v15, v200, v44
	s_delay_alu instid0(VALU_DEP_1) | instskip(SKIP_2) | instid1(VALU_DEP_3)
	v_add3_u32 v11, v11, v14, v15
	v_mul_i32_i24_e32 v14, v28, v45
	v_mul_i32_i24_e32 v15, v30, v54
	v_cvt_f32_i32_e32 v11, v11
	s_delay_alu instid0(VALU_DEP_2) | instskip(SKIP_2) | instid1(VALU_DEP_1)
	v_add3_u32 v6, v6, v14, v15
	v_mul_i32_i24_e32 v14, v24, v59
	v_mul_i32_i24_e32 v15, v26, v22
	v_add3_u32 v7, v7, v14, v15
	v_mul_i32_i24_e32 v14, v24, v68
	v_mul_i32_i24_e32 v15, v26, v36
	s_delay_alu instid0(VALU_DEP_1) | instskip(SKIP_2) | instid1(VALU_DEP_1)
	v_add3_u32 v5, v5, v14, v15
	v_mul_i32_i24_e32 v14, v24, v72
	v_mul_i32_i24_e32 v15, v26, v38
	v_add3_u32 v4, v4, v14, v15
	v_mul_i32_i24_e32 v14, v24, v18
	v_mul_i32_i24_e32 v15, v26, v40
	scratch_load_b32 v40, off, off offset:24 th:TH_LOAD_LU ; 4-byte Folded Reload
	v_cvt_f32_i32_e32 v4, v4
	v_add3_u32 v3, v3, v14, v15
	v_mul_i32_i24_e32 v14, v24, v55
	v_mul_i32_i24_e32 v15, v26, v42
	s_delay_alu instid0(VALU_DEP_3) | instskip(NEXT) | instid1(VALU_DEP_2)
	v_cvt_f32_i32_e32 v3, v3
	v_add3_u32 v2, v2, v14, v15
	v_mul_i32_i24_e32 v14, v24, v57
	v_mul_i32_i24_e32 v15, v26, v44
	s_clause 0x3
	scratch_load_b32 v57, off, off offset:40 th:TH_LOAD_LU
	scratch_load_b32 v42, off, off offset:28 th:TH_LOAD_LU
	;; [unrolled: 1-line block ×3, first 2 shown]
	scratch_load_b32 v36, off, off th:TH_LOAD_LU
	v_add3_u32 v6, v6, v14, v15
	v_cvt_f32_i32_e32 v14, v50
	s_clause 0x1
	scratch_load_b32 v50, off, off offset:36 th:TH_LOAD_LU
	scratch_load_b32 v15, off, off offset:152 th:TH_LOAD_LU
	v_cvt_f32_i32_e32 v2, v2
	s_wait_loadcnt 0x0
	v_fma_mix_f32 v14, v15, v14, v15 op_sel:[0,0,1] op_sel_hi:[1,0,1]
	scratch_load_b32 v15, off, off offset:196 th:TH_LOAD_LU ; 4-byte Folded Reload
	v_add_f32_e32 v36, v36, v14
	scratch_load_b32 v14, off, off offset:148 th:TH_LOAD_LU ; 4-byte Folded Reload
	s_wait_loadcnt 0x1
	v_fma_mix_f32 v0, v15, v0, v15 op_sel:[0,0,1] op_sel_hi:[1,0,1]
	s_delay_alu instid0(VALU_DEP_1) | instskip(SKIP_2) | instid1(VALU_DEP_1)
	v_add_f32_e32 v74, v74, v0
	v_cvt_f32_i32_e32 v0, v16
	s_wait_loadcnt 0x0
	v_fma_mix_f32 v0, v14, v0, v14 op_sel:[0,0,1] op_sel_hi:[1,0,1]
	scratch_load_b32 v14, off, off offset:144 th:TH_LOAD_LU ; 4-byte Folded Reload
	v_add_f32_e32 v79, v79, v0
	v_cvt_f32_i32_e32 v0, v20
	s_wait_loadcnt 0x0
	v_fma_mix_f32 v13, v14, v13, v14 op_sel:[0,0,1] op_sel_hi:[1,0,1]
	v_cvt_f32_i32_e32 v14, v64
	s_clause 0x1
	scratch_load_b32 v64, off, off offset:44 th:TH_LOAD_LU
	scratch_load_b32 v15, off, off offset:164 th:TH_LOAD_LU
	s_wait_loadcnt 0x0
	v_fma_mix_f32 v14, v15, v14, v15 op_sel:[0,0,1] op_sel_hi:[1,0,1]
	v_cvt_f32_i32_e32 v15, v65
	s_clause 0x9
	scratch_load_b32 v65, off, off offset:48 th:TH_LOAD_LU
	scratch_load_b32 v16, off, off offset:156 th:TH_LOAD_LU
	;; [unrolled: 1-line block ×10, first 2 shown]
	v_add_f32_e32 v64, v64, v14
	s_wait_loadcnt 0x8
	v_fma_mix_f32 v15, v16, v15, v16 op_sel:[0,0,1] op_sel_hi:[1,0,1]
	v_cvt_f32_i32_e32 v16, v49
	s_wait_loadcnt 0x4
	s_delay_alu instid0(VALU_DEP_2) | instskip(NEXT) | instid1(VALU_DEP_2)
	v_dual_add_f32 v104, v104, v13 :: v_dual_add_f32 v57, v57, v15
	v_fma_mix_f32 v16, v18, v16, v18 op_sel:[0,0,1] op_sel_hi:[1,0,1]
	v_cvt_f32_i32_e32 v18, v70
	s_delay_alu instid0(VALU_DEP_2) | instskip(NEXT) | instid1(VALU_DEP_2)
	v_add_f32_e32 v42, v42, v16
	v_fma_mix_f32 v18, v22, v18, v22 op_sel:[0,0,1] op_sel_hi:[1,0,1]
	v_cvt_f32_i32_e32 v22, v47
	s_delay_alu instid0(VALU_DEP_2) | instskip(NEXT) | instid1(VALU_DEP_2)
	v_add_f32_e32 v40, v40, v18
	v_fma_mix_f32 v22, v24, v22, v24 op_sel:[0,0,1] op_sel_hi:[1,0,1]
	v_cvt_f32_i32_e32 v24, v73
	s_delay_alu instid0(VALU_DEP_2) | instskip(SKIP_1) | instid1(VALU_DEP_2)
	v_add_f32_e32 v37, v37, v22
	s_wait_loadcnt 0x3
	v_fma_mix_f32 v24, v25, v24, v25 op_sel:[0,0,1] op_sel_hi:[1,0,1]
	scratch_load_b32 v25, off, off offset:184 th:TH_LOAD_LU ; 4-byte Folded Reload
	s_wait_loadcnt 0x0
	v_fma_mix_f32 v19, v25, v19, v25 op_sel:[0,0,1] op_sel_hi:[1,0,1]
	v_cvt_f32_i32_e32 v25, v53
	s_delay_alu instid0(VALU_DEP_2) | instskip(NEXT) | instid1(VALU_DEP_2)
	v_add_f32_e32 v112, v112, v19
	v_fma_mix_f32 v25, v26, v25, v26 op_sel:[0,0,1] op_sel_hi:[1,0,1]
	v_cvt_f32_i32_e32 v26, v60
	s_delay_alu instid0(VALU_DEP_2) | instskip(NEXT) | instid1(VALU_DEP_2)
	v_add_f32_e32 v111, v111, v25
	;; [unrolled: 4-line block ×3, first 2 shown]
	v_fma_mix_f32 v27, v28, v27, v28 op_sel:[0,0,1] op_sel_hi:[1,0,1]
	v_cvt_f32_i32_e32 v28, v35
	s_clause 0x4
	scratch_load_b32 v35, off, off offset:4 th:TH_LOAD_LU
	scratch_load_b32 v29, off, off offset:188 th:TH_LOAD_LU
	;; [unrolled: 1-line block ×5, first 2 shown]
	s_wait_loadcnt 0x4
	v_dual_add_f32 v106, v106, v27 :: v_dual_add_f32 v35, v35, v24
	s_wait_loadcnt 0x3
	v_fma_mix_f32 v28, v29, v28, v29 op_sel:[0,0,1] op_sel_hi:[1,0,1]
	s_wait_loadcnt 0x2
	v_fma_mix_f32 v0, v13, v0, v13 op_sel:[0,0,1] op_sel_hi:[1,0,1]
	scratch_load_b32 v13, off, off offset:140 th:TH_LOAD_LU ; 4-byte Folded Reload
	v_cvt_f32_i32_e32 v29, v56
	v_add_f32_e32 v33, v33, v28
	v_add_f32_e32 v84, v84, v0
	v_cvt_f32_i32_e32 v0, v12
	scratch_load_b32 v12, off, off offset:104 th:TH_LOAD_LU ; 4-byte Folded Reload
	s_wait_loadcnt 0x0
	v_fma_mix_f32 v0, v12, v0, v12 op_sel:[0,0,1] op_sel_hi:[1,0,1]
	scratch_load_b32 v12, off, off offset:108 th:TH_LOAD_LU ; 4-byte Folded Reload
	v_fma_mix_f32 v1, v13, v1, v13 op_sel:[0,0,1] op_sel_hi:[1,0,1]
	v_cvt_f32_i32_e32 v13, v21
	v_add_f32_e32 v198, v198, v0
	v_cvt_f32_i32_e32 v0, v7
	s_delay_alu instid0(VALU_DEP_4) | instskip(NEXT) | instid1(VALU_DEP_4)
	v_add_f32_e32 v71, v71, v1
	v_fma_mix_f32 v13, v20, v13, v20 op_sel:[0,0,1] op_sel_hi:[1,0,1]
	v_cvt_f32_i32_e32 v1, v17
	s_delay_alu instid0(VALU_DEP_2) | instskip(SKIP_4) | instid1(VALU_DEP_2)
	v_add_f32_e32 v101, v101, v13
	scratch_load_b32 v13, off, off offset:112 th:TH_LOAD_LU ; 4-byte Folded Reload
	s_wait_loadcnt 0x1
	v_fma_mix_f32 v1, v12, v1, v12 op_sel:[0,0,1] op_sel_hi:[1,0,1]
	v_cvt_f32_i32_e32 v12, v23
	v_add_f32_e32 v66, v66, v1
	scratch_load_b32 v1, off, off offset:80 th:TH_LOAD_LU ; 4-byte Folded Reload
	s_wait_loadcnt 0x1
	v_fma_mix_f32 v12, v13, v12, v13 op_sel:[0,0,1] op_sel_hi:[1,0,1]
	scratch_load_b32 v13, off, off offset:116 th:TH_LOAD_LU ; 4-byte Folded Reload
	v_add_f32_e32 v50, v50, v12
	s_wait_loadcnt 0x1
	v_fma_mix_f32 v0, v1, v0, v1 op_sel:[0,0,1] op_sel_hi:[1,0,1]
	v_cvt_f32_i32_e32 v1, v5
	scratch_load_b32 v5, off, off offset:84 th:TH_LOAD_LU ; 4-byte Folded Reload
	v_add_f32_e32 v65, v65, v0
	s_wait_loadcnt 0x1
	v_fma_mix_f32 v8, v13, v8, v13 op_sel:[0,0,1] op_sel_hi:[1,0,1]
	scratch_load_b32 v13, off, off offset:120 th:TH_LOAD_LU ; 4-byte Folded Reload
	v_add_f32_e32 v39, v39, v8
	s_wait_loadcnt 0x1
	v_fma_mix_f32 v1, v5, v1, v5 op_sel:[0,0,1] op_sel_hi:[1,0,1]
	;; [unrolled: 4-line block ×7, first 2 shown]
	s_delay_alu instid0(VALU_DEP_1)
	v_add_f32_e32 v105, v105, v11
	s_wait_loadcnt 0x0
	v_fma_mix_f32 v2, v5, v2, v5 op_sel:[0,0,1] op_sel_hi:[1,0,1]
	v_cvt_f32_i32_e32 v5, v6
	scratch_load_b32 v6, off, off offset:96 th:TH_LOAD_LU ; 4-byte Folded Reload
	v_fma_mix_f32 v29, v30, v29, v30 op_sel:[0,0,1] op_sel_hi:[1,0,1]
	s_delay_alu instid0(VALU_DEP_1) | instskip(SKIP_2) | instid1(VALU_DEP_1)
	v_dual_add_f32 v109, v109, v2 :: v_dual_add_f32 v32, v32, v29
	s_wait_loadcnt 0x0
	v_fma_mix_f32 v5, v6, v5, v6 op_sel:[0,0,1] op_sel_hi:[1,0,1]
	v_add_f32_e32 v34, v34, v5
	s_cbranch_scc1 .LBB120_9
; %bb.10:                               ;   in Loop: Header=BB120_7 Depth=1
	s_and_b32 s10, s7, -4
	s_wait_storecnt 0x0
	s_wait_alu 0xfffe
	s_cmp_eq_u32 s10, 4
	s_barrier_signal -1
	s_barrier_wait -1
	global_inv scope:SCOPE_SE
	s_cbranch_scc1 .LBB120_5
; %bb.11:                               ;   in Loop: Header=BB120_7 Depth=1
	s_clause 0x5
	scratch_load_b32 v0, off, off offset:564
	scratch_load_b64 v[17:18], off, off offset:248
	scratch_load_b32 v12, off, off offset:236
	scratch_load_b32 v1, off, off offset:220
	;; [unrolled: 1-line block ×4, first 2 shown]
	s_mov_b32 s10, 12
	scratch_load_b32 v13, off, off offset:240 ; 4-byte Folded Reload
	s_wait_loadcnt 0x6
	v_add_nc_u32_e32 v10, s4, v0
	scratch_load_b32 v0, off, off offset:216 ; 4-byte Folded Reload
	s_wait_loadcnt 0x4
	v_add_nc_u32_e32 v2, v10, v1
	;; [unrolled: 3-line block ×3, first 2 shown]
	v_add_nc_u32_e32 v8, v10, v7
	v_add_nc_u32_e32 v12, v10, v12
	v_mad_co_i64_i32 v[2:3], null, v2, 36, v[17:18]
	s_wait_loadcnt 0x2
	v_add_nc_u32_e32 v14, v10, v13
	scratch_load_b32 v13, off, off offset:296 th:TH_LOAD_LU ; 4-byte Folded Reload
	v_mad_co_i64_i32 v[8:9], null, v8, 36, v[17:18]
	v_mad_co_i64_i32 v[14:15], null, v14, 36, v[17:18]
	s_wait_loadcnt 0x2
	v_add_nc_u32_e32 v0, v10, v0
	s_wait_loadcnt 0x1
	v_add_nc_u32_e32 v4, v10, v1
	scratch_load_b32 v1, off, off offset:228 ; 4-byte Folded Reload
	v_mad_co_i64_i32 v[4:5], null, v4, 36, v[17:18]
	s_wait_loadcnt 0x1
	v_add_nc_u32_e32 v16, 4, v13
	v_mad_co_i64_i32 v[12:13], null, v12, 36, v[17:18]
	s_wait_loadcnt 0x0
	v_add_nc_u32_e32 v6, v10, v1
	v_mad_co_i64_i32 v[10:11], null, v11, 36, v[17:18]
	v_mad_co_i64_i32 v[0:1], null, v0, 36, v[17:18]
	s_delay_alu instid0(VALU_DEP_3)
	v_mad_co_i64_i32 v[6:7], null, v6, 36, v[17:18]
	v_mad_co_u64_u32 v[16:17], null, v16, 36, s[2:3]
	s_clause 0x8
	global_load_b32 v10, v[10:11], off offset:4
	global_load_b32 v0, v[0:1], off offset:4
	;; [unrolled: 1-line block ×8, first 2 shown]
	global_load_b32 v7, v[16:17], off
	s_clause 0x2
	scratch_load_b32 v159, off, off offset:256
	scratch_load_b32 v160, off, off offset:260
	;; [unrolled: 1-line block ×3, first 2 shown]
	s_wait_loadcnt 0x0
	v_mad_u32_u24 v165, 0x84, v8, 64
	s_clause 0x4
	scratch_load_b32 v70, off, off offset:580
	scratch_load_b32 v162, off, off offset:576
	;; [unrolled: 1-line block ×5, first 2 shown]
	s_wait_loadcnt 0x0
	ds_store_b32 v8, v10
	scratch_load_b32 v8, off, off offset:264 ; 4-byte Folded Reload
	s_wait_loadcnt 0x0
	ds_store_b32 v8, v0
	scratch_load_b32 v0, off, off offset:268 ; 4-byte Folded Reload
	;; [unrolled: 3-line block ×8, first 2 shown]
	s_wait_loadcnt 0x0
	ds_store_b32 v0, v7
	s_wait_dscnt 0x0
	s_barrier_signal -1
	s_barrier_wait -1
	global_inv scope:SCOPE_SE
.LBB120_12:                             ;   Parent Loop BB120_7 Depth=1
                                        ; =>  This Inner Loop Header: Depth=2
	s_clause 0x13
	scratch_store_b32 off, v37, off offset:8
	scratch_store_b32 off, v79, off offset:76
	scratch_store_b32 off, v36, off
	scratch_store_b32 off, v198, off offset:72
	scratch_store_b32 off, v74, off offset:68
	scratch_store_b32 off, v71, off offset:64
	scratch_store_b32 off, v33, off offset:56
	scratch_store_b32 off, v66, off offset:52
	scratch_store_b32 off, v65, off offset:48
	scratch_store_b32 off, v64, off offset:44
	scratch_store_b32 off, v57, off offset:40
	scratch_store_b32 off, v50, off offset:36
	scratch_store_b32 off, v43, off offset:32
	scratch_store_b32 off, v42, off offset:28
	scratch_store_b32 off, v40, off offset:24
	scratch_store_b32 off, v39, off offset:20
	scratch_store_b32 off, v38, off offset:16
	scratch_store_b32 off, v32, off offset:12
	scratch_store_b32 off, v35, off offset:4
	scratch_store_b32 off, v34, off offset:60
	ds_load_b32 v3, v70
	ds_load_b32 v2, v162
	;; [unrolled: 1-line block ×4, first 2 shown]
	ds_load_2addr_b32 v[4:5], v159 offset1:32
	ds_load_2addr_b32 v[20:21], v160 offset0:4 offset1:7
	ds_load_2addr_b32 v[34:35], v165 offset1:1
	ds_load_2addr_b32 v[38:39], v160 offset0:1 offset1:2
	ds_load_2addr_b32 v[57:58], v165 offset0:2 offset1:3
	;; [unrolled: 1-line block ×3, first 2 shown]
	ds_load_2addr_b32 v[22:23], v160 offset1:3
	v_add_nc_u32_e32 v42, 0x400, v160
	v_add_nc_u32_e32 v17, 0x414, v160
	;; [unrolled: 1-line block ×11, first 2 shown]
	s_wait_alu 0xfffe
	s_add_co_i32 s10, s10, 4
	v_mov_b32_e32 v125, v84
	s_wait_dscnt 0x6
	v_pk_mul_f16 v6, v4, v3
	s_wait_dscnt 0x5
	v_bfe_i32 v56, v20, 16, 8
	s_wait_dscnt 0x4
	v_bfe_u32 v212, v34, 20, 4
	v_bfe_u32 v198, v34, 16, 4
	s_wait_dscnt 0x3
	v_bfe_i32 v205, v38, 16, 8
	scratch_store_b32 off, v6, off offset:152 ; 4-byte Folded Spill
	v_pk_mul_f16 v6, v4, v2
	s_wait_dscnt 0x0
	v_bfe_i32 v40, v22, 16, 8
	v_bfe_u32 v206, v35, 16, 4
	v_bfe_i32 v235, v52, 16, 8
	v_bfe_u32 v238, v35, 20, 4
	scratch_store_b32 off, v6, off offset:132 ; 4-byte Folded Spill
	v_pk_mul_f16 v6, v4, v1
	v_pk_mul_f16 v4, v4, v0
	v_ashrrev_i32_e32 v7, 24, v20
	v_bfe_u32 v199, v34, 24, 4
	v_bfe_u32 v12, v35, 24, 4
	v_lshrrev_b32_e32 v252, 28, v35
	scratch_store_b32 off, v4, off offset:144 ; 4-byte Folded Spill
	v_pk_mul_f16 v4, v3, v5
	scratch_store_b32 off, v6, off offset:148 ; 4-byte Folded Spill
	v_ashrrev_i32_e32 v173, 24, v38
	v_ashrrev_i32_e32 v237, 24, v52
	v_bfe_u32 v8, v34, 4, 4
	scratch_store_b32 off, v4, off offset:104 ; 4-byte Folded Spill
	v_pk_mul_f16 v4, v2, v5
	v_and_b32_e32 v200, 15, v34
	v_and_b32_e32 v19, 15, v35
	v_bfe_i32 v251, v52, 0, 8
	v_bfe_u32 v144, v57, 24, 4
	scratch_store_b32 off, v4, off offset:196 ; 4-byte Folded Spill
	v_pk_mul_f16 v4, v1, v5
	v_lshrrev_b32_e32 v232, 28, v57
	v_ashrrev_i32_e32 v240, 24, v39
	v_ashrrev_i32_e32 v215, 24, v53
	v_bfe_i32 v242, v39, 16, 8
	scratch_store_b32 off, v4, off offset:140 ; 4-byte Folded Spill
	v_pk_mul_f16 v4, v0, v5
	v_bfe_u32 v244, v57, 16, 4
	v_bfe_i32 v217, v53, 16, 8
	v_bfe_u32 v220, v57, 20, 4
	v_bfe_i32 v143, v39, 0, 8
	scratch_store_b32 off, v4, off offset:136 ; 4-byte Folded Spill
	ds_load_2addr_b32 v[4:5], v159 offset0:64 offset1:96
	v_and_b32_e32 v246, 15, v57
	v_bfe_i32 v231, v53, 0, 8
	v_bfe_u32 v233, v57, 4, 4
	v_bfe_i32 v148, v38, 8, 8
	v_bfe_i32 v225, v23, 16, 8
	v_bfe_u32 v228, v58, 16, 4
	v_bfe_u32 v211, v58, 20, 4
	;; [unrolled: 1-line block ×3, first 2 shown]
	v_lshrrev_b32_e32 v214, 28, v58
	v_ashrrev_i32_e32 v227, 24, v23
	v_bfe_i32 v236, v23, 0, 8
	v_and_b32_e32 v229, 15, v58
	v_bfe_i32 v213, v21, 0, 8
	v_bfe_u32 v216, v58, 4, 4
	v_bfe_i32 v156, v39, 8, 8
	v_and_b32_e32 v39, 0xf0f0f0f, v57
	s_wait_alu 0xfffe
	s_cmp_lt_u32 s10, 28
	s_wait_dscnt 0x0
	v_pk_mul_f16 v6, v3, v4
	v_lshrrev_b16 v39, 8, v39
	scratch_store_b32 off, v6, off offset:108 ; 4-byte Folded Spill
	v_pk_mul_f16 v6, v2, v4
	v_and_b32_e32 v157, 0xffff, v39
	scratch_store_b32 off, v6, off offset:80 ; 4-byte Folded Spill
	v_pk_mul_f16 v6, v1, v4
	v_pk_mul_f16 v4, v0, v4
	scratch_store_b32 off, v4, off offset:156 ; 4-byte Folded Spill
	v_pk_mul_f16 v4, v3, v5
	scratch_store_b32 off, v4, off offset:112 ; 4-byte Folded Spill
	v_pk_mul_f16 v4, v2, v5
	s_clause 0x1
	scratch_store_b32 off, v6, off offset:164
	scratch_store_b32 off, v4, off offset:84
	v_pk_mul_f16 v4, v1, v5
	scratch_store_b32 off, v4, off offset:168 ; 4-byte Folded Spill
	v_pk_mul_f16 v4, v0, v5
	scratch_store_b32 off, v4, off offset:160 ; 4-byte Folded Spill
	ds_load_2addr_b32 v[4:5], v159 offset0:128 offset1:160
	s_wait_dscnt 0x0
	v_pk_mul_f16 v6, v3, v4
	scratch_store_b32 off, v6, off offset:116 ; 4-byte Folded Spill
	v_pk_mul_f16 v6, v2, v4
	scratch_store_b32 off, v6, off offset:88 ; 4-byte Folded Spill
	v_pk_mul_f16 v6, v1, v4
	v_pk_mul_f16 v4, v0, v4
	scratch_store_b32 off, v4, off offset:172 ; 4-byte Folded Spill
	v_pk_mul_f16 v4, v3, v5
	scratch_store_b32 off, v4, off offset:120 ; 4-byte Folded Spill
	v_pk_mul_f16 v4, v2, v5
	s_clause 0x1
	scratch_store_b32 off, v6, off offset:180
	scratch_store_b32 off, v4, off offset:92
	v_pk_mul_f16 v4, v1, v5
	scratch_store_b32 off, v4, off offset:184 ; 4-byte Folded Spill
	v_pk_mul_f16 v4, v0, v5
	scratch_store_b32 off, v4, off offset:176 ; 4-byte Folded Spill
	ds_load_2addr_b32 v[4:5], v159 offset0:192 offset1:224
	v_add_nc_u32_e32 v159, 4, v159
	s_wait_dscnt 0x0
	v_pk_mul_f16 v6, v3, v4
	v_pk_mul_f16 v3, v3, v5
	scratch_store_b32 off, v3, off offset:124 ; 4-byte Folded Spill
	v_pk_mul_f16 v3, v2, v4
	v_pk_mul_f16 v2, v2, v5
	scratch_store_b32 off, v6, off offset:128 ; 4-byte Folded Spill
	v_lshrrev_b32_e32 v6, 28, v34
	s_clause 0x1
	scratch_store_b32 off, v3, off offset:100
	scratch_store_b32 off, v2, off offset:96
	v_pk_mul_f16 v2, v1, v4
	v_pk_mul_f16 v1, v1, v5
	v_ashrrev_i32_e32 v3, 24, v22
	s_clause 0x1
	scratch_store_b32 off, v2, off offset:200
	scratch_store_b32 off, v1, off offset:188
	v_pk_mul_f16 v1, v0, v4
	v_pk_mul_f16 v0, v0, v5
	v_mul_i32_i24_e32 v2, v235, v238
	v_bfe_i32 v4, v22, 0, 8
	s_clause 0x1
	scratch_store_b32 off, v1, off offset:204
	scratch_store_b32 off, v0, off offset:192
	v_mul_i32_i24_e32 v0, v212, v56
	v_mul_i32_i24_e32 v1, v205, v206
	s_delay_alu instid0(VALU_DEP_2) | instskip(NEXT) | instid1(VALU_DEP_1)
	v_mad_i32_i24 v0, v198, v40, v0
	v_add3_u32 v5, v0, v1, v2
	v_mul_i32_i24_e32 v0, v6, v7
	v_mul_i32_i24_e32 v1, v173, v12
	;; [unrolled: 1-line block ×3, first 2 shown]
	s_delay_alu instid0(VALU_DEP_3) | instskip(NEXT) | instid1(VALU_DEP_1)
	v_mad_i32_i24 v0, v199, v3, v0
	v_add3_u32 v9, v0, v1, v2
	v_bfe_i32 v2, v20, 0, 8
	v_bfe_i32 v1, v38, 0, 8
	v_lshrrev_b16 v20, 8, v20
	s_delay_alu instid0(VALU_DEP_3) | instskip(NEXT) | instid1(VALU_DEP_3)
	v_mul_i32_i24_e32 v0, v8, v2
	v_mul_i32_i24_e32 v11, v1, v19
	s_delay_alu instid0(VALU_DEP_2) | instskip(SKIP_1) | instid1(VALU_DEP_1)
	v_mad_i32_i24 v10, v200, v4, v0
	v_bfe_u32 v0, v35, 4, 4
	v_mul_i32_i24_e32 v13, v251, v0
	s_delay_alu instid0(VALU_DEP_1) | instskip(SKIP_2) | instid1(VALU_DEP_1)
	v_add3_u32 v10, v10, v11, v13
	v_mul_i32_i24_e32 v11, v240, v144
	v_mul_i32_i24_e32 v13, v215, v232
	v_add3_u32 v11, v9, v11, v13
	v_mul_i32_i24_e32 v9, v242, v244
	v_mul_i32_i24_e32 v13, v217, v220
	s_delay_alu instid0(VALU_DEP_1) | instskip(SKIP_2) | instid1(VALU_DEP_1)
	v_add3_u32 v5, v5, v9, v13
	v_mul_i32_i24_e32 v9, v143, v246
	v_mul_i32_i24_e32 v13, v231, v233
	v_add3_u32 v13, v10, v9, v13
	v_lshrrev_b16 v9, 8, v22
	s_delay_alu instid0(VALU_DEP_1)
	v_bfe_i32 v18, v9, 0, 8
	v_add_nc_u32_e32 v9, 0x2100, v165
	ds_load_2addr_b32 v[59:60], v9 offset1:1
	s_wait_dscnt 0x0
	v_and_b32_e32 v207, 15, v59
	v_bfe_u32 v208, v59, 8, 4
	v_bfe_u32 v201, v59, 16, 4
	;; [unrolled: 1-line block ×4, first 2 shown]
	v_mul_i32_i24_e32 v9, v4, v207
	v_bfe_u32 v47, v59, 4, 4
	v_mul_i32_i24_e32 v10, v40, v201
	v_mul_i32_i24_e32 v14, v3, v202
	v_bfe_u32 v82, v59, 20, 4
	v_mad_i32_i24 v9, v18, v208, v9
	v_lshrrev_b32_e32 v83, 28, v59
	v_bfe_u32 v155, v60, 8, 4
	v_bfe_u32 v161, v60, 24, 4
	s_delay_alu instid0(VALU_DEP_4)
	v_add3_u32 v22, v9, v10, v14
	v_add_nc_u32_e32 v9, 0x3180, v165
	ds_load_2addr_b32 v[61:62], v9 offset1:1
	s_wait_dscnt 0x0
	v_and_b32_e32 v209, 15, v61
	v_bfe_u32 v210, v61, 8, 4
	v_bfe_u32 v203, v61, 16, 4
	;; [unrolled: 1-line block ×4, first 2 shown]
	v_mul_i32_i24_e32 v9, v4, v209
	v_bfe_u32 v50, v61, 4, 4
	v_mul_i32_i24_e32 v10, v40, v203
	v_mul_i32_i24_e32 v14, v3, v204
	v_bfe_u32 v86, v61, 20, 4
	v_mad_i32_i24 v9, v18, v210, v9
	v_lshrrev_b32_e32 v87, 28, v61
	v_ashrrev_i32_e32 v61, 24, v21
	v_bfe_u32 v168, v62, 8, 4
	v_bfe_u32 v169, v62, 24, 4
	v_add3_u32 v41, v9, v10, v14
	v_add_nc_u32_e32 v9, 0x1080, v165
	v_add_nc_u32_e32 v14, 0x404, v160
	ds_load_2addr_b32 v[9:10], v9 offset1:1
	ds_load_2addr_b32 v[54:55], v14 offset1:1
	ds_load_2addr_b32 v[63:64], v42 offset0:4 offset1:7
	ds_load_2addr_b32 v[102:103], v17 offset1:1
	ds_load_2addr_b32 v[65:66], v24 offset1:1
	ds_load_2addr_b32 v[30:31], v122 offset0:4 offset1:7
	ds_load_2addr_b32 v[32:33], v73 offset0:4 offset1:7
	;; [unrolled: 1-line block ×3, first 2 shown]
	ds_load_2addr_b32 v[67:68], v42 offset1:3
	v_bfe_u32 v196, v62, 12, 4
	s_wait_dscnt 0x8
	v_bfe_u32 v136, v10, 16, 4
	s_wait_dscnt 0x7
	v_bfe_i32 v14, v54, 16, 8
	v_bfe_u32 v15, v9, 20, 4
	s_wait_dscnt 0x6
	v_bfe_i32 v69, v63, 16, 8
	;; [unrolled: 3-line block ×3, first 2 shown]
	v_mul_i32_i24_e32 v16, v14, v136
	s_wait_dscnt 0x4
	v_bfe_u32 v247, v65, 16, 4
	v_bfe_i32 v116, v55, 16, 8
	v_and_b32_e32 v154, 15, v10
	v_mul_i32_i24_e32 v17, v152, v128
	v_mad_i32_i24 v16, v69, v15, v16
	v_bfe_u32 v72, v9, 4, 4
	v_mul_i32_i24_e32 v24, v116, v247
	v_bfe_i32 v75, v63, 0, 8
	v_bfe_u32 v135, v10, 4, 4
	v_bfe_i32 v174, v102, 0, 8
	v_and_b32_e32 v250, 15, v65
	v_add3_u32 v43, v16, v17, v24
	v_bfe_i32 v16, v54, 0, 8
	v_bfe_i32 v80, v55, 0, 8
	v_mul_i32_i24_e32 v24, v174, v135
	v_bfe_u32 v175, v10, 24, 4
	v_ashrrev_i32_e32 v76, 24, v54
	v_mul_i32_i24_e32 v17, v16, v154
	v_mul_i32_i24_e32 v25, v80, v250
	v_ashrrev_i32_e32 v77, 24, v63
	v_lshrrev_b32_e32 v133, 28, v10
	v_bfe_u32 v139, v65, 24, 4
	v_mad_i32_i24 v17, v75, v72, v17
	v_ashrrev_i32_e32 v176, 24, v102
	v_ashrrev_i32_e32 v134, 24, v55
	s_wait_dscnt 0x3
	v_bfe_i32 v114, v30, 8, 8
	v_bfe_i32 v115, v30, 0, 8
	v_add3_u32 v44, v17, v24, v25
	v_lshrrev_b32_e32 v17, 28, v9
	v_mul_i32_i24_e32 v24, v76, v175
	v_mul_i32_i24_e32 v25, v176, v133
	v_mul_i32_i24_e32 v26, v134, v139
	v_bfe_i32 v119, v30, 16, 8
	v_ashrrev_i32_e32 v121, 24, v30
	v_mad_i32_i24 v24, v77, v17, v24
	s_wait_dscnt 0x2
	v_bfe_i32 v118, v32, 8, 8
	v_bfe_i32 v123, v32, 0, 8
	;; [unrolled: 1-line block ×3, first 2 shown]
	v_ashrrev_i32_e32 v126, 24, v32
	v_add3_u32 v45, v24, v25, v26
	v_add_nc_u32_e32 v24, 0x800, v160
	s_wait_dscnt 0x1
	v_bfe_i32 v129, v36, 8, 8
	v_bfe_i32 v130, v36, 0, 8
	;; [unrolled: 1-line block ×3, first 2 shown]
	v_ashrrev_i32_e32 v138, 24, v36
	ds_load_2addr_b32 v[24:25], v24 offset0:4 offset1:7
	v_bfe_i32 v36, v21, 16, 8
	v_lshrrev_b32_e32 v253, 28, v65
	v_bfe_u32 v230, v66, 24, 4
	v_ashrrev_i32_e32 v131, 24, v103
	s_wait_dscnt 0x1
	v_ashrrev_i32_e32 v254, 24, v68
	v_bfe_u32 v145, v65, 4, 4
	v_bfe_i32 v132, v103, 0, 8
	v_and_b32_e32 v221, 15, v66
	v_bfe_i32 v241, v68, 0, 8
	v_bfe_u32 v245, v65, 20, 4
	v_bfe_i32 v140, v103, 16, 8
	v_bfe_u32 v222, v66, 16, 4
	v_bfe_i32 v243, v68, 16, 8
	v_mul_i32_i24_e32 v42, v77, v83
	v_bfe_u32 v218, v66, 20, 4
	v_bfe_i32 v234, v64, 16, 8
	v_bfe_i32 v223, v67, 0, 8
	v_bfe_u32 v226, v66, 4, 4
	v_bfe_i32 v248, v64, 0, 8
	s_wait_dscnt 0x0
	v_bfe_i32 v78, v24, 8, 8
	v_bfe_i32 v79, v24, 0, 8
	;; [unrolled: 1-line block ×3, first 2 shown]
	v_ashrrev_i32_e32 v85, 24, v24
	v_lshrrev_b32_e32 v224, 28, v66
	v_mul_i32_i24_e32 v26, v78, v46
	v_ashrrev_i32_e32 v219, 24, v67
	v_mul_i32_i24_e32 v24, v84, v82
	v_mul_i32_i24_e32 v27, v85, v83
	v_ashrrev_i32_e32 v249, 24, v64
	v_mad_i32_i24 v26, v79, v47, v26
	v_bfe_i32 v64, v64, 8, 8
	v_bfe_i32 v68, v68, 8, 8
	s_delay_alu instid0(VALU_DEP_3) | instskip(SKIP_3) | instid1(VALU_DEP_3)
	v_add3_u32 v48, v26, v24, v27
	v_mul_i32_i24_e32 v24, v78, v49
	v_mul_i32_i24_e32 v26, v84, v86
	;; [unrolled: 1-line block ×3, first 2 shown]
	v_mad_i32_i24 v24, v79, v50, v24
	s_delay_alu instid0(VALU_DEP_1)
	v_add3_u32 v81, v24, v26, v27
	ds_load_2addr_b32 v[26:27], v71 offset0:4 offset1:7
	s_wait_dscnt 0x0
	v_bfe_i32 v88, v26, 8, 8
	v_bfe_i32 v89, v26, 0, 8
	;; [unrolled: 1-line block ×3, first 2 shown]
	v_ashrrev_i32_e32 v91, 24, v26
	s_delay_alu instid0(VALU_DEP_4) | instskip(NEXT) | instid1(VALU_DEP_3)
	v_mul_i32_i24_e32 v24, v88, v46
	v_mul_i32_i24_e32 v26, v90, v82
	s_delay_alu instid0(VALU_DEP_3) | instskip(NEXT) | instid1(VALU_DEP_3)
	v_mul_i32_i24_e32 v28, v91, v83
	v_mad_i32_i24 v24, v89, v47, v24
	s_delay_alu instid0(VALU_DEP_1) | instskip(SKIP_3) | instid1(VALU_DEP_3)
	v_add3_u32 v92, v24, v26, v28
	v_mul_i32_i24_e32 v24, v88, v49
	v_mul_i32_i24_e32 v26, v90, v86
	;; [unrolled: 1-line block ×3, first 2 shown]
	v_mad_i32_i24 v24, v89, v50, v24
	s_delay_alu instid0(VALU_DEP_1)
	v_add3_u32 v93, v24, v26, v28
	v_add_nc_u32_e32 v24, 0x1000, v160
	ds_load_2addr_b32 v[28:29], v24 offset0:4 offset1:7
	s_wait_dscnt 0x0
	v_bfe_i32 v96, v28, 8, 8
	v_bfe_i32 v100, v28, 0, 8
	;; [unrolled: 1-line block ×3, first 2 shown]
	v_ashrrev_i32_e32 v113, 24, v28
	s_delay_alu instid0(VALU_DEP_4) | instskip(NEXT) | instid1(VALU_DEP_3)
	v_mul_i32_i24_e32 v24, v96, v46
	v_mul_i32_i24_e32 v26, v108, v82
	s_delay_alu instid0(VALU_DEP_3) | instskip(NEXT) | instid1(VALU_DEP_3)
	v_mul_i32_i24_e32 v28, v113, v83
	v_mad_i32_i24 v24, v100, v47, v24
	s_delay_alu instid0(VALU_DEP_1) | instskip(SKIP_3) | instid1(VALU_DEP_3)
	v_add3_u32 v94, v24, v26, v28
	v_mul_i32_i24_e32 v24, v96, v49
	v_mul_i32_i24_e32 v26, v108, v86
	v_mul_i32_i24_e32 v28, v113, v87
	v_mad_i32_i24 v24, v100, v50, v24
	s_delay_alu instid0(VALU_DEP_1) | instskip(SKIP_3) | instid1(VALU_DEP_3)
	v_add3_u32 v95, v24, v26, v28
	v_mul_i32_i24_e32 v24, v114, v46
	v_mul_i32_i24_e32 v26, v119, v82
	;; [unrolled: 6-line block ×7, first 2 shown]
	v_mul_i32_i24_e32 v28, v138, v87
	v_mad_i32_i24 v24, v130, v50, v24
	s_delay_alu instid0(VALU_DEP_1)
	v_add3_u32 v142, v24, v26, v28
	v_lshrrev_b32_e32 v26, 4, v34
	v_and_b32_e32 v24, 0xf0f0f0f, v34
	v_bfe_i32 v34, v20, 0, 8
	v_and_b32_e32 v20, 0xf0f0f0f, v35
	v_and_b32_e32 v28, 15, v9
	v_lshrrev_b16 v26, 8, v26
	v_lshrrev_b16 v24, 8, v24
	v_lshrrev_b32_e32 v35, 4, v35
	v_lshrrev_b16 v20, 8, v20
	v_mul_i32_i24_e32 v4, v28, v4
	v_and_b32_e32 v26, 15, v26
	v_and_b32_e32 v32, 0xffff, v24
	v_lshrrev_b16 v35, 8, v35
	v_and_b32_e32 v146, 0xffff, v20
	s_delay_alu instid0(VALU_DEP_4) | instskip(NEXT) | instid1(VALU_DEP_4)
	v_and_b32_e32 v147, 0xffff, v26
	v_mul_i32_i24_e32 v20, v32, v18
	s_delay_alu instid0(VALU_DEP_4) | instskip(NEXT) | instid1(VALU_DEP_4)
	v_and_b32_e32 v35, 15, v35
	v_mul_i32_i24_e32 v24, v148, v146
	s_delay_alu instid0(VALU_DEP_4) | instskip(NEXT) | instid1(VALU_DEP_1)
	v_mul_i32_i24_e32 v26, v147, v34
	v_add3_u32 v38, v20, v26, v24
	v_mul_i32_i24_e32 v20, v225, v228
	v_mul_i32_i24_e32 v24, v36, v211
	v_bfe_u32 v26, v9, 24, 4
	s_delay_alu instid0(VALU_DEP_2) | instskip(SKIP_2) | instid1(VALU_DEP_4)
	v_add3_u32 v20, v5, v20, v24
	v_mul_i32_i24_e32 v5, v227, v239
	v_mul_i32_i24_e32 v24, v61, v214
	;; [unrolled: 1-line block ×3, first 2 shown]
	s_delay_alu instid0(VALU_DEP_2) | instskip(SKIP_3) | instid1(VALU_DEP_2)
	v_add3_u32 v149, v11, v5, v24
	v_mul_i32_i24_e32 v5, v236, v229
	v_mul_i32_i24_e32 v11, v213, v216
	v_bfe_u32 v24, v9, 16, 4
	v_add3_u32 v59, v13, v5, v11
	v_mul_i32_i24_e32 v5, v2, v47
	v_mul_i32_i24_e32 v11, v34, v46
	;; [unrolled: 1-line block ×3, first 2 shown]
	s_delay_alu instid0(VALU_DEP_2) | instskip(SKIP_3) | instid1(VALU_DEP_3)
	v_add3_u32 v5, v22, v11, v5
	v_mul_i32_i24_e32 v11, v2, v50
	v_mul_i32_i24_e32 v22, v243, v222
	;; [unrolled: 1-line block ×3, first 2 shown]
	v_add3_u32 v11, v41, v13, v11
	v_and_b32_e32 v13, 0xf0f0f0f, v9
	v_mul_i32_i24_e32 v41, v69, v82
	s_delay_alu instid0(VALU_DEP_2) | instskip(NEXT) | instid1(VALU_DEP_1)
	v_lshrrev_b16 v13, 8, v13
	v_and_b32_e32 v30, 0xffff, v13
	v_mul_i32_i24_e32 v13, v24, v40
	s_delay_alu instid0(VALU_DEP_2) | instskip(SKIP_1) | instid1(VALU_DEP_2)
	v_mad_i32_i24 v4, v30, v18, v4
	v_mul_i32_i24_e32 v18, v241, v221
	v_add3_u32 v3, v4, v13, v3
	v_mul_i32_i24_e32 v4, v131, v253
	v_mul_i32_i24_e32 v13, v254, v230
	s_delay_alu instid0(VALU_DEP_1) | instskip(SKIP_1) | instid1(VALU_DEP_1)
	v_add3_u32 v4, v45, v4, v13
	v_mul_i32_i24_e32 v13, v132, v145
	v_add3_u32 v13, v44, v13, v18
	v_mul_i32_i24_e32 v18, v140, v245
	s_delay_alu instid0(VALU_DEP_1) | instskip(SKIP_1) | instid1(VALU_DEP_1)
	v_add3_u32 v18, v43, v18, v22
	v_lshrrev_b16 v22, 8, v63
	v_bfe_i32 v22, v22, 0, 8
	s_delay_alu instid0(VALU_DEP_1) | instskip(NEXT) | instid1(VALU_DEP_1)
	v_mul_i32_i24_e32 v40, v22, v46
	v_mad_i32_i24 v40, v75, v47, v40
	s_delay_alu instid0(VALU_DEP_1) | instskip(SKIP_3) | instid1(VALU_DEP_3)
	v_add3_u32 v150, v40, v41, v42
	v_mul_i32_i24_e32 v40, v22, v49
	v_mul_i32_i24_e32 v41, v69, v86
	;; [unrolled: 1-line block ×3, first 2 shown]
	v_mad_i32_i24 v40, v75, v50, v40
	s_delay_alu instid0(VALU_DEP_1)
	v_add3_u32 v151, v40, v41, v42
	v_add_nc_u32_e32 v40, 0x804, v160
	ds_load_2addr_b32 v[50:51], v40 offset1:1
	s_wait_dscnt 0x0
	v_bfe_i32 v166, v50, 8, 8
	v_ashrrev_i32_e32 v167, 24, v50
	s_delay_alu instid0(VALU_DEP_2) | instskip(NEXT) | instid1(VALU_DEP_2)
	v_mul_i32_i24_e32 v40, v166, v155
	v_mul_i32_i24_e32 v41, v167, v161
	s_delay_alu instid0(VALU_DEP_1) | instskip(SKIP_2) | instid1(VALU_DEP_1)
	v_add3_u32 v153, v48, v41, v40
	v_mul_i32_i24_e32 v40, v166, v168
	v_mul_i32_i24_e32 v41, v167, v169
	v_add3_u32 v170, v81, v41, v40
	v_add_nc_u32_e32 v40, 0xc04, v160
	ds_load_2addr_b32 v[48:49], v40 offset1:1
	s_wait_dscnt 0x0
	v_bfe_i32 v171, v48, 8, 8
	v_ashrrev_i32_e32 v172, 24, v48
	s_delay_alu instid0(VALU_DEP_2) | instskip(NEXT) | instid1(VALU_DEP_2)
	v_mul_i32_i24_e32 v40, v171, v155
	v_mul_i32_i24_e32 v41, v172, v161
	s_delay_alu instid0(VALU_DEP_1) | instskip(SKIP_2) | instid1(VALU_DEP_1)
	v_add3_u32 v92, v92, v41, v40
	v_mul_i32_i24_e32 v40, v171, v168
	v_mul_i32_i24_e32 v41, v172, v169
	v_add3_u32 v177, v93, v41, v40
	v_add_nc_u32_e32 v40, 0x1004, v160
	ds_load_2addr_b32 v[46:47], v40 offset1:1
	s_wait_dscnt 0x0
	v_bfe_i32 v178, v46, 8, 8
	v_ashrrev_i32_e32 v179, 24, v46
	s_delay_alu instid0(VALU_DEP_2) | instskip(NEXT) | instid1(VALU_DEP_2)
	v_mul_i32_i24_e32 v40, v178, v155
	v_mul_i32_i24_e32 v41, v179, v161
	s_delay_alu instid0(VALU_DEP_1) | instskip(SKIP_4) | instid1(VALU_DEP_3)
	v_add3_u32 v180, v94, v41, v40
	v_mul_i32_i24_e32 v40, v178, v168
	v_mul_i32_i24_e32 v41, v179, v169
	v_bfe_i32 v94, v102, 8, 8
	v_and_b32_e32 v102, 15, v62
	v_add3_u32 v181, v95, v41, v40
	v_add_nc_u32_e32 v40, 0x1404, v160
	ds_load_2addr_b32 v[44:45], v40 offset1:1
	s_wait_dscnt 0x0
	v_bfe_i32 v182, v44, 8, 8
	v_ashrrev_i32_e32 v197, 24, v44
	s_delay_alu instid0(VALU_DEP_2) | instskip(NEXT) | instid1(VALU_DEP_2)
	v_mul_i32_i24_e32 v40, v182, v155
	v_mul_i32_i24_e32 v41, v197, v161
	s_delay_alu instid0(VALU_DEP_1) | instskip(SKIP_3) | instid1(VALU_DEP_2)
	v_add3_u32 v255, v97, v41, v40
	v_mul_i32_i24_e32 v40, v182, v168
	v_mul_i32_i24_e32 v41, v197, v169
	;; [unrolled: 1-line block ×3, first 2 shown]
	v_add3_u32 v93, v98, v41, v40
	v_add_nc_u32_e32 v40, 0x1804, v160
	v_bfe_i32 v98, v46, 16, 8
	ds_load_2addr_b32 v[42:43], v40 offset1:1
	s_wait_dscnt 0x0
	v_bfe_i32 v95, v42, 8, 8
	v_ashrrev_i32_e32 v183, 24, v42
	s_delay_alu instid0(VALU_DEP_2) | instskip(NEXT) | instid1(VALU_DEP_2)
	v_mul_i32_i24_e32 v40, v95, v155
	v_mul_i32_i24_e32 v41, v183, v161
	s_delay_alu instid0(VALU_DEP_1) | instskip(SKIP_3) | instid1(VALU_DEP_2)
	v_add3_u32 v184, v99, v41, v40
	v_mul_i32_i24_e32 v40, v95, v168
	v_mul_i32_i24_e32 v41, v183, v169
	v_bfe_i32 v99, v48, 16, 8
	v_add3_u32 v127, v127, v41, v40
	v_add_nc_u32_e32 v40, 0x1c04, v160
	ds_load_2addr_b32 v[40:41], v40 offset1:1
	s_wait_dscnt 0x0
	v_bfe_i32 v185, v40, 8, 8
	v_ashrrev_i32_e32 v186, 24, v40
	s_delay_alu instid0(VALU_DEP_2) | instskip(NEXT) | instid1(VALU_DEP_2)
	v_mul_i32_i24_e32 v63, v185, v155
	v_mul_i32_i24_e32 v81, v186, v161
	s_delay_alu instid0(VALU_DEP_1) | instskip(SKIP_2) | instid1(VALU_DEP_1)
	v_add3_u32 v141, v141, v81, v63
	v_mul_i32_i24_e32 v63, v185, v168
	v_mul_i32_i24_e32 v81, v186, v169
	v_add3_u32 v187, v142, v81, v63
	v_and_b32_e32 v142, 0xffff, v35
	v_bfe_i32 v81, v52, 8, 8
	v_mul_i32_i24_e32 v35, v156, v157
	v_bfe_i32 v63, v67, 16, 8
	s_delay_alu instid0(VALU_DEP_3) | instskip(NEXT) | instid1(VALU_DEP_1)
	v_mul_i32_i24_e32 v39, v81, v142
	v_add3_u32 v35, v38, v39, v35
	v_mul_i32_i24_e32 v38, v56, v82
	v_mul_i32_i24_e32 v39, v7, v83
	v_bfe_u32 v83, v60, 16, 4
	s_delay_alu instid0(VALU_DEP_2)
	v_add3_u32 v38, v5, v38, v39
	v_mul_i32_i24_e32 v5, v56, v86
	v_mul_i32_i24_e32 v39, v7, v87
	v_bfe_i32 v86, v50, 0, 8
	v_bfe_i32 v87, v50, 16, 8
	v_mul_i32_i24_e32 v7, v17, v7
	s_delay_alu instid0(VALU_DEP_4) | instskip(SKIP_1) | instid1(VALU_DEP_1)
	v_add3_u32 v11, v11, v5, v39
	v_lshrrev_b32_e32 v5, 4, v9
	v_lshrrev_b16 v5, 8, v5
	s_delay_alu instid0(VALU_DEP_1) | instskip(NEXT) | instid1(VALU_DEP_1)
	v_and_b32_e32 v5, 15, v5
	v_and_b32_e32 v9, 0xffff, v5
	s_delay_alu instid0(VALU_DEP_1) | instskip(NEXT) | instid1(VALU_DEP_1)
	v_mul_i32_i24_e32 v5, v9, v34
	v_add3_u32 v34, v3, v5, v2
	v_mul_i32_i24_e32 v2, v22, v147
	v_mul_i32_i24_e32 v3, v69, v212
	;; [unrolled: 1-line block ×3, first 2 shown]
	s_delay_alu instid0(VALU_DEP_3) | instskip(NEXT) | instid1(VALU_DEP_1)
	v_mad_i32_i24 v2, v75, v8, v2
	v_add3_u32 v39, v2, v3, v5
	v_lshrrev_b32_e32 v2, 4, v10
	v_and_b32_e32 v3, 0xf0f0f0f, v10
	v_bfe_i32 v10, v54, 8, 8
	v_and_b32_e32 v54, 15, v60
	s_delay_alu instid0(VALU_DEP_4) | instskip(NEXT) | instid1(VALU_DEP_4)
	v_lshrrev_b16 v2, 8, v2
	v_lshrrev_b16 v3, 8, v3
	s_delay_alu instid0(VALU_DEP_2) | instskip(NEXT) | instid1(VALU_DEP_2)
	v_and_b32_e32 v2, 15, v2
	v_and_b32_e32 v69, 0xffff, v3
	s_delay_alu instid0(VALU_DEP_2) | instskip(SKIP_1) | instid1(VALU_DEP_3)
	v_and_b32_e32 v158, 0xffff, v2
	v_mul_i32_i24_e32 v2, v22, v9
	v_mul_i32_i24_e32 v3, v10, v69
	s_delay_alu instid0(VALU_DEP_3) | instskip(NEXT) | instid1(VALU_DEP_1)
	v_mul_i32_i24_e32 v5, v94, v158
	v_add3_u32 v22, v2, v3, v5
	v_mul_i32_i24_e32 v2, v63, v24
	v_mul_i32_i24_e32 v3, v234, v218
	v_bfe_i32 v5, v48, 0, 8
	s_delay_alu instid0(VALU_DEP_2) | instskip(SKIP_2) | instid1(VALU_DEP_1)
	v_add3_u32 v75, v18, v3, v2
	v_mul_i32_i24_e32 v2, v223, v28
	v_mul_i32_i24_e32 v3, v248, v226
	v_add3_u32 v77, v13, v3, v2
	v_mul_i32_i24_e32 v2, v219, v26
	v_mul_i32_i24_e32 v3, v249, v224
	s_delay_alu instid0(VALU_DEP_1) | instskip(SKIP_3) | instid1(VALU_DEP_2)
	v_add3_u32 v82, v4, v3, v2
	v_mul_i32_i24_e32 v2, v10, v155
	v_mul_i32_i24_e32 v3, v76, v161
	;; [unrolled: 1-line block ×3, first 2 shown]
	v_add3_u32 v13, v150, v3, v2
	v_mul_i32_i24_e32 v2, v10, v168
	v_mul_i32_i24_e32 v3, v76, v169
	v_bfe_u32 v150, v62, 16, 4
	s_delay_alu instid0(VALU_DEP_2) | instskip(SKIP_3) | instid1(VALU_DEP_3)
	v_add3_u32 v18, v151, v3, v2
	v_mul_i32_i24_e32 v2, v147, v78
	v_mul_i32_i24_e32 v3, v212, v84
	;; [unrolled: 1-line block ×3, first 2 shown]
	v_mad_i32_i24 v2, v8, v79, v2
	s_delay_alu instid0(VALU_DEP_1) | instskip(SKIP_3) | instid1(VALU_DEP_2)
	v_add3_u32 v52, v2, v3, v4
	v_mul_i32_i24_e32 v2, v86, v54
	v_mul_i32_i24_e32 v3, v87, v83
	;; [unrolled: 1-line block ×3, first 2 shown]
	v_add3_u32 v50, v153, v2, v3
	v_mul_i32_i24_e32 v2, v86, v102
	v_mul_i32_i24_e32 v3, v87, v150
	v_bfe_i32 v153, v53, 8, 8
	s_delay_alu instid0(VALU_DEP_2) | instskip(SKIP_2) | instid1(VALU_DEP_2)
	v_add3_u32 v170, v170, v2, v3
	v_mul_i32_i24_e32 v2, v147, v88
	v_mul_i32_i24_e32 v3, v212, v90
	v_mad_i32_i24 v2, v8, v89, v2
	s_delay_alu instid0(VALU_DEP_1) | instskip(SKIP_4) | instid1(VALU_DEP_3)
	v_add3_u32 v188, v2, v3, v4
	v_mul_i32_i24_e32 v2, v5, v54
	v_mul_i32_i24_e32 v3, v99, v83
	;; [unrolled: 1-line block ×4, first 2 shown]
	v_add3_u32 v48, v92, v2, v3
	v_mul_i32_i24_e32 v2, v5, v102
	v_mul_i32_i24_e32 v3, v99, v150
	s_delay_alu instid0(VALU_DEP_1) | instskip(SKIP_2) | instid1(VALU_DEP_2)
	v_add3_u32 v92, v177, v2, v3
	v_mul_i32_i24_e32 v2, v147, v96
	v_mul_i32_i24_e32 v3, v212, v108
	v_mad_i32_i24 v2, v8, v100, v2
	s_delay_alu instid0(VALU_DEP_1) | instskip(SKIP_2) | instid1(VALU_DEP_2)
	v_add3_u32 v177, v2, v3, v4
	v_bfe_i32 v4, v46, 0, 8
	v_mul_i32_i24_e32 v3, v98, v83
	v_mul_i32_i24_e32 v2, v4, v54
	s_delay_alu instid0(VALU_DEP_1) | instskip(SKIP_2) | instid1(VALU_DEP_1)
	v_add3_u32 v46, v180, v2, v3
	v_mul_i32_i24_e32 v2, v4, v102
	v_mul_i32_i24_e32 v3, v98, v150
	v_add3_u32 v180, v181, v2, v3
	v_mul_i32_i24_e32 v2, v147, v114
	v_mul_i32_i24_e32 v3, v212, v119
	s_delay_alu instid0(VALU_DEP_2) | instskip(NEXT) | instid1(VALU_DEP_1)
	v_mad_i32_i24 v2, v8, v115, v2
	v_add3_u32 v181, v2, v3, v97
	v_bfe_i32 v3, v44, 0, 8
	v_bfe_i32 v97, v44, 16, 8
	s_delay_alu instid0(VALU_DEP_2) | instskip(NEXT) | instid1(VALU_DEP_2)
	v_mul_i32_i24_e32 v2, v3, v54
	v_mul_i32_i24_e32 v44, v97, v83
	s_delay_alu instid0(VALU_DEP_1) | instskip(SKIP_2) | instid1(VALU_DEP_1)
	v_add3_u32 v255, v255, v2, v44
	v_mul_i32_i24_e32 v2, v3, v102
	v_mul_i32_i24_e32 v44, v97, v150
	v_add3_u32 v93, v93, v2, v44
	v_mul_i32_i24_e32 v2, v147, v118
	v_mul_i32_i24_e32 v44, v212, v124
	s_delay_alu instid0(VALU_DEP_2) | instskip(NEXT) | instid1(VALU_DEP_1)
	v_mad_i32_i24 v2, v8, v123, v2
	v_add3_u32 v189, v2, v44, v151
	v_bfe_i32 v2, v42, 0, 8
	v_bfe_i32 v44, v42, 16, 8
	s_delay_alu instid0(VALU_DEP_2) | instskip(NEXT) | instid1(VALU_DEP_2)
	v_mul_i32_i24_e32 v42, v2, v54
	v_mul_i32_i24_e32 v151, v44, v83
	s_delay_alu instid0(VALU_DEP_1) | instskip(SKIP_2) | instid1(VALU_DEP_1)
	v_add3_u32 v184, v184, v42, v151
	v_mul_i32_i24_e32 v42, v2, v102
	v_mul_i32_i24_e32 v151, v44, v150
	v_add3_u32 v127, v127, v42, v151
	v_mul_i32_i24_e32 v42, v147, v129
	s_delay_alu instid0(VALU_DEP_1) | instskip(SKIP_2) | instid1(VALU_DEP_2)
	v_mad_i32_i24 v8, v8, v130, v42
	v_mul_i32_i24_e32 v42, v212, v137
	v_bfe_i32 v212, v23, 8, 8
	v_add3_u32 v147, v8, v42, v6
	v_mul_i32_i24_e32 v6, v9, v78
	v_mul_i32_i24_e32 v42, v9, v96
	;; [unrolled: 1-line block ×6, first 2 shown]
	v_mad_i32_i24 v79, v72, v79, v6
	v_mad_i32_i24 v96, v72, v100, v42
	v_bfe_i32 v6, v40, 0, 8
	v_bfe_i32 v100, v40, 16, 8
	v_mad_i32_i24 v89, v72, v89, v8
	v_mad_i32_i24 v78, v72, v115, v78
	;; [unrolled: 1-line block ×4, first 2 shown]
	v_mul_i32_i24_e32 v8, v6, v54
	v_mul_i32_i24_e32 v9, v100, v83
	v_bfe_i32 v42, v55, 8, 8
	v_lshrrev_b32_e32 v118, 28, v60
	s_delay_alu instid0(VALU_DEP_3) | instskip(SKIP_2) | instid1(VALU_DEP_1)
	v_add3_u32 v123, v141, v8, v9
	v_mul_i32_i24_e32 v8, v6, v102
	v_mul_i32_i24_e32 v9, v100, v150
	v_add3_u32 v141, v187, v8, v9
	v_lshrrev_b32_e32 v8, 4, v57
	v_and_b32_e32 v9, 0xf0f0f0f, v58
	s_delay_alu instid0(VALU_DEP_2) | instskip(NEXT) | instid1(VALU_DEP_2)
	v_lshrrev_b16 v8, 8, v8
	v_lshrrev_b16 v9, 8, v9
	s_delay_alu instid0(VALU_DEP_2) | instskip(NEXT) | instid1(VALU_DEP_2)
	v_and_b32_e32 v8, 15, v8
	v_and_b32_e32 v129, 0xffff, v9
	s_delay_alu instid0(VALU_DEP_2) | instskip(NEXT) | instid1(VALU_DEP_2)
	v_and_b32_e32 v151, 0xffff, v8
	v_mul_i32_i24_e32 v8, v212, v129
	s_delay_alu instid0(VALU_DEP_2) | instskip(NEXT) | instid1(VALU_DEP_1)
	v_mul_i32_i24_e32 v9, v153, v151
	v_add3_u32 v187, v35, v9, v8
	v_mul_i32_i24_e32 v8, v148, v155
	v_mul_i32_i24_e32 v9, v1, v54
	v_bfe_i32 v155, v103, 8, 8
	s_delay_alu instid0(VALU_DEP_2) | instskip(SKIP_3) | instid1(VALU_DEP_2)
	v_add3_u32 v190, v38, v8, v9
	v_mul_i32_i24_e32 v8, v148, v168
	v_mul_i32_i24_e32 v9, v1, v102
	;; [unrolled: 1-line block ×3, first 2 shown]
	v_add3_u32 v168, v11, v8, v9
	v_mul_i32_i24_e32 v8, v15, v56
	s_delay_alu instid0(VALU_DEP_1) | instskip(SKIP_2) | instid1(VALU_DEP_1)
	v_add3_u32 v191, v34, v8, v7
	v_mul_i32_i24_e32 v7, v76, v12
	v_mul_i32_i24_e32 v8, v10, v146
	v_add3_u32 v76, v39, v7, v8
	v_lshrrev_b32_e32 v7, 4, v65
	v_and_b32_e32 v8, 0xf0f0f0f, v65
	v_bfe_i32 v65, v21, 8, 8
	s_delay_alu instid0(VALU_DEP_3) | instskip(NEXT) | instid1(VALU_DEP_3)
	v_lshrrev_b16 v7, 8, v7
	v_lshrrev_b16 v8, 8, v8
	s_delay_alu instid0(VALU_DEP_2) | instskip(NEXT) | instid1(VALU_DEP_2)
	v_and_b32_e32 v7, 15, v7
	v_and_b32_e32 v40, 0xffff, v8
	s_delay_alu instid0(VALU_DEP_2) | instskip(NEXT) | instid1(VALU_DEP_2)
	v_and_b32_e32 v130, 0xffff, v7
	v_mul_i32_i24_e32 v7, v42, v40
	s_delay_alu instid0(VALU_DEP_2) | instskip(NEXT) | instid1(VALU_DEP_1)
	v_mul_i32_i24_e32 v8, v155, v130
	v_add3_u32 v192, v22, v7, v8
	v_mul_i32_i24_e32 v7, v16, v54
	v_mul_i32_i24_e32 v8, v14, v83
	s_delay_alu instid0(VALU_DEP_1) | instskip(SKIP_4) | instid1(VALU_DEP_3)
	v_add3_u32 v193, v13, v7, v8
	v_mul_i32_i24_e32 v7, v16, v102
	v_mul_i32_i24_e32 v8, v14, v150
	v_lshrrev_b32_e32 v13, 28, v62
	v_mul_i32_i24_e32 v14, v14, v206
	v_add3_u32 v18, v18, v7, v8
	v_mul_i32_i24_e32 v7, v167, v12
	v_mul_i32_i24_e32 v8, v166, v146
	s_delay_alu instid0(VALU_DEP_1) | instskip(SKIP_4) | instid1(VALU_DEP_3)
	v_add3_u32 v194, v52, v7, v8
	v_mul_i32_i24_e32 v7, v15, v84
	v_mul_i32_i24_e32 v8, v17, v85
	v_bfe_u32 v84, v60, 4, 4
	v_bfe_u32 v85, v62, 4, 4
	v_add3_u32 v79, v79, v7, v8
	v_add_nc_u32_e32 v7, 0x814, v160
	ds_load_2addr_b32 v[22:23], v7 offset1:1
	s_wait_dscnt 0x0
	v_bfe_i32 v7, v22, 0, 8
	v_ashrrev_i32_e32 v8, 24, v22
	s_delay_alu instid0(VALU_DEP_2) | instskip(NEXT) | instid1(VALU_DEP_2)
	v_mul_i32_i24_e32 v9, v7, v84
	v_mul_i32_i24_e32 v10, v8, v118
	s_delay_alu instid0(VALU_DEP_1) | instskip(SKIP_2) | instid1(VALU_DEP_1)
	v_add3_u32 v50, v50, v10, v9
	v_mul_i32_i24_e32 v9, v7, v85
	v_mul_i32_i24_e32 v10, v8, v13
	v_add3_u32 v170, v170, v10, v9
	v_mul_i32_i24_e32 v9, v172, v12
	v_mul_i32_i24_e32 v10, v171, v146
	s_delay_alu instid0(VALU_DEP_1) | instskip(SKIP_2) | instid1(VALU_DEP_1)
	v_add3_u32 v188, v188, v9, v10
	v_mul_i32_i24_e32 v9, v15, v90
	v_mul_i32_i24_e32 v10, v17, v91
	v_add3_u32 v89, v89, v9, v10
	v_add_nc_u32_e32 v9, 0xc14, v160
	ds_load_2addr_b32 v[34:35], v9 offset1:1
	s_wait_dscnt 0x0
	v_bfe_i32 v102, v34, 0, 8
	v_ashrrev_i32_e32 v103, 24, v34
	s_delay_alu instid0(VALU_DEP_2) | instskip(NEXT) | instid1(VALU_DEP_2)
	v_mul_i32_i24_e32 v9, v102, v84
	v_mul_i32_i24_e32 v10, v103, v118
	s_delay_alu instid0(VALU_DEP_1) | instskip(SKIP_2) | instid1(VALU_DEP_1)
	v_add3_u32 v90, v48, v10, v9
	v_mul_i32_i24_e32 v9, v102, v85
	v_mul_i32_i24_e32 v10, v103, v13
	v_add3_u32 v91, v92, v10, v9
	v_mul_i32_i24_e32 v9, v179, v12
	v_mul_i32_i24_e32 v10, v178, v146
	s_delay_alu instid0(VALU_DEP_1) | instskip(SKIP_2) | instid1(VALU_DEP_1)
	v_add3_u32 v92, v177, v9, v10
	v_mul_i32_i24_e32 v9, v15, v108
	v_mul_i32_i24_e32 v10, v17, v113
	;; [unrolled: 20-line block ×3, first 2 shown]
	v_add3_u32 v78, v78, v10, v11
	v_add_nc_u32_e32 v10, 0x1414, v160
	ds_load_2addr_b32 v[52:53], v10 offset1:1
	s_wait_dscnt 0x0
	v_bfe_i32 v10, v52, 0, 8
	v_ashrrev_i32_e32 v113, 24, v52
	v_bfe_i32 v119, v52, 16, 8
	s_delay_alu instid0(VALU_DEP_3) | instskip(NEXT) | instid1(VALU_DEP_3)
	v_mul_i32_i24_e32 v11, v10, v84
	v_mul_i32_i24_e32 v46, v113, v118
	s_delay_alu instid0(VALU_DEP_1) | instskip(SKIP_2) | instid1(VALU_DEP_1)
	v_add3_u32 v121, v255, v46, v11
	v_mul_i32_i24_e32 v11, v10, v85
	v_mul_i32_i24_e32 v46, v113, v13
	v_add3_u32 v93, v93, v46, v11
	v_mul_i32_i24_e32 v11, v183, v12
	v_mul_i32_i24_e32 v46, v95, v146
	;; [unrolled: 1-line block ×3, first 2 shown]
	s_delay_alu instid0(VALU_DEP_2) | instskip(SKIP_4) | instid1(VALU_DEP_3)
	v_add3_u32 v189, v189, v11, v46
	v_mul_i32_i24_e32 v11, v15, v124
	v_mul_i32_i24_e32 v46, v17, v126
	v_bfe_u32 v124, v62, 20, 4
	v_bfe_i32 v62, v38, 16, 8
	v_add3_u32 v88, v88, v11, v46
	v_add_nc_u32_e32 v11, 0x1814, v160
	ds_load_2addr_b32 v[54:55], v11 offset1:1
	s_wait_dscnt 0x0
	v_bfe_i32 v11, v54, 0, 8
	v_ashrrev_i32_e32 v114, 24, v54
	s_delay_alu instid0(VALU_DEP_2) | instskip(NEXT) | instid1(VALU_DEP_2)
	v_mul_i32_i24_e32 v46, v11, v84
	v_mul_i32_i24_e32 v48, v114, v118
	s_delay_alu instid0(VALU_DEP_1) | instskip(SKIP_2) | instid1(VALU_DEP_1)
	v_add3_u32 v184, v184, v48, v46
	v_mul_i32_i24_e32 v46, v11, v85
	v_mul_i32_i24_e32 v48, v114, v13
	v_add3_u32 v195, v127, v48, v46
	v_mul_i32_i24_e32 v46, v185, v146
	s_delay_alu instid0(VALU_DEP_1) | instskip(SKIP_2) | instid1(VALU_DEP_1)
	v_add3_u32 v146, v147, v12, v46
	v_mul_i32_i24_e32 v12, v15, v137
	v_mul_i32_i24_e32 v15, v17, v138
	v_add3_u32 v72, v72, v12, v15
	v_add_nc_u32_e32 v12, 0x1c14, v160
	ds_load_2addr_b32 v[56:57], v12 offset1:1
	s_wait_dscnt 0x0
	v_bfe_i32 v12, v56, 0, 8
	v_ashrrev_i32_e32 v115, 24, v56
	s_delay_alu instid0(VALU_DEP_2) | instskip(NEXT) | instid1(VALU_DEP_2)
	v_mul_i32_i24_e32 v15, v12, v84
	v_mul_i32_i24_e32 v17, v115, v118
	s_delay_alu instid0(VALU_DEP_1) | instskip(SKIP_3) | instid1(VALU_DEP_2)
	v_add3_u32 v137, v123, v17, v15
	v_mul_i32_i24_e32 v15, v12, v85
	v_mul_i32_i24_e32 v17, v115, v13
	v_bfe_i32 v123, v22, 16, 8
	v_add3_u32 v138, v141, v17, v15
	v_lshrrev_b32_e32 v15, 4, v58
	v_mul_i32_i24_e32 v17, v173, v161
	s_delay_alu instid0(VALU_DEP_2) | instskip(NEXT) | instid1(VALU_DEP_1)
	v_lshrrev_b16 v15, 8, v15
	v_and_b32_e32 v15, 15, v15
	s_delay_alu instid0(VALU_DEP_1) | instskip(NEXT) | instid1(VALU_DEP_1)
	v_and_b32_e32 v48, 0xffff, v15
	v_mul_i32_i24_e32 v15, v65, v48
	s_delay_alu instid0(VALU_DEP_1) | instskip(SKIP_1) | instid1(VALU_DEP_1)
	v_add3_u32 v21, v187, v15, v149
	v_mul_i32_i24_e32 v15, v205, v83
	v_add3_u32 v83, v190, v15, v17
	v_mul_i32_i24_e32 v15, v205, v150
	v_mul_i32_i24_e32 v17, v173, v169
	s_delay_alu instid0(VALU_DEP_1) | instskip(SKIP_1) | instid1(VALU_DEP_1)
	v_add3_u32 v141, v168, v15, v17
	v_mul_i32_i24_e32 v15, v148, v69
	v_add3_u32 v187, v191, v15, v1
	v_mul_i32_i24_e32 v1, v16, v19
	v_bfe_u32 v16, v60, 20, 4
	s_delay_alu instid0(VALU_DEP_2) | instskip(SKIP_2) | instid1(VALU_DEP_4)
	v_add3_u32 v76, v76, v1, v14
	v_lshrrev_b32_e32 v1, 4, v66
	v_and_b32_e32 v14, 0xf0f0f0f, v66
	v_mul_i32_i24_e32 v15, v123, v16
	s_delay_alu instid0(VALU_DEP_3) | instskip(NEXT) | instid1(VALU_DEP_3)
	v_lshrrev_b16 v1, 8, v1
	v_lshrrev_b16 v14, 8, v14
	s_delay_alu instid0(VALU_DEP_2) | instskip(NEXT) | instid1(VALU_DEP_2)
	v_and_b32_e32 v1, 15, v1
	v_and_b32_e32 v66, 0xffff, v14
	s_delay_alu instid0(VALU_DEP_2) | instskip(NEXT) | instid1(VALU_DEP_2)
	v_and_b32_e32 v46, 0xffff, v1
	v_mul_i32_i24_e32 v1, v68, v66
	s_delay_alu instid0(VALU_DEP_2) | instskip(NEXT) | instid1(VALU_DEP_1)
	v_mul_i32_i24_e32 v14, v64, v46
	v_add3_u32 v190, v192, v1, v14
	v_mul_i32_i24_e32 v1, v174, v84
	v_mul_i32_i24_e32 v14, v176, v118
	s_delay_alu instid0(VALU_DEP_1) | instskip(SKIP_3) | instid1(VALU_DEP_2)
	v_add3_u32 v191, v193, v14, v1
	v_mul_i32_i24_e32 v1, v174, v85
	v_mul_i32_i24_e32 v14, v176, v13
	;; [unrolled: 1-line block ×3, first 2 shown]
	v_add3_u32 v192, v18, v14, v1
	v_mul_i32_i24_e32 v1, v86, v19
	v_mul_i32_i24_e32 v14, v87, v206
	s_delay_alu instid0(VALU_DEP_1) | instskip(SKIP_4) | instid1(VALU_DEP_3)
	v_add3_u32 v193, v194, v1, v14
	v_mul_i32_i24_e32 v1, v167, v175
	v_mul_i32_i24_e32 v14, v166, v69
	v_bfe_u32 v194, v60, 12, 4
	v_bfe_i32 v60, v54, 8, 8
	v_add3_u32 v79, v79, v1, v14
	v_bfe_i32 v14, v22, 8, 8
	v_bfe_i32 v22, v34, 8, 8
	s_delay_alu instid0(VALU_DEP_2) | instskip(NEXT) | instid1(VALU_DEP_1)
	v_mul_i32_i24_e32 v1, v14, v194
	v_add3_u32 v58, v50, v1, v15
	v_mul_i32_i24_e32 v1, v14, v196
	v_mul_i32_i24_e32 v15, v123, v124
	s_delay_alu instid0(VALU_DEP_1) | instskip(SKIP_3) | instid1(VALU_DEP_2)
	v_add3_u32 v126, v170, v1, v15
	v_mul_i32_i24_e32 v1, v5, v19
	v_mul_i32_i24_e32 v15, v99, v206
	;; [unrolled: 1-line block ×3, first 2 shown]
	v_add3_u32 v127, v188, v1, v15
	v_mul_i32_i24_e32 v1, v172, v175
	v_mul_i32_i24_e32 v15, v171, v69
	s_delay_alu instid0(VALU_DEP_1) | instskip(SKIP_4) | instid1(VALU_DEP_4)
	v_add3_u32 v147, v89, v1, v15
	v_bfe_i32 v15, v34, 16, 8
	v_mul_i32_i24_e32 v1, v22, v194
	v_bfe_i32 v34, v38, 8, 8
	v_bfe_i32 v38, v52, 8, 8
	v_mul_i32_i24_e32 v17, v15, v16
	s_delay_alu instid0(VALU_DEP_1) | instskip(SKIP_3) | instid1(VALU_DEP_2)
	v_add3_u32 v148, v90, v1, v17
	v_mul_i32_i24_e32 v1, v22, v196
	v_mul_i32_i24_e32 v17, v15, v124
	v_ashrrev_i32_e32 v90, 24, v47
	v_add3_u32 v149, v91, v1, v17
	v_mul_i32_i24_e32 v1, v4, v19
	v_mul_i32_i24_e32 v17, v98, v206
	;; [unrolled: 1-line block ×3, first 2 shown]
	s_delay_alu instid0(VALU_DEP_2) | instskip(SKIP_4) | instid1(VALU_DEP_3)
	v_add3_u32 v150, v92, v1, v17
	v_mul_i32_i24_e32 v1, v179, v175
	v_mul_i32_i24_e32 v17, v178, v69
	v_bfe_i32 v178, v51, 8, 8
	v_ashrrev_i32_e32 v179, 24, v51
	v_add3_u32 v167, v96, v1, v17
	v_mul_i32_i24_e32 v1, v34, v194
	v_mul_i32_i24_e32 v17, v62, v16
	v_ashrrev_i32_e32 v96, 24, v45
	s_delay_alu instid0(VALU_DEP_2) | instskip(SKIP_2) | instid1(VALU_DEP_1)
	v_add3_u32 v168, v177, v1, v17
	v_mul_i32_i24_e32 v1, v34, v196
	v_mul_i32_i24_e32 v17, v62, v124
	v_add3_u32 v169, v180, v1, v17
	v_mul_i32_i24_e32 v1, v3, v19
	v_mul_i32_i24_e32 v17, v97, v206
	;; [unrolled: 1-line block ×3, first 2 shown]
	s_delay_alu instid0(VALU_DEP_2) | instskip(SKIP_2) | instid1(VALU_DEP_1)
	v_add3_u32 v170, v181, v1, v17
	v_mul_i32_i24_e32 v1, v197, v175
	v_mul_i32_i24_e32 v17, v182, v69
	v_add3_u32 v171, v78, v1, v17
	v_mul_i32_i24_e32 v1, v38, v194
	v_mul_i32_i24_e32 v17, v119, v16
	s_delay_alu instid0(VALU_DEP_1) | instskip(SKIP_4) | instid1(VALU_DEP_3)
	v_add3_u32 v172, v121, v1, v17
	v_mul_i32_i24_e32 v1, v38, v196
	v_mul_i32_i24_e32 v17, v119, v124
	v_bfe_i32 v121, v54, 16, 8
	v_mul_i32_i24_e32 v54, v186, v175
	v_add3_u32 v255, v93, v1, v17
	v_mul_i32_i24_e32 v1, v2, v19
	v_mul_i32_i24_e32 v17, v44, v206
	;; [unrolled: 1-line block ×6, first 2 shown]
	v_add3_u32 v50, v189, v1, v17
	v_mul_i32_i24_e32 v1, v183, v175
	v_mul_i32_i24_e32 v17, v95, v69
	;; [unrolled: 1-line block ×4, first 2 shown]
	s_delay_alu instid0(VALU_DEP_3) | instskip(SKIP_2) | instid1(VALU_DEP_3)
	v_add3_u32 v1, v88, v1, v17
	v_mul_i32_i24_e32 v17, v60, v194
	v_mul_i32_i24_e32 v88, v108, v252
	v_add3_u32 v1, v1, v2, v44
	s_delay_alu instid0(VALU_DEP_3) | instskip(SKIP_3) | instid1(VALU_DEP_3)
	v_add3_u32 v17, v184, v17, v18
	v_mul_i32_i24_e32 v18, v60, v196
	v_bfe_i32 v2, v43, 8, 8
	v_ashrrev_i32_e32 v44, 24, v43
	v_add3_u32 v18, v195, v18, v52
	v_mul_i32_i24_e32 v52, v100, v206
	v_add3_u32 v206, v59, v20, v21
	v_mul_i32_i24_e32 v20, v251, v84
	v_mul_i32_i24_e32 v21, v81, v194
	v_ashrrev_i32_e32 v84, 24, v49
	v_add3_u32 v19, v146, v19, v52
	v_mul_i32_i24_e32 v52, v185, v69
	s_delay_alu instid0(VALU_DEP_4) | instskip(SKIP_2) | instid1(VALU_DEP_4)
	v_add3_u32 v161, v83, v20, v21
	v_mul_i32_i24_e32 v20, v251, v85
	v_mul_i32_i24_e32 v21, v81, v196
	v_add3_u32 v69, v72, v54, v52
	v_bfe_i32 v54, v56, 8, 8
	v_bfe_i32 v56, v56, 16, 8
	v_mul_i32_i24_e32 v83, v103, v252
	v_add3_u32 v166, v141, v20, v21
	v_mul_i32_i24_e32 v20, v173, v175
	v_mul_i32_i24_e32 v21, v205, v136
	;; [unrolled: 1-line block ×6, first 2 shown]
	v_add3_u32 v205, v187, v21, v20
	v_mul_i32_i24_e32 v20, v174, v0
	v_mul_i32_i24_e32 v21, v176, v252
	v_add3_u32 v89, v137, v52, v72
	v_mul_i32_i24_e32 v52, v54, v196
	v_mul_i32_i24_e32 v72, v56, v124
	s_delay_alu instid0(VALU_DEP_4) | instskip(SKIP_2) | instid1(VALU_DEP_4)
	v_add3_u32 v173, v76, v21, v20
	v_lshrrev_b16 v20, 8, v67
	v_mul_i32_i24_e32 v21, v152, v16
	v_add3_u32 v72, v138, v52, v72
	s_delay_alu instid0(VALU_DEP_3) | instskip(NEXT) | instid1(VALU_DEP_1)
	v_bfe_i32 v52, v20, 0, 8
	v_mul_i32_i24_e32 v20, v52, v30
	s_delay_alu instid0(VALU_DEP_1) | instskip(SKIP_1) | instid1(VALU_DEP_1)
	v_add3_u32 v67, v190, v20, v82
	v_mul_i32_i24_e32 v20, v94, v194
	v_add3_u32 v174, v191, v20, v21
	v_mul_i32_i24_e32 v20, v94, v196
	v_mul_i32_i24_e32 v21, v152, v124
	;; [unrolled: 1-line block ×3, first 2 shown]
	s_delay_alu instid0(VALU_DEP_2) | instskip(SKIP_4) | instid1(VALU_DEP_3)
	v_add3_u32 v175, v192, v20, v21
	v_mul_i32_i24_e32 v20, v7, v0
	v_mul_i32_i24_e32 v21, v8, v252
	;; [unrolled: 1-line block ×4, first 2 shown]
	v_add3_u32 v176, v193, v21, v20
	v_mul_i32_i24_e32 v20, v86, v154
	v_mul_i32_i24_e32 v21, v87, v136
	s_delay_alu instid0(VALU_DEP_1) | instskip(SKIP_1) | instid1(VALU_DEP_2)
	v_add3_u32 v177, v79, v20, v21
	v_add_nc_u32_e32 v20, 0x2108, v165
	v_add3_u32 v7, v177, v8, v7
	ds_load_2addr_b32 v[20:21], v20 offset1:1
	v_bfe_i32 v8, v51, 0, 8
	v_bfe_i32 v51, v51, 16, 8
	s_wait_dscnt 0x0
	v_bfe_u32 v181, v20, 8, 4
	v_bfe_u32 v180, v20, 24, 4
	s_delay_alu instid0(VALU_DEP_2) | instskip(NEXT) | instid1(VALU_DEP_2)
	v_mul_i32_i24_e32 v59, v178, v181
	v_mul_i32_i24_e32 v76, v179, v180
	;; [unrolled: 1-line block ×4, first 2 shown]
	s_delay_alu instid0(VALU_DEP_3)
	v_add3_u32 v182, v58, v76, v59
	v_add_nc_u32_e32 v58, 0x3188, v165
	v_add_nc_u32_e32 v165, 16, v165
	ds_load_2addr_b32 v[58:59], v58 offset1:1
	s_wait_dscnt 0x0
	v_bfe_u32 v76, v58, 8, 4
	v_bfe_u32 v78, v58, 24, 4
	s_delay_alu instid0(VALU_DEP_2) | instskip(NEXT) | instid1(VALU_DEP_2)
	v_mul_i32_i24_e32 v79, v178, v76
	v_mul_i32_i24_e32 v82, v179, v78
	;; [unrolled: 1-line block ×4, first 2 shown]
	s_delay_alu instid0(VALU_DEP_3) | instskip(SKIP_3) | instid1(VALU_DEP_3)
	v_add3_u32 v79, v126, v82, v79
	v_mul_i32_i24_e32 v82, v102, v0
	v_mul_i32_i24_e32 v126, v114, v252
	;; [unrolled: 1-line block ×3, first 2 shown]
	v_add3_u32 v82, v127, v83, v82
	v_mul_i32_i24_e32 v83, v99, v136
	v_mul_i32_i24_e32 v99, v96, v78
	v_bfe_u32 v127, v58, 16, 4
	s_delay_alu instid0(VALU_DEP_3) | instskip(SKIP_1) | instid1(VALU_DEP_3)
	v_add3_u32 v5, v147, v5, v83
	v_bfe_i32 v83, v49, 8, 8
	v_mul_i32_i24_e32 v137, v51, v127
	s_delay_alu instid0(VALU_DEP_3) | instskip(NEXT) | instid1(VALU_DEP_3)
	v_add3_u32 v5, v5, v103, v102
	v_mul_i32_i24_e32 v85, v83, v181
	v_bfe_i32 v102, v49, 0, 8
	v_bfe_i32 v49, v49, 16, 8
	s_delay_alu instid0(VALU_DEP_3) | instskip(SKIP_1) | instid1(VALU_DEP_1)
	v_add3_u32 v85, v148, v86, v85
	v_mul_i32_i24_e32 v86, v83, v76
	v_add3_u32 v86, v149, v87, v86
	v_mul_i32_i24_e32 v87, v9, v0
	v_mul_i32_i24_e32 v9, v9, v135
	s_delay_alu instid0(VALU_DEP_2) | instskip(SKIP_2) | instid1(VALU_DEP_2)
	v_add3_u32 v87, v150, v88, v87
	v_mul_i32_i24_e32 v88, v98, v136
	v_mul_i32_i24_e32 v98, v96, v180
	v_add3_u32 v4, v167, v4, v88
	v_bfe_i32 v88, v47, 8, 8
	s_delay_alu instid0(VALU_DEP_1) | instskip(NEXT) | instid1(VALU_DEP_1)
	v_mul_i32_i24_e32 v91, v88, v181
	v_add3_u32 v91, v168, v92, v91
	v_mul_i32_i24_e32 v92, v88, v76
	s_delay_alu instid0(VALU_DEP_1) | instskip(SKIP_2) | instid1(VALU_DEP_2)
	v_add3_u32 v92, v169, v93, v92
	v_mul_i32_i24_e32 v93, v10, v0
	v_mul_i32_i24_e32 v10, v10, v135
	v_add3_u32 v93, v170, v95, v93
	v_mul_i32_i24_e32 v95, v97, v136
	s_delay_alu instid0(VALU_DEP_1) | instskip(SKIP_1) | instid1(VALU_DEP_1)
	v_add3_u32 v3, v171, v3, v95
	v_bfe_i32 v95, v45, 8, 8
	v_mul_i32_i24_e32 v97, v95, v181
	s_delay_alu instid0(VALU_DEP_1) | instskip(SKIP_1) | instid1(VALU_DEP_1)
	v_add3_u32 v97, v172, v98, v97
	v_mul_i32_i24_e32 v98, v95, v76
	v_add3_u32 v98, v255, v99, v98
	v_mul_i32_i24_e32 v99, v11, v0
	v_mul_i32_i24_e32 v0, v12, v0
	;; [unrolled: 1-line block ×4, first 2 shown]
	s_delay_alu instid0(VALU_DEP_4) | instskip(SKIP_2) | instid1(VALU_DEP_1)
	v_add3_u32 v50, v50, v126, v99
	v_mul_i32_i24_e32 v99, v2, v181
	v_mul_i32_i24_e32 v126, v44, v180
	v_add3_u32 v17, v17, v126, v99
	v_mul_i32_i24_e32 v99, v2, v76
	v_mul_i32_i24_e32 v126, v44, v78
	s_delay_alu instid0(VALU_DEP_1) | instskip(SKIP_1) | instid1(VALU_DEP_1)
	v_add3_u32 v18, v18, v126, v99
	v_mul_i32_i24_e32 v99, v115, v252
	v_add3_u32 v19, v19, v99, v0
	v_mul_i32_i24_e32 v0, v6, v154
	v_mul_i32_i24_e32 v6, v100, v136
	v_ashrrev_i32_e32 v99, 24, v41
	s_delay_alu instid0(VALU_DEP_2) | instskip(SKIP_1) | instid1(VALU_DEP_3)
	v_add3_u32 v6, v69, v0, v6
	v_bfe_i32 v69, v41, 8, 8
	v_mul_i32_i24_e32 v100, v99, v180
	s_delay_alu instid0(VALU_DEP_2) | instskip(NEXT) | instid1(VALU_DEP_1)
	v_mul_i32_i24_e32 v0, v69, v181
	v_add3_u32 v89, v89, v100, v0
	v_mul_i32_i24_e32 v0, v69, v76
	v_mul_i32_i24_e32 v100, v99, v78
	s_delay_alu instid0(VALU_DEP_1)
	v_add3_u32 v72, v72, v100, v0
	v_mul_i32_i24_e32 v0, v235, v16
	v_mul_i32_i24_e32 v16, v237, v118
	;; [unrolled: 1-line block ×3, first 2 shown]
	v_bfe_u32 v118, v20, 16, 4
	v_mul_i32_i24_e32 v14, v14, v158
	s_delay_alu instid0(VALU_DEP_4) | instskip(SKIP_1) | instid1(VALU_DEP_4)
	v_add3_u32 v16, v161, v0, v16
	v_mul_i32_i24_e32 v0, v235, v124
	v_mul_i32_i24_e32 v126, v51, v118
	s_delay_alu instid0(VALU_DEP_2) | instskip(SKIP_1) | instid1(VALU_DEP_1)
	v_add3_u32 v13, v166, v0, v13
	v_mul_i32_i24_e32 v0, v251, v135
	v_add3_u32 v81, v205, v0, v81
	v_mul_i32_i24_e32 v0, v152, v238
	s_delay_alu instid0(VALU_DEP_1)
	v_add3_u32 v94, v173, v94, v0
	v_add3_u32 v0, v77, v75, v67
	v_mul_i32_i24_e32 v67, v42, v181
	v_mul_i32_i24_e32 v75, v134, v180
	;; [unrolled: 1-line block ×4, first 2 shown]
	v_cvt_f32_i32_e32 v0, v0
	s_delay_alu instid0(VALU_DEP_4) | instskip(SKIP_3) | instid1(VALU_DEP_3)
	v_add3_u32 v67, v174, v75, v67
	v_mul_i32_i24_e32 v75, v42, v76
	v_mul_i32_i24_e32 v76, v156, v76
	;; [unrolled: 1-line block ×3, first 2 shown]
	v_add3_u32 v75, v175, v77, v75
	v_mul_i32_i24_e32 v77, v123, v238
	s_delay_alu instid0(VALU_DEP_1) | instskip(SKIP_1) | instid1(VALU_DEP_1)
	v_add3_u32 v77, v176, v100, v77
	v_and_b32_e32 v100, 15, v20
	v_mul_i32_i24_e32 v124, v8, v100
	v_mul_i32_i24_e32 v103, v102, v100
	s_delay_alu instid0(VALU_DEP_2) | instskip(SKIP_1) | instid1(VALU_DEP_1)
	v_add3_u32 v124, v182, v124, v126
	v_and_b32_e32 v126, 15, v58
	v_mul_i32_i24_e32 v136, v8, v126
	s_delay_alu instid0(VALU_DEP_1) | instskip(SKIP_4) | instid1(VALU_DEP_3)
	v_add3_u32 v79, v79, v136, v137
	v_mul_i32_i24_e32 v136, v15, v238
	v_mul_i32_i24_e32 v137, v22, v142
	;; [unrolled: 1-line block ×4, first 2 shown]
	v_add3_u32 v82, v82, v137, v136
	v_mul_i32_i24_e32 v136, v49, v118
	s_delay_alu instid0(VALU_DEP_3) | instskip(SKIP_1) | instid1(VALU_DEP_3)
	v_add3_u32 v5, v5, v22, v15
	v_bfe_i32 v15, v35, 0, 8
	v_add3_u32 v85, v85, v103, v136
	v_mul_i32_i24_e32 v103, v102, v126
	v_mul_i32_i24_e32 v136, v49, v127
	s_delay_alu instid0(VALU_DEP_1) | instskip(SKIP_4) | instid1(VALU_DEP_3)
	v_add3_u32 v86, v86, v103, v136
	v_mul_i32_i24_e32 v103, v62, v238
	v_mul_i32_i24_e32 v136, v34, v142
	;; [unrolled: 1-line block ×4, first 2 shown]
	v_add3_u32 v87, v87, v136, v103
	v_mul_i32_i24_e32 v103, v108, v133
	s_delay_alu instid0(VALU_DEP_1) | instskip(SKIP_2) | instid1(VALU_DEP_3)
	v_add3_u32 v4, v4, v103, v9
	v_bfe_i32 v9, v47, 0, 8
	v_bfe_i32 v47, v47, 16, 8
	v_add3_u32 v4, v4, v34, v62
	s_delay_alu instid0(VALU_DEP_3) | instskip(NEXT) | instid1(VALU_DEP_3)
	v_mul_i32_i24_e32 v103, v9, v100
	v_mul_i32_i24_e32 v108, v47, v118
	v_bfe_i32 v62, v39, 0, 8
	s_delay_alu instid0(VALU_DEP_2) | instskip(SKIP_2) | instid1(VALU_DEP_1)
	v_add3_u32 v91, v91, v103, v108
	v_mul_i32_i24_e32 v103, v9, v126
	v_mul_i32_i24_e32 v108, v47, v127
	v_add3_u32 v92, v92, v103, v108
	v_mul_i32_i24_e32 v103, v119, v238
	v_mul_i32_i24_e32 v108, v38, v142
	;; [unrolled: 1-line block ×3, first 2 shown]
	s_delay_alu instid0(VALU_DEP_2) | instskip(SKIP_2) | instid1(VALU_DEP_2)
	v_add3_u32 v93, v93, v108, v103
	v_mul_i32_i24_e32 v103, v113, v133
	v_lshrrev_b32_e32 v113, 28, v58
	v_add3_u32 v3, v3, v103, v10
	v_bfe_i32 v10, v45, 0, 8
	v_bfe_i32 v45, v45, 16, 8
	s_delay_alu instid0(VALU_DEP_2) | instskip(NEXT) | instid1(VALU_DEP_2)
	v_mul_i32_i24_e32 v103, v10, v100
	v_mul_i32_i24_e32 v108, v45, v118
	s_delay_alu instid0(VALU_DEP_1) | instskip(SKIP_2) | instid1(VALU_DEP_1)
	v_add3_u32 v97, v97, v103, v108
	v_mul_i32_i24_e32 v103, v10, v126
	v_mul_i32_i24_e32 v108, v45, v127
	v_add3_u32 v98, v98, v103, v108
	v_mul_i32_i24_e32 v103, v121, v238
	v_mul_i32_i24_e32 v108, v60, v142
	;; [unrolled: 1-line block ×3, first 2 shown]
	s_delay_alu instid0(VALU_DEP_2) | instskip(SKIP_1) | instid1(VALU_DEP_1)
	v_add3_u32 v50, v50, v108, v103
	v_mul_i32_i24_e32 v103, v114, v133
	v_add3_u32 v1, v1, v103, v11
	v_bfe_i32 v11, v43, 0, 8
	v_bfe_i32 v43, v43, 16, 8
	s_delay_alu instid0(VALU_DEP_2) | instskip(NEXT) | instid1(VALU_DEP_2)
	v_mul_i32_i24_e32 v103, v11, v100
	v_mul_i32_i24_e32 v108, v43, v118
	s_delay_alu instid0(VALU_DEP_1) | instskip(SKIP_2) | instid1(VALU_DEP_1)
	v_add3_u32 v17, v17, v103, v108
	v_mul_i32_i24_e32 v103, v11, v126
	v_mul_i32_i24_e32 v108, v43, v127
	v_add3_u32 v18, v18, v103, v108
	v_mul_i32_i24_e32 v103, v56, v238
	v_mul_i32_i24_e32 v108, v54, v142
	;; [unrolled: 1-line block ×4, first 2 shown]
	s_delay_alu instid0(VALU_DEP_3) | instskip(SKIP_1) | instid1(VALU_DEP_1)
	v_add3_u32 v19, v19, v108, v103
	v_mul_i32_i24_e32 v103, v115, v133
	v_add3_u32 v6, v6, v103, v12
	v_bfe_i32 v12, v41, 0, 8
	v_bfe_i32 v103, v41, 16, 8
	s_delay_alu instid0(VALU_DEP_3) | instskip(NEXT) | instid1(VALU_DEP_3)
	v_add3_u32 v6, v6, v54, v56
	v_mul_i32_i24_e32 v41, v12, v100
	s_delay_alu instid0(VALU_DEP_3) | instskip(SKIP_2) | instid1(VALU_DEP_3)
	v_mul_i32_i24_e32 v108, v103, v118
	v_bfe_i32 v54, v57, 0, 8
	v_ashrrev_i32_e32 v56, 24, v57
	v_add3_u32 v41, v89, v41, v108
	v_mul_i32_i24_e32 v89, v12, v126
	v_mul_i32_i24_e32 v108, v103, v127
	s_delay_alu instid0(VALU_DEP_1) | instskip(SKIP_2) | instid1(VALU_DEP_1)
	v_add3_u32 v72, v72, v89, v108
	v_mul_i32_i24_e32 v89, v156, v181
	v_mul_i32_i24_e32 v108, v143, v100
	v_add3_u32 v16, v16, v89, v108
	v_mul_i32_i24_e32 v89, v143, v126
	s_delay_alu instid0(VALU_DEP_1) | instskip(SKIP_2) | instid1(VALU_DEP_1)
	v_add3_u32 v13, v13, v76, v89
	v_mul_i32_i24_e32 v76, v237, v133
	v_mul_i32_i24_e32 v89, v235, v128
	v_add3_u32 v76, v81, v89, v76
	v_mul_i32_i24_e32 v81, v134, v144
	v_mul_i32_i24_e32 v89, v116, v118
	;; [unrolled: 1-line block ×3, first 2 shown]
	s_delay_alu instid0(VALU_DEP_3) | instskip(SKIP_2) | instid1(VALU_DEP_2)
	v_add3_u32 v42, v94, v81, v42
	v_mul_i32_i24_e32 v81, v80, v100
	v_ashrrev_i32_e32 v94, 24, v23
	v_add3_u32 v67, v67, v81, v89
	v_mul_i32_i24_e32 v81, v80, v126
	v_mul_i32_i24_e32 v89, v116, v127
	s_delay_alu instid0(VALU_DEP_4) | instskip(NEXT) | instid1(VALU_DEP_2)
	v_mul_i32_i24_e32 v115, v94, v113
	v_add3_u32 v75, v75, v81, v89
	v_mul_i32_i24_e32 v81, v179, v144
	v_mul_i32_i24_e32 v89, v178, v157
	s_delay_alu instid0(VALU_DEP_1) | instskip(SKIP_3) | instid1(VALU_DEP_3)
	v_add3_u32 v77, v77, v81, v89
	v_mul_i32_i24_e32 v81, v123, v128
	v_bfe_i32 v89, v23, 0, 8
	v_bfe_u32 v123, v59, 24, 4
	v_add3_u32 v7, v7, v14, v81
	v_bfe_u32 v14, v20, 4, 4
	v_lshrrev_b32_e32 v81, 28, v20
	s_delay_alu instid0(VALU_DEP_2) | instskip(NEXT) | instid1(VALU_DEP_2)
	v_mul_i32_i24_e32 v100, v89, v14
	v_mul_i32_i24_e32 v108, v94, v81
	;; [unrolled: 1-line block ×4, first 2 shown]
	s_delay_alu instid0(VALU_DEP_3) | instskip(SKIP_1) | instid1(VALU_DEP_1)
	v_add3_u32 v100, v124, v108, v100
	v_bfe_u32 v108, v58, 4, 4
	v_mul_i32_i24_e32 v114, v89, v108
	s_delay_alu instid0(VALU_DEP_1) | instskip(SKIP_4) | instid1(VALU_DEP_3)
	v_add3_u32 v79, v79, v115, v114
	v_mul_i32_i24_e32 v114, v84, v144
	v_mul_i32_i24_e32 v115, v83, v157
	;; [unrolled: 1-line block ×4, first 2 shown]
	v_add3_u32 v82, v82, v114, v115
	v_ashrrev_i32_e32 v114, 24, v35
	s_delay_alu instid0(VALU_DEP_3) | instskip(SKIP_2) | instid1(VALU_DEP_4)
	v_add3_u32 v5, v5, v84, v83
	v_bfe_i32 v83, v35, 8, 8
	v_bfe_i32 v84, v35, 16, 8
	v_mul_i32_i24_e32 v115, v114, v81
	s_delay_alu instid0(VALU_DEP_1) | instskip(SKIP_2) | instid1(VALU_DEP_1)
	v_add3_u32 v22, v85, v115, v22
	v_mul_i32_i24_e32 v85, v15, v108
	v_mul_i32_i24_e32 v115, v114, v113
	v_add3_u32 v85, v86, v115, v85
	v_mul_i32_i24_e32 v86, v90, v144
	v_mul_i32_i24_e32 v115, v88, v157
	s_delay_alu instid0(VALU_DEP_1) | instskip(SKIP_1) | instid1(VALU_DEP_1)
	v_add3_u32 v86, v87, v86, v115
	v_ashrrev_i32_e32 v87, 24, v39
	v_mul_i32_i24_e32 v115, v87, v81
	s_delay_alu instid0(VALU_DEP_1) | instskip(SKIP_2) | instid1(VALU_DEP_1)
	v_add3_u32 v34, v91, v115, v34
	v_mul_i32_i24_e32 v91, v62, v108
	v_mul_i32_i24_e32 v115, v87, v113
	v_add3_u32 v91, v92, v115, v91
	v_mul_i32_i24_e32 v92, v96, v144
	v_mul_i32_i24_e32 v115, v95, v157
	s_delay_alu instid0(VALU_DEP_1) | instskip(SKIP_2) | instid1(VALU_DEP_2)
	v_add3_u32 v92, v93, v92, v115
	v_mul_i32_i24_e32 v93, v119, v128
	v_ashrrev_i32_e32 v115, 24, v53
	v_add3_u32 v3, v3, v38, v93
	v_bfe_i32 v93, v53, 0, 8
	s_delay_alu instid0(VALU_DEP_3) | instskip(NEXT) | instid1(VALU_DEP_2)
	v_mul_i32_i24_e32 v119, v115, v81
	v_mul_i32_i24_e32 v38, v93, v14
	s_delay_alu instid0(VALU_DEP_1) | instskip(SKIP_2) | instid1(VALU_DEP_1)
	v_add3_u32 v38, v97, v119, v38
	v_mul_i32_i24_e32 v97, v93, v108
	v_mul_i32_i24_e32 v119, v115, v113
	v_add3_u32 v97, v98, v119, v97
	v_mul_i32_i24_e32 v98, v44, v144
	v_mul_i32_i24_e32 v119, v2, v157
	;; [unrolled: 1-line block ×3, first 2 shown]
	s_delay_alu instid0(VALU_DEP_2) | instskip(SKIP_1) | instid1(VALU_DEP_1)
	v_add3_u32 v50, v50, v98, v119
	v_mul_i32_i24_e32 v98, v121, v128
	v_add3_u32 v1, v1, v60, v98
	v_bfe_i32 v60, v55, 0, 8
	v_ashrrev_i32_e32 v98, 24, v55
	s_delay_alu instid0(VALU_DEP_2) | instskip(NEXT) | instid1(VALU_DEP_2)
	v_mul_i32_i24_e32 v119, v60, v14
	v_mul_i32_i24_e32 v121, v98, v81
	s_delay_alu instid0(VALU_DEP_1) | instskip(SKIP_2) | instid1(VALU_DEP_1)
	v_add3_u32 v17, v17, v121, v119
	v_mul_i32_i24_e32 v119, v60, v108
	v_mul_i32_i24_e32 v121, v98, v113
	v_add3_u32 v18, v18, v121, v119
	v_mul_i32_i24_e32 v119, v99, v144
	v_mul_i32_i24_e32 v121, v69, v157
	s_delay_alu instid0(VALU_DEP_1) | instskip(SKIP_2) | instid1(VALU_DEP_1)
	v_add3_u32 v19, v19, v119, v121
	v_mul_i32_i24_e32 v119, v54, v14
	v_mul_i32_i24_e32 v121, v56, v81
	v_add3_u32 v41, v41, v121, v119
	v_mul_i32_i24_e32 v119, v54, v108
	v_mul_i32_i24_e32 v121, v56, v113
	s_delay_alu instid0(VALU_DEP_1) | instskip(SKIP_2) | instid1(VALU_DEP_2)
	v_add3_u32 v72, v72, v121, v119
	v_mul_i32_i24_e32 v119, v240, v180
	v_bfe_u32 v121, v59, 8, 4
	v_add3_u32 v16, v16, v118, v119
	v_mul_i32_i24_e32 v118, v242, v127
	s_delay_alu instid0(VALU_DEP_1) | instskip(SKIP_2) | instid1(VALU_DEP_1)
	v_add3_u32 v13, v13, v118, v78
	v_mul_i32_i24_e32 v78, v143, v250
	v_mul_i32_i24_e32 v118, v156, v40
	v_add3_u32 v76, v76, v118, v78
	v_mul_i32_i24_e32 v78, v80, v246
	v_mul_i32_i24_e32 v80, v116, v244
	s_delay_alu instid0(VALU_DEP_1) | instskip(SKIP_4) | instid1(VALU_DEP_3)
	v_add3_u32 v42, v42, v78, v80
	v_mul_i32_i24_e32 v78, v132, v14
	v_mul_i32_i24_e32 v80, v131, v81
	;; [unrolled: 1-line block ×4, first 2 shown]
	v_add3_u32 v67, v67, v80, v78
	v_mul_i32_i24_e32 v78, v132, v108
	v_mul_i32_i24_e32 v80, v131, v113
	s_delay_alu instid0(VALU_DEP_1) | instskip(SKIP_3) | instid1(VALU_DEP_2)
	v_add3_u32 v75, v75, v80, v78
	v_mul_i32_i24_e32 v78, v8, v246
	v_mul_i32_i24_e32 v80, v51, v244
	;; [unrolled: 1-line block ×3, first 2 shown]
	v_add3_u32 v77, v77, v78, v80
	v_mul_i32_i24_e32 v78, v179, v139
	v_mul_i32_i24_e32 v80, v178, v40
	s_delay_alu instid0(VALU_DEP_1) | instskip(SKIP_4) | instid1(VALU_DEP_2)
	v_add3_u32 v7, v7, v78, v80
	v_bfe_i32 v78, v23, 8, 8
	v_bfe_i32 v80, v23, 16, 8
	v_bfe_u32 v23, v20, 12, 4
	v_bfe_u32 v20, v20, 20, 4
	v_mul_i32_i24_e32 v116, v78, v23
	s_delay_alu instid0(VALU_DEP_2) | instskip(SKIP_1) | instid1(VALU_DEP_2)
	v_mul_i32_i24_e32 v118, v80, v20
	v_mul_i32_i24_e32 v35, v83, v23
	v_add3_u32 v100, v100, v116, v118
	v_bfe_u32 v116, v58, 12, 4
	v_bfe_u32 v58, v58, 20, 4
	s_delay_alu instid0(VALU_DEP_2) | instskip(NEXT) | instid1(VALU_DEP_2)
	v_mul_i32_i24_e32 v118, v78, v116
	v_mul_i32_i24_e32 v119, v80, v58
	s_delay_alu instid0(VALU_DEP_1) | instskip(SKIP_2) | instid1(VALU_DEP_1)
	v_add3_u32 v79, v79, v118, v119
	v_mul_i32_i24_e32 v118, v102, v246
	v_mul_i32_i24_e32 v119, v49, v244
	v_add3_u32 v82, v82, v118, v119
	v_mul_i32_i24_e32 v118, v84, v20
	s_delay_alu instid0(VALU_DEP_1) | instskip(SKIP_2) | instid1(VALU_DEP_1)
	v_add3_u32 v118, v22, v35, v118
	v_mul_i32_i24_e32 v22, v83, v116
	v_mul_i32_i24_e32 v35, v84, v58
	v_add3_u32 v85, v85, v22, v35
	v_mul_i32_i24_e32 v22, v9, v246
	v_mul_i32_i24_e32 v35, v47, v244
	v_mul_i32_i24_e32 v9, v9, v250
	s_delay_alu instid0(VALU_DEP_2) | instskip(SKIP_4) | instid1(VALU_DEP_3)
	v_add3_u32 v86, v86, v22, v35
	v_mul_i32_i24_e32 v22, v90, v139
	v_mul_i32_i24_e32 v35, v88, v40
	v_bfe_i32 v88, v39, 8, 8
	v_bfe_i32 v90, v39, 16, 8
	v_add3_u32 v4, v4, v22, v35
	s_delay_alu instid0(VALU_DEP_3) | instskip(NEXT) | instid1(VALU_DEP_3)
	v_mul_i32_i24_e32 v22, v88, v23
	v_mul_i32_i24_e32 v35, v90, v20
	s_delay_alu instid0(VALU_DEP_1) | instskip(SKIP_2) | instid1(VALU_DEP_1)
	v_add3_u32 v119, v34, v22, v35
	v_mul_i32_i24_e32 v22, v88, v116
	v_mul_i32_i24_e32 v34, v90, v58
	v_add3_u32 v91, v91, v22, v34
	v_mul_i32_i24_e32 v22, v10, v246
	v_mul_i32_i24_e32 v34, v45, v244
	;; [unrolled: 1-line block ×3, first 2 shown]
	s_delay_alu instid0(VALU_DEP_2) | instskip(SKIP_4) | instid1(VALU_DEP_3)
	v_add3_u32 v92, v92, v22, v34
	v_mul_i32_i24_e32 v22, v96, v139
	v_mul_i32_i24_e32 v34, v95, v40
	v_bfe_i32 v95, v53, 8, 8
	v_bfe_i32 v53, v53, 16, 8
	v_add3_u32 v3, v3, v22, v34
	s_delay_alu instid0(VALU_DEP_3) | instskip(NEXT) | instid1(VALU_DEP_3)
	v_mul_i32_i24_e32 v22, v95, v23
	v_mul_i32_i24_e32 v34, v53, v20
	s_delay_alu instid0(VALU_DEP_1) | instskip(SKIP_2) | instid1(VALU_DEP_1)
	v_add3_u32 v96, v38, v22, v34
	v_mul_i32_i24_e32 v22, v95, v116
	v_mul_i32_i24_e32 v34, v53, v58
	v_add3_u32 v97, v97, v22, v34
	v_mul_i32_i24_e32 v22, v11, v246
	v_mul_i32_i24_e32 v34, v43, v244
	;; [unrolled: 1-line block ×3, first 2 shown]
	s_delay_alu instid0(VALU_DEP_2) | instskip(SKIP_1) | instid1(VALU_DEP_1)
	v_add3_u32 v50, v50, v22, v34
	v_mul_i32_i24_e32 v22, v44, v139
	v_add3_u32 v1, v1, v22, v2
	v_bfe_i32 v2, v55, 8, 8
	v_bfe_i32 v55, v55, 16, 8
	s_delay_alu instid0(VALU_DEP_2) | instskip(NEXT) | instid1(VALU_DEP_2)
	v_mul_i32_i24_e32 v22, v2, v23
	v_mul_i32_i24_e32 v34, v55, v20
	s_delay_alu instid0(VALU_DEP_1) | instskip(SKIP_2) | instid1(VALU_DEP_1)
	v_add3_u32 v17, v17, v22, v34
	v_mul_i32_i24_e32 v22, v2, v116
	v_mul_i32_i24_e32 v34, v55, v58
	v_add3_u32 v18, v18, v22, v34
	v_mul_i32_i24_e32 v22, v12, v246
	v_mul_i32_i24_e32 v34, v103, v244
	;; [unrolled: 1-line block ×3, first 2 shown]
	s_delay_alu instid0(VALU_DEP_2) | instskip(SKIP_4) | instid1(VALU_DEP_3)
	v_add3_u32 v19, v19, v22, v34
	v_mul_i32_i24_e32 v22, v69, v40
	v_mul_i32_i24_e32 v34, v99, v139
	v_bfe_i32 v69, v57, 8, 8
	v_bfe_i32 v57, v57, 16, 8
	v_add3_u32 v6, v6, v34, v22
	s_delay_alu instid0(VALU_DEP_3) | instskip(NEXT) | instid1(VALU_DEP_3)
	v_mul_i32_i24_e32 v22, v69, v23
	v_mul_i32_i24_e32 v34, v57, v20
	s_delay_alu instid0(VALU_DEP_1) | instskip(SKIP_2) | instid1(VALU_DEP_1)
	v_add3_u32 v99, v41, v22, v34
	v_mul_i32_i24_e32 v22, v69, v116
	v_mul_i32_i24_e32 v34, v57, v58
	v_add3_u32 v72, v72, v22, v34
	v_mul_i32_i24_e32 v22, v153, v23
	v_mul_i32_i24_e32 v34, v131, v232
	s_delay_alu instid0(VALU_DEP_2) | instskip(SKIP_2) | instid1(VALU_DEP_1)
	v_add3_u32 v14, v16, v14, v22
	v_mul_i32_i24_e32 v16, v231, v108
	v_mul_i32_i24_e32 v22, v153, v116
	v_add3_u32 v13, v13, v16, v22
	v_mul_i32_i24_e32 v16, v240, v139
	v_mul_i32_i24_e32 v22, v242, v247
	s_delay_alu instid0(VALU_DEP_1) | instskip(SKIP_1) | instid1(VALU_DEP_1)
	v_add3_u32 v16, v76, v22, v16
	v_mul_i32_i24_e32 v22, v132, v233
	v_add3_u32 v76, v42, v34, v22
	v_mul_i32_i24_e32 v22, v155, v23
	v_mul_i32_i24_e32 v23, v140, v20
	;; [unrolled: 1-line block ×3, first 2 shown]
	s_delay_alu instid0(VALU_DEP_2) | instskip(SKIP_2) | instid1(VALU_DEP_4)
	v_add3_u32 v67, v67, v22, v23
	v_mul_i32_i24_e32 v22, v155, v116
	v_mul_i32_i24_e32 v23, v140, v58
	v_add3_u32 v14, v14, v20, v81
	v_mul_i32_i24_e32 v20, v217, v58
	v_mul_i32_i24_e32 v58, v215, v113
	s_delay_alu instid0(VALU_DEP_4) | instskip(SKIP_2) | instid1(VALU_DEP_4)
	v_add3_u32 v75, v75, v22, v23
	v_mul_i32_i24_e32 v22, v89, v233
	v_mul_i32_i24_e32 v23, v94, v232
	v_add3_u32 v13, v13, v20, v58
	v_mul_i32_i24_e32 v20, v231, v145
	v_mul_i32_i24_e32 v58, v153, v130
	s_delay_alu instid0(VALU_DEP_4) | instskip(SKIP_2) | instid1(VALU_DEP_4)
	v_add3_u32 v77, v77, v23, v22
	v_mul_i32_i24_e32 v22, v51, v247
	v_bfe_u32 v51, v21, 24, 4
	v_add3_u32 v16, v16, v20, v58
	v_mul_i32_i24_e32 v20, v140, v220
	v_mul_i32_i24_e32 v58, v155, v151
	v_add3_u32 v7, v7, v8, v22
	v_add_nc_u32_e32 v8, 0x800, v160
	s_delay_alu instid0(VALU_DEP_3) | instskip(SKIP_3) | instid1(VALU_DEP_1)
	v_add3_u32 v20, v76, v58, v20
	v_mul_i32_i24_e32 v76, v254, v51
	ds_load_2addr_b32 v[22:23], v8 offset1:3
	v_bfe_u32 v8, v21, 8, 4
	v_mul_i32_i24_e32 v58, v68, v8
	s_delay_alu instid0(VALU_DEP_1) | instskip(SKIP_3) | instid1(VALU_DEP_2)
	v_add3_u32 v58, v67, v76, v58
	v_mul_i32_i24_e32 v67, v68, v121
	v_mul_i32_i24_e32 v76, v254, v123
	;; [unrolled: 1-line block ×3, first 2 shown]
	v_add3_u32 v67, v75, v76, v67
	v_mul_i32_i24_e32 v75, v80, v220
	s_wait_dscnt 0x0
	v_bfe_i32 v108, v23, 8, 8
	v_ashrrev_i32_e32 v116, 24, v23
	v_mul_i32_i24_e32 v76, v78, v151
	v_bfe_i32 v81, v23, 0, 8
	v_bfe_i32 v23, v23, 16, 8
	v_mul_i32_i24_e32 v34, v108, v8
	v_mul_i32_i24_e32 v35, v116, v51
	v_add3_u32 v75, v77, v76, v75
	v_mul_i32_i24_e32 v76, v89, v145
	v_mul_i32_i24_e32 v77, v94, v253
	s_delay_alu instid0(VALU_DEP_4) | instskip(SKIP_2) | instid1(VALU_DEP_4)
	v_add3_u32 v100, v100, v35, v34
	v_mul_i32_i24_e32 v34, v108, v121
	v_mul_i32_i24_e32 v35, v116, v123
	v_add3_u32 v7, v7, v77, v76
	v_and_b32_e32 v76, 15, v21
	v_bfe_u32 v77, v21, 16, 4
	s_delay_alu instid0(VALU_DEP_4)
	v_add3_u32 v79, v79, v35, v34
	v_mul_i32_i24_e32 v34, v15, v233
	v_mul_i32_i24_e32 v35, v114, v232
	;; [unrolled: 1-line block ×5, first 2 shown]
	s_delay_alu instid0(VALU_DEP_4)
	v_add3_u32 v82, v82, v35, v34
	v_mul_i32_i24_e32 v34, v102, v250
	v_mul_i32_i24_e32 v35, v49, v247
	v_add3_u32 v89, v100, v89, v94
	v_and_b32_e32 v94, 15, v59
	v_bfe_u32 v100, v59, 16, 4
	s_delay_alu instid0(VALU_DEP_4)
	v_add3_u32 v5, v5, v34, v35
	ds_load_2addr_b32 v[34:35], v71 offset1:3
	v_mul_i32_i24_e32 v113, v23, v100
	s_wait_dscnt 0x0
	v_bfe_i32 v49, v35, 8, 8
	v_ashrrev_i32_e32 v71, 24, v35
	s_delay_alu instid0(VALU_DEP_2) | instskip(NEXT) | instid1(VALU_DEP_2)
	v_mul_i32_i24_e32 v38, v49, v8
	v_mul_i32_i24_e32 v39, v71, v51
	s_delay_alu instid0(VALU_DEP_1) | instskip(SKIP_2) | instid1(VALU_DEP_1)
	v_add3_u32 v102, v118, v39, v38
	v_mul_i32_i24_e32 v38, v49, v121
	v_mul_i32_i24_e32 v39, v71, v123
	v_add3_u32 v85, v85, v39, v38
	v_mul_i32_i24_e32 v38, v62, v233
	v_mul_i32_i24_e32 v39, v87, v232
	;; [unrolled: 1-line block ×4, first 2 shown]
	s_delay_alu instid0(VALU_DEP_3) | instskip(SKIP_1) | instid1(VALU_DEP_1)
	v_add3_u32 v86, v86, v39, v38
	v_mul_i32_i24_e32 v38, v47, v247
	v_add3_u32 v4, v4, v9, v38
	v_add_nc_u32_e32 v9, 0x1000, v160
	v_add_nc_u32_e32 v160, 32, v160
	s_delay_alu instid0(VALU_DEP_3)
	v_add3_u32 v4, v4, v87, v62
	ds_load_2addr_b32 v[38:39], v9 offset1:3
	s_wait_dscnt 0x0
	v_bfe_i32 v9, v39, 8, 8
	v_ashrrev_i32_e32 v47, 24, v39
	v_bfe_i32 v62, v39, 0, 8
	v_bfe_i32 v39, v39, 16, 8
	s_delay_alu instid0(VALU_DEP_4) | instskip(NEXT) | instid1(VALU_DEP_4)
	v_mul_i32_i24_e32 v40, v9, v8
	v_mul_i32_i24_e32 v41, v47, v51
	s_delay_alu instid0(VALU_DEP_4) | instskip(NEXT) | instid1(VALU_DEP_2)
	v_mul_i32_i24_e32 v87, v62, v76
	v_add3_u32 v118, v119, v41, v40
	v_mul_i32_i24_e32 v40, v9, v121
	v_mul_i32_i24_e32 v41, v47, v123
	s_delay_alu instid0(VALU_DEP_1) | instskip(SKIP_3) | instid1(VALU_DEP_2)
	v_add3_u32 v91, v91, v41, v40
	v_mul_i32_i24_e32 v40, v93, v233
	v_mul_i32_i24_e32 v41, v115, v232
	;; [unrolled: 1-line block ×3, first 2 shown]
	v_add3_u32 v92, v92, v41, v40
	v_mul_i32_i24_e32 v40, v45, v247
	s_delay_alu instid0(VALU_DEP_1) | instskip(SKIP_4) | instid1(VALU_DEP_2)
	v_add3_u32 v3, v3, v10, v40
	ds_load_2addr_b32 v[40:41], v122 offset1:3
	s_wait_dscnt 0x0
	v_bfe_i32 v10, v41, 8, 8
	v_ashrrev_i32_e32 v119, 24, v41
	v_mul_i32_i24_e32 v42, v10, v8
	s_delay_alu instid0(VALU_DEP_2) | instskip(NEXT) | instid1(VALU_DEP_1)
	v_mul_i32_i24_e32 v44, v119, v51
	v_add3_u32 v96, v96, v44, v42
	v_mul_i32_i24_e32 v42, v10, v121
	v_mul_i32_i24_e32 v44, v119, v123
	s_delay_alu instid0(VALU_DEP_1) | instskip(SKIP_4) | instid1(VALU_DEP_3)
	v_add3_u32 v97, v97, v44, v42
	v_mul_i32_i24_e32 v42, v60, v233
	v_mul_i32_i24_e32 v44, v98, v232
	;; [unrolled: 1-line block ×4, first 2 shown]
	v_add3_u32 v50, v50, v44, v42
	v_mul_i32_i24_e32 v42, v43, v247
	s_delay_alu instid0(VALU_DEP_1)
	v_add3_u32 v1, v1, v11, v42
	ds_load_2addr_b32 v[42:43], v73 offset1:3
	v_add3_u32 v1, v1, v98, v60
	s_wait_dscnt 0x0
	v_bfe_i32 v11, v43, 8, 8
	v_ashrrev_i32_e32 v73, 24, v43
	v_bfe_i32 v60, v43, 0, 8
	v_bfe_i32 v43, v43, 16, 8
	s_delay_alu instid0(VALU_DEP_4) | instskip(NEXT) | instid1(VALU_DEP_4)
	v_mul_i32_i24_e32 v44, v11, v8
	v_mul_i32_i24_e32 v45, v73, v51
	s_delay_alu instid0(VALU_DEP_4) | instskip(NEXT) | instid1(VALU_DEP_2)
	v_mul_i32_i24_e32 v98, v60, v76
	v_add3_u32 v17, v17, v45, v44
	v_mul_i32_i24_e32 v44, v11, v121
	v_mul_i32_i24_e32 v45, v73, v123
	s_delay_alu instid0(VALU_DEP_1) | instskip(SKIP_4) | instid1(VALU_DEP_3)
	v_add3_u32 v18, v18, v45, v44
	v_mul_i32_i24_e32 v44, v54, v233
	v_mul_i32_i24_e32 v45, v56, v232
	;; [unrolled: 1-line block ×4, first 2 shown]
	v_add3_u32 v19, v19, v45, v44
	v_mul_i32_i24_e32 v44, v103, v247
	s_delay_alu instid0(VALU_DEP_1)
	v_add3_u32 v6, v6, v12, v44
	ds_load_2addr_b32 v[44:45], v74 offset1:3
	v_add3_u32 v6, v6, v56, v54
	s_wait_dscnt 0x0
	v_bfe_i32 v12, v45, 8, 8
	v_ashrrev_i32_e32 v74, 24, v45
	v_bfe_i32 v54, v45, 0, 8
	v_bfe_i32 v45, v45, 16, 8
	s_delay_alu instid0(VALU_DEP_4) | instskip(NEXT) | instid1(VALU_DEP_4)
	v_mul_i32_i24_e32 v103, v12, v8
	v_mul_i32_i24_e32 v122, v74, v51
	s_delay_alu instid0(VALU_DEP_4) | instskip(SKIP_2) | instid1(VALU_DEP_4)
	v_mul_i32_i24_e32 v56, v54, v76
	v_mul_i32_i24_e32 v8, v212, v8
	v_mul_i32_i24_e32 v51, v227, v51
	v_add3_u32 v99, v99, v122, v103
	v_mul_i32_i24_e32 v103, v12, v121
	v_mul_i32_i24_e32 v122, v74, v123
	s_delay_alu instid0(VALU_DEP_1) | instskip(SKIP_1) | instid1(VALU_DEP_1)
	v_add3_u32 v72, v72, v122, v103
	v_mul_i32_i24_e32 v103, v81, v94
	v_add3_u32 v79, v79, v103, v113
	v_mul_i32_i24_e32 v103, v84, v220
	v_mul_i32_i24_e32 v113, v83, v151
	v_mul_i32_i24_e32 v84, v84, v245
	v_mul_i32_i24_e32 v83, v83, v130
	s_delay_alu instid0(VALU_DEP_3) | instskip(SKIP_1) | instid1(VALU_DEP_1)
	v_add3_u32 v82, v82, v113, v103
	v_mul_i32_i24_e32 v103, v114, v253
	v_add3_u32 v5, v5, v103, v15
	v_bfe_i32 v15, v35, 0, 8
	v_bfe_i32 v35, v35, 16, 8
	s_delay_alu instid0(VALU_DEP_3) | instskip(NEXT) | instid1(VALU_DEP_3)
	v_add3_u32 v5, v5, v83, v84
	v_mul_i32_i24_e32 v103, v15, v76
	s_delay_alu instid0(VALU_DEP_3) | instskip(SKIP_2) | instid1(VALU_DEP_3)
	v_mul_i32_i24_e32 v113, v35, v77
	v_bfe_i32 v83, v27, 0, 8
	v_ashrrev_i32_e32 v84, 24, v27
	v_add3_u32 v102, v102, v103, v113
	v_mul_i32_i24_e32 v103, v15, v94
	v_mul_i32_i24_e32 v113, v35, v100
	s_delay_alu instid0(VALU_DEP_1) | instskip(SKIP_4) | instid1(VALU_DEP_3)
	v_add3_u32 v85, v85, v103, v113
	v_mul_i32_i24_e32 v103, v90, v220
	v_mul_i32_i24_e32 v113, v88, v151
	;; [unrolled: 1-line block ×4, first 2 shown]
	v_add3_u32 v86, v86, v113, v103
	v_mul_i32_i24_e32 v103, v39, v77
	v_mul_i32_i24_e32 v113, v39, v100
	s_delay_alu instid0(VALU_DEP_4) | instskip(SKIP_4) | instid1(VALU_DEP_1)
	v_add3_u32 v4, v4, v88, v90
	v_bfe_i32 v88, v29, 0, 8
	v_ashrrev_i32_e32 v90, 24, v29
	v_add3_u32 v87, v118, v87, v103
	v_mul_i32_i24_e32 v103, v62, v94
	v_add3_u32 v91, v91, v103, v113
	v_mul_i32_i24_e32 v103, v53, v220
	v_mul_i32_i24_e32 v113, v95, v151
	;; [unrolled: 1-line block ×4, first 2 shown]
	s_delay_alu instid0(VALU_DEP_3) | instskip(SKIP_1) | instid1(VALU_DEP_1)
	v_add3_u32 v92, v92, v113, v103
	v_mul_i32_i24_e32 v103, v115, v253
	v_add3_u32 v3, v3, v103, v93
	v_bfe_i32 v93, v41, 0, 8
	v_bfe_i32 v41, v41, 16, 8
	s_delay_alu instid0(VALU_DEP_3) | instskip(NEXT) | instid1(VALU_DEP_3)
	v_add3_u32 v3, v3, v95, v53
	v_mul_i32_i24_e32 v103, v93, v76
	s_delay_alu instid0(VALU_DEP_3) | instskip(SKIP_2) | instid1(VALU_DEP_3)
	v_mul_i32_i24_e32 v113, v41, v77
	v_bfe_i32 v53, v31, 0, 8
	v_ashrrev_i32_e32 v95, 24, v31
	v_add3_u32 v96, v96, v103, v113
	v_mul_i32_i24_e32 v103, v93, v94
	v_mul_i32_i24_e32 v113, v41, v100
	s_delay_alu instid0(VALU_DEP_1) | instskip(SKIP_4) | instid1(VALU_DEP_3)
	v_add3_u32 v97, v97, v103, v113
	v_mul_i32_i24_e32 v103, v55, v220
	v_mul_i32_i24_e32 v113, v2, v151
	;; [unrolled: 1-line block ×4, first 2 shown]
	v_add3_u32 v50, v50, v113, v103
	v_mul_i32_i24_e32 v103, v43, v77
	s_delay_alu instid0(VALU_DEP_3) | instskip(SKIP_2) | instid1(VALU_DEP_4)
	v_add3_u32 v1, v1, v2, v55
	v_bfe_i32 v2, v33, 0, 8
	v_ashrrev_i32_e32 v55, 24, v33
	v_add3_u32 v17, v17, v98, v103
	v_mul_i32_i24_e32 v98, v60, v94
	v_mul_i32_i24_e32 v103, v43, v100
	s_delay_alu instid0(VALU_DEP_1) | instskip(SKIP_4) | instid1(VALU_DEP_3)
	v_add3_u32 v18, v18, v98, v103
	v_mul_i32_i24_e32 v98, v57, v220
	v_mul_i32_i24_e32 v103, v69, v151
	v_mul_i32_i24_e32 v57, v57, v245
	v_mul_i32_i24_e32 v69, v69, v130
	v_add3_u32 v19, v19, v103, v98
	v_mul_i32_i24_e32 v98, v45, v77
	s_delay_alu instid0(VALU_DEP_3) | instskip(SKIP_2) | instid1(VALU_DEP_4)
	v_add3_u32 v6, v6, v69, v57
	v_bfe_i32 v57, v37, 0, 8
	v_ashrrev_i32_e32 v69, 24, v37
	v_add3_u32 v56, v99, v56, v98
	v_mul_i32_i24_e32 v98, v54, v94
	v_mul_i32_i24_e32 v99, v45, v100
	s_delay_alu instid0(VALU_DEP_1) | instskip(SKIP_1) | instid1(VALU_DEP_1)
	v_add3_u32 v72, v72, v98, v99
	v_mul_i32_i24_e32 v98, v236, v76
	v_add3_u32 v8, v14, v8, v98
	v_mul_i32_i24_e32 v14, v212, v121
	v_mul_i32_i24_e32 v98, v236, v94
	s_delay_alu instid0(VALU_DEP_1) | instskip(SKIP_2) | instid1(VALU_DEP_1)
	v_add3_u32 v13, v13, v14, v98
	v_mul_i32_i24_e32 v14, v215, v253
	v_mul_i32_i24_e32 v98, v217, v245
	v_add3_u32 v14, v16, v98, v14
	v_mul_i32_i24_e32 v16, v254, v239
	s_delay_alu instid0(VALU_DEP_1) | instskip(SKIP_4) | instid1(VALU_DEP_3)
	v_add3_u32 v16, v20, v16, v68
	v_mul_i32_i24_e32 v20, v241, v76
	v_mul_i32_i24_e32 v68, v243, v77
	v_bfe_i32 v76, v25, 0, 8
	v_mul_i32_i24_e32 v77, v225, v77
	v_add3_u32 v20, v58, v20, v68
	v_mul_i32_i24_e32 v58, v241, v94
	v_mul_i32_i24_e32 v68, v243, v100
	s_delay_alu instid0(VALU_DEP_4) | instskip(SKIP_2) | instid1(VALU_DEP_4)
	v_add3_u32 v8, v8, v77, v51
	v_mul_i32_i24_e32 v51, v225, v100
	v_mul_i32_i24_e32 v77, v227, v123
	v_add3_u32 v58, v67, v58, v68
	v_mul_i32_i24_e32 v67, v116, v239
	v_mul_i32_i24_e32 v68, v108, v129
	s_delay_alu instid0(VALU_DEP_4) | instskip(SKIP_2) | instid1(VALU_DEP_4)
	v_add3_u32 v13, v13, v51, v77
	v_mul_i32_i24_e32 v51, v236, v221
	v_mul_i32_i24_e32 v77, v212, v66
	v_add3_u32 v67, v75, v67, v68
	v_mul_i32_i24_e32 v68, v80, v245
	v_mul_i32_i24_e32 v75, v78, v130
	v_ashrrev_i32_e32 v78, 24, v25
	v_add3_u32 v14, v14, v77, v51
	v_mul_i32_i24_e32 v51, v241, v229
	v_mul_i32_i24_e32 v77, v243, v228
	v_add3_u32 v7, v7, v75, v68
	v_bfe_u32 v68, v21, 4, 4
	v_lshrrev_b32_e32 v75, 28, v21
	s_delay_alu instid0(VALU_DEP_4) | instskip(NEXT) | instid1(VALU_DEP_3)
	v_add3_u32 v16, v16, v51, v77
	v_mul_i32_i24_e32 v80, v76, v68
	s_delay_alu instid0(VALU_DEP_3) | instskip(SKIP_2) | instid1(VALU_DEP_3)
	v_mul_i32_i24_e32 v94, v78, v75
	v_mul_i32_i24_e32 v51, v248, v68
	;; [unrolled: 1-line block ×3, first 2 shown]
	v_add3_u32 v80, v89, v94, v80
	v_bfe_u32 v89, v59, 4, 4
	v_lshrrev_b32_e32 v94, 28, v59
	s_delay_alu instid0(VALU_DEP_4) | instskip(NEXT) | instid1(VALU_DEP_3)
	v_add3_u32 v20, v20, v77, v51
	v_mul_i32_i24_e32 v98, v76, v89
	s_delay_alu instid0(VALU_DEP_3) | instskip(SKIP_2) | instid1(VALU_DEP_3)
	v_mul_i32_i24_e32 v99, v78, v94
	v_mul_i32_i24_e32 v51, v248, v89
	;; [unrolled: 1-line block ×3, first 2 shown]
	v_add3_u32 v79, v79, v99, v98
	v_mul_i32_i24_e32 v98, v71, v239
	v_mul_i32_i24_e32 v99, v49, v129
	s_delay_alu instid0(VALU_DEP_4)
	v_add3_u32 v51, v58, v77, v51
	v_mul_i32_i24_e32 v58, v81, v229
	v_mul_i32_i24_e32 v77, v23, v228
	;; [unrolled: 1-line block ×3, first 2 shown]
	v_add3_u32 v82, v82, v98, v99
	v_mul_i32_i24_e32 v98, v83, v68
	v_mul_i32_i24_e32 v99, v84, v75
	v_add3_u32 v58, v67, v58, v77
	v_mul_i32_i24_e32 v67, v116, v230
	v_mul_i32_i24_e32 v77, v108, v66
	;; [unrolled: 1-line block ×3, first 2 shown]
	v_add3_u32 v98, v102, v99, v98
	v_mul_i32_i24_e32 v99, v83, v89
	v_mul_i32_i24_e32 v102, v84, v94
	v_add3_u32 v7, v7, v67, v77
	v_bfe_u32 v67, v21, 20, 4
	v_bfe_u32 v21, v21, 12, 4
	v_bfe_i32 v77, v25, 8, 8
	v_add3_u32 v85, v85, v102, v99
	v_mul_i32_i24_e32 v99, v47, v239
	v_mul_i32_i24_e32 v102, v9, v129
	v_bfe_i32 v25, v25, 16, 8
	v_add3_u32 v5, v5, v71, v49
	v_bfe_i32 v49, v27, 8, 8
	v_bfe_i32 v27, v27, 16, 8
	v_add3_u32 v86, v86, v99, v102
	v_mul_i32_i24_e32 v99, v88, v68
	v_mul_i32_i24_e32 v102, v90, v75
	;; [unrolled: 1-line block ×6, first 2 shown]
	v_add3_u32 v87, v87, v102, v99
	v_mul_i32_i24_e32 v99, v88, v89
	v_mul_i32_i24_e32 v102, v90, v94
	;; [unrolled: 1-line block ×3, first 2 shown]
	v_add3_u32 v4, v4, v47, v9
	v_bfe_i32 v9, v29, 8, 8
	v_bfe_i32 v29, v29, 16, 8
	v_add3_u32 v91, v91, v102, v99
	v_mul_i32_i24_e32 v99, v119, v239
	v_mul_i32_i24_e32 v102, v10, v129
	;; [unrolled: 1-line block ×4, first 2 shown]
	s_delay_alu instid0(VALU_DEP_3) | instskip(SKIP_2) | instid1(VALU_DEP_1)
	v_add3_u32 v92, v92, v99, v102
	v_mul_i32_i24_e32 v99, v53, v68
	v_mul_i32_i24_e32 v102, v95, v75
	v_add3_u32 v96, v96, v102, v99
	v_mul_i32_i24_e32 v99, v53, v89
	v_mul_i32_i24_e32 v102, v95, v94
	s_delay_alu instid0(VALU_DEP_1) | instskip(SKIP_4) | instid1(VALU_DEP_3)
	v_add3_u32 v97, v97, v102, v99
	v_mul_i32_i24_e32 v99, v73, v239
	v_mul_i32_i24_e32 v102, v11, v129
	;; [unrolled: 1-line block ×4, first 2 shown]
	v_add3_u32 v50, v50, v99, v102
	v_mul_i32_i24_e32 v99, v2, v68
	v_mul_i32_i24_e32 v102, v55, v75
	s_delay_alu instid0(VALU_DEP_4) | instskip(SKIP_2) | instid1(VALU_DEP_4)
	v_add3_u32 v1, v1, v73, v11
	v_bfe_i32 v11, v33, 8, 8
	v_bfe_i32 v33, v33, 16, 8
	v_add3_u32 v17, v17, v102, v99
	v_mul_i32_i24_e32 v99, v2, v89
	v_mul_i32_i24_e32 v102, v55, v94
	;; [unrolled: 1-line block ×3, first 2 shown]
	s_delay_alu instid0(VALU_DEP_2)
	v_add3_u32 v18, v18, v102, v99
	v_mul_i32_i24_e32 v99, v74, v239
	v_mul_i32_i24_e32 v102, v12, v129
	;; [unrolled: 1-line block ×5, first 2 shown]
	s_delay_alu instid0(VALU_DEP_4)
	v_add3_u32 v19, v19, v99, v102
	v_mul_i32_i24_e32 v99, v57, v68
	v_mul_i32_i24_e32 v102, v69, v75
	v_add3_u32 v6, v6, v66, v12
	v_bfe_i32 v12, v37, 8, 8
	v_bfe_i32 v37, v37, 16, 8
	v_mul_i32_i24_e32 v68, v213, v68
	v_add3_u32 v56, v56, v102, v99
	v_mul_i32_i24_e32 v99, v57, v89
	v_mul_i32_i24_e32 v102, v69, v94
	;; [unrolled: 1-line block ×4, first 2 shown]
	s_delay_alu instid0(VALU_DEP_3) | instskip(SKIP_1) | instid1(VALU_DEP_1)
	v_add3_u32 v72, v72, v102, v99
	v_mul_i32_i24_e32 v99, v77, v21
	v_add3_u32 v80, v80, v99, v100
	v_bfe_u32 v99, v59, 12, 4
	v_bfe_u32 v59, v59, 20, 4
	s_delay_alu instid0(VALU_DEP_2) | instskip(NEXT) | instid1(VALU_DEP_2)
	v_mul_i32_i24_e32 v100, v77, v99
	v_mul_i32_i24_e32 v102, v25, v59
	s_delay_alu instid0(VALU_DEP_1) | instskip(SKIP_4) | instid1(VALU_DEP_3)
	v_add3_u32 v79, v79, v100, v102
	v_mul_i32_i24_e32 v100, v15, v229
	v_mul_i32_i24_e32 v102, v35, v228
	v_mul_i32_i24_e32 v15, v15, v221
	v_mul_i32_i24_e32 v35, v35, v222
	v_add3_u32 v82, v82, v100, v102
	v_mul_i32_i24_e32 v100, v27, v67
	s_delay_alu instid0(VALU_DEP_3) | instskip(SKIP_2) | instid1(VALU_DEP_4)
	v_add3_u32 v5, v5, v15, v35
	v_bfe_i32 v15, v34, 0, 8
	v_bfe_i32 v35, v34, 8, 8
	v_add3_u32 v71, v98, v71, v100
	v_mul_i32_i24_e32 v98, v49, v99
	v_mul_i32_i24_e32 v100, v27, v59
	s_delay_alu instid0(VALU_DEP_1) | instskip(SKIP_4) | instid1(VALU_DEP_3)
	v_add3_u32 v85, v85, v98, v100
	v_mul_i32_i24_e32 v98, v62, v229
	v_mul_i32_i24_e32 v100, v39, v228
	;; [unrolled: 1-line block ×4, first 2 shown]
	v_add3_u32 v86, v86, v98, v100
	v_mul_i32_i24_e32 v98, v29, v67
	s_delay_alu instid0(VALU_DEP_3) | instskip(SKIP_2) | instid1(VALU_DEP_4)
	v_add3_u32 v4, v4, v62, v39
	v_bfe_i32 v39, v38, 0, 8
	v_bfe_i32 v62, v38, 8, 8
	v_add3_u32 v47, v87, v47, v98
	v_mul_i32_i24_e32 v87, v9, v99
	v_mul_i32_i24_e32 v98, v29, v59
	s_delay_alu instid0(VALU_DEP_1) | instskip(SKIP_3) | instid1(VALU_DEP_2)
	v_add3_u32 v87, v91, v87, v98
	v_mul_i32_i24_e32 v91, v93, v229
	v_mul_i32_i24_e32 v98, v41, v228
	;; [unrolled: 1-line block ×3, first 2 shown]
	v_add3_u32 v91, v92, v91, v98
	v_mul_i32_i24_e32 v92, v119, v230
	s_delay_alu instid0(VALU_DEP_1) | instskip(SKIP_2) | instid1(VALU_DEP_2)
	v_add3_u32 v3, v3, v92, v10
	v_bfe_i32 v10, v31, 8, 8
	v_bfe_i32 v31, v31, 16, 8
	v_mul_i32_i24_e32 v92, v10, v21
	s_delay_alu instid0(VALU_DEP_2) | instskip(NEXT) | instid1(VALU_DEP_1)
	v_mul_i32_i24_e32 v98, v31, v67
	v_add3_u32 v92, v96, v92, v98
	v_mul_i32_i24_e32 v96, v10, v99
	v_mul_i32_i24_e32 v98, v31, v59
	s_delay_alu instid0(VALU_DEP_1) | instskip(SKIP_4) | instid1(VALU_DEP_3)
	v_add3_u32 v96, v97, v96, v98
	v_mul_i32_i24_e32 v97, v60, v229
	v_mul_i32_i24_e32 v98, v43, v228
	;; [unrolled: 1-line block ×4, first 2 shown]
	v_add3_u32 v50, v50, v97, v98
	v_mul_i32_i24_e32 v97, v33, v67
	s_delay_alu instid0(VALU_DEP_3) | instskip(SKIP_2) | instid1(VALU_DEP_4)
	v_add3_u32 v1, v1, v60, v43
	v_bfe_i32 v43, v42, 0, 8
	v_bfe_i32 v60, v42, 8, 8
	v_add3_u32 v17, v17, v73, v97
	v_mul_i32_i24_e32 v73, v11, v99
	v_mul_i32_i24_e32 v97, v33, v59
	s_delay_alu instid0(VALU_DEP_1) | instskip(SKIP_4) | instid1(VALU_DEP_3)
	v_add3_u32 v18, v18, v73, v97
	v_mul_i32_i24_e32 v73, v54, v229
	v_mul_i32_i24_e32 v97, v45, v228
	;; [unrolled: 1-line block ×4, first 2 shown]
	v_add3_u32 v19, v19, v73, v97
	v_mul_i32_i24_e32 v73, v37, v67
	s_delay_alu instid0(VALU_DEP_3) | instskip(SKIP_2) | instid1(VALU_DEP_4)
	v_add3_u32 v6, v6, v54, v45
	v_bfe_i32 v45, v44, 0, 8
	v_bfe_i32 v54, v44, 8, 8
	v_add3_u32 v56, v56, v66, v73
	v_mul_i32_i24_e32 v66, v12, v99
	v_mul_i32_i24_e32 v73, v37, v59
	s_delay_alu instid0(VALU_DEP_1) | instskip(SKIP_2) | instid1(VALU_DEP_2)
	v_add3_u32 v66, v72, v66, v73
	v_mul_i32_i24_e32 v72, v65, v21
	v_mul_i32_i24_e32 v21, v64, v21
	v_add3_u32 v8, v8, v68, v72
	v_mul_i32_i24_e32 v68, v213, v89
	v_mul_i32_i24_e32 v72, v65, v99
	;; [unrolled: 1-line block ×5, first 2 shown]
	s_delay_alu instid0(VALU_DEP_4) | instskip(SKIP_2) | instid1(VALU_DEP_1)
	v_add3_u32 v13, v13, v68, v72
	v_mul_i32_i24_e32 v68, v227, v230
	v_mul_i32_i24_e32 v72, v225, v222
	v_add3_u32 v14, v14, v72, v68
	v_mul_i32_i24_e32 v68, v248, v216
	v_mul_i32_i24_e32 v72, v249, v214
	s_delay_alu instid0(VALU_DEP_1) | instskip(SKIP_2) | instid1(VALU_DEP_2)
	v_add3_u32 v16, v16, v72, v68
	v_mul_i32_i24_e32 v68, v234, v67
	v_mul_i32_i24_e32 v67, v36, v67
	v_add3_u32 v20, v20, v21, v68
	v_mul_i32_i24_e32 v68, v234, v59
	s_delay_alu instid0(VALU_DEP_3)
	v_add3_u32 v8, v8, v67, v75
	v_mul_i32_i24_e32 v59, v36, v59
	v_mul_i32_i24_e32 v67, v61, v94
	;; [unrolled: 1-line block ×6, first 2 shown]
	v_add3_u32 v13, v13, v59, v67
	v_mul_i32_i24_e32 v59, v213, v226
	v_add3_u32 v21, v51, v21, v68
	v_mul_i32_i24_e32 v51, v76, v216
	v_mul_i32_i24_e32 v68, v78, v214
	s_delay_alu instid0(VALU_DEP_4) | instskip(SKIP_1) | instid1(VALU_DEP_3)
	v_add3_u32 v14, v14, v59, v65
	v_mul_i32_i24_e32 v59, v234, v211
	v_add3_u32 v51, v58, v68, v51
	v_mul_i32_i24_e32 v58, v81, v221
	v_mul_i32_i24_e32 v81, v62, v208
	s_delay_alu instid0(VALU_DEP_4)
	v_add3_u32 v16, v16, v64, v59
	v_mul_i32_i24_e32 v59, v223, v207
	v_mul_i32_i24_e32 v64, v52, v208
	v_add3_u32 v7, v7, v58, v23
	v_bfe_i32 v23, v22, 0, 8
	v_bfe_i32 v58, v22, 8, 8
	s_delay_alu instid0(VALU_DEP_4)
	v_add3_u32 v20, v20, v59, v64
	v_mul_i32_i24_e32 v59, v223, v209
	v_mul_i32_i24_e32 v64, v52, v210
	;; [unrolled: 1-line block ×6, first 2 shown]
	v_add3_u32 v21, v21, v59, v64
	v_mul_i32_i24_e32 v59, v25, v211
	v_mul_i32_i24_e32 v64, v77, v48
	v_add3_u32 v68, v80, v68, v72
	v_mul_i32_i24_e32 v72, v23, v209
	v_mul_i32_i24_e32 v80, v90, v214
	v_mul_i32_i24_e32 v25, v25, v218
	v_add3_u32 v51, v51, v64, v59
	v_mul_i32_i24_e32 v59, v76, v226
	v_mul_i32_i24_e32 v64, v78, v224
	v_add3_u32 v72, v79, v72, v73
	v_mul_i32_i24_e32 v73, v83, v216
	v_mul_i32_i24_e32 v79, v35, v208
	;; [unrolled: 1-line block ×3, first 2 shown]
	v_add3_u32 v7, v7, v64, v59
	v_bfe_i32 v59, v22, 16, 8
	v_ashrrev_i32_e32 v22, 24, v22
	v_add3_u32 v73, v82, v74, v73
	v_mul_i32_i24_e32 v74, v15, v207
	v_mul_i32_i24_e32 v82, v95, v214
	;; [unrolled: 1-line block ×5, first 2 shown]
	v_add3_u32 v71, v71, v74, v79
	v_mul_i32_i24_e32 v74, v15, v209
	v_mul_i32_i24_e32 v79, v35, v210
	v_add3_u32 v64, v68, v64, v65
	v_mul_i32_i24_e32 v65, v59, v203
	v_mul_i32_i24_e32 v68, v49, v48
	;; [unrolled: 1-line block ×3, first 2 shown]
	v_add3_u32 v74, v85, v74, v79
	v_mul_i32_i24_e32 v79, v88, v216
	v_add3_u32 v65, v72, v65, v67
	v_mul_i32_i24_e32 v67, v27, v211
	v_mul_i32_i24_e32 v72, v84, v224
	;; [unrolled: 1-line block ×3, first 2 shown]
	v_add3_u32 v79, v86, v80, v79
	v_mul_i32_i24_e32 v80, v39, v207
	v_add3_u32 v67, v73, v68, v67
	v_mul_i32_i24_e32 v68, v83, v226
	v_mul_i32_i24_e32 v49, v49, v46
	v_mov_b32_e32 v84, v125
	v_add3_u32 v47, v47, v80, v81
	v_mul_i32_i24_e32 v80, v39, v209
	v_add3_u32 v5, v5, v72, v68
	v_bfe_i32 v68, v34, 16, 8
	v_ashrrev_i32_e32 v34, 24, v34
	v_mul_i32_i24_e32 v81, v62, v210
	s_delay_alu instid0(VALU_DEP_4) | instskip(NEXT) | instid1(VALU_DEP_4)
	v_add3_u32 v5, v5, v49, v27
	v_mul_i32_i24_e32 v72, v68, v201
	s_delay_alu instid0(VALU_DEP_4) | instskip(NEXT) | instid1(VALU_DEP_4)
	v_mul_i32_i24_e32 v73, v34, v202
	v_add3_u32 v80, v87, v80, v81
	v_mul_i32_i24_e32 v81, v53, v216
	v_mul_i32_i24_e32 v53, v53, v226
	;; [unrolled: 1-line block ×3, first 2 shown]
	v_add3_u32 v71, v71, v72, v73
	v_mul_i32_i24_e32 v72, v68, v203
	v_mul_i32_i24_e32 v73, v34, v204
	v_add3_u32 v81, v91, v82, v81
	v_mul_i32_i24_e32 v82, v93, v221
	v_mul_i32_i24_e32 v49, v32, v62
	s_delay_alu instid0(VALU_DEP_4)
	v_add3_u32 v72, v74, v72, v73
	v_mul_i32_i24_e32 v73, v29, v211
	v_mul_i32_i24_e32 v74, v9, v48
	v_add3_u32 v3, v3, v82, v41
	v_bfe_i32 v41, v40, 0, 8
	v_bfe_i32 v82, v40, 8, 8
	v_mul_i32_i24_e32 v29, v29, v218
	v_add3_u32 v73, v79, v74, v73
	v_mul_i32_i24_e32 v74, v88, v226
	v_mul_i32_i24_e32 v85, v41, v207
	v_mul_i32_i24_e32 v86, v82, v208
	v_mul_i32_i24_e32 v87, v82, v210
	v_mul_i32_i24_e32 v9, v9, v46
	v_add3_u32 v4, v4, v75, v74
	v_bfe_i32 v74, v38, 16, 8
	v_ashrrev_i32_e32 v38, 24, v38
	v_add3_u32 v85, v92, v85, v86
	v_mul_i32_i24_e32 v86, v41, v209
	v_add3_u32 v4, v4, v9, v29
	v_mul_i32_i24_e32 v75, v74, v201
	v_mul_i32_i24_e32 v76, v38, v202
	v_mul_i32_i24_e32 v9, v200, v41
	v_add3_u32 v86, v96, v86, v87
	v_mul_i32_i24_e32 v87, v2, v216
	v_mul_i32_i24_e32 v2, v2, v226
	v_add3_u32 v47, v47, v75, v76
	v_mul_i32_i24_e32 v75, v74, v203
	v_mul_i32_i24_e32 v76, v38, v204
	v_add3_u32 v50, v50, v89, v87
	v_mul_i32_i24_e32 v87, v43, v207
	v_mul_i32_i24_e32 v89, v60, v208
	v_add3_u32 v1, v1, v55, v2
	v_add3_u32 v75, v80, v75, v76
	v_mul_i32_i24_e32 v76, v31, v211
	v_bfe_i32 v2, v42, 16, 8
	v_ashrrev_i32_e32 v42, 24, v42
	v_add3_u32 v17, v17, v87, v89
	v_mul_i32_i24_e32 v87, v43, v209
	v_add3_u32 v76, v81, v78, v76
	v_mul_i32_i24_e32 v78, v95, v224
	v_mul_i32_i24_e32 v81, v11, v48
	;; [unrolled: 1-line block ×5, first 2 shown]
	v_add3_u32 v3, v3, v78, v53
	v_bfe_i32 v53, v40, 16, 8
	v_ashrrev_i32_e32 v40, 24, v40
	v_add3_u32 v18, v18, v87, v89
	v_mul_i32_i24_e32 v87, v57, v216
	v_mul_i32_i24_e32 v89, v69, v214
	;; [unrolled: 1-line block ×6, first 2 shown]
	v_add3_u32 v19, v19, v89, v87
	v_mul_i32_i24_e32 v87, v45, v207
	v_add3_u32 v78, v85, v78, v79
	v_mul_i32_i24_e32 v79, v53, v203
	v_mul_i32_i24_e32 v89, v54, v208
	v_add3_u32 v9, v76, v9, v29
	v_mul_i32_i24_e32 v29, v31, v218
	;; [unrolled: 3-line block ×3, first 2 shown]
	v_add3_u32 v56, v56, v87, v89
	v_mul_i32_i24_e32 v87, v45, v209
	v_mul_i32_i24_e32 v89, v54, v210
	v_add3_u32 v3, v3, v10, v29
	v_add3_u32 v50, v50, v81, v80
	v_mul_i32_i24_e32 v80, v42, v202
	v_mul_i32_i24_e32 v10, v200, v43
	v_add3_u32 v66, v66, v87, v89
	v_mul_i32_i24_e32 v29, v32, v60
	v_mul_i32_i24_e32 v12, v12, v46
	;; [unrolled: 3-line block ×3, first 2 shown]
	v_add3_u32 v10, v50, v10, v29
	v_mul_i32_i24_e32 v29, v33, v218
	v_add3_u32 v27, v73, v27, v49
	s_clause 0x1
	scratch_load_b32 v33, off, off offset:56 th:TH_LOAD_LU
	scratch_load_b32 v50, off, off offset:36 th:TH_LOAD_LU
	v_add3_u32 v18, v18, v55, v80
	v_mul_i32_i24_e32 v55, v37, v211
	v_add3_u32 v1, v1, v11, v29
	v_mul_i32_i24_e32 v11, v200, v45
	v_mul_i32_i24_e32 v29, v32, v54
	v_cvt_f32_i32_e32 v17, v17
	v_add3_u32 v19, v19, v48, v55
	v_mul_i32_i24_e32 v48, v57, v226
	v_mul_i32_i24_e32 v55, v69, v224
	v_cvt_f32_i32_e32 v18, v18
	s_delay_alu instid0(VALU_DEP_4) | instskip(SKIP_1) | instid1(VALU_DEP_4)
	v_add3_u32 v11, v19, v11, v29
	v_mul_i32_i24_e32 v19, v37, v218
	v_add3_u32 v6, v6, v55, v48
	v_bfe_i32 v48, v44, 16, 8
	v_ashrrev_i32_e32 v44, 24, v44
	s_delay_alu instid0(VALU_DEP_3) | instskip(NEXT) | instid1(VALU_DEP_3)
	v_add3_u32 v6, v6, v12, v19
	v_mul_i32_i24_e32 v55, v48, v201
	s_delay_alu instid0(VALU_DEP_3) | instskip(SKIP_2) | instid1(VALU_DEP_3)
	v_mul_i32_i24_e32 v57, v44, v202
	v_mul_i32_i24_e32 v12, v63, v198
	;; [unrolled: 1-line block ×3, first 2 shown]
	v_add3_u32 v55, v56, v55, v57
	v_mul_i32_i24_e32 v56, v48, v203
	v_mul_i32_i24_e32 v57, v44, v204
	s_delay_alu instid0(VALU_DEP_1) | instskip(SKIP_4) | instid1(VALU_DEP_1)
	v_add3_u32 v56, v66, v56, v57
	v_mul_i32_i24_e32 v57, v61, v224
	scratch_load_b32 v66, off, off offset:52 th:TH_LOAD_LU ; 4-byte Folded Reload
	v_add3_u32 v14, v14, v36, v57
	v_mul_i32_i24_e32 v36, v223, v200
	v_add3_u32 v16, v16, v36, v52
	v_mul_i32_i24_e32 v36, v63, v201
	v_mul_i32_i24_e32 v52, v219, v202
	s_delay_alu instid0(VALU_DEP_3) | instskip(SKIP_1) | instid1(VALU_DEP_3)
	v_add3_u32 v12, v16, v12, v19
	v_mul_i32_i24_e32 v16, v198, v59
	v_add3_u32 v20, v20, v36, v52
	v_mul_i32_i24_e32 v36, v63, v203
	v_mul_i32_i24_e32 v52, v219, v204
	;; [unrolled: 1-line block ×4, first 2 shown]
	s_delay_alu instid0(VALU_DEP_3) | instskip(SKIP_2) | instid1(VALU_DEP_1)
	v_add3_u32 v21, v21, v36, v52
	v_mul_i32_i24_e32 v36, v200, v23
	v_mul_i32_i24_e32 v52, v32, v58
	v_add3_u32 v36, v51, v36, v52
	v_mul_i32_i24_e32 v51, v77, v46
	s_delay_alu instid0(VALU_DEP_2) | instskip(NEXT) | instid1(VALU_DEP_2)
	v_add3_u32 v16, v36, v16, v19
	v_add3_u32 v7, v7, v51, v25
	v_mul_i32_i24_e32 v25, v200, v15
	v_mul_i32_i24_e32 v51, v32, v35
	;; [unrolled: 1-line block ×5, first 2 shown]
	s_clause 0x1
	scratch_load_b32 v36, off, off th:TH_LOAD_LU
	scratch_load_b32 v32, off, off offset:12 th:TH_LOAD_LU
	v_add3_u32 v25, v67, v25, v51
	v_add3_u32 v7, v7, v19, v23
	v_mul_i32_i24_e32 v19, v198, v68
	v_mul_i32_i24_e32 v23, v199, v34
	s_delay_alu instid0(VALU_DEP_1)
	v_add3_u32 v19, v25, v19, v23
	v_mul_i32_i24_e32 v23, v30, v35
	v_mul_i32_i24_e32 v25, v30, v62
	scratch_load_b32 v35, off, off offset:4 th:TH_LOAD_LU ; 4-byte Folded Reload
	v_add3_u32 v5, v5, v15, v23
	v_mul_i32_i24_e32 v15, v198, v74
	v_mul_i32_i24_e32 v23, v199, v38
	s_delay_alu instid0(VALU_DEP_1)
	v_add3_u32 v15, v27, v15, v23
	v_mul_i32_i24_e32 v23, v28, v39
	scratch_load_b32 v39, off, off offset:20 th:TH_LOAD_LU ; 4-byte Folded Reload
	v_add3_u32 v4, v4, v23, v25
	v_mul_i32_i24_e32 v23, v198, v53
	v_mul_i32_i24_e32 v25, v199, v40
	s_delay_alu instid0(VALU_DEP_1) | instskip(SKIP_2) | instid1(VALU_DEP_3)
	v_add3_u32 v9, v9, v23, v25
	v_mul_i32_i24_e32 v23, v28, v41
	v_mul_i32_i24_e32 v25, v30, v82
	v_cvt_f32_i32_e32 v9, v9
	s_delay_alu instid0(VALU_DEP_2) | instskip(SKIP_3) | instid1(VALU_DEP_2)
	v_add3_u32 v3, v3, v23, v25
	v_mul_i32_i24_e32 v23, v198, v2
	v_mul_i32_i24_e32 v25, v199, v42
	;; [unrolled: 1-line block ×3, first 2 shown]
	v_add3_u32 v10, v10, v23, v25
	v_mul_i32_i24_e32 v23, v28, v43
	v_mul_i32_i24_e32 v25, v30, v60
	scratch_load_b32 v43, off, off offset:32 th:TH_LOAD_LU ; 4-byte Folded Reload
	v_cvt_f32_i32_e32 v10, v10
	v_add3_u32 v1, v1, v23, v25
	v_mul_i32_i24_e32 v23, v198, v48
	v_mul_i32_i24_e32 v25, v199, v44
	s_delay_alu instid0(VALU_DEP_1) | instskip(SKIP_2) | instid1(VALU_DEP_3)
	v_add3_u32 v11, v11, v23, v25
	v_mul_i32_i24_e32 v23, v28, v45
	v_mul_i32_i24_e32 v25, v30, v54
	v_cvt_f32_i32_e32 v11, v11
	s_delay_alu instid0(VALU_DEP_2) | instskip(SKIP_1) | instid1(VALU_DEP_1)
	v_add3_u32 v6, v6, v23, v25
	v_mul_i32_i24_e32 v23, v24, v59
	v_add3_u32 v7, v7, v23, v22
	v_mul_i32_i24_e32 v22, v24, v68
	v_mul_i32_i24_e32 v23, v26, v34
	scratch_load_b32 v34, off, off offset:60 th:TH_LOAD_LU ; 4-byte Folded Reload
	v_add3_u32 v5, v5, v22, v23
	v_mul_i32_i24_e32 v22, v24, v74
	v_mul_i32_i24_e32 v23, v26, v38
	scratch_load_b32 v74, off, off offset:68 th:TH_LOAD_LU ; 4-byte Folded Reload
	v_cvt_f32_i32_e32 v5, v5
	v_add3_u32 v4, v4, v22, v23
	v_mul_i32_i24_e32 v22, v24, v53
	v_mul_i32_i24_e32 v23, v26, v40
	scratch_load_b32 v40, off, off offset:24 th:TH_LOAD_LU ; 4-byte Folded Reload
	v_cvt_f32_i32_e32 v4, v4
	v_add3_u32 v3, v3, v22, v23
	v_mul_i32_i24_e32 v22, v26, v42
	s_clause 0x2
	scratch_load_b32 v42, off, off offset:28 th:TH_LOAD_LU
	scratch_load_b32 v38, off, off offset:16 th:TH_LOAD_LU
	;; [unrolled: 1-line block ×3, first 2 shown]
	v_cvt_f32_i32_e32 v3, v3
	v_add3_u32 v1, v1, v2, v22
	v_mul_i32_i24_e32 v2, v24, v48
	v_mul_i32_i24_e32 v22, v26, v44
	s_delay_alu instid0(VALU_DEP_3) | instskip(NEXT) | instid1(VALU_DEP_2)
	v_cvt_f32_i32_e32 v1, v1
	v_add3_u32 v2, v6, v2, v22
	scratch_load_b32 v22, off, off offset:152 th:TH_LOAD_LU ; 4-byte Folded Reload
	v_cvt_f32_i32_e32 v6, v206
	v_cvt_f32_i32_e32 v2, v2
	s_wait_loadcnt 0x0
	s_delay_alu instid0(VALU_DEP_2)
	v_fma_mix_f32 v6, v22, v6, v22 op_sel:[0,0,1] op_sel_hi:[1,0,1]
	scratch_load_b32 v22, off, off offset:196 th:TH_LOAD_LU ; 4-byte Folded Reload
	v_add_f32_e32 v36, v36, v6
	s_clause 0x1
	scratch_load_b32 v6, off, off offset:148 th:TH_LOAD_LU
	scratch_load_b32 v57, off, off offset:40 th:TH_LOAD_LU
	s_wait_loadcnt 0x2
	v_fma_mix_f32 v0, v22, v0, v22 op_sel:[0,0,1] op_sel_hi:[1,0,1]
	s_delay_alu instid0(VALU_DEP_1)
	v_add_f32_e32 v74, v74, v0
	v_cvt_f32_i32_e32 v0, v8
	scratch_load_b32 v8, off, off offset:144 th:TH_LOAD_LU ; 4-byte Folded Reload
	s_wait_loadcnt 0x2
	v_fma_mix_f32 v0, v6, v0, v6 op_sel:[0,0,1] op_sel_hi:[1,0,1]
	v_cvt_f32_i32_e32 v6, v13
	s_wait_loadcnt 0x0
	s_delay_alu instid0(VALU_DEP_1)
	v_fma_mix_f32 v6, v8, v6, v8 op_sel:[0,0,1] op_sel_hi:[1,0,1]
	v_cvt_f32_i32_e32 v8, v64
	s_clause 0x1
	scratch_load_b32 v64, off, off offset:44 th:TH_LOAD_LU
	scratch_load_b32 v13, off, off offset:164 th:TH_LOAD_LU
	v_add_f32_e32 v104, v104, v6
	s_wait_loadcnt 0x0
	v_fma_mix_f32 v8, v13, v8, v13 op_sel:[0,0,1] op_sel_hi:[1,0,1]
	v_cvt_f32_i32_e32 v13, v65
	s_clause 0x1
	scratch_load_b32 v65, off, off offset:48 th:TH_LOAD_LU
	scratch_load_b32 v22, off, off offset:156 th:TH_LOAD_LU
	v_add_f32_e32 v64, v64, v8
	s_wait_loadcnt 0x0
	v_fma_mix_f32 v13, v22, v13, v22 op_sel:[0,0,1] op_sel_hi:[1,0,1]
	v_cvt_f32_i32_e32 v22, v71
	s_clause 0x6
	scratch_load_b32 v71, off, off offset:64 th:TH_LOAD_LU
	scratch_load_b32 v23, off, off offset:168 th:TH_LOAD_LU
	;; [unrolled: 1-line block ×7, first 2 shown]
	v_add_f32_e32 v57, v57, v13
	s_wait_loadcnt 0x5
	v_fma_mix_f32 v22, v23, v22, v23 op_sel:[0,0,1] op_sel_hi:[1,0,1]
	v_cvt_f32_i32_e32 v23, v72
	s_delay_alu instid0(VALU_DEP_2) | instskip(SKIP_1) | instid1(VALU_DEP_2)
	v_add_f32_e32 v42, v42, v22
	s_wait_loadcnt 0x3
	v_fma_mix_f32 v23, v24, v23, v24 op_sel:[0,0,1] op_sel_hi:[1,0,1]
	v_cvt_f32_i32_e32 v24, v47
	s_delay_alu instid0(VALU_DEP_2) | instskip(SKIP_1) | instid1(VALU_DEP_2)
	;; [unrolled: 5-line block ×3, first 2 shown]
	v_add_f32_e32 v37, v37, v24
	s_wait_loadcnt 0x0
	v_fma_mix_f32 v25, v26, v25, v26 op_sel:[0,0,1] op_sel_hi:[1,0,1]
	v_cvt_f32_i32_e32 v26, v78
	s_delay_alu instid0(VALU_DEP_2) | instskip(NEXT) | instid1(VALU_DEP_2)
	v_add_f32_e32 v35, v35, v25
	v_fma_mix_f32 v26, v27, v26, v27 op_sel:[0,0,1] op_sel_hi:[1,0,1]
	v_cvt_f32_i32_e32 v27, v79
	s_clause 0x6
	scratch_load_b32 v79, off, off offset:76 th:TH_LOAD_LU
	scratch_load_b32 v28, off, off offset:176 th:TH_LOAD_LU
	;; [unrolled: 1-line block ×7, first 2 shown]
	s_wait_loadcnt 0x6
	v_dual_add_f32 v112, v112, v26 :: v_dual_add_f32 v79, v79, v0
	v_cvt_f32_i32_e32 v0, v14
	scratch_load_b32 v14, off, off offset:140 th:TH_LOAD_LU ; 4-byte Folded Reload
	s_wait_loadcnt 0x6
	v_fma_mix_f32 v27, v28, v27, v28 op_sel:[0,0,1] op_sel_hi:[1,0,1]
	scratch_load_b32 v28, off, off offset:200 th:TH_LOAD_LU ; 4-byte Folded Reload
	s_wait_loadcnt 0x6
	v_fma_mix_f32 v0, v6, v0, v6 op_sel:[0,0,1] op_sel_hi:[1,0,1]
	v_cvt_f32_i32_e32 v6, v20
	scratch_load_b32 v20, off, off offset:136 th:TH_LOAD_LU ; 4-byte Folded Reload
	v_dual_add_f32 v111, v111, v27 :: v_dual_add_f32 v84, v84, v0
	v_cvt_f32_i32_e32 v0, v12
	scratch_load_b32 v12, off, off offset:112 th:TH_LOAD_LU ; 4-byte Folded Reload
	s_wait_loadcnt 0x7
	v_fma_mix_f32 v0, v8, v0, v8 op_sel:[0,0,1] op_sel_hi:[1,0,1]
	scratch_load_b32 v8, off, off offset:108 th:TH_LOAD_LU ; 4-byte Folded Reload
	v_add_f32_e32 v198, v198, v0
	v_cvt_f32_i32_e32 v0, v7
	s_wait_loadcnt 0x4
	v_fma_mix_f32 v6, v14, v6, v14 op_sel:[0,0,1] op_sel_hi:[1,0,1]
	v_cvt_f32_i32_e32 v14, v21
	s_wait_loadcnt 0x3
	v_fma_mix_f32 v17, v28, v17, v28 op_sel:[0,0,1] op_sel_hi:[1,0,1]
	scratch_load_b32 v28, off, off offset:204 th:TH_LOAD_LU ; 4-byte Folded Reload
	v_add_f32_e32 v71, v71, v6
	v_cvt_f32_i32_e32 v6, v16
	v_add_f32_e32 v107, v107, v17
	s_wait_loadcnt 0x1
	s_delay_alu instid0(VALU_DEP_2) | instskip(SKIP_1) | instid1(VALU_DEP_2)
	v_fma_mix_f32 v6, v8, v6, v8 op_sel:[0,0,1] op_sel_hi:[1,0,1]
	v_cvt_f32_i32_e32 v8, v19
	v_add_f32_e32 v66, v66, v6
	scratch_load_b32 v6, off, off offset:80 th:TH_LOAD_LU ; 4-byte Folded Reload
	v_fma_mix_f32 v8, v12, v8, v12 op_sel:[0,0,1] op_sel_hi:[1,0,1]
	v_cvt_f32_i32_e32 v12, v15
	s_delay_alu instid0(VALU_DEP_2)
	v_add_f32_e32 v50, v50, v8
	s_wait_loadcnt 0x0
	v_fma_mix_f32 v0, v6, v0, v6 op_sel:[0,0,1] op_sel_hi:[1,0,1]
	scratch_load_b32 v6, off, off offset:84 th:TH_LOAD_LU ; 4-byte Folded Reload
	v_fma_mix_f32 v12, v13, v12, v13 op_sel:[0,0,1] op_sel_hi:[1,0,1]
	scratch_load_b32 v13, off, off offset:120 th:TH_LOAD_LU ; 4-byte Folded Reload
	v_fma_mix_f32 v18, v28, v18, v28 op_sel:[0,0,1] op_sel_hi:[1,0,1]
	v_cvt_f32_i32_e32 v28, v55
	v_add_f32_e32 v65, v65, v0
	s_delay_alu instid0(VALU_DEP_3)
	v_dual_add_f32 v39, v39, v12 :: v_dual_add_f32 v106, v106, v18
	s_wait_loadcnt 0x1
	v_fma_mix_f32 v5, v6, v5, v6 op_sel:[0,0,1] op_sel_hi:[1,0,1]
	scratch_load_b32 v6, off, off offset:88 th:TH_LOAD_LU ; 4-byte Folded Reload
	s_wait_loadcnt 0x1
	v_fma_mix_f32 v9, v13, v9, v13 op_sel:[0,0,1] op_sel_hi:[1,0,1]
	scratch_load_b32 v13, off, off offset:128 th:TH_LOAD_LU ; 4-byte Folded Reload
	v_add_f32_e32 v43, v43, v5
	v_add_f32_e32 v120, v120, v9
	s_wait_loadcnt 0x1
	v_fma_mix_f32 v4, v6, v4, v6 op_sel:[0,0,1] op_sel_hi:[1,0,1]
	scratch_load_b32 v6, off, off offset:92 th:TH_LOAD_LU ; 4-byte Folded Reload
	s_wait_loadcnt 0x1
	v_fma_mix_f32 v10, v13, v10, v13 op_sel:[0,0,1] op_sel_hi:[1,0,1]
	scratch_load_b32 v13, off, off offset:124 th:TH_LOAD_LU ; 4-byte Folded Reload
	v_add_f32_e32 v38, v38, v4
	v_add_f32_e32 v110, v110, v10
	s_wait_loadcnt 0x1
	v_fma_mix_f32 v3, v6, v3, v6 op_sel:[0,0,1] op_sel_hi:[1,0,1]
	scratch_load_b32 v6, off, off offset:100 th:TH_LOAD_LU ; 4-byte Folded Reload
	v_fma_mix_f32 v28, v29, v28, v29 op_sel:[0,0,1] op_sel_hi:[1,0,1]
	v_cvt_f32_i32_e32 v29, v56
	s_wait_loadcnt 0x1
	v_fma_mix_f32 v11, v13, v11, v13 op_sel:[0,0,1] op_sel_hi:[1,0,1]
	v_add_f32_e32 v117, v117, v3
	v_add_f32_e32 v33, v33, v28
	v_fma_mix_f32 v29, v30, v29, v30 op_sel:[0,0,1] op_sel_hi:[1,0,1]
	s_delay_alu instid0(VALU_DEP_1)
	v_dual_add_f32 v105, v105, v11 :: v_dual_add_f32 v32, v32, v29
	s_wait_loadcnt 0x0
	v_fma_mix_f32 v1, v6, v1, v6 op_sel:[0,0,1] op_sel_hi:[1,0,1]
	scratch_load_b32 v6, off, off offset:96 th:TH_LOAD_LU ; 4-byte Folded Reload
	v_fma_mix_f32 v14, v20, v14, v20 op_sel:[0,0,1] op_sel_hi:[1,0,1]
	v_add_f32_e32 v109, v109, v1
	s_delay_alu instid0(VALU_DEP_2) | instskip(SKIP_2) | instid1(VALU_DEP_1)
	v_add_f32_e32 v101, v101, v14
	s_wait_loadcnt 0x0
	v_fma_mix_f32 v2, v6, v2, v6 op_sel:[0,0,1] op_sel_hi:[1,0,1]
	v_add_f32_e32 v34, v34, v2
	s_cbranch_scc1 .LBB120_12
; %bb.13:                               ;   in Loop: Header=BB120_7 Depth=1
	s_wait_storecnt 0x0
	s_barrier_signal -1
	s_barrier_wait -1
	global_inv scope:SCOPE_SE
	s_branch .LBB120_5
.LBB120_14:
	s_clause 0x2
	scratch_load_b32 v1, off, off offset:584 th:TH_LOAD_LU
	scratch_load_b32 v2, off, off offset:208 th:TH_LOAD_LU
	scratch_load_b32 v3, off, off offset:588
.LBB120_15:
	s_mov_b32 s0, exec_lo
	s_wait_loadcnt 0x0
	v_cmpx_gt_u32_e64 s6, v3
	s_cbranch_execz .LBB120_66
; %bb.16:
	v_add_nc_u32_e32 v0, s14, v2
	v_mul_lo_u32 v5, v3, s12
	s_delay_alu instid0(VALU_DEP_2)
	v_cmp_gt_u32_e32 vcc_lo, s12, v0
	s_and_saveexec_b32 s1, vcc_lo
	s_cbranch_execz .LBB120_18
; %bb.17:
	s_delay_alu instid0(VALU_DEP_2) | instskip(NEXT) | instid1(VALU_DEP_1)
	v_dual_mov_b32 v3, 0 :: v_dual_add_nc_u32 v2, v0, v5
	v_lshlrev_b64_e32 v[2:3], 2, v[2:3]
	s_wait_kmcnt 0x0
	s_delay_alu instid0(VALU_DEP_1) | instskip(NEXT) | instid1(VALU_DEP_1)
	v_add_co_u32 v2, s0, s8, v2
	v_add_co_ci_u32_e64 v3, null, s9, v3, s0
	global_store_b32 v[2:3], v36, off
.LBB120_18:
	s_or_b32 exec_lo, exec_lo, s1
	v_add_nc_u32_e32 v2, 32, v0
	s_delay_alu instid0(VALU_DEP_1)
	v_cmp_gt_u32_e64 s0, s12, v2
	s_and_saveexec_b32 s2, s0
	s_cbranch_execz .LBB120_20
; %bb.19:
	v_dual_mov_b32 v4, 0 :: v_dual_add_nc_u32 v3, v2, v5
	s_delay_alu instid0(VALU_DEP_1) | instskip(SKIP_1) | instid1(VALU_DEP_1)
	v_lshlrev_b64_e32 v[3:4], 2, v[3:4]
	s_wait_kmcnt 0x0
	v_add_co_u32 v3, s1, s8, v3
	s_wait_alu 0xf1ff
	s_delay_alu instid0(VALU_DEP_2)
	v_add_co_ci_u32_e64 v4, null, s9, v4, s1
	global_store_b32 v[3:4], v84, off
.LBB120_20:
	s_wait_alu 0xfffe
	s_or_b32 exec_lo, exec_lo, s2
	v_add_nc_u32_e32 v3, 64, v0
	s_delay_alu instid0(VALU_DEP_1)
	v_cmp_gt_u32_e64 s1, s12, v3
	s_and_saveexec_b32 s3, s1
	s_cbranch_execz .LBB120_22
; %bb.21:
	v_dual_mov_b32 v7, 0 :: v_dual_add_nc_u32 v6, v3, v5
	s_delay_alu instid0(VALU_DEP_1) | instskip(SKIP_1) | instid1(VALU_DEP_1)
	v_lshlrev_b64_e32 v[6:7], 2, v[6:7]
	s_wait_kmcnt 0x0
	v_add_co_u32 v6, s2, s8, v6
	s_wait_alu 0xf1ff
	s_delay_alu instid0(VALU_DEP_2)
	v_add_co_ci_u32_e64 v7, null, s9, v7, s2
	global_store_b32 v[6:7], v79, off
.LBB120_22:
	s_wait_alu 0xfffe
	;; [unrolled: 18-line block ×3, first 2 shown]
	s_or_b32 exec_lo, exec_lo, s4
	v_add3_u32 v5, v1, s13, 8
	s_delay_alu instid0(VALU_DEP_1)
	v_cmp_gt_u32_e64 s3, s6, v5
	s_and_b32 exec_lo, exec_lo, s3
	s_cbranch_execz .LBB120_66
; %bb.25:
	v_mul_lo_u32 v5, v5, s12
	s_and_saveexec_b32 s4, vcc_lo
	s_cbranch_execnz .LBB120_67
; %bb.26:
	s_wait_alu 0xfffe
	s_or_b32 exec_lo, exec_lo, s4
	s_and_saveexec_b32 s4, s0
	s_cbranch_execnz .LBB120_68
.LBB120_27:
	s_wait_alu 0xfffe
	s_or_b32 exec_lo, exec_lo, s4
	s_and_saveexec_b32 s4, s1
	s_cbranch_execnz .LBB120_69
.LBB120_28:
	s_wait_alu 0xfffe
	s_or_b32 exec_lo, exec_lo, s4
	s_and_saveexec_b32 s4, s2
	s_cbranch_execz .LBB120_30
.LBB120_29:
	v_dual_mov_b32 v6, 0 :: v_dual_add_nc_u32 v5, v5, v4
	s_delay_alu instid0(VALU_DEP_1) | instskip(SKIP_1) | instid1(VALU_DEP_1)
	v_lshlrev_b64_e32 v[5:6], 2, v[5:6]
	s_wait_kmcnt 0x0
	v_add_co_u32 v5, s3, s8, v5
	s_wait_alu 0xf1ff
	s_delay_alu instid0(VALU_DEP_2)
	v_add_co_ci_u32_e64 v6, null, s9, v6, s3
	global_store_b32 v[5:6], v101, off
.LBB120_30:
	s_wait_alu 0xfffe
	s_or_b32 exec_lo, exec_lo, s4
	v_add3_u32 v5, v1, s13, 16
	s_delay_alu instid0(VALU_DEP_1)
	v_cmp_gt_u32_e64 s3, s6, v5
	s_and_b32 exec_lo, exec_lo, s3
	s_cbranch_execz .LBB120_66
; %bb.31:
	v_mul_lo_u32 v5, v5, s12
	s_and_saveexec_b32 s4, vcc_lo
	s_cbranch_execnz .LBB120_70
; %bb.32:
	s_wait_alu 0xfffe
	s_or_b32 exec_lo, exec_lo, s4
	s_and_saveexec_b32 s4, s0
	s_cbranch_execnz .LBB120_71
.LBB120_33:
	s_wait_alu 0xfffe
	s_or_b32 exec_lo, exec_lo, s4
	s_and_saveexec_b32 s4, s1
	s_cbranch_execnz .LBB120_72
.LBB120_34:
	s_wait_alu 0xfffe
	s_or_b32 exec_lo, exec_lo, s4
	s_and_saveexec_b32 s4, s2
	s_cbranch_execz .LBB120_36
.LBB120_35:
	v_dual_mov_b32 v6, 0 :: v_dual_add_nc_u32 v5, v5, v4
	s_delay_alu instid0(VALU_DEP_1) | instskip(SKIP_1) | instid1(VALU_DEP_1)
	v_lshlrev_b64_e32 v[5:6], 2, v[5:6]
	s_wait_kmcnt 0x0
	v_add_co_u32 v5, s3, s8, v5
	s_wait_alu 0xf1ff
	s_delay_alu instid0(VALU_DEP_2)
	v_add_co_ci_u32_e64 v6, null, s9, v6, s3
	global_store_b32 v[5:6], v57, off
.LBB120_36:
	s_wait_alu 0xfffe
	s_or_b32 exec_lo, exec_lo, s4
	v_add3_u32 v5, v1, s13, 24
	s_delay_alu instid0(VALU_DEP_1)
	v_cmp_gt_u32_e64 s3, s6, v5
	s_and_b32 exec_lo, exec_lo, s3
	s_cbranch_execz .LBB120_66
; %bb.37:
	v_mul_lo_u32 v5, v5, s12
	s_and_saveexec_b32 s4, vcc_lo
	s_cbranch_execnz .LBB120_73
; %bb.38:
	s_wait_alu 0xfffe
	s_or_b32 exec_lo, exec_lo, s4
	s_and_saveexec_b32 s4, s0
	s_cbranch_execnz .LBB120_74
.LBB120_39:
	s_wait_alu 0xfffe
	s_or_b32 exec_lo, exec_lo, s4
	s_and_saveexec_b32 s4, s1
	s_cbranch_execnz .LBB120_75
.LBB120_40:
	s_wait_alu 0xfffe
	s_or_b32 exec_lo, exec_lo, s4
	s_and_saveexec_b32 s4, s2
	s_cbranch_execz .LBB120_42
.LBB120_41:
	v_dual_mov_b32 v6, 0 :: v_dual_add_nc_u32 v5, v5, v4
	s_delay_alu instid0(VALU_DEP_1) | instskip(SKIP_1) | instid1(VALU_DEP_1)
	v_lshlrev_b64_e32 v[5:6], 2, v[5:6]
	s_wait_kmcnt 0x0
	v_add_co_u32 v5, s3, s8, v5
	s_wait_alu 0xf1ff
	s_delay_alu instid0(VALU_DEP_2)
	v_add_co_ci_u32_e64 v6, null, s9, v6, s3
	global_store_b32 v[5:6], v40, off
.LBB120_42:
	s_wait_alu 0xfffe
	s_or_b32 exec_lo, exec_lo, s4
	v_add3_u32 v5, v1, s13, 32
	s_delay_alu instid0(VALU_DEP_1)
	v_cmp_gt_u32_e64 s3, s6, v5
	s_and_b32 exec_lo, exec_lo, s3
	s_cbranch_execz .LBB120_66
; %bb.43:
	v_mul_lo_u32 v5, v5, s12
	s_and_saveexec_b32 s4, vcc_lo
	s_cbranch_execnz .LBB120_76
; %bb.44:
	s_wait_alu 0xfffe
	s_or_b32 exec_lo, exec_lo, s4
	s_and_saveexec_b32 s4, s0
	s_cbranch_execnz .LBB120_77
.LBB120_45:
	s_wait_alu 0xfffe
	s_or_b32 exec_lo, exec_lo, s4
	s_and_saveexec_b32 s4, s1
	s_cbranch_execnz .LBB120_78
.LBB120_46:
	s_wait_alu 0xfffe
	s_or_b32 exec_lo, exec_lo, s4
	s_and_saveexec_b32 s4, s2
	s_cbranch_execz .LBB120_48
.LBB120_47:
	v_dual_mov_b32 v6, 0 :: v_dual_add_nc_u32 v5, v5, v4
	s_delay_alu instid0(VALU_DEP_1) | instskip(SKIP_1) | instid1(VALU_DEP_1)
	v_lshlrev_b64_e32 v[5:6], 2, v[5:6]
	s_wait_kmcnt 0x0
	v_add_co_u32 v5, s3, s8, v5
	s_wait_alu 0xf1ff
	s_delay_alu instid0(VALU_DEP_2)
	v_add_co_ci_u32_e64 v6, null, s9, v6, s3
	global_store_b32 v[5:6], v35, off
.LBB120_48:
	s_wait_alu 0xfffe
	s_or_b32 exec_lo, exec_lo, s4
	v_add3_u32 v5, v1, s13, 40
	s_delay_alu instid0(VALU_DEP_1)
	v_cmp_gt_u32_e64 s3, s6, v5
	s_and_b32 exec_lo, exec_lo, s3
	s_cbranch_execz .LBB120_66
; %bb.49:
	v_mul_lo_u32 v5, v5, s12
	s_and_saveexec_b32 s4, vcc_lo
	s_cbranch_execnz .LBB120_79
; %bb.50:
	s_wait_alu 0xfffe
	s_or_b32 exec_lo, exec_lo, s4
	s_and_saveexec_b32 s4, s0
	s_cbranch_execnz .LBB120_80
.LBB120_51:
	s_wait_alu 0xfffe
	s_or_b32 exec_lo, exec_lo, s4
	s_and_saveexec_b32 s4, s1
	s_cbranch_execnz .LBB120_81
.LBB120_52:
	s_wait_alu 0xfffe
	s_or_b32 exec_lo, exec_lo, s4
	s_and_saveexec_b32 s4, s2
	s_cbranch_execz .LBB120_54
.LBB120_53:
	v_dual_mov_b32 v6, 0 :: v_dual_add_nc_u32 v5, v5, v4
	s_delay_alu instid0(VALU_DEP_1) | instskip(SKIP_1) | instid1(VALU_DEP_1)
	v_lshlrev_b64_e32 v[5:6], 2, v[5:6]
	s_wait_kmcnt 0x0
	v_add_co_u32 v5, s3, s8, v5
	s_wait_alu 0xf1ff
	s_delay_alu instid0(VALU_DEP_2)
	v_add_co_ci_u32_e64 v6, null, s9, v6, s3
	global_store_b32 v[5:6], v111, off
.LBB120_54:
	s_wait_alu 0xfffe
	s_or_b32 exec_lo, exec_lo, s4
	v_add3_u32 v5, v1, s13, 48
	s_delay_alu instid0(VALU_DEP_1)
	v_cmp_gt_u32_e64 s3, s6, v5
	s_and_b32 exec_lo, exec_lo, s3
	s_cbranch_execz .LBB120_66
; %bb.55:
	v_mul_lo_u32 v5, v5, s12
	s_and_saveexec_b32 s4, vcc_lo
	s_cbranch_execnz .LBB120_82
; %bb.56:
	s_wait_alu 0xfffe
	s_or_b32 exec_lo, exec_lo, s4
	s_and_saveexec_b32 s4, s0
	s_cbranch_execnz .LBB120_83
.LBB120_57:
	s_wait_alu 0xfffe
	s_or_b32 exec_lo, exec_lo, s4
	s_and_saveexec_b32 s4, s1
	s_cbranch_execnz .LBB120_84
.LBB120_58:
	s_wait_alu 0xfffe
	s_or_b32 exec_lo, exec_lo, s4
	s_and_saveexec_b32 s4, s2
	s_cbranch_execz .LBB120_60
.LBB120_59:
	v_dual_mov_b32 v6, 0 :: v_dual_add_nc_u32 v5, v5, v4
	s_delay_alu instid0(VALU_DEP_1) | instskip(SKIP_1) | instid1(VALU_DEP_1)
	v_lshlrev_b64_e32 v[5:6], 2, v[5:6]
	s_wait_kmcnt 0x0
	v_add_co_u32 v5, s3, s8, v5
	s_wait_alu 0xf1ff
	s_delay_alu instid0(VALU_DEP_2)
	v_add_co_ci_u32_e64 v6, null, s9, v6, s3
	global_store_b32 v[5:6], v106, off
.LBB120_60:
	s_wait_alu 0xfffe
	s_or_b32 exec_lo, exec_lo, s4
	v_add3_u32 v1, v1, s13, 56
	s_delay_alu instid0(VALU_DEP_1)
	v_cmp_gt_u32_e64 s3, s6, v1
	s_and_b32 exec_lo, exec_lo, s3
	s_cbranch_execz .LBB120_66
; %bb.61:
	v_mul_lo_u32 v1, v1, s12
	s_and_saveexec_b32 s3, vcc_lo
	s_cbranch_execnz .LBB120_85
; %bb.62:
	s_wait_alu 0xfffe
	s_or_b32 exec_lo, exec_lo, s3
	s_and_saveexec_b32 s3, s0
	s_cbranch_execnz .LBB120_86
.LBB120_63:
	s_wait_alu 0xfffe
	s_or_b32 exec_lo, exec_lo, s3
	s_and_saveexec_b32 s0, s1
	s_cbranch_execnz .LBB120_87
.LBB120_64:
	s_wait_alu 0xfffe
	s_or_b32 exec_lo, exec_lo, s0
	s_delay_alu instid0(SALU_CYCLE_1)
	s_and_b32 exec_lo, exec_lo, s2
	s_cbranch_execz .LBB120_66
.LBB120_65:
	v_dual_mov_b32 v1, 0 :: v_dual_add_nc_u32 v0, v1, v4
	s_delay_alu instid0(VALU_DEP_1) | instskip(SKIP_1) | instid1(VALU_DEP_1)
	v_lshlrev_b64_e32 v[0:1], 2, v[0:1]
	s_wait_kmcnt 0x0
	v_add_co_u32 v0, vcc_lo, s8, v0
	s_wait_alu 0xfffd
	s_delay_alu instid0(VALU_DEP_2)
	v_add_co_ci_u32_e64 v1, null, s9, v1, vcc_lo
	global_store_b32 v[0:1], v32, off
.LBB120_66:
	s_nop 0
	s_sendmsg sendmsg(MSG_DEALLOC_VGPRS)
	s_endpgm
.LBB120_67:
	s_delay_alu instid0(VALU_DEP_1) | instskip(NEXT) | instid1(VALU_DEP_1)
	v_dual_mov_b32 v7, 0 :: v_dual_add_nc_u32 v6, v5, v0
	v_lshlrev_b64_e32 v[6:7], 2, v[6:7]
	s_wait_kmcnt 0x0
	s_delay_alu instid0(VALU_DEP_1) | instskip(SKIP_1) | instid1(VALU_DEP_2)
	v_add_co_u32 v6, s3, s8, v6
	s_wait_alu 0xf1ff
	v_add_co_ci_u32_e64 v7, null, s9, v7, s3
	global_store_b32 v[6:7], v198, off
	s_wait_alu 0xfffe
	s_or_b32 exec_lo, exec_lo, s4
	s_and_saveexec_b32 s4, s0
	s_cbranch_execz .LBB120_27
.LBB120_68:
	s_delay_alu instid0(VALU_DEP_1) | instskip(NEXT) | instid1(VALU_DEP_1)
	v_dual_mov_b32 v7, 0 :: v_dual_add_nc_u32 v6, v5, v2
	v_lshlrev_b64_e32 v[6:7], 2, v[6:7]
	s_wait_kmcnt 0x0
	s_delay_alu instid0(VALU_DEP_1) | instskip(SKIP_1) | instid1(VALU_DEP_2)
	v_add_co_u32 v6, s3, s8, v6
	s_wait_alu 0xf1ff
	v_add_co_ci_u32_e64 v7, null, s9, v7, s3
	global_store_b32 v[6:7], v74, off
	s_wait_alu 0xfffe
	s_or_b32 exec_lo, exec_lo, s4
	s_and_saveexec_b32 s4, s1
	s_cbranch_execz .LBB120_28
.LBB120_69:
	v_dual_mov_b32 v7, 0 :: v_dual_add_nc_u32 v6, v5, v3
	s_delay_alu instid0(VALU_DEP_1) | instskip(SKIP_1) | instid1(VALU_DEP_1)
	v_lshlrev_b64_e32 v[6:7], 2, v[6:7]
	s_wait_kmcnt 0x0
	v_add_co_u32 v6, s3, s8, v6
	s_wait_alu 0xf1ff
	s_delay_alu instid0(VALU_DEP_2)
	v_add_co_ci_u32_e64 v7, null, s9, v7, s3
	global_store_b32 v[6:7], v71, off
	s_wait_alu 0xfffe
	s_or_b32 exec_lo, exec_lo, s4
	s_and_saveexec_b32 s4, s2
	s_cbranch_execnz .LBB120_29
	s_branch .LBB120_30
.LBB120_70:
	s_delay_alu instid0(VALU_DEP_1) | instskip(NEXT) | instid1(VALU_DEP_1)
	v_dual_mov_b32 v7, 0 :: v_dual_add_nc_u32 v6, v5, v0
	v_lshlrev_b64_e32 v[6:7], 2, v[6:7]
	s_wait_kmcnt 0x0
	s_delay_alu instid0(VALU_DEP_1) | instskip(SKIP_1) | instid1(VALU_DEP_2)
	v_add_co_u32 v6, s3, s8, v6
	s_wait_alu 0xf1ff
	v_add_co_ci_u32_e64 v7, null, s9, v7, s3
	global_store_b32 v[6:7], v66, off
	s_wait_alu 0xfffe
	s_or_b32 exec_lo, exec_lo, s4
	s_and_saveexec_b32 s4, s0
	s_cbranch_execz .LBB120_33
.LBB120_71:
	s_delay_alu instid0(VALU_DEP_1) | instskip(NEXT) | instid1(VALU_DEP_1)
	v_dual_mov_b32 v7, 0 :: v_dual_add_nc_u32 v6, v5, v2
	v_lshlrev_b64_e32 v[6:7], 2, v[6:7]
	s_wait_kmcnt 0x0
	s_delay_alu instid0(VALU_DEP_1) | instskip(SKIP_1) | instid1(VALU_DEP_2)
	v_add_co_u32 v6, s3, s8, v6
	s_wait_alu 0xf1ff
	v_add_co_ci_u32_e64 v7, null, s9, v7, s3
	global_store_b32 v[6:7], v65, off
	s_wait_alu 0xfffe
	s_or_b32 exec_lo, exec_lo, s4
	s_and_saveexec_b32 s4, s1
	s_cbranch_execz .LBB120_34
.LBB120_72:
	v_dual_mov_b32 v7, 0 :: v_dual_add_nc_u32 v6, v5, v3
	s_delay_alu instid0(VALU_DEP_1) | instskip(SKIP_1) | instid1(VALU_DEP_1)
	v_lshlrev_b64_e32 v[6:7], 2, v[6:7]
	s_wait_kmcnt 0x0
	v_add_co_u32 v6, s3, s8, v6
	s_wait_alu 0xf1ff
	s_delay_alu instid0(VALU_DEP_2)
	v_add_co_ci_u32_e64 v7, null, s9, v7, s3
	global_store_b32 v[6:7], v64, off
	s_wait_alu 0xfffe
	s_or_b32 exec_lo, exec_lo, s4
	s_and_saveexec_b32 s4, s2
	s_cbranch_execnz .LBB120_35
	s_branch .LBB120_36
.LBB120_73:
	s_delay_alu instid0(VALU_DEP_1) | instskip(NEXT) | instid1(VALU_DEP_1)
	v_dual_mov_b32 v7, 0 :: v_dual_add_nc_u32 v6, v5, v0
	v_lshlrev_b64_e32 v[6:7], 2, v[6:7]
	s_wait_kmcnt 0x0
	s_delay_alu instid0(VALU_DEP_1) | instskip(SKIP_1) | instid1(VALU_DEP_2)
	v_add_co_u32 v6, s3, s8, v6
	s_wait_alu 0xf1ff
	v_add_co_ci_u32_e64 v7, null, s9, v7, s3
	global_store_b32 v[6:7], v50, off
	s_wait_alu 0xfffe
	s_or_b32 exec_lo, exec_lo, s4
	s_and_saveexec_b32 s4, s0
	s_cbranch_execz .LBB120_39
.LBB120_74:
	s_delay_alu instid0(VALU_DEP_1) | instskip(NEXT) | instid1(VALU_DEP_1)
	v_dual_mov_b32 v7, 0 :: v_dual_add_nc_u32 v6, v5, v2
	v_lshlrev_b64_e32 v[6:7], 2, v[6:7]
	s_wait_kmcnt 0x0
	s_delay_alu instid0(VALU_DEP_1) | instskip(SKIP_1) | instid1(VALU_DEP_2)
	v_add_co_u32 v6, s3, s8, v6
	s_wait_alu 0xf1ff
	v_add_co_ci_u32_e64 v7, null, s9, v7, s3
	global_store_b32 v[6:7], v43, off
	s_wait_alu 0xfffe
	s_or_b32 exec_lo, exec_lo, s4
	s_and_saveexec_b32 s4, s1
	s_cbranch_execz .LBB120_40
.LBB120_75:
	v_dual_mov_b32 v7, 0 :: v_dual_add_nc_u32 v6, v5, v3
	s_delay_alu instid0(VALU_DEP_1) | instskip(SKIP_1) | instid1(VALU_DEP_1)
	v_lshlrev_b64_e32 v[6:7], 2, v[6:7]
	s_wait_kmcnt 0x0
	v_add_co_u32 v6, s3, s8, v6
	s_wait_alu 0xf1ff
	s_delay_alu instid0(VALU_DEP_2)
	v_add_co_ci_u32_e64 v7, null, s9, v7, s3
	global_store_b32 v[6:7], v42, off
	s_wait_alu 0xfffe
	s_or_b32 exec_lo, exec_lo, s4
	s_and_saveexec_b32 s4, s2
	s_cbranch_execnz .LBB120_41
	s_branch .LBB120_42
.LBB120_76:
	s_delay_alu instid0(VALU_DEP_1) | instskip(NEXT) | instid1(VALU_DEP_1)
	v_dual_mov_b32 v7, 0 :: v_dual_add_nc_u32 v6, v5, v0
	v_lshlrev_b64_e32 v[6:7], 2, v[6:7]
	s_wait_kmcnt 0x0
	s_delay_alu instid0(VALU_DEP_1) | instskip(SKIP_1) | instid1(VALU_DEP_2)
	v_add_co_u32 v6, s3, s8, v6
	s_wait_alu 0xf1ff
	v_add_co_ci_u32_e64 v7, null, s9, v7, s3
	global_store_b32 v[6:7], v39, off
	s_wait_alu 0xfffe
	s_or_b32 exec_lo, exec_lo, s4
	s_and_saveexec_b32 s4, s0
	s_cbranch_execz .LBB120_45
.LBB120_77:
	s_delay_alu instid0(VALU_DEP_1) | instskip(NEXT) | instid1(VALU_DEP_1)
	v_dual_mov_b32 v7, 0 :: v_dual_add_nc_u32 v6, v5, v2
	v_lshlrev_b64_e32 v[6:7], 2, v[6:7]
	s_wait_kmcnt 0x0
	s_delay_alu instid0(VALU_DEP_1) | instskip(SKIP_1) | instid1(VALU_DEP_2)
	v_add_co_u32 v6, s3, s8, v6
	s_wait_alu 0xf1ff
	v_add_co_ci_u32_e64 v7, null, s9, v7, s3
	global_store_b32 v[6:7], v38, off
	s_wait_alu 0xfffe
	s_or_b32 exec_lo, exec_lo, s4
	s_and_saveexec_b32 s4, s1
	s_cbranch_execz .LBB120_46
.LBB120_78:
	v_dual_mov_b32 v7, 0 :: v_dual_add_nc_u32 v6, v5, v3
	s_delay_alu instid0(VALU_DEP_1) | instskip(SKIP_1) | instid1(VALU_DEP_1)
	v_lshlrev_b64_e32 v[6:7], 2, v[6:7]
	s_wait_kmcnt 0x0
	v_add_co_u32 v6, s3, s8, v6
	s_wait_alu 0xf1ff
	s_delay_alu instid0(VALU_DEP_2)
	v_add_co_ci_u32_e64 v7, null, s9, v7, s3
	global_store_b32 v[6:7], v37, off
	s_wait_alu 0xfffe
	s_or_b32 exec_lo, exec_lo, s4
	s_and_saveexec_b32 s4, s2
	s_cbranch_execnz .LBB120_47
	s_branch .LBB120_48
.LBB120_79:
	s_delay_alu instid0(VALU_DEP_1) | instskip(NEXT) | instid1(VALU_DEP_1)
	v_dual_mov_b32 v7, 0 :: v_dual_add_nc_u32 v6, v5, v0
	v_lshlrev_b64_e32 v[6:7], 2, v[6:7]
	s_wait_kmcnt 0x0
	s_delay_alu instid0(VALU_DEP_1) | instskip(SKIP_1) | instid1(VALU_DEP_2)
	v_add_co_u32 v6, s3, s8, v6
	s_wait_alu 0xf1ff
	v_add_co_ci_u32_e64 v7, null, s9, v7, s3
	global_store_b32 v[6:7], v120, off
	s_wait_alu 0xfffe
	s_or_b32 exec_lo, exec_lo, s4
	s_and_saveexec_b32 s4, s0
	s_cbranch_execz .LBB120_51
.LBB120_80:
	s_delay_alu instid0(VALU_DEP_1) | instskip(NEXT) | instid1(VALU_DEP_1)
	v_dual_mov_b32 v7, 0 :: v_dual_add_nc_u32 v6, v5, v2
	v_lshlrev_b64_e32 v[6:7], 2, v[6:7]
	s_wait_kmcnt 0x0
	s_delay_alu instid0(VALU_DEP_1) | instskip(SKIP_1) | instid1(VALU_DEP_2)
	v_add_co_u32 v6, s3, s8, v6
	s_wait_alu 0xf1ff
	v_add_co_ci_u32_e64 v7, null, s9, v7, s3
	global_store_b32 v[6:7], v117, off
	s_wait_alu 0xfffe
	s_or_b32 exec_lo, exec_lo, s4
	s_and_saveexec_b32 s4, s1
	s_cbranch_execz .LBB120_52
.LBB120_81:
	v_dual_mov_b32 v7, 0 :: v_dual_add_nc_u32 v6, v5, v3
	s_delay_alu instid0(VALU_DEP_1) | instskip(SKIP_1) | instid1(VALU_DEP_1)
	v_lshlrev_b64_e32 v[6:7], 2, v[6:7]
	s_wait_kmcnt 0x0
	v_add_co_u32 v6, s3, s8, v6
	s_wait_alu 0xf1ff
	s_delay_alu instid0(VALU_DEP_2)
	v_add_co_ci_u32_e64 v7, null, s9, v7, s3
	global_store_b32 v[6:7], v112, off
	s_wait_alu 0xfffe
	s_or_b32 exec_lo, exec_lo, s4
	s_and_saveexec_b32 s4, s2
	s_cbranch_execnz .LBB120_53
	s_branch .LBB120_54
.LBB120_82:
	s_delay_alu instid0(VALU_DEP_1) | instskip(NEXT) | instid1(VALU_DEP_1)
	v_dual_mov_b32 v7, 0 :: v_dual_add_nc_u32 v6, v5, v0
	v_lshlrev_b64_e32 v[6:7], 2, v[6:7]
	s_wait_kmcnt 0x0
	s_delay_alu instid0(VALU_DEP_1) | instskip(SKIP_1) | instid1(VALU_DEP_2)
	v_add_co_u32 v6, s3, s8, v6
	s_wait_alu 0xf1ff
	v_add_co_ci_u32_e64 v7, null, s9, v7, s3
	global_store_b32 v[6:7], v110, off
	s_wait_alu 0xfffe
	s_or_b32 exec_lo, exec_lo, s4
	s_and_saveexec_b32 s4, s0
	s_cbranch_execz .LBB120_57
.LBB120_83:
	s_delay_alu instid0(VALU_DEP_1) | instskip(NEXT) | instid1(VALU_DEP_1)
	v_dual_mov_b32 v7, 0 :: v_dual_add_nc_u32 v6, v5, v2
	v_lshlrev_b64_e32 v[6:7], 2, v[6:7]
	s_wait_kmcnt 0x0
	s_delay_alu instid0(VALU_DEP_1) | instskip(SKIP_1) | instid1(VALU_DEP_2)
	v_add_co_u32 v6, s3, s8, v6
	s_wait_alu 0xf1ff
	v_add_co_ci_u32_e64 v7, null, s9, v7, s3
	global_store_b32 v[6:7], v109, off
	s_wait_alu 0xfffe
	s_or_b32 exec_lo, exec_lo, s4
	s_and_saveexec_b32 s4, s1
	s_cbranch_execz .LBB120_58
.LBB120_84:
	v_dual_mov_b32 v7, 0 :: v_dual_add_nc_u32 v6, v5, v3
	s_delay_alu instid0(VALU_DEP_1) | instskip(SKIP_1) | instid1(VALU_DEP_1)
	v_lshlrev_b64_e32 v[6:7], 2, v[6:7]
	s_wait_kmcnt 0x0
	v_add_co_u32 v6, s3, s8, v6
	s_wait_alu 0xf1ff
	s_delay_alu instid0(VALU_DEP_2)
	v_add_co_ci_u32_e64 v7, null, s9, v7, s3
	global_store_b32 v[6:7], v107, off
	s_wait_alu 0xfffe
	s_or_b32 exec_lo, exec_lo, s4
	s_and_saveexec_b32 s4, s2
	s_cbranch_execnz .LBB120_59
	s_branch .LBB120_60
.LBB120_85:
	s_delay_alu instid0(VALU_DEP_1) | instskip(NEXT) | instid1(VALU_DEP_1)
	v_dual_mov_b32 v6, 0 :: v_dual_add_nc_u32 v5, v1, v0
	v_lshlrev_b64_e32 v[5:6], 2, v[5:6]
	s_wait_kmcnt 0x0
	s_delay_alu instid0(VALU_DEP_1) | instskip(SKIP_1) | instid1(VALU_DEP_2)
	v_add_co_u32 v5, vcc_lo, s8, v5
	s_wait_alu 0xfffd
	v_add_co_ci_u32_e64 v6, null, s9, v6, vcc_lo
	global_store_b32 v[5:6], v105, off
	s_wait_alu 0xfffe
	s_or_b32 exec_lo, exec_lo, s3
	s_and_saveexec_b32 s3, s0
	s_cbranch_execz .LBB120_63
.LBB120_86:
	s_delay_alu instid0(VALU_DEP_1) | instskip(NEXT) | instid1(VALU_DEP_1)
	v_dual_mov_b32 v6, 0 :: v_dual_add_nc_u32 v5, v1, v2
	v_lshlrev_b64_e32 v[5:6], 2, v[5:6]
	s_wait_kmcnt 0x0
	s_delay_alu instid0(VALU_DEP_1) | instskip(SKIP_1) | instid1(VALU_DEP_2)
	v_add_co_u32 v5, vcc_lo, s8, v5
	s_wait_alu 0xfffd
	v_add_co_ci_u32_e64 v6, null, s9, v6, vcc_lo
	global_store_b32 v[5:6], v34, off
	s_wait_alu 0xfffe
	s_or_b32 exec_lo, exec_lo, s3
	s_and_saveexec_b32 s0, s1
	s_cbranch_execz .LBB120_64
.LBB120_87:
	v_dual_mov_b32 v3, 0 :: v_dual_add_nc_u32 v2, v1, v3
	s_delay_alu instid0(VALU_DEP_1) | instskip(SKIP_1) | instid1(VALU_DEP_1)
	v_lshlrev_b64_e32 v[2:3], 2, v[2:3]
	s_wait_kmcnt 0x0
	v_add_co_u32 v2, vcc_lo, s8, v2
	s_wait_alu 0xfffd
	s_delay_alu instid0(VALU_DEP_2) | instskip(SKIP_3) | instid1(SALU_CYCLE_1)
	v_add_co_ci_u32_e64 v3, null, s9, v3, vcc_lo
	global_store_b32 v[2:3], v33, off
	s_wait_alu 0xfffe
	s_or_b32 exec_lo, exec_lo, s0
	s_and_b32 exec_lo, exec_lo, s2
	s_cbranch_execnz .LBB120_65
	s_branch .LBB120_66
	.section	.rodata,"a",@progbits
	.p2align	6, 0x0
	.amdhsa_kernel _ZL12mul_mat_q4_1IfLb1EEvPKvS1_PT_iiiii
		.amdhsa_group_segment_fixed_size 30336
		.amdhsa_private_segment_fixed_size 596
		.amdhsa_kernarg_size 44
		.amdhsa_user_sgpr_count 2
		.amdhsa_user_sgpr_dispatch_ptr 0
		.amdhsa_user_sgpr_queue_ptr 0
		.amdhsa_user_sgpr_kernarg_segment_ptr 1
		.amdhsa_user_sgpr_dispatch_id 0
		.amdhsa_user_sgpr_private_segment_size 0
		.amdhsa_wavefront_size32 1
		.amdhsa_uses_dynamic_stack 0
		.amdhsa_enable_private_segment 1
		.amdhsa_system_sgpr_workgroup_id_x 1
		.amdhsa_system_sgpr_workgroup_id_y 1
		.amdhsa_system_sgpr_workgroup_id_z 0
		.amdhsa_system_sgpr_workgroup_info 0
		.amdhsa_system_vgpr_workitem_id 1
		.amdhsa_next_free_vgpr 256
		.amdhsa_next_free_sgpr 17
		.amdhsa_reserve_vcc 1
		.amdhsa_float_round_mode_32 0
		.amdhsa_float_round_mode_16_64 0
		.amdhsa_float_denorm_mode_32 3
		.amdhsa_float_denorm_mode_16_64 3
		.amdhsa_fp16_overflow 0
		.amdhsa_workgroup_processor_mode 1
		.amdhsa_memory_ordered 1
		.amdhsa_forward_progress 1
		.amdhsa_inst_pref_size 255
		.amdhsa_round_robin_scheduling 0
		.amdhsa_exception_fp_ieee_invalid_op 0
		.amdhsa_exception_fp_denorm_src 0
		.amdhsa_exception_fp_ieee_div_zero 0
		.amdhsa_exception_fp_ieee_overflow 0
		.amdhsa_exception_fp_ieee_underflow 0
		.amdhsa_exception_fp_ieee_inexact 0
		.amdhsa_exception_int_div_zero 0
	.end_amdhsa_kernel
	.section	.text._ZL12mul_mat_q4_1IfLb1EEvPKvS1_PT_iiiii,"axG",@progbits,_ZL12mul_mat_q4_1IfLb1EEvPKvS1_PT_iiiii,comdat
.Lfunc_end120:
	.size	_ZL12mul_mat_q4_1IfLb1EEvPKvS1_PT_iiiii, .Lfunc_end120-_ZL12mul_mat_q4_1IfLb1EEvPKvS1_PT_iiiii
                                        ; -- End function
	.set _ZL12mul_mat_q4_1IfLb1EEvPKvS1_PT_iiiii.num_vgpr, 256
	.set _ZL12mul_mat_q4_1IfLb1EEvPKvS1_PT_iiiii.num_agpr, 0
	.set _ZL12mul_mat_q4_1IfLb1EEvPKvS1_PT_iiiii.numbered_sgpr, 17
	.set _ZL12mul_mat_q4_1IfLb1EEvPKvS1_PT_iiiii.num_named_barrier, 0
	.set _ZL12mul_mat_q4_1IfLb1EEvPKvS1_PT_iiiii.private_seg_size, 596
	.set _ZL12mul_mat_q4_1IfLb1EEvPKvS1_PT_iiiii.uses_vcc, 1
	.set _ZL12mul_mat_q4_1IfLb1EEvPKvS1_PT_iiiii.uses_flat_scratch, 1
	.set _ZL12mul_mat_q4_1IfLb1EEvPKvS1_PT_iiiii.has_dyn_sized_stack, 0
	.set _ZL12mul_mat_q4_1IfLb1EEvPKvS1_PT_iiiii.has_recursion, 0
	.set _ZL12mul_mat_q4_1IfLb1EEvPKvS1_PT_iiiii.has_indirect_call, 0
	.section	.AMDGPU.csdata,"",@progbits
; Kernel info:
; codeLenInByte = 39740
; TotalNumSgprs: 19
; NumVgprs: 256
; ScratchSize: 596
; MemoryBound: 0
; FloatMode: 240
; IeeeMode: 1
; LDSByteSize: 30336 bytes/workgroup (compile time only)
; SGPRBlocks: 0
; VGPRBlocks: 31
; NumSGPRsForWavesPerEU: 19
; NumVGPRsForWavesPerEU: 256
; Occupancy: 5
; WaveLimiterHint : 0
; COMPUTE_PGM_RSRC2:SCRATCH_EN: 1
; COMPUTE_PGM_RSRC2:USER_SGPR: 2
; COMPUTE_PGM_RSRC2:TRAP_HANDLER: 0
; COMPUTE_PGM_RSRC2:TGID_X_EN: 1
; COMPUTE_PGM_RSRC2:TGID_Y_EN: 1
; COMPUTE_PGM_RSRC2:TGID_Z_EN: 0
; COMPUTE_PGM_RSRC2:TIDIG_COMP_CNT: 1
	.section	.text._ZL12mul_mat_q5_0IfLb0EEvPKvS1_PT_iiiii,"axG",@progbits,_ZL12mul_mat_q5_0IfLb0EEvPKvS1_PT_iiiii,comdat
	.globl	_ZL12mul_mat_q5_0IfLb0EEvPKvS1_PT_iiiii ; -- Begin function _ZL12mul_mat_q5_0IfLb0EEvPKvS1_PT_iiiii
	.p2align	8
	.type	_ZL12mul_mat_q5_0IfLb0EEvPKvS1_PT_iiiii,@function
_ZL12mul_mat_q5_0IfLb0EEvPKvS1_PT_iiiii: ; @_ZL12mul_mat_q5_0IfLb0EEvPKvS1_PT_iiiii
; %bb.0:
	s_clause 0x1
	s_load_b32 s2, s[0:1], 0x18
	s_load_b96 s[4:6], s[0:1], 0x20
	v_bfe_u32 v34, v0, 10, 10
	v_and_b32_e32 v35, 0x3ff, v0
	s_lshl_b32 s7, ttmp7, 6
	s_wait_kmcnt 0x0
	s_cmp_gt_i32 s2, 31
	s_cbranch_scc1 .LBB121_2
; %bb.1:
	v_bfe_u32 v1, v0, 10, 10
	v_and_b32_e32 v2, 0x3ff, v0
	s_mov_b32 s3, 0
	s_delay_alu instid0(VALU_DEP_2)
	v_add_nc_u32_e32 v3, s7, v1
	s_branch .LBB121_3
.LBB121_2:
	s_mov_b32 s3, -1
                                        ; implicit-def: $vgpr1
                                        ; implicit-def: $vgpr2
                                        ; implicit-def: $vgpr3
.LBB121_3:
	s_load_b64 s[8:9], s[0:1], 0x10
	v_dual_mov_b32 v64, 0 :: v_dual_mov_b32 v83, 0
	v_dual_mov_b32 v68, 0 :: v_dual_mov_b32 v103, 0
	;; [unrolled: 1-line block ×14, first 2 shown]
	v_mov_b32_e32 v106, 0
	v_mov_b32_e32 v82, 0
	;; [unrolled: 1-line block ×4, first 2 shown]
	s_and_not1_b32 vcc_lo, exec_lo, s3
	s_lshl_b32 s14, ttmp9, 7
	s_cbranch_vccnz .LBB121_14
; %bb.4:
	v_dual_mov_b32 v87, 0 :: v_dual_add_nc_u32 v10, s7, v34
	s_add_co_i32 s10, s4, -1
	v_bfe_u32 v94, v0, 2, 8
	v_cvt_f64_i32_e32 v[1:2], s10
	s_delay_alu instid0(VALU_DEP_3) | instskip(SKIP_3) | instid1(VALU_DEP_4)
	v_dual_mov_b32 v102, 0 :: v_dual_add_nc_u32 v5, 8, v10
	v_dual_mov_b32 v86, 0 :: v_dual_add_nc_u32 v7, 16, v10
	v_cvt_f64_u32_e32 v[3:4], v10
	v_dual_mov_b32 v106, 0 :: v_dual_add_nc_u32 v11, 32, v10
	v_cvt_f64_u32_e32 v[5:6], v5
	;; [unrolled: 2-line block ×3, first 2 shown]
	s_delay_alu instid0(VALU_DEP_4)
	v_cvt_f64_u32_e32 v[11:12], v11
	v_dual_mov_b32 v90, 0 :: v_dual_add_nc_u32 v13, 40, v10
	v_dual_mov_b32 v76, 0 :: v_dual_add_nc_u32 v15, 48, v10
	scratch_store_b32 off, v10, off offset:72 ; 4-byte Folded Spill
	v_dual_mov_b32 v70, 0 :: v_dual_add_nc_u32 v17, 56, v10
	v_cvt_f64_u32_e32 v[9:10], v9
	v_cvt_f64_u32_e32 v[13:14], v13
	;; [unrolled: 1-line block ×3, first 2 shown]
	s_delay_alu instid0(VALU_DEP_4) | instskip(SKIP_4) | instid1(VALU_DEP_2)
	v_cvt_f64_u32_e32 v[17:18], v17
	v_bfe_u32 v98, v0, 3, 7
	v_dual_mov_b32 v84, 0 :: v_dual_and_b32 v21, 31, v0
	s_ashr_i32 s3, s2, 31
	v_dual_mov_b32 v96, 0 :: v_dual_and_b32 v97, 7, v0
	v_lshl_or_b32 v110, v21, 2, 0x8200
	v_lshl_add_u32 v21, v34, 3, v94
	s_lshr_b32 s3, s3, 27
	v_dual_mov_b32 v91, 0 :: v_dual_lshlrev_b32 v20, 3, v35
	s_add_co_i32 s11, s2, s3
	v_dual_mov_b32 v77, 0 :: v_dual_lshlrev_b32 v22, 2, v35
	s_wait_alu 0xfffe
	s_ashr_i32 s15, s11, 5
	s_ashr_i32 s12, s5, 31
	v_mul_lo_u32 v93, s15, v34
	s_lshr_b32 s12, s12, 27
	v_dual_mov_b32 v66, 0 :: v_dual_and_b32 v19, 3, v0
	v_min_num_f64_e32 v[3:4], v[3:4], v[1:2]
	v_mad_u32_u24 v108, 0x104, v34, v20
	v_min_num_f64_e32 v[5:6], v[5:6], v[1:2]
	v_dual_mov_b32 v85, 0 :: v_dual_and_b32 v20, 28, v22
	v_min_num_f64_e32 v[7:8], v[7:8], v[1:2]
	v_min_num_f64_e32 v[11:12], v[11:12], v[1:2]
	v_mov_b32_e32 v101, 0
	s_lshl_b32 s16, s15, 3
	s_add_co_i32 s5, s5, s12
	v_dual_mov_b32 v104, 0 :: v_dual_add_nc_u32 v95, s16, v93
	s_ashr_i32 s5, s5, 5
	v_dual_mov_b32 v92, 0 :: v_dual_add_nc_u32 v23, 0x60, v35
	v_min_num_f64_e32 v[9:10], v[9:10], v[1:2]
	v_min_num_f64_e32 v[13:14], v[13:14], v[1:2]
	;; [unrolled: 1-line block ×4, first 2 shown]
	v_lshl_add_u32 v17, v34, 2, v98
	v_lshlrev_b32_e32 v18, 2, v97
	v_dual_mov_b32 v80, 0 :: v_dual_add_nc_u32 v99, s16, v95
	v_dual_mov_b32 v67, 0 :: v_dual_add_nc_u32 v24, 64, v35
	s_delay_alu instid0(VALU_DEP_4)
	v_add_nc_u32_e32 v33, 32, v17
	v_mul_lo_u32 v116, s15, v17
	v_and_b32_e32 v31, 0x7fc, v17
	v_dual_mov_b32 v83, 0 :: v_dual_lshlrev_b32 v32, 5, v17
	v_dual_mov_b32 v88, 0 :: v_dual_add_nc_u32 v105, s16, v99
	v_mov_b32_e32 v72, 0
	v_dual_mov_b32 v68, 0 :: v_dual_mov_b32 v73, 0
	s_delay_alu instid0(VALU_DEP_3)
	v_add_nc_u32_e32 v109, s16, v105
	v_dual_mov_b32 v71, 0 :: v_dual_lshlrev_b32 v36, 7, v34
	v_cvt_i32_f64_e32 v3, v[3:4]
	s_load_b128 s[0:3], s[0:1], 0x0
	v_cvt_i32_f64_e32 v4, v[5:6]
	v_add_nc_u32_e32 v111, s16, v109
	s_and_not1_b32 s11, s11, 31
	v_cvt_i32_f64_e32 v5, v[7:8]
	v_cvt_i32_f64_e32 v7, v[11:12]
	v_and_b32_e32 v11, 63, v21
	v_add3_u32 v12, v31, v18, 0xa200
	v_add_nc_u32_e32 v112, s16, v111
	v_dual_mov_b32 v78, 0 :: v_dual_lshlrev_b32 v107, 2, v19
	s_wait_alu 0xfffe
	v_add_nc_u32_e32 v121, s11, v116
	v_dual_mov_b32 v81, 0 :: v_dual_add_nc_u32 v22, 0x400, v36
	v_cvt_i32_f64_e32 v6, v[9:10]
	v_cvt_i32_f64_e32 v8, v[13:14]
	v_cvt_i32_f64_e32 v9, v[15:16]
	v_cvt_i32_f64_e32 v10, v[1:2]
	v_add_nc_u32_e32 v1, 64, v17
	v_add_nc_u32_e32 v2, 0x60, v17
	v_and_b32_e32 v13, 0xffc, v33
	v_add_nc_u32_e32 v113, s16, v112
	v_dual_mov_b32 v64, 0 :: v_dual_add_nc_u32 v25, 0x800, v36
	v_and_b32_e32 v15, 0xffc, v1
	v_lshlrev_b32_e32 v16, 5, v1
	v_and_b32_e32 v1, 0xffc, v2
	v_lshlrev_b32_e32 v17, 5, v2
	v_or_b32_e32 v2, s7, v11
	v_add3_u32 v13, v13, v18, 0xa200
	v_add3_u32 v15, v15, v18, 0xa200
	;; [unrolled: 1-line block ×3, first 2 shown]
	v_add_nc_u32_e32 v115, s16, v113
	v_min_i32_e32 v1, s10, v2
	v_dual_mov_b32 v89, 0 :: v_dual_add_nc_u32 v26, 0xc00, v36
	v_add_nc_u32_e32 v27, 0x1000, v36
	v_mul_lo_u32 v128, s5, v3
	s_delay_alu instid0(VALU_DEP_4)
	v_mad_co_u64_u32 v[1:2], null, v1, s5, v[19:20]
	v_mul_lo_u32 v129, s5, v4
	v_lshlrev_b32_e32 v3, 5, v35
	v_and_b32_e32 v4, 0x1fc, v23
	v_mul_lo_u32 v130, s5, v5
	v_mul_lo_u32 v132, s5, v7
	v_and_b32_e32 v5, 0x1fc, v24
	scratch_store_b64 off, v[1:2], off offset:12 ; 8-byte Folded Spill
	v_add_nc_u32_e32 v2, 32, v35
	v_and_b32_e32 v7, 0xfc, v0
	v_add_nc_u32_e32 v4, v3, v4
	v_mul_u32_u24_e32 v1, 0x104, v35
	v_add_nc_u32_e32 v5, v3, v5
	v_lshrrev_b32_e32 v0, 3, v2
	v_mul_lo_u32 v131, s5, v6
	v_and_b32_e32 v6, 0x1fc, v2
	v_add_nc_u32_e32 v7, v3, v7
	v_add_nc_u32_e32 v117, s16, v115
	scratch_store_b32 off, v0, off offset:40 ; 4-byte Folded Spill
	v_add_nc_u32_e32 v0, 0xae00, v4
	scratch_store_b32 off, v1, off offset:20 ; 4-byte Folded Spill
	v_add_nc_u32_e32 v6, v3, v6
	v_add_nc_u32_e32 v118, s16, v117
	v_dual_mov_b32 v69, 0 :: v_dual_add_nc_u32 v28, 0x1400, v36
	scratch_store_b32 off, v0, off offset:24 ; 4-byte Folded Spill
	v_add_nc_u32_e32 v0, 0xaa00, v5
	v_add_nc_u32_e32 v119, s16, v118
	v_add_nc_u32_e32 v29, 0x1800, v36
	v_dual_mov_b32 v65, 0 :: v_dual_add_nc_u32 v30, 0x1c00, v36
	scratch_store_b32 off, v0, off offset:28 ; 4-byte Folded Spill
	v_add_nc_u32_e32 v0, 0xa600, v6
	v_add_nc_u32_e32 v120, s16, v119
	v_lshlrev_b32_e32 v14, 5, v33
	v_lshl_or_b32 v11, v11, 4, v107
	v_add_nc_u32_e32 v123, s11, v121
	scratch_store_b32 off, v0, off offset:32 ; 4-byte Folded Spill
	v_add_nc_u32_e32 v0, 0xa200, v7
	s_clause 0x1
	scratch_store_b32 off, v0, off offset:36
	scratch_store_b32 off, v34, off offset:64
	v_lshl_add_u32 v0, v34, 4, 0xb280
	s_clause 0x1
	scratch_store_b32 off, v0, off
	scratch_store_b32 off, v36, off offset:8
	v_add_nc_u32_e32 v0, 0x8200, v36
	v_add_nc_u32_e32 v122, s16, v120
	v_mul_lo_u32 v133, s5, v8
	v_mul_lo_u32 v134, s5, v9
	;; [unrolled: 1-line block ×3, first 2 shown]
	scratch_store_b32 off, v0, off offset:4 ; 4-byte Folded Spill
	v_add_nc_u32_e32 v0, 0xae10, v4
	v_add_nc_u32_e32 v124, s16, v122
	s_wait_kmcnt 0x0
	v_add_co_u32 v2, s5, s2, v20
	s_mul_i32 s12, s15, s14
	scratch_store_b32 off, v0, off offset:44 ; 4-byte Folded Spill
	v_add_nc_u32_e32 v0, 0xaa10, v5
	v_add_co_ci_u32_e64 v3, null, s3, 0, s5
	s_movk_i32 s5, 0x80
	s_ashr_i32 s13, s12, 31
	scratch_store_b32 off, v0, off offset:48 ; 4-byte Folded Spill
	v_add_nc_u32_e32 v0, 0xa610, v6
	v_dual_mov_b32 v103, 0 :: v_dual_add_nc_u32 v140, 0x79e0, v108
	v_add_nc_u32_e32 v125, 0xb280, v11
	v_add_nc_u32_e32 v126, s11, v123
	scratch_store_b32 off, v0, off offset:52 ; 4-byte Folded Spill
	v_add_nc_u32_e32 v0, 0xa210, v7
	v_add_nc_u32_e32 v127, s16, v124
	s_clause 0x1
	scratch_store_b32 off, v0, off offset:56
	scratch_store_b32 off, v35, off offset:68
	s_wait_alu 0xfffe
	v_mad_u32_u24 v0, 0x104, v35, s5
	v_add_nc_u32_e32 v148, v12, v32
	v_add_nc_u32_e32 v149, v13, v14
	;; [unrolled: 1-line block ×11, first 2 shown]
	s_mul_u64 s[12:13], s[12:13], 22
	s_mov_b32 s11, 0
	s_add_nc_u64 s[0:1], s[0:1], s[12:13]
	s_add_co_i32 s5, s15, 3
	s_wait_alu 0xfffe
	s_mov_b32 s10, s11
	scratch_store_b32 off, v0, off offset:60 ; 4-byte Folded Spill
	s_branch .LBB121_6
.LBB121_5:                              ;   in Loop: Header=BB121_6 Depth=1
	s_add_co_i32 s10, s10, 8
	s_add_co_i32 s5, s5, -8
	s_wait_alu 0xfffe
	s_cmp_ge_i32 s10, s15
	s_cbranch_scc1 .LBB121_13
.LBB121_6:                              ; =>This Loop Header: Depth=1
                                        ;     Child Loop BB121_8 Depth 2
                                        ;     Child Loop BB121_11 Depth 2
	s_wait_alu 0xfffe
	s_mul_u64 s[12:13], s[10:11], 22
	v_add_nc_u32_e32 v47, 0x820, v108
	s_wait_alu 0xfffe
	s_add_nc_u64 s[12:13], s[0:1], s[12:13]
	v_add_nc_u32_e32 v48, 0x1040, v108
	s_wait_alu 0xfffe
	v_mad_co_u64_u32 v[4:5], null, v94, 22, s[12:13]
	v_add_nc_u32_e32 v49, 0x1860, v108
	s_cmp_gt_u32 s5, 3
	s_delay_alu instid0(VALU_DEP_2) | instskip(SKIP_3) | instid1(VALU_DEP_4)
	v_mad_co_u64_u32 v[6:7], null, v93, 22, v[4:5]
	v_mad_co_u64_u32 v[8:9], null, v95, 22, v[4:5]
	;; [unrolled: 1-line block ×4, first 2 shown]
	v_add_co_u32 v12, vcc_lo, v6, v107
	s_wait_alu 0xfffd
	v_add_co_ci_u32_e64 v13, null, 0, v7, vcc_lo
	v_add_co_u32 v17, vcc_lo, v8, v107
	s_wait_alu 0xfffd
	v_add_co_ci_u32_e64 v18, null, 0, v9, vcc_lo
	;; [unrolled: 3-line block ×4, first 2 shown]
	s_clause 0x5
	global_load_b32 v14, v[12:13], off offset:6
	global_load_b32 v12, v[17:18], off offset:6
	;; [unrolled: 1-line block ×6, first 2 shown]
	v_mad_co_u64_u32 v[6:7], null, v109, 22, v[4:5]
	v_mad_co_u64_u32 v[8:9], null, v111, 22, v[4:5]
	;; [unrolled: 1-line block ×4, first 2 shown]
	s_delay_alu instid0(VALU_DEP_4)
	v_add_co_u32 v30, vcc_lo, v6, v107
	s_clause 0x1
	global_load_b32 v20, v[8:9], off offset:2
	global_load_b32 v23, v[6:7], off offset:2
	s_wait_alu 0xfffd
	v_add_co_ci_u32_e64 v31, null, 0, v7, vcc_lo
	v_add_co_u32 v6, vcc_lo, v26, v107
	s_wait_alu 0xfffd
	v_add_co_ci_u32_e64 v7, null, 0, v27, vcc_lo
	v_add_co_u32 v10, vcc_lo, v28, v107
	;; [unrolled: 3-line block ×3, first 2 shown]
	s_wait_alu 0xfffd
	v_add_co_ci_u32_e64 v33, null, 0, v9, vcc_lo
	s_clause 0x7
	global_load_b32 v21, v[21:22], off offset:6
	global_load_b32 v18, v[24:25], off offset:6
	;; [unrolled: 1-line block ×8, first 2 shown]
	v_mad_co_u64_u32 v[29:30], null, v115, 22, v[4:5]
	v_mad_co_u64_u32 v[6:7], null, v97, 22, s[12:13]
	;; [unrolled: 1-line block ×5, first 2 shown]
	v_add_co_u32 v26, vcc_lo, v29, v107
	v_mad_co_u64_u32 v[24:25], null, v116, 22, v[6:7]
	s_wait_alu 0xfffd
	v_add_co_ci_u32_e64 v27, null, 0, v30, vcc_lo
	v_add_co_u32 v41, vcc_lo, v31, v107
	s_wait_alu 0xfffd
	v_add_co_ci_u32_e64 v42, null, 0, v32, vcc_lo
	v_add_co_u32 v43, vcc_lo, v33, v107
	;; [unrolled: 3-line block ×3, first 2 shown]
	s_wait_alu 0xfffd
	v_add_co_ci_u32_e64 v46, null, 0, v36, vcc_lo
	s_clause 0x8
	global_load_u16 v25, v[24:25], off
	global_load_b32 v50, v[26:27], off offset:6
	global_load_b32 v41, v[41:42], off offset:6
	;; [unrolled: 1-line block ×8, first 2 shown]
	v_mad_co_u64_u32 v[37:38], null, v120, 22, v[4:5]
	v_mad_co_u64_u32 v[39:40], null, v122, 22, v[4:5]
	s_wait_loadcnt 0x18
	v_and_b32_e32 v30, 0xf0f0f0f, v14
	v_lshrrev_b32_e32 v14, 4, v14
	s_wait_loadcnt 0x16
	v_ashrrev_i32_e32 v13, v107, v13
	s_wait_loadcnt 0x15
	v_ashrrev_i32_e32 v15, v107, v15
	;; [unrolled: 2-line block ×4, first 2 shown]
	v_and_b32_e32 v32, 0xf0f0f0f, v12
	v_lshrrev_b32_e32 v12, 4, v12
	v_lshlrev_b32_e32 v169, 4, v15
	v_lshlrev_b32_e32 v162, 4, v16
	;; [unrolled: 1-line block ×6, first 2 shown]
	v_lshrrev_b32_e32 v159, 12, v17
	s_wait_loadcnt 0x12
	v_ashrrev_i32_e32 v20, v107, v20
	s_wait_loadcnt 0x11
	v_ashrrev_i32_e32 v23, v107, v23
	v_lshrrev_b32_e32 v160, 5, v17
	v_lshlrev_b32_e32 v161, 2, v17
	v_lshlrev_b32_e32 v17, 9, v17
	;; [unrolled: 1-line block ×10, first 2 shown]
	s_wait_loadcnt 0xc
	v_and_b32_e32 v36, 0xf0f0f0f, v19
	v_lshrrev_b32_e32 v19, 4, v19
	v_lshrrev_b32_e32 v57, 12, v20
	;; [unrolled: 1-line block ×3, first 2 shown]
	v_lshlrev_b32_e32 v59, 2, v20
	v_lshlrev_b32_e32 v20, 9, v20
	;; [unrolled: 1-line block ×3, first 2 shown]
	s_wait_loadcnt 0xb
	v_and_b32_e32 v35, 0xf0f0f0f, v22
	v_lshrrev_b32_e32 v22, 4, v22
	v_lshrrev_b32_e32 v46, 12, v23
	;; [unrolled: 1-line block ×3, first 2 shown]
	v_lshlrev_b32_e32 v164, 18, v16
	v_lshlrev_b32_e32 v165, 25, v16
	v_lshrrev_b32_e32 v166, 12, v16
	v_lshrrev_b32_e32 v167, 5, v16
	v_lshlrev_b32_e32 v168, 2, v16
	v_lshlrev_b32_e32 v16, 9, v16
	v_lshlrev_b32_e32 v170, 11, v15
	v_and_b32_e32 v33, 0xf0f0f0f, v21
	v_lshrrev_b32_e32 v21, 4, v21
	v_lshlrev_b32_e32 v171, 18, v15
	v_lshlrev_b32_e32 v172, 25, v15
	v_lshrrev_b32_e32 v173, 12, v15
	v_lshrrev_b32_e32 v174, 5, v15
	v_lshlrev_b32_e32 v175, 2, v15
	v_lshlrev_b32_e32 v15, 9, v15
	;; [unrolled: 1-line block ×6, first 2 shown]
	v_and_b32_e32 v14, 0xf0f0f0f, v14
	v_and_b32_e32 v19, 0xf0f0f0f, v19
	;; [unrolled: 1-line block ×44, first 2 shown]
	v_or3_b32 v42, v42, v35, v43
	v_or3_b32 v35, v35, v44, v45
	;; [unrolled: 1-line block ×13, first 2 shown]
	v_lshrrev_b32_e32 v18, 4, v18
	v_lshlrev_b32_e32 v178, 18, v13
	v_lshlrev_b32_e32 v179, 25, v13
	v_lshrrev_b32_e32 v180, 12, v13
	v_lshrrev_b32_e32 v181, 5, v13
	v_lshlrev_b32_e32 v182, 2, v13
	v_lshlrev_b32_e32 v13, 9, v13
	v_or3_b32 v51, v173, v21, v174
	v_or3_b32 v15, v21, v175, v15
	;; [unrolled: 1-line block ×6, first 2 shown]
	v_lshrrev_b32_e32 v19, 16, v19
	v_lshrrev_b32_e32 v30, 16, v30
	v_and_b32_e32 v56, 0x1f00, v20
	v_lshlrev_b16 v20, 8, v20
	v_and_b32_e32 v57, 0x1f00, v45
	v_lshlrev_b16 v45, 8, v45
	v_and_b32_e32 v164, 0x100000, v164
	v_and_b32_e32 v165, 0x10000000, v165
	v_and_b32_e32 v58, 0x1f00, v17
	v_lshlrev_b16 v17, 8, v17
	v_and_b32_e32 v171, 0x100000, v171
	v_and_b32_e32 v172, 0x10000000, v172
	;; [unrolled: 4-line block ×3, first 2 shown]
	v_and_b32_e32 v179, 0x10000000, v179
	v_and_b32_e32 v180, 16, v180
	;; [unrolled: 1-line block ×6, first 2 shown]
	v_lshlrev_b16 v21, 8, v21
	v_and_b32_e32 v162, 0x1f00, v19
	v_lshlrev_b16 v163, 8, v19
	v_add_nc_u16 v19, 0xf000, v56
	v_add_nc_u16 v20, 0xf000, v20
	v_and_b32_e32 v56, 0x1f00, v30
	v_lshlrev_b16 v30, 8, v30
	v_add_nc_u16 v45, 0xf000, v45
	v_or3_b32 v32, v32, v164, v165
	v_add_nc_u16 v17, 0xf000, v17
	v_or3_b32 v33, v33, v171, v172
	;; [unrolled: 2-line block ×3, first 2 shown]
	v_or3_b32 v52, v180, v18, v181
	v_or3_b32 v13, v18, v182, v13
	v_add_nc_u16 v21, 0xf000, v21
	v_lshrrev_b32_e32 v14, 16, v14
	v_perm_b32 v19, v20, v19, 0xc0c0105
	v_add_nc_u16 v20, 0xf000, v56
	v_add_nc_u16 v30, 0xf000, v30
	v_lshrrev_b16 v45, 8, v45
	v_lshrrev_b32_e32 v22, 16, v22
	v_and_b32_e32 v53, 0x1f00, v43
	v_lshlrev_b16 v43, 8, v43
	v_lshrrev_b32_e32 v36, 16, v36
	v_lshrrev_b32_e32 v32, 16, v32
	v_lshrrev_b32_e32 v12, 16, v12
	v_and_b32_e32 v59, 0x1f00, v46
	v_lshlrev_b16 v46, 8, v46
	v_lshrrev_b16 v17, 8, v17
	v_lshrrev_b32_e32 v33, 16, v33
	v_lshrrev_b32_e32 v15, 16, v15
	v_and_b32_e32 v61, 0x1f00, v51
	v_lshlrev_b16 v51, 8, v51
	v_lshrrev_b16 v16, 8, v16
	v_lshrrev_b32_e32 v34, 16, v34
	v_lshrrev_b32_e32 v13, 16, v13
	v_and_b32_e32 v63, 0x1f00, v52
	v_lshlrev_b16 v52, 8, v52
	v_lshrrev_b16 v21, 8, v21
	v_and_b32_e32 v164, 0x1f00, v14
	v_lshlrev_b16 v14, 8, v14
	v_perm_b32 v20, v30, v20, 0xc0c0105
	v_or_b32_e32 v30, v57, v45
	v_add_nc_u16 v53, 0xf000, v53
	v_add_nc_u16 v43, 0xf000, v43
	v_and_b32_e32 v160, 0x1f00, v22
	v_and_b32_e32 v161, 0x1f00, v36
	;; [unrolled: 1-line block ×3, first 2 shown]
	v_lshlrev_b16 v32, 8, v32
	v_add_nc_u16 v59, 0xf000, v59
	v_add_nc_u16 v46, 0xf000, v46
	v_and_b32_e32 v166, 0x1f00, v12
	v_lshlrev_b16 v12, 8, v12
	v_or_b32_e32 v17, v58, v17
	v_and_b32_e32 v167, 0x1f00, v33
	v_lshlrev_b16 v33, 8, v33
	v_add_nc_u16 v61, 0xf000, v61
	v_add_nc_u16 v51, 0xf000, v51
	v_and_b32_e32 v168, 0x1f00, v15
	v_lshlrev_b16 v15, 8, v15
	v_or_b32_e32 v16, v60, v16
	v_lshrrev_b32_e32 v18, 16, v35
	v_and_b32_e32 v35, 0x1f00, v42
	v_lshlrev_b16 v42, 8, v42
	v_and_b32_e32 v169, 0x1f00, v34
	v_lshlrev_b16 v34, 8, v34
	v_add_nc_u16 v63, 0xf000, v63
	v_add_nc_u16 v52, 0xf000, v52
	v_and_b32_e32 v170, 0x1f00, v13
	v_lshlrev_b16 v13, 8, v13
	v_or_b32_e32 v21, v62, v21
	v_add_nc_u16 v56, 0xf000, v164
	v_add_nc_u16 v14, 0xf000, v14
	v_lshl_or_b32 v19, v20, 16, v19
	v_add_nc_u16 v20, 0xf000, v30
	v_perm_b32 v43, v43, v53, 0xc0c0105
	v_add_nc_u16 v53, 0xf000, v160
	v_add_nc_u16 v160, 0xf000, v161
	;; [unrolled: 1-line block ×5, first 2 shown]
	v_perm_b32 v46, v46, v59, 0xc0c0105
	v_add_nc_u16 v59, 0xf000, v166
	v_add_nc_u16 v12, 0xf000, v12
	;; [unrolled: 1-line block ×5, first 2 shown]
	v_perm_b32 v51, v51, v61, 0xc0c0105
	v_add_nc_u16 v61, 0xf000, v168
	v_add_nc_u16 v15, 0xf000, v15
	;; [unrolled: 1-line block ×3, first 2 shown]
	v_and_b32_e32 v159, 0x1f00, v18
	v_lshlrev_b16 v18, 8, v18
	v_add_nc_u16 v42, 0xf000, v42
	v_add_nc_u16 v165, 0xf000, v169
	;; [unrolled: 1-line block ×3, first 2 shown]
	v_perm_b32 v52, v52, v63, 0xc0c0105
	v_add_nc_u16 v63, 0xf000, v170
	v_add_nc_u16 v13, 0xf000, v13
	;; [unrolled: 1-line block ×3, first 2 shown]
	v_perm_b32 v14, v14, v56, 0xc0c0105
	v_and_b32_e32 v20, 0xffff, v20
	v_perm_b32 v32, v32, v162, 0xc0c0105
	v_perm_b32 v12, v12, v59, 0xc0c0105
	v_and_b32_e32 v17, 0xffff, v17
	v_perm_b32 v33, v33, v164, 0xc0c0105
	v_perm_b32 v15, v15, v61, 0xc0c0105
	v_and_b32_e32 v16, 0xffff, v16
	v_add_nc_u16 v159, 0xf000, v159
	v_add_nc_u16 v18, 0xf000, v18
	v_lshrrev_b16 v42, 8, v42
	v_perm_b32 v34, v34, v165, 0xc0c0105
	v_perm_b32 v13, v13, v63, 0xc0c0105
	v_and_b32_e32 v21, 0xffff, v21
	v_lshl_or_b32 v14, v14, 16, v20
	v_lshl_or_b32 v12, v12, 16, v46
	;; [unrolled: 1-line block ×5, first 2 shown]
	v_perm_b32 v159, v18, v159, 0xc0c0105
	v_or_b32_e32 v18, v35, v42
	v_lshl_or_b32 v13, v13, 16, v52
	v_lshl_or_b32 v20, v34, 16, v21
	ds_store_2addr_b32 v108, v19, v14 offset1:1
	ds_store_2addr_b32 v47, v17, v12 offset1:1
	;; [unrolled: 1-line block ×4, first 2 shown]
	v_mad_co_u64_u32 v[14:15], null, v124, 22, v[4:5]
	v_and_b32_e32 v54, 0x1f00, v23
	v_lshlrev_b16 v23, 8, v23
	v_mad_co_u64_u32 v[4:5], null, v127, 22, v[4:5]
	v_add_nc_u16 v18, 0xf000, v18
	v_add_co_u32 v12, vcc_lo, v37, v107
	s_wait_alu 0xfffd
	v_add_co_ci_u32_e64 v13, null, 0, v38, vcc_lo
	v_add_co_u32 v16, vcc_lo, v39, v107
	v_add_nc_u16 v23, 0xf000, v23
	v_and_b32_e32 v30, 0xffff, v18
	s_wait_alu 0xfffd
	v_add_co_ci_u32_e64 v17, null, 0, v40, vcc_lo
	v_add_co_u32 v18, vcc_lo, v14, v107
	s_wait_alu 0xfffd
	v_add_co_ci_u32_e64 v19, null, 0, v15, vcc_lo
	v_add_co_u32 v20, vcc_lo, v4, v107
	v_lshrrev_b16 v23, 8, v23
	s_wait_alu 0xfffd
	v_add_co_ci_u32_e64 v21, null, 0, v5, vcc_lo
	s_clause 0x7
	global_load_b32 v12, v[12:13], off offset:6
	global_load_b32 v13, v[16:17], off offset:6
	;; [unrolled: 1-line block ×8, first 2 shown]
	v_and_b32_e32 v55, 0x1f00, v44
	v_lshlrev_b16 v44, 8, v44
	v_lshlrev_b16 v36, 8, v36
	v_or_b32_e32 v23, v54, v23
	v_add_nc_u16 v32, 0xf000, v163
	v_add_nc_u16 v55, 0xf000, v55
	;; [unrolled: 1-line block ×5, first 2 shown]
	s_wait_loadcnt 0x11
	v_ashrrev_i32_e32 v11, v107, v11
	v_perm_b32 v21, v32, v161, 0xc0c0105
	v_perm_b32 v20, v44, v55, 0xc0c0105
	;; [unrolled: 1-line block ×3, first 2 shown]
	v_and_b32_e32 v5, 0xffff, v23
	v_lshl_or_b32 v23, v159, 16, v30
	v_lshlrev_b32_e32 v30, 25, v11
	v_lshl_or_b32 v20, v21, 16, v20
	v_lshlrev_b32_e32 v21, 18, v11
	;; [unrolled: 2-line block ×3, first 2 shown]
	v_lshlrev_b32_e32 v33, 11, v11
	v_and_b32_e32 v32, 0xf0f0f0f, v10
	v_and_b32_e32 v21, 0x100000, v21
	;; [unrolled: 1-line block ×4, first 2 shown]
	v_lshrrev_b32_e32 v10, 4, v10
	v_lshrrev_b32_e32 v34, 12, v11
	;; [unrolled: 1-line block ×3, first 2 shown]
	v_and_b32_e32 v33, 0x1000, v33
	v_or3_b32 v21, v32, v21, v30
	v_and_b32_e32 v10, 0xf0f0f0f, v10
	v_and_b32_e32 v30, 16, v34
	v_and_b32_e32 v34, 0x1000, v35
	v_or3_b32 v5, v5, v32, v33
	v_lshlrev_b32_e32 v32, 2, v11
	v_lshlrev_b32_e32 v11, 9, v11
	v_lshrrev_b32_e32 v21, 16, v21
	v_or3_b32 v30, v30, v10, v34
	v_and_b32_e32 v33, 0x1f00, v5
	v_and_b32_e32 v32, 0x100000, v32
	;; [unrolled: 1-line block ×3, first 2 shown]
	v_lshlrev_b16 v5, 8, v5
	v_lshlrev_b16 v34, 8, v30
	v_add_nc_u16 v33, 0xf000, v33
	v_and_b32_e32 v35, 0x1f00, v21
	v_or3_b32 v10, v10, v32, v11
	v_add_nc_u16 v5, 0xf000, v5
	v_add_nc_u16 v11, 0xf000, v34
	v_lshlrev_b16 v21, 8, v21
	v_and_b32_e32 v30, 0x1f00, v30
	v_lshrrev_b32_e32 v10, 16, v10
	v_perm_b32 v5, v5, v33, 0xc0c0105
	v_lshrrev_b16 v11, 8, v11
	v_add_nc_u16 v32, 0xf000, v35
	v_add_nc_u16 v21, 0xf000, v21
	v_and_b32_e32 v33, 0x1f00, v10
	v_lshlrev_b16 v10, 8, v10
	v_or_b32_e32 v11, v30, v11
	v_ashrrev_i32_e32 v9, v107, v9
	v_perm_b32 v21, v21, v32, 0xc0c0105
	v_add_nc_u16 v30, 0xf000, v33
	v_add_nc_u16 v10, 0xf000, v10
	;; [unrolled: 1-line block ×3, first 2 shown]
	v_lshrrev_b32_e32 v33, 12, v9
	v_lshrrev_b32_e32 v34, 5, v9
	v_lshl_or_b32 v5, v21, 16, v5
	v_perm_b32 v10, v10, v30, 0xc0c0105
	v_and_b32_e32 v30, 0xf0f0f0f, v8
	v_lshrrev_b32_e32 v8, 4, v8
	v_lshlrev_b32_e32 v21, 4, v9
	v_lshlrev_b32_e32 v32, 11, v9
	;; [unrolled: 1-line block ×4, first 2 shown]
	v_and_b32_e32 v8, 0xf0f0f0f, v8
	v_and_b32_e32 v33, 16, v33
	;; [unrolled: 1-line block ×6, first 2 shown]
	v_lshlrev_b32_e32 v37, 2, v9
	v_lshlrev_b32_e32 v9, 9, v9
	v_and_b32_e32 v36, 0x10000000, v36
	v_or3_b32 v33, v33, v8, v34
	v_or3_b32 v21, v21, v30, v32
	v_and_b32_e32 v32, 0x100000, v37
	v_and_b32_e32 v9, 0x10000000, v9
	v_or3_b32 v30, v30, v35, v36
	v_lshlrev_b16 v34, 8, v33
	v_and_b32_e32 v35, 0x1f00, v21
	v_and_b32_e32 v33, 0x1f00, v33
	v_or3_b32 v8, v8, v32, v9
	v_lshrrev_b32_e32 v9, 16, v30
	v_add_nc_u16 v30, 0xf000, v34
	v_lshlrev_b16 v21, 8, v21
	v_add_nc_u16 v32, 0xf000, v35
	v_lshrrev_b32_e32 v8, 16, v8
	v_and_b32_e32 v34, 0x1f00, v9
	v_lshrrev_b16 v30, 8, v30
	v_add_nc_u16 v21, 0xf000, v21
	v_lshlrev_b16 v9, 8, v9
	v_and_b32_e32 v35, 0x1f00, v8
	v_lshlrev_b16 v8, 8, v8
	v_or_b32_e32 v30, v33, v30
	v_add_nc_u16 v33, 0xf000, v34
	s_wait_loadcnt 0x8
	v_ashrrev_i32_e32 v29, v107, v29
	v_add_nc_u16 v34, 0xf000, v35
	v_add_nc_u16 v8, 0xf000, v8
	;; [unrolled: 1-line block ×3, first 2 shown]
	v_and_b32_e32 v11, 0xffff, v11
	v_add_nc_u16 v9, 0xf000, v9
	v_perm_b32 v21, v21, v32, 0xc0c0105
	v_perm_b32 v8, v8, v34, 0xc0c0105
	v_and_b32_e32 v30, 0xffff, v30
	v_lshlrev_b32_e32 v32, 11, v29
	v_perm_b32 v9, v9, v33, 0xc0c0105
	v_lshl_or_b32 v10, v10, 16, v11
	v_lshlrev_b32_e32 v11, 4, v29
	v_lshl_or_b32 v8, v8, 16, v30
	v_and_b32_e32 v30, 0x1000, v32
	v_lshrrev_b32_e32 v32, 4, v50
	v_lshrrev_b32_e32 v33, 12, v29
	;; [unrolled: 1-line block ×3, first 2 shown]
	v_lshl_or_b32 v9, v9, 16, v21
	v_and_b32_e32 v21, 0xf0f0f0f, v50
	v_and_b32_e32 v11, 16, v11
	v_lshlrev_b32_e32 v35, 18, v29
	v_lshlrev_b32_e32 v36, 25, v29
	v_and_b32_e32 v32, 0xf0f0f0f, v32
	v_and_b32_e32 v33, 16, v33
	;; [unrolled: 1-line block ×3, first 2 shown]
	v_lshlrev_b32_e32 v37, 2, v29
	v_lshlrev_b32_e32 v29, 9, v29
	v_and_b32_e32 v35, 0x100000, v35
	v_and_b32_e32 v36, 0x10000000, v36
	v_or3_b32 v33, v33, v32, v34
	v_or3_b32 v11, v11, v21, v30
	v_and_b32_e32 v30, 0x100000, v37
	v_and_b32_e32 v29, 0x10000000, v29
	v_or3_b32 v21, v21, v35, v36
	v_lshlrev_b16 v34, 8, v33
	v_and_b32_e32 v35, 0x1f00, v11
	v_lshlrev_b16 v22, 8, v22
	v_or3_b32 v29, v32, v30, v29
	v_lshrrev_b32_e32 v21, 16, v21
	v_add_nc_u16 v30, 0xf000, v34
	v_lshlrev_b16 v11, 8, v11
	v_add_nc_u16 v32, 0xf000, v35
	v_lshrrev_b32_e32 v29, 16, v29
	v_and_b32_e32 v33, 0x1f00, v33
	v_lshrrev_b16 v30, 8, v30
	v_and_b32_e32 v34, 0x1f00, v21
	v_lshlrev_b16 v21, 8, v21
	v_and_b32_e32 v35, 0x1f00, v29
	v_lshlrev_b16 v29, 8, v29
	v_add_nc_u16 v22, 0xf000, v22
	v_add_nc_u16 v11, 0xf000, v11
	v_or_b32_e32 v30, v33, v30
	v_add_nc_u16 v33, 0xf000, v34
	v_add_nc_u16 v21, 0xf000, v21
	;; [unrolled: 1-line block ×4, first 2 shown]
	v_ashrrev_i32_e32 v31, v107, v31
	v_perm_b32 v22, v22, v53, 0xc0c0105
	v_perm_b32 v11, v11, v32, 0xc0c0105
	;; [unrolled: 1-line block ×4, first 2 shown]
	v_lshlrev_b32_e32 v32, 4, v31
	v_lshlrev_b32_e32 v33, 11, v31
	;; [unrolled: 1-line block ×4, first 2 shown]
	v_lshl_or_b32 v22, v22, 16, v43
	v_and_b32_e32 v36, 0xf0f0f0f, v41
	v_and_b32_e32 v32, 16, v32
	;; [unrolled: 1-line block ×4, first 2 shown]
	v_add_nc_u32_e32 v37, 0x2080, v108
	v_and_b32_e32 v35, 0x10000000, v35
	v_add_nc_u32_e32 v38, 0x28a0, v108
	v_add_nc_u32_e32 v39, 0x30c0, v108
	;; [unrolled: 1-line block ×3, first 2 shown]
	ds_store_2addr_b32 v37, v23, v22 offset1:1
	ds_store_2addr_b32 v38, v4, v20 offset1:1
	;; [unrolled: 1-line block ×4, first 2 shown]
	v_lshl_or_b32 v10, v21, 16, v11
	v_or3_b32 v4, v36, v34, v35
	v_or3_b32 v5, v32, v36, v33
	v_lshrrev_b32_e32 v8, 4, v41
	v_lshrrev_b32_e32 v9, 12, v31
	;; [unrolled: 1-line block ×3, first 2 shown]
	v_lshlrev_b32_e32 v22, 2, v31
	v_lshlrev_b32_e32 v23, 9, v31
	v_add_nc_u16 v30, 0xf000, v30
	v_lshrrev_b32_e32 v4, 16, v4
	v_and_b32_e32 v20, 0x1f00, v5
	v_and_b32_e32 v8, 0xf0f0f0f, v8
	;; [unrolled: 1-line block ×4, first 2 shown]
	v_lshlrev_b16 v5, 8, v5
	v_and_b32_e32 v22, 0x100000, v22
	v_and_b32_e32 v23, 0x10000000, v23
	;; [unrolled: 1-line block ×3, first 2 shown]
	v_add_nc_u16 v20, 0xf000, v20
	v_or3_b32 v21, v9, v8, v21
	v_add_nc_u16 v5, 0xf000, v5
	v_and_b32_e32 v9, 0x1f00, v4
	v_lshlrev_b16 v4, 8, v4
	v_or3_b32 v8, v8, v22, v23
	v_lshl_or_b32 v11, v29, 16, v30
	v_perm_b32 v20, v5, v20, 0xc0c0105
	v_add_nc_u16 v23, 0xf000, v9
	v_add_nc_u16 v29, 0xf000, v4
	v_mad_co_u64_u32 v[4:5], null, v121, 22, v[6:7]
	v_lshrrev_b32_e32 v30, 16, v8
	v_mad_co_u64_u32 v[8:9], null, v123, 22, v[6:7]
	v_mad_co_u64_u32 v[6:7], null, v126, 22, v[6:7]
	s_clause 0x2
	global_load_u16 v4, v[4:5], off
	global_load_u16 v5, v[8:9], off
	global_load_u16 v6, v[6:7], off
	v_lshlrev_b16 v22, 8, v21
	v_and_b32_e32 v31, 0x1f00, v30
	v_lshlrev_b16 v30, 8, v30
	v_and_b32_e32 v21, 0x1f00, v21
	v_ashrrev_i32_e32 v28, v107, v28
	v_add_nc_u16 v22, 0xf000, v22
	v_add_nc_u16 v7, 0xf000, v31
	v_add_nc_u16 v8, 0xf000, v30
	s_delay_alu instid0(VALU_DEP_4) | instskip(NEXT) | instid1(VALU_DEP_4)
	v_lshrrev_b32_e32 v30, 5, v28
	v_lshrrev_b16 v22, 8, v22
	v_lshlrev_b32_e32 v31, 18, v28
	s_delay_alu instid0(VALU_DEP_4)
	v_perm_b32 v7, v8, v7, 0xc0c0105
	v_lshlrev_b32_e32 v32, 25, v28
	v_and_b32_e32 v30, 0x1000, v30
	v_or_b32_e32 v9, v21, v22
	v_perm_b32 v21, v29, v23, 0xc0c0105
	v_lshrrev_b32_e32 v29, 12, v28
	v_lshlrev_b32_e32 v22, 4, v28
	v_lshlrev_b32_e32 v23, 11, v28
	v_add_nc_u16 v8, 0xf000, v9
	v_and_b32_e32 v9, 0xf0f0f0f, v27
	v_lshrrev_b32_e32 v27, 4, v27
	v_and_b32_e32 v29, 16, v29
	v_and_b32_e32 v22, 16, v22
	;; [unrolled: 1-line block ×3, first 2 shown]
	v_lshlrev_b32_e32 v33, 2, v28
	v_and_b32_e32 v27, 0xf0f0f0f, v27
	v_lshlrev_b32_e32 v28, 9, v28
	v_and_b32_e32 v31, 0x100000, v31
	v_and_b32_e32 v32, 0x10000000, v32
	v_or3_b32 v22, v22, v9, v23
	v_or3_b32 v29, v29, v27, v30
	v_and_b32_e32 v23, 0x100000, v33
	v_and_b32_e32 v28, 0x10000000, v28
	v_or3_b32 v9, v9, v31, v32
	v_and_b32_e32 v31, 0x1f00, v22
	v_lshlrev_b16 v30, 8, v29
	v_and_b32_e32 v29, 0x1f00, v29
	v_or3_b32 v23, v27, v23, v28
	v_lshrrev_b32_e32 v9, 16, v9
	v_lshlrev_b16 v22, 8, v22
	v_add_nc_u16 v27, 0xf000, v30
	v_add_nc_u16 v28, 0xf000, v31
	v_lshrrev_b32_e32 v23, 16, v23
	v_and_b32_e32 v30, 0x1f00, v9
	v_lshlrev_b16 v9, 8, v9
	v_lshrrev_b16 v27, 8, v27
	v_add_nc_u16 v22, 0xf000, v22
	v_and_b32_e32 v31, 0x1f00, v23
	v_lshlrev_b16 v23, 8, v23
	v_add_nc_u16 v9, 0xf000, v9
	v_or_b32_e32 v27, v29, v27
	v_add_nc_u16 v29, 0xf000, v30
	v_add_nc_u16 v30, 0xf000, v31
	;; [unrolled: 1-line block ×3, first 2 shown]
	v_and_b32_e32 v8, 0xffff, v8
	v_add_nc_u16 v27, 0xf000, v27
	v_perm_b32 v22, v22, v28, 0xc0c0105
	v_perm_b32 v9, v9, v29, 0xc0c0105
	;; [unrolled: 1-line block ×3, first 2 shown]
	v_lshl_or_b32 v20, v21, 16, v20
	v_and_b32_e32 v27, 0xffff, v27
	v_lshl_or_b32 v7, v7, 16, v8
	v_ashrrev_i32_e32 v8, v107, v26
	v_add_nc_u32_e32 v21, 0x4100, v108
	v_lshl_or_b32 v9, v9, 16, v22
	v_lshl_or_b32 v22, v23, 16, v27
	v_cvt_f32_f16_e32 v23, v25
	v_add_nc_u32_e32 v25, 0x4920, v108
	ds_store_2addr_b32 v21, v10, v11 offset1:1
	v_lshlrev_b32_e32 v10, 4, v8
	v_lshlrev_b32_e32 v11, 11, v8
	v_add_nc_u32_e32 v26, 0x5140, v108
	ds_store_2addr_b32 v25, v20, v7 offset1:1
	ds_store_2addr_b32 v26, v9, v22 offset1:1
	v_and_b32_e32 v9, 16, v10
	v_and_b32_e32 v10, 0x1000, v11
	v_lshrrev_b32_e32 v11, 4, v24
	v_lshrrev_b32_e32 v20, 12, v8
	;; [unrolled: 1-line block ×3, first 2 shown]
	v_and_b32_e32 v7, 0xf0f0f0f, v24
	v_lshlrev_b32_e32 v22, 18, v8
	v_lshlrev_b32_e32 v24, 25, v8
	v_and_b32_e32 v11, 0xf0f0f0f, v11
	v_and_b32_e32 v20, 16, v20
	;; [unrolled: 1-line block ×4, first 2 shown]
	v_lshlrev_b32_e32 v25, 2, v8
	v_lshlrev_b32_e32 v8, 9, v8
	v_and_b32_e32 v24, 0x10000000, v24
	v_or3_b32 v20, v20, v11, v21
	v_or3_b32 v9, v9, v7, v10
	v_and_b32_e32 v10, 0x100000, v25
	v_and_b32_e32 v8, 0x10000000, v8
	v_or3_b32 v7, v7, v22, v24
	v_lshlrev_b16 v21, 8, v20
	v_and_b32_e32 v22, 0x1f00, v9
	v_lshlrev_b16 v9, 8, v9
	v_or3_b32 v8, v11, v10, v8
	v_lshrrev_b32_e32 v7, 16, v7
	v_add_nc_u16 v10, 0xf000, v21
	v_and_b32_e32 v20, 0x1f00, v20
	v_add_nc_u16 v11, 0xf000, v22
	v_lshrrev_b32_e32 v8, 16, v8
	v_and_b32_e32 v21, 0x1f00, v7
	v_lshrrev_b16 v10, 8, v10
	v_lshlrev_b16 v7, 8, v7
	v_add_nc_u16 v9, 0xf000, v9
	v_and_b32_e32 v22, 0x1f00, v8
	v_lshlrev_b16 v8, 8, v8
	v_or_b32_e32 v10, v20, v10
	v_add_nc_u16 v20, 0xf000, v21
	v_add_nc_u16 v7, 0xf000, v7
	s_wait_loadcnt 0x3
	v_ashrrev_i32_e32 v19, v107, v19
	v_add_nc_u16 v21, 0xf000, v22
	v_add_nc_u16 v8, 0xf000, v8
	;; [unrolled: 1-line block ×3, first 2 shown]
	v_perm_b32 v9, v9, v11, 0xc0c0105
	v_perm_b32 v7, v7, v20, 0xc0c0105
	v_lshlrev_b32_e32 v11, 18, v19
	v_lshlrev_b32_e32 v20, 25, v19
	v_perm_b32 v8, v8, v21, 0xc0c0105
	v_and_b32_e32 v10, 0xffff, v10
	v_and_b32_e32 v21, 0xf0f0f0f, v12
	v_lshlrev_b32_e32 v22, 4, v19
	v_lshlrev_b32_e32 v24, 11, v19
	v_and_b32_e32 v11, 0x100000, v11
	v_and_b32_e32 v20, 0x10000000, v20
	v_lshl_or_b32 v7, v7, 16, v9
	v_lshl_or_b32 v8, v8, 16, v10
	v_and_b32_e32 v9, 16, v22
	v_and_b32_e32 v10, 0x1000, v24
	v_or3_b32 v11, v21, v11, v20
	v_lshrrev_b32_e32 v12, 4, v12
	v_lshrrev_b32_e32 v20, 12, v19
	;; [unrolled: 1-line block ×3, first 2 shown]
	v_or3_b32 v9, v9, v21, v10
	v_lshrrev_b32_e32 v10, 16, v11
	v_and_b32_e32 v11, 0xf0f0f0f, v12
	v_and_b32_e32 v12, 16, v20
	;; [unrolled: 1-line block ×3, first 2 shown]
	v_lshlrev_b32_e32 v21, 2, v19
	v_lshlrev_b32_e32 v19, 9, v19
	v_and_b32_e32 v22, 0x1f00, v9
	v_lshlrev_b16 v9, 8, v9
	v_or3_b32 v12, v12, v11, v20
	v_and_b32_e32 v20, 0x100000, v21
	v_add_nc_u32_e32 v21, 0x5960, v108
	v_and_b32_e32 v19, 0x10000000, v19
	v_add_nc_u16 v22, 0xf000, v22
	v_lshlrev_b16 v24, 8, v12
	v_and_b32_e32 v12, 0x1f00, v12
	ds_store_2addr_b32 v21, v7, v8 offset1:1
	v_or3_b32 v7, v11, v20, v19
	v_and_b32_e32 v8, 0x1f00, v10
	v_add_nc_u16 v11, 0xf000, v24
	v_lshlrev_b16 v10, 8, v10
	v_add_nc_u16 v9, 0xf000, v9
	v_lshrrev_b32_e32 v7, 16, v7
	v_add_nc_u16 v8, 0xf000, v8
	v_lshrrev_b16 v11, 8, v11
	v_add_nc_u16 v10, 0xf000, v10
	v_ashrrev_i32_e32 v15, v107, v15
	v_and_b32_e32 v19, 0x1f00, v7
	v_lshlrev_b16 v7, 8, v7
	v_or_b32_e32 v11, v12, v11
	v_perm_b32 v9, v9, v22, 0xc0c0105
	v_perm_b32 v8, v10, v8, 0xc0c0105
	v_add_nc_u16 v10, 0xf000, v19
	v_lshlrev_b32_e32 v12, 4, v15
	v_add_nc_u16 v7, 0xf000, v7
	v_add_nc_u16 v11, 0xf000, v11
	v_lshlrev_b32_e32 v19, 11, v15
	v_lshlrev_b32_e32 v21, 18, v15
	;; [unrolled: 1-line block ×3, first 2 shown]
	v_and_b32_e32 v20, 0xf0f0f0f, v13
	v_and_b32_e32 v12, 16, v12
	;; [unrolled: 1-line block ×3, first 2 shown]
	v_perm_b32 v7, v7, v10, 0xc0c0105
	v_and_b32_e32 v10, 0xffff, v11
	v_and_b32_e32 v11, 0x100000, v21
	v_and_b32_e32 v21, 0x10000000, v22
	v_or3_b32 v12, v12, v20, v19
	v_lshl_or_b32 v8, v8, 16, v9
	v_lshl_or_b32 v7, v7, 16, v10
	v_lshrrev_b32_e32 v9, 4, v13
	v_or3_b32 v10, v20, v11, v21
	v_lshlrev_b32_e32 v13, 2, v15
	v_lshlrev_b32_e32 v19, 9, v15
	v_lshrrev_b32_e32 v20, 12, v15
	v_lshrrev_b32_e32 v15, 5, v15
	v_and_b32_e32 v9, 0xf0f0f0f, v9
	v_and_b32_e32 v13, 0x100000, v13
	;; [unrolled: 1-line block ×3, first 2 shown]
	v_lshrrev_b32_e32 v10, 16, v10
	v_and_b32_e32 v20, 16, v20
	v_and_b32_e32 v15, 0x1000, v15
	v_and_b32_e32 v11, 0x1f00, v12
	v_or3_b32 v13, v9, v13, v19
	v_lshlrev_b16 v12, 8, v12
	v_and_b32_e32 v19, 0x1f00, v10
	v_or3_b32 v9, v20, v9, v15
	v_add_nc_u16 v11, 0xf000, v11
	v_lshlrev_b16 v10, 8, v10
	v_lshrrev_b32_e32 v13, 16, v13
	v_add_nc_u16 v12, 0xf000, v12
	v_add_nc_u16 v15, 0xf000, v19
	v_lshlrev_b16 v19, 8, v9
	v_add_nc_u16 v10, 0xf000, v10
	v_and_b32_e32 v20, 0x1f00, v13
	v_perm_b32 v11, v12, v11, 0xc0c0105
	v_ashrrev_i32_e32 v12, v107, v14
	v_add_nc_u16 v14, 0xf000, v19
	v_perm_b32 v10, v10, v15, 0xc0c0105
	v_add_nc_u16 v15, 0xf000, v20
	v_lshlrev_b16 v13, 8, v13
	v_lshlrev_b32_e32 v19, 4, v12
	v_and_b32_e32 v9, 0x1f00, v9
	v_lshrrev_b16 v14, 8, v14
	v_lshlrev_b32_e32 v20, 11, v12
	v_lshlrev_b32_e32 v22, 18, v12
	;; [unrolled: 1-line block ×3, first 2 shown]
	v_and_b32_e32 v21, 0xf0f0f0f, v16
	v_and_b32_e32 v19, 16, v19
	;; [unrolled: 1-line block ×3, first 2 shown]
	v_add_nc_u16 v13, 0xf000, v13
	v_or_b32_e32 v9, v9, v14
	v_and_b32_e32 v14, 0x100000, v22
	v_and_b32_e32 v22, 0x10000000, v24
	v_or3_b32 v19, v19, v21, v20
	v_lshl_or_b32 v10, v10, 16, v11
	v_perm_b32 v11, v13, v15, 0xc0c0105
	v_lshrrev_b32_e32 v15, 4, v16
	v_or3_b32 v13, v21, v14, v22
	v_lshrrev_b32_e32 v16, 12, v12
	v_lshrrev_b32_e32 v20, 5, v12
	v_lshlrev_b32_e32 v21, 2, v12
	v_lshlrev_b32_e32 v12, 9, v12
	v_and_b32_e32 v15, 0xf0f0f0f, v15
	v_and_b32_e32 v16, 16, v16
	;; [unrolled: 1-line block ×6, first 2 shown]
	v_lshlrev_b16 v19, 8, v19
	v_lshrrev_b32_e32 v13, 16, v13
	v_or3_b32 v16, v16, v15, v20
	v_or3_b32 v12, v15, v21, v12
	v_add_nc_u16 v14, 0xf000, v14
	v_add_nc_u16 v15, 0xf000, v19
	v_and_b32_e32 v19, 0x1f00, v13
	v_lshlrev_b16 v20, 8, v16
	v_lshrrev_b32_e32 v12, 16, v12
	v_lshlrev_b16 v13, 8, v13
	v_perm_b32 v14, v15, v14, 0xc0c0105
	v_add_nc_u16 v15, 0xf000, v19
	v_add_nc_u16 v19, 0xf000, v20
	v_and_b32_e32 v20, 0x1f00, v12
	v_lshlrev_b16 v12, 8, v12
	v_ashrrev_i32_e32 v18, v107, v18
	v_and_b32_e32 v16, 0x1f00, v16
	v_lshrrev_b16 v19, 8, v19
	v_add_nc_u16 v20, 0xf000, v20
	v_add_nc_u16 v12, 0xf000, v12
	;; [unrolled: 1-line block ×3, first 2 shown]
	v_lshrrev_b32_e32 v21, 12, v18
	v_lshrrev_b32_e32 v22, 5, v18
	v_or_b32_e32 v16, v16, v19
	v_perm_b32 v12, v12, v20, 0xc0c0105
	v_and_b32_e32 v20, 0xf0f0f0f, v17
	v_lshrrev_b32_e32 v17, 4, v17
	v_perm_b32 v13, v13, v15, 0xc0c0105
	v_lshlrev_b32_e32 v15, 4, v18
	v_lshlrev_b32_e32 v19, 11, v18
	v_and_b32_e32 v21, 16, v21
	v_and_b32_e32 v17, 0xf0f0f0f, v17
	;; [unrolled: 1-line block ×5, first 2 shown]
	v_lshlrev_b32_e32 v24, 18, v18
	v_lshlrev_b32_e32 v25, 25, v18
	v_lshlrev_b32_e32 v26, 2, v18
	v_lshlrev_b32_e32 v18, 9, v18
	v_or3_b32 v21, v21, v17, v22
	v_and_b32_e32 v24, 0x100000, v24
	v_and_b32_e32 v25, 0x10000000, v25
	v_or3_b32 v15, v15, v20, v19
	v_and_b32_e32 v19, 0x100000, v26
	v_and_b32_e32 v18, 0x10000000, v18
	v_lshlrev_b16 v22, 8, v21
	v_or3_b32 v20, v20, v24, v25
	v_and_b32_e32 v24, 0x1f00, v15
	v_and_b32_e32 v21, 0x1f00, v21
	v_or3_b32 v17, v17, v19, v18
	v_add_nc_u16 v19, 0xf000, v22
	v_lshrrev_b32_e32 v18, 16, v20
	v_lshlrev_b16 v15, 8, v15
	v_add_nc_u16 v20, 0xf000, v24
	v_lshrrev_b32_e32 v17, 16, v17
	v_lshrrev_b16 v19, 8, v19
	v_and_b32_e32 v22, 0x1f00, v18
	v_lshlrev_b16 v18, 8, v18
	v_add_nc_u16 v9, 0xf000, v9
	v_and_b32_e32 v24, 0x1f00, v17
	v_lshlrev_b16 v17, 8, v17
	v_or_b32_e32 v19, v21, v19
	v_add_nc_u16 v15, 0xf000, v15
	v_add_nc_u16 v21, 0xf000, v22
	;; [unrolled: 1-line block ×7, first 2 shown]
	v_and_b32_e32 v9, 0xffff, v9
	v_perm_b32 v15, v15, v20, 0xc0c0105
	v_perm_b32 v18, v18, v21, 0xc0c0105
	;; [unrolled: 1-line block ×3, first 2 shown]
	v_and_b32_e32 v19, 0xffff, v19
	v_and_b32_e32 v16, 0xffff, v16
	v_lshl_or_b32 v9, v11, 16, v9
	v_lshl_or_b32 v11, v13, 16, v14
	v_add_nc_u32_e32 v13, 0x6180, v108
	v_lshl_or_b32 v15, v18, 16, v15
	v_lshl_or_b32 v17, v17, 16, v19
	s_wait_loadcnt 0x1
	v_cvt_f32_f16_e32 v5, v5
	v_add_nc_u32_e32 v14, 0x69a0, v108
	v_cvt_f32_f16_e32 v4, v4
	s_wait_loadcnt 0x0
	v_cvt_f32_f16_e32 v6, v6
	v_lshl_or_b32 v12, v12, 16, v16
	v_add_nc_u32_e32 v16, 0x71c0, v108
	ds_store_2addr_b32 v13, v8, v7 offset1:1
	ds_store_2addr_b32 v14, v10, v9 offset1:1
	;; [unrolled: 1-line block ×4, first 2 shown]
	ds_store_b32 v148, v23
	ds_store_b32 v149, v4
	;; [unrolled: 1-line block ×4, first 2 shown]
	s_cbranch_scc0 .LBB121_5
; %bb.7:                                ;   in Loop: Header=BB121_6 Depth=1
	scratch_load_b64 v[0:1], off, off offset:12 ; 8-byte Folded Reload
	v_add_nc_u32_e32 v12, s10, v98
	s_mov_b32 s12, -4
	s_delay_alu instid0(VALU_DEP_1)
	v_add_nc_u32_e32 v14, v12, v135
	v_add_nc_u32_e32 v4, v12, v128
	;; [unrolled: 1-line block ×8, first 2 shown]
	v_mad_co_i64_i32 v[14:15], null, v14, 36, v[2:3]
	v_mad_co_i64_i32 v[4:5], null, v4, 36, v[2:3]
	;; [unrolled: 1-line block ×8, first 2 shown]
	s_wait_loadcnt 0x0
	v_add_nc_u32_e32 v159, s10, v0
	s_delay_alu instid0(VALU_DEP_1)
	v_mad_co_u64_u32 v[12:13], null, v159, 36, s[2:3]
	s_clause 0x8
	global_load_b32 v12, v[12:13], off
	global_load_b32 v13, v[14:15], off offset:4
	global_load_b32 v4, v[4:5], off offset:4
	;; [unrolled: 1-line block ×8, first 2 shown]
	s_clause 0x7
	scratch_load_b32 v0, off, off offset:8
	scratch_load_b32 v161, off, off offset:4
	;; [unrolled: 1-line block ×3, first 2 shown]
	scratch_load_b32 v163, off, off
	scratch_load_b32 v164, off, off offset:36
	scratch_load_b32 v165, off, off offset:32
	;; [unrolled: 1-line block ×4, first 2 shown]
	s_wait_loadcnt 0x10
	v_cvt_f32_f16_e32 v11, v12
	s_wait_loadcnt 0x7
	v_add_nc_u32_e32 v160, v110, v0
	ds_store_b32 v158, v13
	ds_store_b32 v160, v4
	;; [unrolled: 1-line block ×9, first 2 shown]
	s_wait_storecnt 0x0
	s_wait_loadcnt_dscnt 0x0
	s_barrier_signal -1
	s_barrier_wait -1
	global_inv scope:SCOPE_SE
.LBB121_8:                              ;   Parent Loop BB121_6 Depth=1
                                        ; =>  This Inner Loop Header: Depth=2
	ds_load_2addr_b32 v[4:5], v163 offset1:32
	ds_load_b32 v9, v164
	ds_load_b32 v8, v165
	;; [unrolled: 1-line block ×4, first 2 shown]
	v_add_nc_u32_e32 v58, 0x1814, v161
	v_add_nc_u32_e32 v167, 4, v167
	;; [unrolled: 1-line block ×5, first 2 shown]
	s_wait_alu 0xfffe
	s_add_co_i32 s12, s12, 4
	s_wait_alu 0xfffe
	s_cmp_lt_u32 s12, 12
	s_wait_dscnt 0x3
	v_mul_f32_e32 v191, v4, v9
	s_wait_dscnt 0x1
	v_dual_mul_f32 v188, v4, v8 :: v_dual_mul_f32 v187, v7, v5
	v_mul_f32_e32 v190, v4, v7
	s_wait_dscnt 0x0
	v_dual_mul_f32 v189, v4, v6 :: v_dual_mul_f32 v186, v9, v5
	v_mul_f32_e32 v194, v8, v5
	v_mul_f32_e32 v184, v6, v5
	ds_load_2addr_b32 v[4:5], v163 offset0:64 offset1:96
	v_add_nc_u32_e32 v25, 0x414, v161
	s_wait_dscnt 0x0
	v_mul_f32_e32 v185, v9, v4
	v_mul_f32_e32 v183, v8, v4
	;; [unrolled: 1-line block ×3, first 2 shown]
	v_dual_mul_f32 v181, v6, v4 :: v_dual_mul_f32 v180, v9, v5
	v_mul_f32_e32 v179, v8, v5
	v_mul_f32_e32 v178, v7, v5
	;; [unrolled: 1-line block ×3, first 2 shown]
	ds_load_2addr_b32 v[4:5], v163 offset0:128 offset1:160
	v_add_nc_u32_e32 v22, 0x2098, v162
	s_wait_dscnt 0x0
	v_dual_mul_f32 v177, v9, v4 :: v_dual_add_nc_u32 v40, 0x80c, v161
	v_mul_f32_e32 v175, v8, v4
	v_mul_f32_e32 v174, v7, v4
	v_dual_mul_f32 v173, v6, v4 :: v_dual_mul_f32 v172, v9, v5
	v_mul_f32_e32 v171, v8, v5
	v_mul_f32_e32 v170, v7, v5
	;; [unrolled: 1-line block ×3, first 2 shown]
	ds_load_2addr_b32 v[4:5], v163 offset0:192 offset1:224
	v_add_nc_u32_e32 v163, 4, v163
	s_wait_dscnt 0x0
	v_mul_f32_e32 v169, v9, v4
	v_dual_mul_f32 v192, v9, v5 :: v_dual_mul_f32 v199, v6, v4
	v_mul_f32_e32 v193, v8, v4
	v_dual_mul_f32 v196, v8, v5 :: v_dual_mul_f32 v197, v7, v4
	v_mul_f32_e32 v195, v7, v5
	v_mul_f32_e32 v198, v6, v5
	ds_load_2addr_b32 v[12:13], v161 offset1:7
	ds_load_2addr_b32 v[10:11], v162 offset1:1
	ds_load_2addr_b32 v[4:5], v162 offset0:2 offset1:3
	ds_load_2addr_b32 v[6:7], v162 offset0:4 offset1:5
	;; [unrolled: 1-line block ×3, first 2 shown]
	s_wait_dscnt 0x4
	v_lshlrev_b32_e32 v213, 8, v13
	s_wait_dscnt 0x3
	v_perm_b32 v14, v12, v11, 0xc0c0703
	s_wait_dscnt 0x2
	v_perm_b32 v15, v5, v4, 0x7030c0c
	v_lshlrev_b32_e32 v215, 16, v13
	s_wait_dscnt 0x0
	v_perm_b32 v17, v9, v8, 0x7030c0c
	v_perm_b32 v251, v11, v11, 0x2010003
	v_or_b32_e32 v14, v15, v14
	v_add_nc_u32_e32 v15, 0x1c14, v161
	ds_load_2addr_b32 v[26:27], v15 offset1:1
	ds_load_2addr_b32 v[20:21], v161 offset0:3 offset1:4
	ds_load_2addr_b32 v[30:31], v161 offset0:5 offset1:6
	ds_load_2addr_b32 v[32:33], v161 offset0:1 offset1:2
	s_wait_dscnt 0x2
	v_perm_b32 v15, v10, v21, 0xc0c0703
	v_perm_b32 v18, v13, v20, 0x7030c0c
	s_wait_dscnt 0x0
	v_perm_b32 v16, v30, v32, 0x7030c0c
	v_lshlrev_b32_e32 v243, 8, v32
	v_lshlrev_b32_e32 v244, 8, v30
	;; [unrolled: 1-line block ×4, first 2 shown]
	v_or_b32_e32 v15, v16, v15
	v_perm_b32 v16, v7, v6, 0xc0c0703
	v_lshlrev_b32_e32 v219, 8, v31
	v_perm_b32 v47, v10, v245, 0xc0c0603
	v_lshlrev_b32_e32 v214, 8, v20
	v_dot4_i32_iu8 v14, v15, v14, 0 neg_lo:[1,1,0]
	v_or_b32_e32 v16, v17, v16
	v_perm_b32 v17, v31, v33, 0xc0c0703
	v_add_nc_u32_e32 v15, 0x400, v161
	v_perm_b32 v50, v213, v214, 0x7030c0c
	v_lshlrev_b32_e32 v246, 16, v32
	v_lshlrev_b32_e32 v247, 16, v30
	v_or_b32_e32 v17, v18, v17
	v_lshlrev_b32_e32 v248, 16, v21
	v_lshlrev_b32_e32 v218, 16, v33
	;; [unrolled: 1-line block ×4, first 2 shown]
	v_dot4_i32_iu8 v200, v17, v16, v14 neg_lo:[1,1,0]
	v_add_nc_u32_e32 v14, 0x2080, v162
	v_add_nc_u32_e32 v16, 0x2088, v162
	;; [unrolled: 1-line block ×3, first 2 shown]
	ds_load_2addr_b32 v[18:19], v14 offset1:1
	ds_load_2addr_b32 v[14:15], v15 offset1:7
	;; [unrolled: 1-line block ×5, first 2 shown]
	s_wait_dscnt 0x4
	v_bfe_i32 v22, v18, 16, 8
	s_wait_dscnt 0x3
	v_bfe_i32 v23, v14, 16, 8
	v_bfe_i32 v24, v14, 0, 8
	v_perm_b32 v136, v19, v19, 0x2010003
	s_delay_alu instid0(VALU_DEP_3) | instskip(SKIP_1) | instid1(VALU_DEP_1)
	v_mul_i32_i24_e32 v22, v23, v22
	v_bfe_i32 v23, v18, 0, 8
	v_mad_i32_i24 v36, v24, v23, v22
	v_ashrrev_i32_e32 v22, 24, v18
	v_ashrrev_i32_e32 v23, 24, v14
	v_lshrrev_b16 v24, 8, v14
	s_delay_alu instid0(VALU_DEP_2) | instskip(SKIP_1) | instid1(VALU_DEP_3)
	v_mul_i32_i24_e32 v22, v23, v22
	v_lshrrev_b16 v23, 8, v18
	v_bfe_i32 v24, v24, 0, 8
	s_delay_alu instid0(VALU_DEP_2) | instskip(NEXT) | instid1(VALU_DEP_1)
	v_bfe_i32 v23, v23, 0, 8
	v_mad_i32_i24 v37, v24, v23, v22
	v_add_nc_u32_e32 v22, 0x40c, v161
	v_add_nc_u32_e32 v24, 0x404, v161
	ds_load_2addr_b32 v[22:23], v22 offset1:1
	ds_load_2addr_b32 v[38:39], v24 offset1:1
	;; [unrolled: 1-line block ×4, first 2 shown]
	v_bfe_i32 v40, v19, 8, 8
	s_wait_dscnt 0x3
	v_bfe_i32 v41, v23, 8, 8
	v_ashrrev_i32_e32 v42, 24, v23
	s_wait_dscnt 0x2
	v_bfe_i32 v43, v38, 16, 8
	s_wait_dscnt 0x1
	v_bfe_i32 v44, v35, 0, 8
	v_bfe_i32 v45, v22, 0, 8
	v_mul_i32_i24_e32 v40, v41, v40
	v_ashrrev_i32_e32 v41, 24, v19
	v_bfe_i32 v46, v22, 16, 8
	s_delay_alu instid0(VALU_DEP_2) | instskip(SKIP_3) | instid1(VALU_DEP_2)
	v_mad_i32_i24 v201, v42, v41, v40
	v_bfe_i32 v40, v48, 8, 8
	v_bfe_i32 v41, v38, 8, 8
	;; [unrolled: 1-line block ×3, first 2 shown]
	v_mul_i32_i24_e32 v40, v41, v40
	v_bfe_i32 v41, v48, 0, 8
	s_delay_alu instid0(VALU_DEP_1) | instskip(SKIP_2) | instid1(VALU_DEP_1)
	v_mad_i32_i24 v40, v42, v41, v40
	v_ashrrev_i32_e32 v41, 24, v49
	v_ashrrev_i32_e32 v42, 24, v34
	v_mul_i32_i24_e32 v41, v42, v41
	v_bfe_i32 v42, v48, 16, 8
	s_delay_alu instid0(VALU_DEP_1) | instskip(SKIP_3) | instid1(VALU_DEP_2)
	v_mad_i32_i24 v202, v43, v42, v41
	v_bfe_i32 v41, v49, 8, 8
	v_bfe_i32 v42, v34, 8, 8
	v_bfe_i32 v43, v34, 0, 8
	v_mul_i32_i24_e32 v41, v42, v41
	v_bfe_i32 v42, v49, 0, 8
	s_delay_alu instid0(VALU_DEP_1) | instskip(SKIP_3) | instid1(VALU_DEP_2)
	v_mad_i32_i24 v203, v43, v42, v41
	v_bfe_i32 v41, v28, 8, 8
	v_bfe_i32 v42, v39, 8, 8
	;; [unrolled: 1-line block ×3, first 2 shown]
	v_mul_i32_i24_e32 v41, v42, v41
	v_bfe_i32 v42, v28, 0, 8
	s_delay_alu instid0(VALU_DEP_1) | instskip(SKIP_2) | instid1(VALU_DEP_1)
	v_mad_i32_i24 v41, v43, v42, v41
	v_bfe_i32 v42, v29, 8, 8
	v_bfe_i32 v43, v35, 8, 8
	v_mul_i32_i24_e32 v42, v43, v42
	v_bfe_i32 v43, v29, 0, 8
	s_delay_alu instid0(VALU_DEP_1) | instskip(SKIP_2) | instid1(VALU_DEP_1)
	v_mad_i32_i24 v42, v44, v43, v42
	v_bfe_i32 v43, v16, 8, 8
	v_bfe_i32 v44, v22, 8, 8
	v_mul_i32_i24_e32 v43, v44, v43
	v_bfe_i32 v44, v16, 0, 8
	s_delay_alu instid0(VALU_DEP_1) | instskip(SKIP_2) | instid1(VALU_DEP_1)
	v_mad_i32_i24 v43, v45, v44, v43
	v_ashrrev_i32_e32 v44, 24, v17
	v_ashrrev_i32_e32 v45, 24, v15
	v_mul_i32_i24_e32 v44, v45, v44
	v_bfe_i32 v45, v16, 16, 8
	s_delay_alu instid0(VALU_DEP_1) | instskip(SKIP_3) | instid1(VALU_DEP_2)
	v_mad_i32_i24 v204, v46, v45, v44
	v_bfe_i32 v44, v17, 8, 8
	v_bfe_i32 v45, v15, 8, 8
	v_bfe_i32 v46, v15, 0, 8
	v_mul_i32_i24_e32 v44, v45, v44
	v_bfe_i32 v45, v17, 0, 8
	s_delay_alu instid0(VALU_DEP_1) | instskip(SKIP_3) | instid1(VALU_DEP_2)
	v_mad_i32_i24 v205, v46, v45, v44
	v_perm_b32 v44, v12, v11, 0xc0c0602
	v_perm_b32 v45, v5, v4, 0x6020c0c
	;; [unrolled: 1-line block ×3, first 2 shown]
	v_or_b32_e32 v44, v45, v44
	v_perm_b32 v45, v7, v6, 0xc0c0602
	s_delay_alu instid0(VALU_DEP_1) | instskip(SKIP_1) | instid1(VALU_DEP_1)
	v_or_b32_e32 v45, v46, v45
	v_perm_b32 v46, v244, v243, 0x7030c0c
	v_or_b32_e32 v46, v46, v47
	v_perm_b32 v47, v219, v220, 0xc0c0703
	s_delay_alu instid0(VALU_DEP_2) | instskip(NEXT) | instid1(VALU_DEP_2)
	v_dot4_i32_iu8 v44, v46, v44, 0 neg_lo:[1,1,0]
	v_or_b32_e32 v47, v50, v47
	v_perm_b32 v46, v9, v8, 0x5010c0c
	v_perm_b32 v50, v215, v216, 0x7030c0c
	s_delay_alu instid0(VALU_DEP_3) | instskip(SKIP_4) | instid1(VALU_DEP_3)
	v_dot4_i32_iu8 v206, v47, v45, v44 neg_lo:[1,1,0]
	v_perm_b32 v44, v12, v11, 0xc0c0501
	v_perm_b32 v45, v5, v4, 0x5010c0c
	;; [unrolled: 1-line block ×4, first 2 shown]
	v_or_b32_e32 v44, v45, v44
	v_perm_b32 v45, v7, v6, 0xc0c0501
	s_delay_alu instid0(VALU_DEP_1) | instskip(SKIP_1) | instid1(VALU_DEP_1)
	v_or_b32_e32 v45, v46, v45
	v_perm_b32 v46, v247, v246, 0x7030c0c
	v_or_b32_e32 v46, v46, v47
	v_perm_b32 v47, v217, v218, 0xc0c0703
	s_delay_alu instid0(VALU_DEP_2) | instskip(NEXT) | instid1(VALU_DEP_2)
	v_dot4_i32_iu8 v44, v46, v44, 0 neg_lo:[1,1,0]
	v_or_b32_e32 v47, v50, v47
	s_delay_alu instid0(VALU_DEP_1) | instskip(SKIP_2) | instid1(VALU_DEP_1)
	v_dot4_i32_iu8 v207, v47, v45, v44 neg_lo:[1,1,0]
	v_bfe_i32 v44, v23, 0, 8
	v_bfe_i32 v45, v19, 0, 8
	v_mul_i32_i24_e32 v44, v44, v45
	v_add_nc_u32_e32 v45, 0x1414, v161
	s_delay_alu instid0(VALU_DEP_2) | instskip(SKIP_3) | instid1(VALU_DEP_2)
	v_add3_u32 v208, v36, v37, v44
	v_bfe_i32 v36, v23, 16, 8
	v_bfe_i32 v37, v19, 16, 8
	v_ashrrev_i32_e32 v44, 24, v48
	v_mul_i32_i24_e32 v36, v36, v37
	v_ashrrev_i32_e32 v37, 24, v38
	s_delay_alu instid0(VALU_DEP_1) | instskip(SKIP_1) | instid1(VALU_DEP_2)
	v_mul_i32_i24_e32 v37, v37, v44
	v_add_nc_u32_e32 v44, 0x1014, v161
	v_add3_u32 v209, v36, v37, v40
	v_bfe_i32 v36, v34, 16, 8
	v_bfe_i32 v37, v49, 16, 8
	v_ashrrev_i32_e32 v40, 24, v28
	s_delay_alu instid0(VALU_DEP_2) | instskip(SKIP_1) | instid1(VALU_DEP_1)
	v_mul_i32_i24_e32 v36, v36, v37
	v_ashrrev_i32_e32 v37, 24, v39
	v_mul_i32_i24_e32 v37, v37, v40
	v_ashrrev_i32_e32 v40, 24, v29
	s_delay_alu instid0(VALU_DEP_2) | instskip(SKIP_2) | instid1(VALU_DEP_1)
	v_add3_u32 v210, v36, v37, v41
	v_bfe_i32 v36, v39, 16, 8
	v_bfe_i32 v37, v28, 16, 8
	v_mul_i32_i24_e32 v36, v36, v37
	v_ashrrev_i32_e32 v37, 24, v35
	s_delay_alu instid0(VALU_DEP_1) | instskip(SKIP_1) | instid1(VALU_DEP_2)
	v_mul_i32_i24_e32 v37, v37, v40
	v_ashrrev_i32_e32 v40, 24, v16
	v_add3_u32 v211, v36, v37, v42
	v_bfe_i32 v36, v35, 16, 8
	v_bfe_i32 v37, v29, 16, 8
	v_add_nc_u32_e32 v42, 0x1004, v161
	s_delay_alu instid0(VALU_DEP_2) | instskip(SKIP_1) | instid1(VALU_DEP_1)
	v_mul_i32_i24_e32 v36, v36, v37
	v_ashrrev_i32_e32 v37, 24, v22
	v_mul_i32_i24_e32 v37, v37, v40
	v_add_nc_u32_e32 v40, 0x814, v161
	s_delay_alu instid0(VALU_DEP_2) | instskip(SKIP_4) | instid1(VALU_DEP_3)
	v_add3_u32 v212, v36, v37, v43
	v_lshlrev_b32_e32 v36, 16, v23
	v_lshlrev_b32_e32 v37, 8, v23
	v_add_nc_u32_e32 v43, 0xc14, v161
	v_perm_b32 v23, v23, v23, 0xc0c0003
	v_perm_b32 v229, v37, v36, 0x7030c0c
	v_lshlrev_b32_e32 v36, 16, v38
	v_lshlrev_b32_e32 v37, 8, v38
	v_perm_b32 v38, v38, v38, 0xc0c0003
	s_delay_alu instid0(VALU_DEP_4) | instskip(SKIP_1) | instid1(VALU_DEP_4)
	v_or_b32_e32 v23, v229, v23
	v_add_nc_u32_e32 v229, 0x6180, v162
	v_perm_b32 v230, v37, v36, 0x7030c0c
	s_wait_dscnt 0x0
	v_lshlrev_b32_e32 v36, 16, v25
	v_lshlrev_b32_e32 v37, 8, v25
	v_perm_b32 v25, v25, v25, 0xc0c0003
	v_dot4_i32_iu8 v254, v23, v251, 0 neg_lo:[1,1,0]
	s_delay_alu instid0(VALU_DEP_3)
	v_perm_b32 v231, v37, v36, 0x7030c0c
	v_add_nc_u32_e32 v36, 0x804, v161
	v_add_nc_u32_e32 v37, 0xc04, v161
	ds_load_2addr_b32 v[62:63], v36 offset1:1
	ds_load_2addr_b32 v[60:61], v37 offset1:1
	;; [unrolled: 1-line block ×3, first 2 shown]
	v_or_b32_e32 v25, v231, v25
	v_add_nc_u32_e32 v231, 0x4108, v162
	s_delay_alu instid0(VALU_DEP_2) | instskip(SKIP_4) | instid1(VALU_DEP_1)
	v_dot4_i32_iu8 v0, v25, v251, 0 neg_lo:[1,1,0]
	v_dot4_i32_iu8 v143, v25, v136, 0 neg_lo:[1,1,0]
	s_wait_dscnt 0x2
	v_lshlrev_b32_e32 v36, 16, v62
	v_lshlrev_b32_e32 v37, 8, v62
	v_perm_b32 v232, v37, v36, 0x7030c0c
	v_add_nc_u32_e32 v36, 0xc0c, v161
	ds_load_2addr_b32 v[36:37], v36 offset1:1
	s_wait_dscnt 0x0
	v_lshlrev_b32_e32 v40, 16, v37
	v_lshlrev_b32_e32 v41, 8, v37
	v_perm_b32 v37, v37, v37, 0xc0c0003
	s_delay_alu instid0(VALU_DEP_2) | instskip(SKIP_2) | instid1(VALU_DEP_3)
	v_perm_b32 v233, v41, v40, 0x7030c0c
	v_lshlrev_b32_e32 v40, 16, v60
	v_lshlrev_b32_e32 v41, 8, v60
	v_or_b32_e32 v250, v233, v37
	v_perm_b32 v37, v60, v60, 0xc0c0003
	s_delay_alu instid0(VALU_DEP_3)
	v_perm_b32 v234, v41, v40, 0x7030c0c
	v_add_nc_u32_e32 v40, 0x100c, v161
	ds_load_2addr_b32 v[40:41], v40 offset1:1
	ds_load_2addr_b32 v[221:222], v42 offset1:1
	;; [unrolled: 1-line block ×4, first 2 shown]
	v_add_nc_u32_e32 v44, 0x1404, v161
	v_or_b32_e32 v60, v234, v37
	v_add_nc_u32_e32 v233, 0x4110, v162
	v_dot4_i32_iu8 v145, v250, v251, 0 neg_lo:[1,1,0]
	v_dot4_i32_iu8 v146, v250, v136, 0 neg_lo:[1,1,0]
	s_wait_dscnt 0x3
	v_lshlrev_b32_e32 v42, 16, v41
	v_lshlrev_b32_e32 v43, 8, v41
	v_perm_b32 v37, v41, v41, 0xc0c0003
	s_delay_alu instid0(VALU_DEP_2) | instskip(SKIP_3) | instid1(VALU_DEP_3)
	v_perm_b32 v235, v43, v42, 0x7030c0c
	s_wait_dscnt 0x2
	v_lshlrev_b32_e32 v42, 16, v221
	v_lshlrev_b32_e32 v43, 8, v221
	v_or_b32_e32 v41, v235, v37
	v_perm_b32 v37, v221, v221, 0xc0c0003
	s_delay_alu instid0(VALU_DEP_3)
	v_perm_b32 v236, v43, v42, 0x7030c0c
	v_add_nc_u32_e32 v42, 0x140c, v161
	ds_load_2addr_b32 v[42:43], v42 offset1:1
	ds_load_2addr_b32 v[223:224], v44 offset1:1
	;; [unrolled: 1-line block ×3, first 2 shown]
	v_or_b32_e32 v221, v236, v37
	v_add_nc_u32_e32 v235, 0x4118, v162
	v_dot4_i32_iu8 v74, v41, v251, 0 neg_lo:[1,1,0]
	v_dot4_i32_iu8 v75, v41, v136, 0 neg_lo:[1,1,0]
	s_wait_dscnt 0x2
	v_lshlrev_b32_e32 v44, 16, v43
	v_lshlrev_b32_e32 v45, 8, v43
	v_perm_b32 v37, v43, v43, 0xc0c0003
	s_delay_alu instid0(VALU_DEP_2) | instskip(SKIP_3) | instid1(VALU_DEP_3)
	v_perm_b32 v237, v45, v44, 0x7030c0c
	s_wait_dscnt 0x1
	v_lshlrev_b32_e32 v44, 16, v223
	v_lshlrev_b32_e32 v45, 8, v223
	v_or_b32_e32 v43, v237, v37
	v_perm_b32 v37, v223, v223, 0xc0c0003
	s_delay_alu instid0(VALU_DEP_3)
	v_perm_b32 v238, v45, v44, 0x7030c0c
	v_add_nc_u32_e32 v44, 0x180c, v161
	v_add_nc_u32_e32 v237, 0x6188, v162
	v_dot4_i32_iu8 v79, v43, v251, 0 neg_lo:[1,1,0]
	v_dot4_i32_iu8 v141, v43, v136, 0 neg_lo:[1,1,0]
	v_or_b32_e32 v223, v238, v37
	ds_load_2addr_b32 v[44:45], v44 offset1:1
	s_wait_dscnt 0x0
	v_lshlrev_b32_e32 v46, 16, v45
	v_lshlrev_b32_e32 v47, 8, v45
	v_perm_b32 v37, v45, v45, 0xc0c0003
	s_delay_alu instid0(VALU_DEP_2)
	v_perm_b32 v239, v47, v46, 0x7030c0c
	v_add_nc_u32_e32 v46, 0x1804, v161
	v_add_nc_u32_e32 v47, 0x1c04, v161
	ds_load_2addr_b32 v[225:226], v46 offset1:1
	ds_load_2addr_b32 v[227:228], v47 offset1:1
	ds_load_2addr_b32 v[58:59], v58 offset1:1
	v_or_b32_e32 v45, v239, v37
	v_add_nc_u32_e32 v239, 0x6190, v162
	s_delay_alu instid0(VALU_DEP_2)
	v_dot4_i32_iu8 v114, v45, v251, 0 neg_lo:[1,1,0]
	v_dot4_i32_iu8 v1, v45, v136, 0 neg_lo:[1,1,0]
	s_wait_dscnt 0x2
	v_lshlrev_b32_e32 v46, 16, v225
	v_lshlrev_b32_e32 v47, 8, v225
	v_perm_b32 v37, v225, v225, 0xc0c0003
	s_wait_dscnt 0x1
	v_lshlrev_b32_e32 v249, 8, v227
	s_delay_alu instid0(VALU_DEP_3) | instskip(SKIP_1) | instid1(VALU_DEP_2)
	v_perm_b32 v240, v47, v46, 0x7030c0c
	v_add_nc_u32_e32 v46, 0x1c0c, v161
	v_or_b32_e32 v225, v240, v37
	ds_load_2addr_b32 v[46:47], v46 offset1:1
	s_wait_dscnt 0x0
	v_lshlrev_b32_e32 v241, 16, v47
	v_lshlrev_b32_e32 v242, 8, v47
	v_perm_b32 v37, v47, v47, 0xc0c0003
	s_delay_alu instid0(VALU_DEP_2) | instskip(SKIP_1) | instid1(VALU_DEP_2)
	v_perm_b32 v241, v242, v241, 0x7030c0c
	v_lshlrev_b32_e32 v242, 16, v227
	v_or_b32_e32 v47, v241, v37
	s_delay_alu instid0(VALU_DEP_2)
	v_perm_b32 v242, v249, v242, 0x7030c0c
	v_perm_b32 v37, v227, v227, 0xc0c0003
	v_or_b32_e32 v249, v230, v38
	v_perm_b32 v38, v62, v62, 0xc0c0003
	v_add_nc_u32_e32 v241, 0x6198, v162
	v_dot4_i32_iu8 v251, v47, v251, 0 neg_lo:[1,1,0]
	v_or_b32_e32 v227, v242, v37
	v_add_nc_u32_e32 v37, 0x4100, v162
	v_or_b32_e32 v62, v232, v38
	ds_load_2addr_b32 v[37:38], v37 offset1:1
	ds_load_2addr_b32 v[229:230], v229 offset1:1
	;; [unrolled: 1-line block ×8, first 2 shown]
	v_dot4_i32_iu8 v136, v47, v136, 0 neg_lo:[1,1,0]
	v_add_nc_u32_e32 v162, 32, v162
	s_wait_dscnt 0x7
	v_perm_b32 v252, v38, v38, 0x2010003
	s_wait_dscnt 0x6
	v_perm_b32 v253, v230, v230, 0x2010003
	;; [unrolled: 2-line block ×3, first 2 shown]
	v_dot4_i32_iu8 v255, v23, v252, 0 neg_lo:[1,1,0]
	s_delay_alu instid0(VALU_DEP_3)
	v_dot4_i32_iu8 v23, v23, v253, 0 neg_lo:[1,1,0]
	v_dot4_i32_iu8 v144, v25, v252, 0 neg_lo:[1,1,0]
	;; [unrolled: 1-line block ×13, first 2 shown]
	v_perm_b32 v253, v4, v4, 0x2010003
	s_wait_dscnt 0x2
	v_perm_b32 v139, v237, v237, 0x2010003
	v_dot4_i32_iu8 v255, v249, v138, v255 neg_lo:[1,1,0]
	v_dot4_i32_iu8 v100, v221, v138, v100 neg_lo:[1,1,0]
	v_dot4_i32_iu8 v144, v62, v138, v144 neg_lo:[1,1,0]
	v_dot4_i32_iu8 v254, v249, v253, v254 neg_lo:[1,1,0]
	v_dot4_i32_iu8 v23, v249, v139, v23 neg_lo:[1,1,0]
	v_perm_b32 v249, v48, v48, 0x2010003
	v_dot4_i32_iu8 v74, v221, v253, v74 neg_lo:[1,1,0]
	v_dot4_i32_iu8 v41, v221, v139, v41 neg_lo:[1,1,0]
	v_dot4_i32_iu8 v0, v62, v253, v0 neg_lo:[1,1,0]
	v_dot4_i32_iu8 v25, v62, v139, v25 neg_lo:[1,1,0]
	v_dot4_i32_iu8 v75, v221, v249, v75 neg_lo:[1,1,0]
	v_lshlrev_b32_e32 v221, 24, v21
	v_dot4_i32_iu8 v143, v62, v249, v143 neg_lo:[1,1,0]
	v_dot4_i32_iu8 v62, v60, v253, v145 neg_lo:[1,1,0]
	;; [unrolled: 1-line block ×8, first 2 shown]
	v_perm_b32 v139, v21, v245, 0x7030c0c
	v_perm_b32 v21, v248, v221, 0xc0c0703
	v_dot4_i32_iu8 v79, v223, v253, v79 neg_lo:[1,1,0]
	v_dot4_i32_iu8 v141, v223, v249, v141 neg_lo:[1,1,0]
	;; [unrolled: 1-line block ×4, first 2 shown]
	v_or_b32_e32 v21, v139, v21
	v_lshlrev_b32_e32 v139, 24, v32
	v_perm_b32 v32, v32, v243, 0x7030c0c
	v_dot4_i32_iu8 v1, v225, v249, v1 neg_lo:[1,1,0]
	v_dot4_i32_iu8 v137, v225, v138, v137 neg_lo:[1,1,0]
	;; [unrolled: 1-line block ×3, first 2 shown]
	v_perm_b32 v223, v246, v139, 0xc0c0703
	v_dot4_i32_iu8 v136, v227, v249, v136 neg_lo:[1,1,0]
	v_dot4_i32_iu8 v138, v227, v138, v252 neg_lo:[1,1,0]
	;; [unrolled: 1-line block ×3, first 2 shown]
	v_perm_b32 v4, v5, v4, 0x4000c0c
	v_or_b32_e32 v32, v32, v223
	v_lshlrev_b32_e32 v223, 24, v30
	v_perm_b32 v30, v30, v244, 0x7030c0c
	v_dot4_i32_iu8 v227, v21, v230, v227 neg_lo:[1,1,0]
	v_perm_b32 v230, v238, v238, 0x2010003
	v_or_b32_e32 v4, v4, v11
	v_perm_b32 v225, v247, v223, 0xc0c0703
	s_delay_alu instid0(VALU_DEP_4) | instskip(SKIP_1) | instid1(VALU_DEP_3)
	v_dot4_i32_iu8 v227, v32, v237, v227 neg_lo:[1,1,0]
	v_lshlrev_b32_e32 v237, 8, v58
	v_or_b32_e32 v30, v30, v225
	v_dot4_i32_iu8 v225, v12, v37, 0 neg_lo:[1,1,0]
	s_delay_alu instid0(VALU_DEP_2) | instskip(NEXT) | instid1(VALU_DEP_2)
	v_dot4_i32_iu8 v227, v30, v238, v227 neg_lo:[1,1,0]
	v_dot4_i32_iu8 v38, v21, v38, v225 neg_lo:[1,1,0]
	v_perm_b32 v225, v232, v232, 0x2010003
	v_lshlrev_b32_e32 v238, 8, v26
	s_delay_alu instid0(VALU_DEP_3) | instskip(SKIP_2) | instid1(VALU_DEP_3)
	v_dot4_i32_iu8 v38, v32, v231, v38 neg_lo:[1,1,0]
	v_dot4_i32_iu8 v231, v18, v12, 0 neg_lo:[1,1,0]
	v_perm_b32 v12, v10, v221, 0xc0c0403
	v_dot4_i32_iu8 v38, v30, v232, v38 neg_lo:[1,1,0]
	s_delay_alu instid0(VALU_DEP_3) | instskip(SKIP_3) | instid1(VALU_DEP_4)
	v_dot4_i32_iu8 v19, v21, v19, v231 neg_lo:[1,1,0]
	v_perm_b32 v21, v49, v49, 0x2010003
	v_lshlrev_b32_e32 v231, 8, v52
	v_lshlrev_b32_e32 v232, 8, v56
	v_dot4_i32_iu8 v19, v32, v48, v19 neg_lo:[1,1,0]
	v_lshlrev_b32_e32 v32, 8, v34
	v_lshlrev_b32_e32 v48, 8, v50
	s_delay_alu instid0(VALU_DEP_3) | instskip(SKIP_3) | instid1(VALU_DEP_3)
	v_dot4_i32_iu8 v19, v30, v49, v19 neg_lo:[1,1,0]
	v_lshlrev_b32_e32 v30, 16, v34
	v_lshlrev_b32_e32 v49, 8, v54
	v_perm_b32 v34, v34, v34, 0xc0c0003
	v_perm_b32 v30, v32, v30, 0x7030c0c
	v_lshlrev_b32_e32 v32, 16, v50
	s_delay_alu instid0(VALU_DEP_2) | instskip(NEXT) | instid1(VALU_DEP_2)
	v_or_b32_e32 v30, v30, v34
	v_perm_b32 v32, v48, v32, 0x7030c0c
	v_lshlrev_b32_e32 v48, 16, v54
	v_perm_b32 v34, v50, v50, 0xc0c0003
	v_perm_b32 v50, v58, v58, 0xc0c0003
	v_dot4_i32_iu8 v23, v30, v230, v23 neg_lo:[1,1,0]
	s_delay_alu instid0(VALU_DEP_4) | instskip(SKIP_3) | instid1(VALU_DEP_3)
	v_perm_b32 v48, v49, v48, 0x7030c0c
	v_lshlrev_b32_e32 v49, 16, v52
	v_or_b32_e32 v32, v32, v34
	v_perm_b32 v34, v54, v54, 0xc0c0003
	v_perm_b32 v49, v231, v49, 0x7030c0c
	v_lshlrev_b32_e32 v231, 16, v56
	s_delay_alu instid0(VALU_DEP_3)
	v_or_b32_e32 v34, v48, v34
	v_perm_b32 v48, v52, v52, 0xc0c0003
	v_perm_b32 v52, v5, v5, 0x2010003
	v_dot4_i32_iu8 v25, v32, v230, v25 neg_lo:[1,1,0]
	v_perm_b32 v231, v232, v231, 0x7030c0c
	v_lshlrev_b32_e32 v232, 16, v58
	v_or_b32_e32 v48, v49, v48
	v_perm_b32 v49, v56, v56, 0xc0c0003
	v_dot4_i32_iu8 v54, v30, v52, v254 neg_lo:[1,1,0]
	v_dot4_i32_iu8 v56, v30, v225, v255 neg_lo:[1,1,0]
	v_perm_b32 v232, v237, v232, 0x7030c0c
	v_lshlrev_b32_e32 v237, 16, v26
	v_perm_b32 v26, v26, v26, 0xc0c0003
	v_or_b32_e32 v49, v231, v49
	v_dot4_i32_iu8 v0, v32, v52, v0 neg_lo:[1,1,0]
	v_or_b32_e32 v50, v232, v50
	v_perm_b32 v237, v238, v237, 0x7030c0c
	v_dot4_i32_iu8 v30, v32, v21, v143 neg_lo:[1,1,0]
	v_dot4_i32_iu8 v58, v32, v225, v144 neg_lo:[1,1,0]
	;; [unrolled: 1-line block ×4, first 2 shown]
	v_or_b32_e32 v26, v237, v26
	v_dot4_i32_iu8 v143, v34, v225, v146 neg_lo:[1,1,0]
	v_dot4_i32_iu8 v34, v34, v230, v60 neg_lo:[1,1,0]
	;; [unrolled: 1-line block ×18, first 2 shown]
	v_lshlrev_b32_e32 v47, 16, v39
	v_lshlrev_b32_e32 v136, 8, v39
	;; [unrolled: 1-line block ×8, first 2 shown]
	v_perm_b32 v146, v222, v222, 0xc0c0003
	v_lshlrev_b32_e32 v147, 16, v224
	v_lshlrev_b32_e32 v222, 8, v224
	;; [unrolled: 1-line block ×6, first 2 shown]
	v_perm_b32 v39, v39, v39, 0xc0c0003
	v_perm_b32 v63, v63, v63, 0xc0c0003
	;; [unrolled: 1-line block ×13, first 2 shown]
	v_or_b32_e32 v39, v47, v39
	v_or_b32_e32 v47, v136, v63
	;; [unrolled: 1-line block ×7, first 2 shown]
	v_perm_b32 v141, v6, v6, 0x2010003
	v_perm_b32 v142, v233, v233, 0x2010003
	s_wait_dscnt 0x1
	v_perm_b32 v144, v239, v239, 0x2010003
	v_lshlrev_b32_e32 v145, 16, v57
	v_lshlrev_b32_e32 v146, 8, v57
	v_dot4_i32_iu8 v54, v39, v141, v54 neg_lo:[1,1,0]
	v_dot4_i32_iu8 v56, v39, v142, v56 neg_lo:[1,1,0]
	;; [unrolled: 1-line block ×3, first 2 shown]
	v_perm_b32 v39, v28, v28, 0x2010003
	v_dot4_i32_iu8 v0, v47, v141, v0 neg_lo:[1,1,0]
	v_dot4_i32_iu8 v58, v47, v142, v58 neg_lo:[1,1,0]
	v_dot4_i32_iu8 v25, v47, v144, v25 neg_lo:[1,1,0]
	v_dot4_i32_iu8 v32, v61, v141, v32 neg_lo:[1,1,0]
	v_dot4_i32_iu8 v30, v47, v39, v30 neg_lo:[1,1,0]
	v_dot4_i32_iu8 v47, v61, v39, v62 neg_lo:[1,1,0]
	v_dot4_i32_iu8 v62, v61, v142, v143 neg_lo:[1,1,0]
	v_dot4_i32_iu8 v34, v61, v144, v34 neg_lo:[1,1,0]
	v_dot4_i32_iu8 v60, v63, v141, v60 neg_lo:[1,1,0]
	v_dot4_i32_iu8 v61, v63, v39, v74 neg_lo:[1,1,0]
	v_dot4_i32_iu8 v74, v63, v142, v75 neg_lo:[1,1,0]
	v_dot4_i32_iu8 v41, v63, v144, v41 neg_lo:[1,1,0]
	v_dot4_i32_iu8 v63, v136, v39, v79 neg_lo:[1,1,0]
	v_dot4_i32_iu8 v1, v137, v39, v1 neg_lo:[1,1,0]
	v_dot4_i32_iu8 v21, v138, v39, v21 neg_lo:[1,1,0]
	v_dot4_i32_iu8 v39, v138, v142, v52 neg_lo:[1,1,0]
	v_perm_b32 v52, v33, v220, 0x7030c0c
	v_lshlrev_b32_e32 v33, 24, v33
	v_dot4_i32_iu8 v75, v136, v142, v100 neg_lo:[1,1,0]
	v_perm_b32 v100, v31, v219, 0x7030c0c
	v_lshlrev_b32_e32 v31, 24, v31
	v_dot4_i32_iu8 v48, v136, v141, v48 neg_lo:[1,1,0]
	v_perm_b32 v218, v218, v33, 0xc0c0703
	v_dot4_i32_iu8 v43, v136, v144, v43 neg_lo:[1,1,0]
	v_dot4_i32_iu8 v49, v137, v141, v49 neg_lo:[1,1,0]
	v_perm_b32 v217, v217, v31, 0xc0c0703
	v_dot4_i32_iu8 v79, v137, v142, v114 neg_lo:[1,1,0]
	v_or_b32_e32 v52, v52, v218
	v_dot4_i32_iu8 v45, v137, v144, v45 neg_lo:[1,1,0]
	v_dot4_i32_iu8 v50, v138, v141, v50 neg_lo:[1,1,0]
	;; [unrolled: 1-line block ×3, first 2 shown]
	v_lshlrev_b32_e32 v114, 16, v35
	v_lshlrev_b32_e32 v136, 8, v35
	;; [unrolled: 1-line block ×12, first 2 shown]
	v_or_b32_e32 v100, v100, v217
	v_dot4_i32_iu8 v38, v52, v233, v38 neg_lo:[1,1,0]
	v_dot4_i32_iu8 v218, v52, v239, v227 neg_lo:[1,1,0]
	;; [unrolled: 1-line block ×3, first 2 shown]
	v_perm_b32 v35, v35, v35, 0xc0c0003
	v_perm_b32 v51, v51, v51, 0xc0c0003
	;; [unrolled: 1-line block ×7, first 2 shown]
	v_dot4_i32_iu8 v38, v100, v234, v38 neg_lo:[1,1,0]
	v_dot4_i32_iu8 v218, v100, v240, v218 neg_lo:[1,1,0]
	;; [unrolled: 1-line block ×3, first 2 shown]
	v_perm_b32 v19, v29, v29, 0x2010003
	v_perm_b32 v28, v136, v114, 0x7030c0c
	;; [unrolled: 1-line block ×10, first 2 shown]
	v_or_b32_e32 v28, v28, v35
	v_or_b32_e32 v29, v29, v51
	v_or_b32_e32 v35, v100, v55
	v_or_b32_e32 v51, v114, v53
	v_or_b32_e32 v53, v136, v57
	v_or_b32_e32 v55, v137, v59
	v_or_b32_e32 v27, v138, v27
	v_perm_b32 v57, v7, v7, 0x2010003
	v_dot4_i32_iu8 v56, v28, v217, v56 neg_lo:[1,1,0]
	v_dot4_i32_iu8 v23, v28, v224, v23 neg_lo:[1,1,0]
	;; [unrolled: 1-line block ×27, first 2 shown]
	v_lshlrev_b32_e32 v27, 16, v22
	v_lshlrev_b32_e32 v39, 8, v22
	;; [unrolled: 1-line block ×10, first 2 shown]
	v_perm_b32 v22, v22, v22, 0xc0c0003
	v_perm_b32 v36, v36, v36, 0xc0c0003
	;; [unrolled: 1-line block ×3, first 2 shown]
	v_lshlrev_b32_e32 v75, 16, v42
	v_lshlrev_b32_e32 v79, 8, v42
	v_perm_b32 v44, v44, v44, 0xc0c0003
	v_lshlrev_b32_e32 v136, 16, v46
	v_lshlrev_b32_e32 v137, 8, v46
	v_perm_b32 v27, v39, v27, 0x7030c0c
	v_perm_b32 v39, v57, v55, 0x7030c0c
	;; [unrolled: 1-line block ×10, first 2 shown]
	v_or_b32_e32 v22, v27, v22
	v_or_b32_e32 v27, v55, v36
	;; [unrolled: 1-line block ×4, first 2 shown]
	v_perm_b32 v44, v8, v8, 0x2010003
	v_or_b32_e32 v24, v39, v24
	v_or_b32_e32 v39, v61, v42
	;; [unrolled: 1-line block ×3, first 2 shown]
	s_wait_dscnt 0x0
	v_perm_b32 v79, v242, v242, 0x2010003
	v_dot4_i32_iu8 v46, v22, v44, v54 neg_lo:[1,1,0]
	v_perm_b32 v54, v235, v235, 0x2010003
	v_dot4_i32_iu8 v35, v36, v44, v35 neg_lo:[1,1,0]
	v_dot4_i32_iu8 v0, v24, v44, v0 neg_lo:[1,1,0]
	;; [unrolled: 1-line block ×3, first 2 shown]
	v_perm_b32 v5, v7, v6, 0xc0c0400
	v_dot4_i32_iu8 v55, v22, v54, v56 neg_lo:[1,1,0]
	v_perm_b32 v56, v241, v241, 0x2010003
	v_dot4_i32_iu8 v59, v36, v54, v59 neg_lo:[1,1,0]
	v_dot4_i32_iu8 v62, v24, v54, v30 neg_lo:[1,1,0]
	;; [unrolled: 1-line block ×3, first 2 shown]
	v_perm_b32 v6, v9, v8, 0x4000c0c
	v_dot4_i32_iu8 v57, v22, v56, v23 neg_lo:[1,1,0]
	v_perm_b32 v22, v16, v16, 0x2010003
	v_dot4_i32_iu8 v63, v24, v56, v25 neg_lo:[1,1,0]
	v_dot4_i32_iu8 v34, v27, v56, v34 neg_lo:[1,1,0]
	v_perm_b32 v7, v223, v139, 0x7030c0c
	v_or_b32_e32 v5, v6, v5
	v_dot4_i32_iu8 v58, v36, v22, v58 neg_lo:[1,1,0]
	v_dot4_i32_iu8 v36, v36, v56, v41 neg_lo:[1,1,0]
	;; [unrolled: 1-line block ×8, first 2 shown]
	v_lshlrev_b32_e32 v53, 24, v20
	v_dot4_i32_iu8 v1, v40, v22, v1 neg_lo:[1,1,0]
	v_dot4_i32_iu8 v40, v40, v56, v45 neg_lo:[1,1,0]
	;; [unrolled: 1-line block ×6, first 2 shown]
	v_perm_b32 v19, v20, v214, 0x7030c0c
	v_perm_b32 v20, v216, v53, 0xc0c0703
	v_lshlrev_b32_e32 v56, 24, v13
	v_perm_b32 v13, v13, v213, 0x7030c0c
	v_dot4_i32_iu8 v61, v24, v22, v28 neg_lo:[1,1,0]
	v_dot4_i32_iu8 v32, v27, v22, v32 neg_lo:[1,1,0]
	v_or_b32_e32 v54, v19, v20
	v_perm_b32 v19, v215, v56, 0xc0c0703
	v_lshlrev_b32_e32 v20, 8, v15
	v_perm_b32 v60, v236, v236, 0x2010003
	v_perm_b32 v6, v31, v33, 0xc0c0703
	v_dot4_i32_iu8 v16, v54, v16, v52 neg_lo:[1,1,0]
	v_or_b32_e32 v13, v13, v19
	v_dot4_i32_iu8 v19, v54, v235, v38 neg_lo:[1,1,0]
	v_perm_b32 v8, v56, v53, 0x7030c0c
	v_or_b32_e32 v7, v7, v12
	s_delay_alu instid0(VALU_DEP_3) | instskip(SKIP_1) | instid1(VALU_DEP_4)
	v_dot4_i32_iu8 v38, v13, v236, v19 neg_lo:[1,1,0]
	v_dot4_i32_iu8 v19, v54, v241, v218 neg_lo:[1,1,0]
	v_or_b32_e32 v6, v8, v6
	s_delay_alu instid0(VALU_DEP_4) | instskip(SKIP_1) | instid1(VALU_DEP_4)
	v_dot4_i32_iu8 v4, v7, v4, 0 neg_lo:[1,1,0]
	v_add_nc_u32_e32 v8, v207, v200
	v_dot4_i32_iu8 v75, v13, v242, v19 neg_lo:[1,1,0]
	v_lshlrev_b32_e32 v19, 16, v15
	v_dot4_i32_iu8 v13, v13, v17, v16 neg_lo:[1,1,0]
	v_bfe_i32 v16, v17, 16, 8
	v_dot4_i32_iu8 v4, v6, v5, v4 neg_lo:[1,1,0]
	v_add3_u32 v5, v208, v201, v209
	v_perm_b32 v100, v20, v19, 0x7030c0c
	v_add_nc_u32_e32 v19, 0x800, v161
	v_add3_u32 v6, v202, v203, v210
	v_add3_u32 v4, v4, v206, v8
	ds_load_2addr_b32 v[19:20], v19 offset1:7
	v_cvt_f32_i32_e32 v4, v4
	s_delay_alu instid0(VALU_DEP_1) | instskip(SKIP_4) | instid1(VALU_DEP_2)
	v_fmac_f32_e32 v87, v191, v4
	s_wait_dscnt 0x0
	v_lshlrev_b32_e32 v21, 16, v20
	v_lshlrev_b32_e32 v22, 8, v20
	v_perm_b32 v20, v20, v20, 0xc0c0003
	v_perm_b32 v114, v22, v21, 0x7030c0c
	v_add_nc_u32_e32 v21, 0xc00, v161
	s_delay_alu instid0(VALU_DEP_2) | instskip(SKIP_3) | instid1(VALU_DEP_2)
	v_or_b32_e32 v20, v114, v20
	ds_load_2addr_b32 v[21:22], v21 offset1:7
	v_perm_b32 v114, v9, v9, 0x2010003
	v_dot4_i32_iu8 v62, v20, v60, v62 neg_lo:[1,1,0]
	v_dot4_i32_iu8 v0, v20, v114, v0 neg_lo:[1,1,0]
	s_delay_alu instid0(VALU_DEP_1) | instskip(NEXT) | instid1(VALU_DEP_1)
	v_dot4_i32_iu8 v0, v10, v19, v0 neg_lo:[1,1,0]
	v_cvt_f32_i32_e32 v0, v0
	s_wait_dscnt 0x0
	v_lshlrev_b32_e32 v23, 16, v22
	v_lshlrev_b32_e32 v24, 8, v22
	v_perm_b32 v22, v22, v22, 0xc0c0003
	v_fmac_f32_e32 v91, v185, v0
	s_delay_alu instid0(VALU_DEP_3) | instskip(SKIP_1) | instid1(VALU_DEP_2)
	v_perm_b32 v136, v24, v23, 0x7030c0c
	v_add_nc_u32_e32 v23, 0x1000, v161
	v_or_b32_e32 v22, v136, v22
	ds_load_2addr_b32 v[23:24], v23 offset1:7
	v_dot4_i32_iu8 v47, v22, v60, v47 neg_lo:[1,1,0]
	s_delay_alu instid0(VALU_DEP_1) | instskip(SKIP_4) | instid1(VALU_DEP_2)
	v_dot4_i32_iu8 v47, v21, v37, v47 neg_lo:[1,1,0]
	s_wait_dscnt 0x0
	v_lshlrev_b32_e32 v25, 16, v24
	v_lshlrev_b32_e32 v26, 8, v24
	v_perm_b32 v24, v24, v24, 0xc0c0003
	v_perm_b32 v137, v26, v25, 0x7030c0c
	v_add_nc_u32_e32 v25, 0x1400, v161
	s_delay_alu instid0(VALU_DEP_2)
	v_or_b32_e32 v24, v137, v24
	ds_load_2addr_b32 v[25:26], v25 offset1:7
	s_wait_dscnt 0x0
	v_lshlrev_b32_e32 v27, 16, v26
	v_lshlrev_b32_e32 v28, 8, v26
	v_perm_b32 v26, v26, v26, 0xc0c0003
	s_delay_alu instid0(VALU_DEP_2) | instskip(SKIP_1) | instid1(VALU_DEP_2)
	v_perm_b32 v138, v28, v27, 0x7030c0c
	v_add_nc_u32_e32 v27, 0x1800, v161
	v_or_b32_e32 v26, v138, v26
	ds_load_2addr_b32 v[27:28], v27 offset1:7
	s_wait_dscnt 0x0
	v_lshlrev_b32_e32 v29, 16, v28
	v_lshlrev_b32_e32 v30, 8, v28
	v_perm_b32 v28, v28, v28, 0xc0c0003
	s_delay_alu instid0(VALU_DEP_2) | instskip(SKIP_2) | instid1(VALU_DEP_3)
	v_perm_b32 v141, v30, v29, 0x7030c0c
	v_add_nc_u32_e32 v29, 0x1c00, v161
	v_add_nc_u32_e32 v161, 32, v161
	v_or_b32_e32 v28, v141, v28
	ds_load_2addr_b32 v[29:30], v29 offset1:7
	s_wait_dscnt 0x0
	v_lshlrev_b32_e32 v142, 16, v30
	v_lshlrev_b32_e32 v143, 8, v30
	v_perm_b32 v30, v30, v30, 0xc0c0003
	s_delay_alu instid0(VALU_DEP_2) | instskip(SKIP_2) | instid1(VALU_DEP_3)
	v_perm_b32 v142, v143, v142, 0x7030c0c
	v_perm_b32 v143, v15, v15, 0xc0c0003
	v_bfe_i32 v15, v15, 16, 8
	v_or_b32_e32 v30, v142, v30
	s_delay_alu instid0(VALU_DEP_3) | instskip(NEXT) | instid1(VALU_DEP_3)
	v_or_b32_e32 v100, v100, v143
	v_mul_i32_i24_e32 v15, v15, v16
	s_delay_alu instid0(VALU_DEP_2) | instskip(SKIP_4) | instid1(VALU_DEP_2)
	v_dot4_i32_iu8 v46, v100, v114, v46 neg_lo:[1,1,0]
	v_dot4_i32_iu8 v55, v100, v60, v55 neg_lo:[1,1,0]
	;; [unrolled: 1-line block ×3, first 2 shown]
	v_perm_b32 v100, v17, v17, 0x2010003
	v_add3_u32 v15, v204, v205, v15
	v_dot4_i32_iu8 v61, v20, v100, v61 neg_lo:[1,1,0]
	v_dot4_i32_iu8 v20, v20, v79, v63 neg_lo:[1,1,0]
	;; [unrolled: 1-line block ×26, first 2 shown]
	v_cvt_f32_i32_e32 v0, v42
	v_dot4_i32_iu8 v21, v21, v229, v22 neg_lo:[1,1,0]
	v_dot4_i32_iu8 v22, v10, v23, v34 neg_lo:[1,1,0]
	;; [unrolled: 1-line block ×4, first 2 shown]
	v_fmac_f32_e32 v90, v183, v0
	v_cvt_f32_i32_e32 v0, v49
	v_dot4_i32_iu8 v23, v23, v229, v24 neg_lo:[1,1,0]
	v_dot4_i32_iu8 v24, v10, v25, v36 neg_lo:[1,1,0]
	;; [unrolled: 1-line block ×4, first 2 shown]
	v_fmac_f32_e32 v89, v182, v0
	v_cvt_f32_i32_e32 v0, v19
	v_dot4_i32_iu8 v25, v25, v229, v26 neg_lo:[1,1,0]
	v_add3_u32 v7, v211, v212, v15
	v_dot4_i32_iu8 v26, v10, v27, v39 neg_lo:[1,1,0]
	v_dot4_i32_iu8 v1, v18, v27, v1 neg_lo:[1,1,0]
	v_fmac_f32_e32 v88, v181, v0
	v_cvt_f32_i32_e32 v0, v20
	v_add3_u32 v5, v5, v6, v7
	v_dot4_i32_iu8 v39, v27, v37, v43 neg_lo:[1,1,0]
	v_dot4_i32_iu8 v27, v27, v229, v28 neg_lo:[1,1,0]
	;; [unrolled: 1-line block ×3, first 2 shown]
	v_fmac_f32_e32 v86, v180, v0
	v_cvt_f32_i32_e32 v0, v32
	v_cvt_f32_i32_e32 v4, v5
	v_dot4_i32_iu8 v10, v10, v29, v40 neg_lo:[1,1,0]
	v_dot4_i32_iu8 v18, v18, v29, v44 neg_lo:[1,1,0]
	;; [unrolled: 1-line block ×3, first 2 shown]
	v_fmac_f32_e32 v85, v179, v0
	v_cvt_f32_i32_e32 v0, v47
	v_fmac_f32_e32 v101, v194, v4
	v_cvt_f32_i32_e32 v4, v38
	v_dot4_i32_iu8 v37, v29, v37, v45 neg_lo:[1,1,0]
	v_dot4_i32_iu8 v29, v29, v229, v30 neg_lo:[1,1,0]
	v_fmac_f32_e32 v84, v178, v0
	v_cvt_f32_i32_e32 v0, v21
	v_fmac_f32_e32 v104, v190, v4
	v_cvt_f32_i32_e32 v4, v75
	v_dot4_i32_iu8 v14, v14, v229, v57 neg_lo:[1,1,0]
	s_delay_alu instid0(VALU_DEP_4) | instskip(SKIP_1) | instid1(VALU_DEP_4)
	v_fmac_f32_e32 v83, v176, v0
	v_cvt_f32_i32_e32 v0, v22
	v_fmac_f32_e32 v103, v189, v4
	v_cvt_f32_i32_e32 v4, v13
	s_delay_alu instid0(VALU_DEP_3) | instskip(SKIP_1) | instid1(VALU_DEP_3)
	v_fmac_f32_e32 v82, v177, v0
	v_cvt_f32_i32_e32 v0, v34
	v_fmac_f32_e32 v106, v188, v4
	v_cvt_f32_i32_e32 v4, v28
	s_delay_alu instid0(VALU_DEP_3) | instskip(SKIP_1) | instid1(VALU_DEP_3)
	v_fmac_f32_e32 v81, v175, v0
	v_cvt_f32_i32_e32 v0, v35
	v_fmac_f32_e32 v102, v186, v4
	v_cvt_f32_i32_e32 v4, v40
	s_delay_alu instid0(VALU_DEP_3) | instskip(SKIP_1) | instid1(VALU_DEP_3)
	v_fmac_f32_e32 v80, v174, v0
	v_cvt_f32_i32_e32 v0, v23
	v_fmac_f32_e32 v96, v187, v4
	v_cvt_f32_i32_e32 v4, v14
	s_delay_alu instid0(VALU_DEP_3) | instskip(SKIP_1) | instid1(VALU_DEP_3)
	v_fmac_f32_e32 v78, v173, v0
	v_cvt_f32_i32_e32 v0, v24
	v_fmac_f32_e32 v92, v184, v4
	s_delay_alu instid0(VALU_DEP_2) | instskip(SKIP_1) | instid1(VALU_DEP_1)
	v_fmac_f32_e32 v77, v172, v0
	v_cvt_f32_i32_e32 v0, v36
	v_fmac_f32_e32 v76, v171, v0
	v_cvt_f32_i32_e32 v0, v41
	s_delay_alu instid0(VALU_DEP_1) | instskip(SKIP_1) | instid1(VALU_DEP_1)
	v_fmac_f32_e32 v73, v170, v0
	v_cvt_f32_i32_e32 v0, v25
	v_fmac_f32_e32 v72, v168, v0
	v_cvt_f32_i32_e32 v0, v26
	s_delay_alu instid0(VALU_DEP_1) | instskip(SKIP_2) | instid1(VALU_DEP_2)
	v_fmac_f32_e32 v71, v169, v0
	v_cvt_f32_i32_e32 v0, v1
	v_cvt_f32_i32_e32 v1, v29
	v_fmac_f32_e32 v70, v193, v0
	v_cvt_f32_i32_e32 v0, v39
	s_delay_alu instid0(VALU_DEP_1) | instskip(SKIP_1) | instid1(VALU_DEP_1)
	v_dual_fmac_f32 v64, v198, v1 :: v_dual_fmac_f32 v69, v197, v0
	v_cvt_f32_i32_e32 v0, v27
	v_fmac_f32_e32 v68, v199, v0
	v_cvt_f32_i32_e32 v0, v10
	s_delay_alu instid0(VALU_DEP_1) | instskip(SKIP_1) | instid1(VALU_DEP_1)
	v_fmac_f32_e32 v67, v192, v0
	v_cvt_f32_i32_e32 v0, v18
	v_fmac_f32_e32 v66, v196, v0
	v_cvt_f32_i32_e32 v0, v37
	s_delay_alu instid0(VALU_DEP_1)
	v_fmac_f32_e32 v65, v195, v0
	s_cbranch_scc1 .LBB121_8
; %bb.9:                                ;   in Loop: Header=BB121_6 Depth=1
	s_and_b32 s12, s5, -4
	s_wait_loadcnt 0x0
	s_wait_alu 0xfffe
	s_cmp_eq_u32 s12, 4
	s_barrier_signal -1
	s_barrier_wait -1
	global_inv scope:SCOPE_SE
	s_cbranch_scc1 .LBB121_5
; %bb.10:                               ;   in Loop: Header=BB121_6 Depth=1
	scratch_load_b32 v0, off, off offset:40 ; 4-byte Folded Reload
	v_add_nc_u32_e32 v12, 4, v159
	s_mov_b32 s12, 12
	s_delay_alu instid0(VALU_DEP_1) | instskip(SKIP_2) | instid1(VALU_DEP_1)
	v_mad_co_u64_u32 v[12:13], null, v12, 36, s[2:3]
	s_wait_loadcnt 0x0
	v_add_nc_u32_e32 v0, s10, v0
	v_add_nc_u32_e32 v1, v0, v128
	;; [unrolled: 1-line block ×6, first 2 shown]
	v_mad_co_i64_i32 v[4:5], null, v1, 36, v[2:3]
	v_add_nc_u32_e32 v1, v0, v132
	v_mad_co_i64_i32 v[14:15], null, v14, 36, v[2:3]
	v_add_nc_u32_e32 v18, v0, v133
	;; [unrolled: 2-line block ×3, first 2 shown]
	v_mad_co_i64_i32 v[8:9], null, v8, 36, v[2:3]
	v_mad_co_i64_i32 v[10:11], null, v10, 36, v[2:3]
	;; [unrolled: 1-line block ×5, first 2 shown]
	s_clause 0x8
	global_load_b32 v0, v[12:13], off
	global_load_b32 v1, v[14:15], off offset:4
	global_load_b32 v4, v[4:5], off offset:4
	;; [unrolled: 1-line block ×8, first 2 shown]
	s_clause 0x6
	scratch_load_b32 v159, off, off
	scratch_load_b32 v161, off, off offset:4
	scratch_load_b32 v162, off, off offset:60
	;; [unrolled: 1-line block ×6, first 2 shown]
	s_wait_loadcnt 0xf
	v_cvt_f32_f16_e32 v0, v0
	s_wait_loadcnt 0xe
	ds_store_b32 v158, v1
	s_wait_loadcnt 0xd
	ds_store_b32 v160, v4
	;; [unrolled: 2-line block ×8, first 2 shown]
	ds_store_b32 v125, v0
	s_wait_loadcnt_dscnt 0x0
	s_barrier_signal -1
	s_barrier_wait -1
	global_inv scope:SCOPE_SE
.LBB121_11:                             ;   Parent Loop BB121_6 Depth=1
                                        ; =>  This Inner Loop Header: Depth=2
	ds_load_2addr_b32 v[4:5], v159 offset1:32
	ds_load_b32 v9, v163
	ds_load_b32 v8, v164
	;; [unrolled: 1-line block ×4, first 2 shown]
	v_add_nc_u32_e32 v58, 0x1814, v161
	v_add_nc_u32_e32 v166, 4, v166
	;; [unrolled: 1-line block ×5, first 2 shown]
	s_wait_alu 0xfffe
	s_add_co_i32 s12, s12, 4
	v_add_nc_u32_e32 v17, 0x2090, v162
	s_wait_alu 0xfffe
	s_cmp_lt_u32 s12, 28
	s_wait_dscnt 0x3
	v_mul_f32_e32 v189, v4, v9
	s_wait_dscnt 0x1
	v_dual_mul_f32 v186, v4, v8 :: v_dual_mul_f32 v185, v7, v5
	v_mul_f32_e32 v188, v4, v7
	s_wait_dscnt 0x0
	v_dual_mul_f32 v187, v4, v6 :: v_dual_mul_f32 v184, v9, v5
	v_mul_f32_e32 v192, v8, v5
	v_mul_f32_e32 v182, v6, v5
	ds_load_2addr_b32 v[4:5], v159 offset0:64 offset1:96
	v_add_nc_u32_e32 v25, 0x414, v161
	s_wait_dscnt 0x0
	v_mul_f32_e32 v183, v9, v4
	v_mul_f32_e32 v181, v8, v4
	;; [unrolled: 1-line block ×3, first 2 shown]
	v_dual_mul_f32 v179, v6, v4 :: v_dual_mul_f32 v178, v9, v5
	v_mul_f32_e32 v177, v8, v5
	v_mul_f32_e32 v176, v7, v5
	;; [unrolled: 1-line block ×3, first 2 shown]
	ds_load_2addr_b32 v[4:5], v159 offset0:128 offset1:160
	v_add_nc_u32_e32 v22, 0x2098, v162
	v_add_nc_u32_e32 v24, 0x404, v161
	s_wait_dscnt 0x0
	v_dual_mul_f32 v175, v9, v4 :: v_dual_add_nc_u32 v36, 0x80c, v161
	v_mul_f32_e32 v173, v8, v4
	v_mul_f32_e32 v172, v7, v4
	v_dual_mul_f32 v171, v6, v4 :: v_dual_mul_f32 v170, v9, v5
	v_mul_f32_e32 v169, v8, v5
	v_mul_f32_e32 v168, v7, v5
	;; [unrolled: 1-line block ×3, first 2 shown]
	ds_load_2addr_b32 v[4:5], v159 offset0:192 offset1:224
	v_add_nc_u32_e32 v159, 4, v159
	s_wait_dscnt 0x0
	v_mul_f32_e32 v167, v9, v4
	v_dual_mul_f32 v190, v9, v5 :: v_dual_mul_f32 v197, v6, v4
	v_mul_f32_e32 v191, v8, v4
	v_dual_mul_f32 v194, v8, v5 :: v_dual_mul_f32 v195, v7, v4
	v_mul_f32_e32 v193, v7, v5
	v_mul_f32_e32 v196, v6, v5
	ds_load_2addr_b32 v[12:13], v161 offset1:7
	ds_load_2addr_b32 v[10:11], v162 offset1:1
	ds_load_2addr_b32 v[4:5], v162 offset0:2 offset1:3
	ds_load_2addr_b32 v[6:7], v162 offset0:4 offset1:5
	ds_load_2addr_b32 v[8:9], v162 offset0:6 offset1:7
	s_wait_dscnt 0x4
	v_lshlrev_b32_e32 v211, 8, v13
	s_wait_dscnt 0x3
	v_perm_b32 v0, v12, v11, 0xc0c0703
	s_wait_dscnt 0x2
	v_perm_b32 v1, v5, v4, 0x7030c0c
	v_lshlrev_b32_e32 v213, 16, v13
	s_wait_dscnt 0x0
	v_perm_b32 v15, v9, v8, 0x7030c0c
	s_delay_alu instid0(VALU_DEP_3)
	v_or_b32_e32 v14, v1, v0
	v_add_nc_u32_e32 v0, 0x1c14, v161
	ds_load_2addr_b32 v[26:27], v0 offset1:1
	ds_load_2addr_b32 v[20:21], v161 offset0:3 offset1:4
	ds_load_2addr_b32 v[30:31], v161 offset0:5 offset1:6
	;; [unrolled: 1-line block ×3, first 2 shown]
	s_wait_dscnt 0x2
	v_perm_b32 v0, v10, v21, 0xc0c0703
	v_perm_b32 v16, v13, v20, 0x7030c0c
	s_wait_dscnt 0x0
	v_perm_b32 v1, v30, v32, 0x7030c0c
	v_lshlrev_b32_e32 v74, 8, v32
	v_lshlrev_b32_e32 v75, 8, v30
	v_lshlrev_b32_e32 v79, 8, v21
	v_lshlrev_b32_e32 v218, 8, v33
	v_or_b32_e32 v0, v1, v0
	v_perm_b32 v1, v7, v6, 0xc0c0703
	v_lshlrev_b32_e32 v217, 8, v31
	v_perm_b32 v45, v10, v79, 0xc0c0603
	v_lshlrev_b32_e32 v212, 8, v20
	v_dot4_i32_iu8 v0, v0, v14, 0 neg_lo:[1,1,0]
	v_or_b32_e32 v1, v15, v1
	v_perm_b32 v15, v31, v33, 0xc0c0703
	v_lshlrev_b32_e32 v100, 16, v32
	v_perm_b32 v46, v211, v212, 0x7030c0c
	v_lshlrev_b32_e32 v114, 16, v30
	v_lshlrev_b32_e32 v136, 16, v21
	v_or_b32_e32 v15, v16, v15
	v_add_nc_u32_e32 v16, 0x2088, v162
	v_lshlrev_b32_e32 v216, 16, v33
	v_lshlrev_b32_e32 v215, 16, v31
	;; [unrolled: 1-line block ×3, first 2 shown]
	v_dot4_i32_iu8 v198, v15, v1, v0 neg_lo:[1,1,0]
	v_add_nc_u32_e32 v0, 0x2080, v162
	v_add_nc_u32_e32 v1, 0x400, v161
	ds_load_2addr_b32 v[18:19], v0 offset1:1
	ds_load_2addr_b32 v[14:15], v1 offset1:7
	ds_load_2addr_b32 v[48:49], v16 offset1:1
	ds_load_2addr_b32 v[28:29], v17 offset1:1
	ds_load_2addr_b32 v[16:17], v22 offset1:1
	v_perm_b32 v79, v21, v79, 0x7030c0c
	s_wait_dscnt 0x4
	v_bfe_i32 v0, v18, 16, 8
	s_wait_dscnt 0x3
	v_bfe_i32 v1, v14, 16, 8
	v_bfe_i32 v22, v14, 0, 8
	v_lshrrev_b16 v23, 8, v14
	s_delay_alu instid0(VALU_DEP_3) | instskip(SKIP_1) | instid1(VALU_DEP_3)
	v_mul_i32_i24_e32 v0, v1, v0
	v_bfe_i32 v1, v18, 0, 8
	v_bfe_i32 v23, v23, 0, 8
	s_delay_alu instid0(VALU_DEP_2) | instskip(SKIP_2) | instid1(VALU_DEP_1)
	v_mad_i32_i24 v0, v22, v1, v0
	v_ashrrev_i32_e32 v1, 24, v18
	v_ashrrev_i32_e32 v22, 24, v14
	v_mul_i32_i24_e32 v1, v22, v1
	v_lshrrev_b16 v22, 8, v18
	s_delay_alu instid0(VALU_DEP_1) | instskip(NEXT) | instid1(VALU_DEP_1)
	v_bfe_i32 v22, v22, 0, 8
	v_mad_i32_i24 v1, v23, v22, v1
	v_add_nc_u32_e32 v22, 0x40c, v161
	ds_load_2addr_b32 v[22:23], v22 offset1:1
	ds_load_2addr_b32 v[38:39], v24 offset1:1
	;; [unrolled: 1-line block ×4, first 2 shown]
	v_bfe_i32 v36, v19, 8, 8
	s_wait_dscnt 0x3
	v_bfe_i32 v37, v23, 8, 8
	v_ashrrev_i32_e32 v40, 24, v23
	s_wait_dscnt 0x2
	v_bfe_i32 v41, v38, 16, 8
	s_wait_dscnt 0x1
	v_bfe_i32 v42, v35, 0, 8
	v_bfe_i32 v43, v22, 0, 8
	v_mul_i32_i24_e32 v36, v37, v36
	v_ashrrev_i32_e32 v37, 24, v19
	v_bfe_i32 v44, v22, 16, 8
	s_delay_alu instid0(VALU_DEP_2) | instskip(SKIP_3) | instid1(VALU_DEP_2)
	v_mad_i32_i24 v199, v40, v37, v36
	v_bfe_i32 v36, v48, 8, 8
	v_bfe_i32 v37, v38, 8, 8
	;; [unrolled: 1-line block ×3, first 2 shown]
	v_mul_i32_i24_e32 v36, v37, v36
	v_bfe_i32 v37, v48, 0, 8
	s_delay_alu instid0(VALU_DEP_1) | instskip(SKIP_2) | instid1(VALU_DEP_1)
	v_mad_i32_i24 v36, v40, v37, v36
	v_ashrrev_i32_e32 v37, 24, v49
	v_ashrrev_i32_e32 v40, 24, v34
	v_mul_i32_i24_e32 v37, v40, v37
	v_bfe_i32 v40, v48, 16, 8
	s_delay_alu instid0(VALU_DEP_1) | instskip(SKIP_3) | instid1(VALU_DEP_2)
	v_mad_i32_i24 v200, v41, v40, v37
	v_bfe_i32 v37, v49, 8, 8
	v_bfe_i32 v40, v34, 8, 8
	;; [unrolled: 1-line block ×3, first 2 shown]
	v_mul_i32_i24_e32 v37, v40, v37
	v_bfe_i32 v40, v49, 0, 8
	s_delay_alu instid0(VALU_DEP_1) | instskip(SKIP_3) | instid1(VALU_DEP_2)
	v_mad_i32_i24 v201, v41, v40, v37
	v_bfe_i32 v37, v28, 8, 8
	v_bfe_i32 v40, v39, 8, 8
	;; [unrolled: 1-line block ×3, first 2 shown]
	v_mul_i32_i24_e32 v37, v40, v37
	v_bfe_i32 v40, v28, 0, 8
	s_delay_alu instid0(VALU_DEP_1) | instskip(SKIP_2) | instid1(VALU_DEP_1)
	v_mad_i32_i24 v37, v41, v40, v37
	v_bfe_i32 v40, v29, 8, 8
	v_bfe_i32 v41, v35, 8, 8
	v_mul_i32_i24_e32 v40, v41, v40
	v_bfe_i32 v41, v29, 0, 8
	s_delay_alu instid0(VALU_DEP_1) | instskip(SKIP_2) | instid1(VALU_DEP_1)
	v_mad_i32_i24 v40, v42, v41, v40
	v_bfe_i32 v41, v16, 8, 8
	v_bfe_i32 v42, v22, 8, 8
	v_mul_i32_i24_e32 v41, v42, v41
	v_bfe_i32 v42, v16, 0, 8
	s_delay_alu instid0(VALU_DEP_1) | instskip(SKIP_2) | instid1(VALU_DEP_1)
	v_mad_i32_i24 v41, v43, v42, v41
	v_ashrrev_i32_e32 v42, 24, v17
	v_ashrrev_i32_e32 v43, 24, v15
	v_mul_i32_i24_e32 v42, v43, v42
	v_bfe_i32 v43, v16, 16, 8
	s_delay_alu instid0(VALU_DEP_1) | instskip(SKIP_3) | instid1(VALU_DEP_2)
	v_mad_i32_i24 v202, v44, v43, v42
	v_bfe_i32 v42, v17, 8, 8
	v_bfe_i32 v43, v15, 8, 8
	;; [unrolled: 1-line block ×3, first 2 shown]
	v_mul_i32_i24_e32 v42, v43, v42
	v_bfe_i32 v43, v17, 0, 8
	s_delay_alu instid0(VALU_DEP_1) | instskip(SKIP_3) | instid1(VALU_DEP_2)
	v_mad_i32_i24 v203, v44, v43, v42
	v_perm_b32 v42, v12, v11, 0xc0c0602
	v_perm_b32 v43, v5, v4, 0x6020c0c
	;; [unrolled: 1-line block ×3, first 2 shown]
	v_or_b32_e32 v42, v43, v42
	v_perm_b32 v43, v7, v6, 0xc0c0602
	s_delay_alu instid0(VALU_DEP_1) | instskip(SKIP_1) | instid1(VALU_DEP_1)
	v_or_b32_e32 v43, v44, v43
	v_perm_b32 v44, v75, v74, 0x7030c0c
	v_or_b32_e32 v44, v44, v45
	v_perm_b32 v45, v217, v218, 0xc0c0703
	s_delay_alu instid0(VALU_DEP_2) | instskip(NEXT) | instid1(VALU_DEP_2)
	v_dot4_i32_iu8 v42, v44, v42, 0 neg_lo:[1,1,0]
	v_or_b32_e32 v45, v46, v45
	v_perm_b32 v44, v9, v8, 0x5010c0c
	v_perm_b32 v46, v213, v214, 0x7030c0c
	s_delay_alu instid0(VALU_DEP_3) | instskip(SKIP_3) | instid1(VALU_DEP_2)
	v_dot4_i32_iu8 v204, v45, v43, v42 neg_lo:[1,1,0]
	v_perm_b32 v42, v12, v11, 0xc0c0501
	v_perm_b32 v43, v5, v4, 0x5010c0c
	;; [unrolled: 1-line block ×3, first 2 shown]
	v_or_b32_e32 v42, v43, v42
	v_perm_b32 v43, v7, v6, 0xc0c0501
	s_delay_alu instid0(VALU_DEP_1) | instskip(SKIP_1) | instid1(VALU_DEP_1)
	v_or_b32_e32 v43, v44, v43
	v_perm_b32 v44, v114, v100, 0x7030c0c
	v_or_b32_e32 v44, v44, v45
	v_perm_b32 v45, v215, v216, 0xc0c0703
	s_delay_alu instid0(VALU_DEP_2) | instskip(NEXT) | instid1(VALU_DEP_2)
	v_dot4_i32_iu8 v42, v44, v42, 0 neg_lo:[1,1,0]
	v_or_b32_e32 v45, v46, v45
	v_add_nc_u32_e32 v44, 0x1014, v161
	s_delay_alu instid0(VALU_DEP_2) | instskip(SKIP_3) | instid1(VALU_DEP_2)
	v_dot4_i32_iu8 v205, v45, v43, v42 neg_lo:[1,1,0]
	v_bfe_i32 v42, v23, 0, 8
	v_bfe_i32 v43, v19, 0, 8
	v_add_nc_u32_e32 v45, 0x1414, v161
	v_mul_i32_i24_e32 v42, v42, v43
	v_add_nc_u32_e32 v43, 0xc14, v161
	s_delay_alu instid0(VALU_DEP_2) | instskip(SKIP_3) | instid1(VALU_DEP_2)
	v_add3_u32 v206, v0, v1, v42
	v_bfe_i32 v0, v23, 16, 8
	v_bfe_i32 v1, v19, 16, 8
	v_ashrrev_i32_e32 v42, 24, v48
	v_mul_i32_i24_e32 v0, v0, v1
	v_ashrrev_i32_e32 v1, 24, v38
	s_delay_alu instid0(VALU_DEP_1) | instskip(SKIP_1) | instid1(VALU_DEP_2)
	v_mul_i32_i24_e32 v1, v1, v42
	v_add_nc_u32_e32 v42, 0x1004, v161
	v_add3_u32 v207, v0, v1, v36
	v_bfe_i32 v0, v34, 16, 8
	v_bfe_i32 v1, v49, 16, 8
	v_ashrrev_i32_e32 v36, 24, v28
	s_delay_alu instid0(VALU_DEP_2) | instskip(SKIP_1) | instid1(VALU_DEP_1)
	v_mul_i32_i24_e32 v0, v0, v1
	v_ashrrev_i32_e32 v1, 24, v39
	v_mul_i32_i24_e32 v1, v1, v36
	v_ashrrev_i32_e32 v36, 24, v29
	s_delay_alu instid0(VALU_DEP_2) | instskip(SKIP_4) | instid1(VALU_DEP_2)
	v_add3_u32 v208, v0, v1, v37
	v_bfe_i32 v0, v39, 16, 8
	v_bfe_i32 v1, v28, 16, 8
	s_wait_dscnt 0x0
	v_lshlrev_b32_e32 v37, 8, v25
	v_mul_i32_i24_e32 v0, v0, v1
	v_ashrrev_i32_e32 v1, 24, v35
	s_delay_alu instid0(VALU_DEP_1) | instskip(SKIP_1) | instid1(VALU_DEP_2)
	v_mul_i32_i24_e32 v1, v1, v36
	v_ashrrev_i32_e32 v36, 24, v16
	v_add3_u32 v209, v0, v1, v40
	v_bfe_i32 v0, v35, 16, 8
	v_bfe_i32 v1, v29, 16, 8
	v_add_nc_u32_e32 v40, 0x814, v161
	s_delay_alu instid0(VALU_DEP_2) | instskip(SKIP_1) | instid1(VALU_DEP_1)
	v_mul_i32_i24_e32 v0, v0, v1
	v_ashrrev_i32_e32 v1, 24, v22
	v_mul_i32_i24_e32 v1, v1, v36
	v_lshlrev_b32_e32 v36, 8, v38
	s_delay_alu instid0(VALU_DEP_2) | instskip(SKIP_3) | instid1(VALU_DEP_2)
	v_add3_u32 v210, v0, v1, v41
	v_lshlrev_b32_e32 v0, 16, v23
	v_lshlrev_b32_e32 v1, 8, v23
	v_perm_b32 v23, v23, v23, 0xc0c0003
	v_perm_b32 v0, v1, v0, 0x7030c0c
	v_lshlrev_b32_e32 v1, 16, v38
	s_delay_alu instid0(VALU_DEP_2) | instskip(NEXT) | instid1(VALU_DEP_2)
	v_or_b32_e32 v0, v0, v23
	v_perm_b32 v1, v36, v1, 0x7030c0c
	v_lshlrev_b32_e32 v36, 16, v25
	v_perm_b32 v23, v38, v38, 0xc0c0003
	s_delay_alu instid0(VALU_DEP_2)
	v_perm_b32 v137, v37, v36, 0x7030c0c
	v_add_nc_u32_e32 v36, 0x804, v161
	v_add_nc_u32_e32 v37, 0xc04, v161
	ds_load_2addr_b32 v[62:63], v36 offset1:1
	ds_load_2addr_b32 v[60:61], v37 offset1:1
	;; [unrolled: 1-line block ×3, first 2 shown]
	v_or_b32_e32 v1, v1, v23
	v_perm_b32 v23, v25, v25, 0xc0c0003
	s_delay_alu instid0(VALU_DEP_1) | instskip(SKIP_4) | instid1(VALU_DEP_2)
	v_or_b32_e32 v23, v137, v23
	s_wait_dscnt 0x2
	v_lshlrev_b32_e32 v36, 16, v62
	v_lshlrev_b32_e32 v37, 8, v62
	v_perm_b32 v25, v62, v62, 0xc0c0003
	v_perm_b32 v138, v37, v36, 0x7030c0c
	v_add_nc_u32_e32 v36, 0xc0c, v161
	s_delay_alu instid0(VALU_DEP_2)
	v_or_b32_e32 v25, v138, v25
	ds_load_2addr_b32 v[36:37], v36 offset1:1
	s_wait_dscnt 0x0
	v_lshlrev_b32_e32 v40, 16, v37
	v_lshlrev_b32_e32 v41, 8, v37
	v_perm_b32 v37, v37, v37, 0xc0c0003
	s_delay_alu instid0(VALU_DEP_2) | instskip(SKIP_2) | instid1(VALU_DEP_3)
	v_perm_b32 v139, v41, v40, 0x7030c0c
	v_lshlrev_b32_e32 v40, 16, v60
	v_lshlrev_b32_e32 v41, 8, v60
	v_or_b32_e32 v62, v139, v37
	v_perm_b32 v37, v60, v60, 0xc0c0003
	s_delay_alu instid0(VALU_DEP_3)
	v_perm_b32 v141, v41, v40, 0x7030c0c
	v_add_nc_u32_e32 v40, 0x100c, v161
	ds_load_2addr_b32 v[40:41], v40 offset1:1
	ds_load_2addr_b32 v[219:220], v42 offset1:1
	;; [unrolled: 1-line block ×4, first 2 shown]
	v_add_nc_u32_e32 v44, 0x1404, v161
	v_or_b32_e32 v60, v141, v37
	s_wait_dscnt 0x3
	v_lshlrev_b32_e32 v42, 16, v41
	v_lshlrev_b32_e32 v43, 8, v41
	v_perm_b32 v37, v41, v41, 0xc0c0003
	s_delay_alu instid0(VALU_DEP_2) | instskip(SKIP_3) | instid1(VALU_DEP_3)
	v_perm_b32 v142, v43, v42, 0x7030c0c
	s_wait_dscnt 0x2
	v_lshlrev_b32_e32 v42, 16, v219
	v_lshlrev_b32_e32 v43, 8, v219
	v_or_b32_e32 v41, v142, v37
	v_perm_b32 v37, v219, v219, 0xc0c0003
	s_delay_alu instid0(VALU_DEP_3)
	v_perm_b32 v143, v43, v42, 0x7030c0c
	v_add_nc_u32_e32 v42, 0x140c, v161
	ds_load_2addr_b32 v[42:43], v42 offset1:1
	ds_load_2addr_b32 v[221:222], v44 offset1:1
	;; [unrolled: 1-line block ×3, first 2 shown]
	v_or_b32_e32 v137, v143, v37
	v_add_nc_u32_e32 v142, 0x6180, v162
	v_add_nc_u32_e32 v143, 0x4108, v162
	;; [unrolled: 1-line block ×3, first 2 shown]
	s_wait_dscnt 0x2
	v_lshlrev_b32_e32 v44, 16, v43
	v_lshlrev_b32_e32 v45, 8, v43
	v_perm_b32 v37, v43, v43, 0xc0c0003
	s_delay_alu instid0(VALU_DEP_2) | instskip(SKIP_3) | instid1(VALU_DEP_3)
	v_perm_b32 v144, v45, v44, 0x7030c0c
	s_wait_dscnt 0x1
	v_lshlrev_b32_e32 v44, 16, v221
	v_lshlrev_b32_e32 v45, 8, v221
	v_or_b32_e32 v43, v144, v37
	v_perm_b32 v37, v221, v221, 0xc0c0003
	s_delay_alu instid0(VALU_DEP_3) | instskip(SKIP_2) | instid1(VALU_DEP_3)
	v_perm_b32 v145, v45, v44, 0x7030c0c
	v_add_nc_u32_e32 v44, 0x180c, v161
	v_add_nc_u32_e32 v144, 0x6188, v162
	v_or_b32_e32 v138, v145, v37
	ds_load_2addr_b32 v[44:45], v44 offset1:1
	v_add_nc_u32_e32 v145, 0x4110, v162
	s_wait_dscnt 0x0
	v_lshlrev_b32_e32 v46, 16, v45
	v_lshlrev_b32_e32 v47, 8, v45
	v_perm_b32 v37, v45, v45, 0xc0c0003
	s_delay_alu instid0(VALU_DEP_2)
	v_perm_b32 v146, v47, v46, 0x7030c0c
	v_add_nc_u32_e32 v46, 0x1804, v161
	v_add_nc_u32_e32 v47, 0x1c04, v161
	ds_load_2addr_b32 v[223:224], v46 offset1:1
	ds_load_2addr_b32 v[225:226], v47 offset1:1
	;; [unrolled: 1-line block ×3, first 2 shown]
	v_or_b32_e32 v45, v146, v37
	v_add_nc_u32_e32 v146, 0x6190, v162
	s_wait_dscnt 0x2
	v_lshlrev_b32_e32 v46, 16, v223
	v_lshlrev_b32_e32 v47, 8, v223
	v_perm_b32 v37, v223, v223, 0xc0c0003
	s_wait_dscnt 0x1
	v_lshlrev_b32_e32 v229, 8, v225
	s_delay_alu instid0(VALU_DEP_3) | instskip(SKIP_1) | instid1(VALU_DEP_2)
	v_perm_b32 v147, v47, v46, 0x7030c0c
	v_add_nc_u32_e32 v46, 0x1c0c, v161
	v_or_b32_e32 v139, v147, v37
	ds_load_2addr_b32 v[46:47], v46 offset1:1
	v_add_nc_u32_e32 v147, 0x4118, v162
	s_wait_dscnt 0x0
	v_lshlrev_b32_e32 v227, 16, v47
	v_lshlrev_b32_e32 v228, 8, v47
	v_perm_b32 v37, v47, v47, 0xc0c0003
	s_delay_alu instid0(VALU_DEP_2) | instskip(SKIP_1) | instid1(VALU_DEP_2)
	v_perm_b32 v227, v228, v227, 0x7030c0c
	v_lshlrev_b32_e32 v228, 16, v225
	v_or_b32_e32 v47, v227, v37
	s_delay_alu instid0(VALU_DEP_2) | instskip(SKIP_1) | instid1(VALU_DEP_1)
	v_perm_b32 v228, v229, v228, 0x7030c0c
	v_perm_b32 v37, v225, v225, 0xc0c0003
	v_or_b32_e32 v141, v228, v37
	v_add_nc_u32_e32 v37, 0x4100, v162
	ds_load_2addr_b32 v[37:38], v37 offset1:1
	ds_load_2addr_b32 v[227:228], v142 offset1:1
	;; [unrolled: 1-line block ×8, first 2 shown]
	v_perm_b32 v142, v11, v11, 0x2010003
	v_perm_b32 v147, v19, v19, 0x2010003
	;; [unrolled: 1-line block ×3, first 2 shown]
	v_add_nc_u32_e32 v162, 32, v162
	s_delay_alu instid0(VALU_DEP_4)
	v_dot4_i32_iu8 v145, v0, v142, 0 neg_lo:[1,1,0]
	v_dot4_i32_iu8 v219, v23, v142, 0 neg_lo:[1,1,0]
	;; [unrolled: 1-line block ×7, first 2 shown]
	s_wait_dscnt 0x7
	v_perm_b32 v143, v38, v38, 0x2010003
	s_wait_dscnt 0x6
	v_perm_b32 v144, v228, v228, 0x2010003
	v_dot4_i32_iu8 v246, v43, v142, 0 neg_lo:[1,1,0]
	v_dot4_i32_iu8 v247, v43, v147, 0 neg_lo:[1,1,0]
	;; [unrolled: 1-line block ×20, first 2 shown]
	v_perm_b32 v144, v4, v4, 0x2010003
	s_wait_dscnt 0x5
	v_perm_b32 v252, v229, v229, 0x2010003
	s_wait_dscnt 0x2
	v_perm_b32 v253, v235, v235, 0x2010003
	v_perm_b32 v4, v5, v4, 0x4000c0c
	v_dot4_i32_iu8 v145, v1, v144, v145 neg_lo:[1,1,0]
	v_dot4_i32_iu8 v146, v1, v252, v146 neg_lo:[1,1,0]
	s_delay_alu instid0(VALU_DEP_4)
	v_dot4_i32_iu8 v0, v1, v253, v0 neg_lo:[1,1,0]
	v_dot4_i32_iu8 v1, v25, v144, v219 neg_lo:[1,1,0]
	v_perm_b32 v219, v48, v48, 0x2010003
	v_dot4_i32_iu8 v223, v25, v252, v223 neg_lo:[1,1,0]
	v_dot4_i32_iu8 v23, v25, v253, v23 neg_lo:[1,1,0]
	;; [unrolled: 1-line block ×23, first 2 shown]
	v_lshlrev_b32_e32 v141, 24, v21
	v_lshlrev_b32_e32 v144, 8, v56
	;; [unrolled: 1-line block ×4, first 2 shown]
	v_or_b32_e32 v4, v4, v11
	v_perm_b32 v21, v136, v141, 0xc0c0703
	v_dot4_i32_iu8 v136, v18, v12, 0 neg_lo:[1,1,0]
	s_delay_alu instid0(VALU_DEP_2)
	v_or_b32_e32 v21, v79, v21
	v_lshlrev_b32_e32 v79, 24, v32
	v_perm_b32 v32, v32, v74, 0x7030c0c
	v_lshlrev_b32_e32 v74, 24, v30
	v_perm_b32 v30, v30, v75, 0x7030c0c
	v_dot4_i32_iu8 v75, v12, v37, 0 neg_lo:[1,1,0]
	v_perm_b32 v100, v100, v79, 0xc0c0703
	v_dot4_i32_iu8 v19, v21, v19, v136 neg_lo:[1,1,0]
	v_lshlrev_b32_e32 v136, 8, v52
	s_delay_alu instid0(VALU_DEP_4) | instskip(NEXT) | instid1(VALU_DEP_4)
	v_dot4_i32_iu8 v38, v21, v38, v75 neg_lo:[1,1,0]
	v_or_b32_e32 v32, v32, v100
	v_perm_b32 v100, v114, v74, 0xc0c0703
	v_perm_b32 v75, v230, v230, 0x2010003
	;; [unrolled: 1-line block ×3, first 2 shown]
	s_delay_alu instid0(VALU_DEP_4) | instskip(NEXT) | instid1(VALU_DEP_4)
	v_dot4_i32_iu8 v38, v32, v229, v38 neg_lo:[1,1,0]
	v_or_b32_e32 v30, v30, v100
	v_dot4_i32_iu8 v100, v12, v227, 0 neg_lo:[1,1,0]
	v_dot4_i32_iu8 v19, v32, v48, v19 neg_lo:[1,1,0]
	v_lshlrev_b32_e32 v48, 8, v50
	v_lshlrev_b32_e32 v229, 16, v226
	v_dot4_i32_iu8 v38, v30, v230, v38 neg_lo:[1,1,0]
	v_dot4_i32_iu8 v100, v21, v228, v100 neg_lo:[1,1,0]
	;; [unrolled: 1-line block ×3, first 2 shown]
	v_perm_b32 v21, v49, v49, 0x2010003
	v_lshlrev_b32_e32 v49, 8, v54
	v_lshlrev_b32_e32 v228, 8, v224
	v_dot4_i32_iu8 v100, v32, v235, v100 neg_lo:[1,1,0]
	v_lshlrev_b32_e32 v32, 8, v34
	v_lshlrev_b32_e32 v230, 8, v226
	v_perm_b32 v226, v226, v226, 0xc0c0003
	v_perm_b32 v12, v10, v141, 0xc0c0403
	v_dot4_i32_iu8 v100, v30, v236, v100 neg_lo:[1,1,0]
	v_lshlrev_b32_e32 v30, 16, v34
	v_perm_b32 v34, v34, v34, 0xc0c0003
	s_delay_alu instid0(VALU_DEP_2) | instskip(SKIP_1) | instid1(VALU_DEP_2)
	v_perm_b32 v30, v32, v30, 0x7030c0c
	v_lshlrev_b32_e32 v32, 16, v50
	v_or_b32_e32 v30, v30, v34
	s_delay_alu instid0(VALU_DEP_2) | instskip(SKIP_4) | instid1(VALU_DEP_4)
	v_perm_b32 v32, v48, v32, 0x7030c0c
	v_lshlrev_b32_e32 v48, 16, v54
	v_perm_b32 v34, v50, v50, 0xc0c0003
	v_perm_b32 v50, v58, v58, 0xc0c0003
	v_dot4_i32_iu8 v0, v30, v114, v0 neg_lo:[1,1,0]
	v_perm_b32 v48, v49, v48, 0x7030c0c
	v_lshlrev_b32_e32 v49, 16, v52
	v_or_b32_e32 v32, v32, v34
	v_perm_b32 v34, v54, v54, 0xc0c0003
	s_delay_alu instid0(VALU_DEP_3) | instskip(SKIP_1) | instid1(VALU_DEP_3)
	v_perm_b32 v49, v136, v49, 0x7030c0c
	v_lshlrev_b32_e32 v136, 16, v56
	v_or_b32_e32 v34, v48, v34
	v_perm_b32 v48, v52, v52, 0xc0c0003
	v_perm_b32 v52, v5, v5, 0x2010003
	v_dot4_i32_iu8 v23, v32, v114, v23 neg_lo:[1,1,0]
	v_perm_b32 v136, v144, v136, 0x7030c0c
	v_lshlrev_b32_e32 v144, 16, v58
	v_or_b32_e32 v48, v49, v48
	v_perm_b32 v49, v56, v56, 0xc0c0003
	v_dot4_i32_iu8 v54, v30, v52, v145 neg_lo:[1,1,0]
	v_dot4_i32_iu8 v56, v30, v75, v146 neg_lo:[1,1,0]
	v_perm_b32 v144, v147, v144, 0x7030c0c
	v_lshlrev_b32_e32 v147, 16, v26
	v_perm_b32 v26, v26, v26, 0xc0c0003
	v_or_b32_e32 v49, v136, v49
	v_dot4_i32_iu8 v1, v32, v52, v1 neg_lo:[1,1,0]
	v_or_b32_e32 v50, v144, v50
	v_perm_b32 v147, v219, v147, 0x7030c0c
	v_dot4_i32_iu8 v30, v32, v21, v221 neg_lo:[1,1,0]
	v_dot4_i32_iu8 v58, v32, v75, v223 neg_lo:[1,1,0]
	;; [unrolled: 1-line block ×4, first 2 shown]
	v_or_b32_e32 v26, v147, v26
	v_dot4_i32_iu8 v136, v34, v75, v241 neg_lo:[1,1,0]
	v_dot4_i32_iu8 v34, v34, v114, v60 neg_lo:[1,1,0]
	v_dot4_i32_iu8 v60, v48, v52, v62 neg_lo:[1,1,0]
	v_dot4_i32_iu8 v62, v48, v21, v242 neg_lo:[1,1,0]
	v_dot4_i32_iu8 v144, v48, v75, v243 neg_lo:[1,1,0]
	v_dot4_i32_iu8 v41, v48, v114, v41 neg_lo:[1,1,0]
	v_dot4_i32_iu8 v48, v49, v52, v137 neg_lo:[1,1,0]
	v_dot4_i32_iu8 v137, v49, v21, v244 neg_lo:[1,1,0]
	v_dot4_i32_iu8 v145, v49, v75, v245 neg_lo:[1,1,0]
	v_dot4_i32_iu8 v43, v49, v114, v43 neg_lo:[1,1,0]
	v_dot4_i32_iu8 v49, v50, v52, v138 neg_lo:[1,1,0]
	v_dot4_i32_iu8 v138, v50, v21, v246 neg_lo:[1,1,0]
	v_dot4_i32_iu8 v146, v50, v75, v247 neg_lo:[1,1,0]
	v_dot4_i32_iu8 v45, v50, v114, v45 neg_lo:[1,1,0]
	v_dot4_i32_iu8 v50, v26, v52, v139 neg_lo:[1,1,0]
	v_dot4_i32_iu8 v21, v26, v21, v142 neg_lo:[1,1,0]
	v_dot4_i32_iu8 v52, v26, v75, v143 neg_lo:[1,1,0]
	v_dot4_i32_iu8 v26, v26, v114, v47 neg_lo:[1,1,0]
	v_lshlrev_b32_e32 v47, 16, v39
	v_lshlrev_b32_e32 v75, 8, v39
	;; [unrolled: 1-line block ×11, first 2 shown]
	v_perm_b32 v39, v39, v39, 0xc0c0003
	v_perm_b32 v63, v63, v63, 0xc0c0003
	;; [unrolled: 1-line block ×13, first 2 shown]
	v_or_b32_e32 v39, v47, v39
	v_or_b32_e32 v47, v75, v63
	;; [unrolled: 1-line block ×7, first 2 shown]
	v_perm_b32 v142, v6, v6, 0x2010003
	v_perm_b32 v143, v231, v231, 0x2010003
	s_wait_dscnt 0x1
	v_perm_b32 v147, v237, v237, 0x2010003
	v_lshlrev_b32_e32 v219, 16, v59
	v_lshlrev_b32_e32 v220, 8, v59
	v_dot4_i32_iu8 v54, v39, v142, v54 neg_lo:[1,1,0]
	v_dot4_i32_iu8 v56, v39, v143, v56 neg_lo:[1,1,0]
	;; [unrolled: 1-line block ×3, first 2 shown]
	v_perm_b32 v39, v28, v28, 0x2010003
	v_dot4_i32_iu8 v1, v47, v142, v1 neg_lo:[1,1,0]
	v_dot4_i32_iu8 v58, v47, v143, v58 neg_lo:[1,1,0]
	;; [unrolled: 1-line block ×19, first 2 shown]
	v_perm_b32 v52, v33, v218, 0x7030c0c
	v_lshlrev_b32_e32 v33, 24, v33
	v_dot4_i32_iu8 v49, v114, v142, v49 neg_lo:[1,1,0]
	v_dot4_i32_iu8 v137, v114, v143, v146 neg_lo:[1,1,0]
	;; [unrolled: 1-line block ×3, first 2 shown]
	v_perm_b32 v114, v31, v217, 0x7030c0c
	v_lshlrev_b32_e32 v31, 24, v31
	v_perm_b32 v216, v216, v33, 0xc0c0703
	v_dot4_i32_iu8 v50, v139, v142, v50 neg_lo:[1,1,0]
	v_dot4_i32_iu8 v26, v139, v147, v26 neg_lo:[1,1,0]
	v_lshlrev_b32_e32 v138, 16, v35
	v_perm_b32 v215, v215, v31, 0xc0c0703
	v_or_b32_e32 v52, v52, v216
	v_lshlrev_b32_e32 v139, 8, v35
	v_lshlrev_b32_e32 v142, 16, v51
	;; [unrolled: 1-line block ×11, first 2 shown]
	v_or_b32_e32 v114, v114, v215
	v_dot4_i32_iu8 v38, v52, v231, v38 neg_lo:[1,1,0]
	v_dot4_i32_iu8 v100, v52, v237, v100 neg_lo:[1,1,0]
	;; [unrolled: 1-line block ×3, first 2 shown]
	v_perm_b32 v35, v35, v35, 0xc0c0003
	v_perm_b32 v51, v51, v51, 0xc0c0003
	;; [unrolled: 1-line block ×7, first 2 shown]
	v_dot4_i32_iu8 v38, v114, v232, v38 neg_lo:[1,1,0]
	v_dot4_i32_iu8 v100, v114, v238, v100 neg_lo:[1,1,0]
	;; [unrolled: 1-line block ×3, first 2 shown]
	v_perm_b32 v19, v29, v29, 0x2010003
	v_perm_b32 v28, v139, v138, 0x7030c0c
	;; [unrolled: 1-line block ×10, first 2 shown]
	v_or_b32_e32 v28, v28, v35
	v_or_b32_e32 v29, v29, v51
	;; [unrolled: 1-line block ×7, first 2 shown]
	v_perm_b32 v57, v7, v7, 0x2010003
	v_dot4_i32_iu8 v56, v28, v215, v56 neg_lo:[1,1,0]
	v_dot4_i32_iu8 v0, v28, v216, v0 neg_lo:[1,1,0]
	;; [unrolled: 1-line block ×27, first 2 shown]
	v_lshlrev_b32_e32 v27, 16, v22
	v_lshlrev_b32_e32 v39, 8, v22
	;; [unrolled: 1-line block ×10, first 2 shown]
	v_perm_b32 v22, v22, v22, 0xc0c0003
	v_perm_b32 v36, v36, v36, 0xc0c0003
	;; [unrolled: 1-line block ×3, first 2 shown]
	v_lshlrev_b32_e32 v114, 16, v42
	v_lshlrev_b32_e32 v136, 8, v42
	v_perm_b32 v44, v44, v44, 0xc0c0003
	v_lshlrev_b32_e32 v139, 16, v46
	v_lshlrev_b32_e32 v142, 8, v46
	v_perm_b32 v27, v39, v27, 0x7030c0c
	v_perm_b32 v39, v57, v55, 0x7030c0c
	;; [unrolled: 1-line block ×10, first 2 shown]
	v_or_b32_e32 v22, v27, v22
	v_or_b32_e32 v27, v55, v36
	;; [unrolled: 1-line block ×4, first 2 shown]
	v_perm_b32 v44, v8, v8, 0x2010003
	v_or_b32_e32 v24, v39, v24
	v_or_b32_e32 v39, v61, v42
	;; [unrolled: 1-line block ×3, first 2 shown]
	s_wait_dscnt 0x0
	v_perm_b32 v114, v240, v240, 0x2010003
	v_dot4_i32_iu8 v46, v22, v44, v54 neg_lo:[1,1,0]
	v_perm_b32 v54, v233, v233, 0x2010003
	v_dot4_i32_iu8 v1, v24, v44, v1 neg_lo:[1,1,0]
	v_dot4_i32_iu8 v63, v27, v44, v25 neg_lo:[1,1,0]
	;; [unrolled: 1-line block ×3, first 2 shown]
	v_perm_b32 v5, v7, v6, 0xc0c0400
	v_dot4_i32_iu8 v55, v22, v54, v56 neg_lo:[1,1,0]
	v_perm_b32 v56, v239, v239, 0x2010003
	v_dot4_i32_iu8 v61, v24, v54, v30 neg_lo:[1,1,0]
	v_dot4_i32_iu8 v32, v27, v54, v32 neg_lo:[1,1,0]
	;; [unrolled: 1-line block ×3, first 2 shown]
	v_perm_b32 v6, v9, v8, 0x4000c0c
	v_dot4_i32_iu8 v0, v22, v56, v0 neg_lo:[1,1,0]
	v_perm_b32 v22, v16, v16, 0x2010003
	v_dot4_i32_iu8 v62, v24, v56, v23 neg_lo:[1,1,0]
	v_dot4_i32_iu8 v34, v27, v56, v34 neg_lo:[1,1,0]
	v_perm_b32 v7, v74, v79, 0x7030c0c
	v_or_b32_e32 v5, v6, v5
	v_dot4_i32_iu8 v47, v36, v22, v47 neg_lo:[1,1,0]
	v_dot4_i32_iu8 v36, v36, v56, v41 neg_lo:[1,1,0]
	;; [unrolled: 1-line block ×11, first 2 shown]
	v_lshlrev_b32_e32 v54, 24, v20
	v_dot4_i32_iu8 v40, v40, v56, v45 neg_lo:[1,1,0]
	v_dot4_i32_iu8 v45, v42, v22, v19 neg_lo:[1,1,0]
	v_perm_b32 v19, v20, v212, 0x7030c0c
	v_lshlrev_b32_e32 v59, 24, v13
	v_perm_b32 v20, v214, v54, 0xc0c0703
	v_dot4_i32_iu8 v42, v42, v56, v26 neg_lo:[1,1,0]
	v_perm_b32 v13, v13, v211, 0x7030c0c
	v_dot4_i32_iu8 v57, v24, v22, v28 neg_lo:[1,1,0]
	v_dot4_i32_iu8 v75, v27, v22, v29 neg_lo:[1,1,0]
	v_or_b32_e32 v56, v19, v20
	v_perm_b32 v19, v213, v59, 0xc0c0703
	v_lshlrev_b32_e32 v20, 8, v15
	v_perm_b32 v60, v234, v234, 0x2010003
	v_perm_b32 v6, v31, v33, 0xc0c0703
	v_perm_b32 v8, v59, v54, 0x7030c0c
	v_or_b32_e32 v13, v13, v19
	v_dot4_i32_iu8 v19, v56, v233, v38 neg_lo:[1,1,0]
	v_or_b32_e32 v7, v7, v12
	s_delay_alu instid0(VALU_DEP_4) | instskip(SKIP_1) | instid1(VALU_DEP_4)
	v_or_b32_e32 v6, v8, v6
	v_add_nc_u32_e32 v8, v205, v198
	v_dot4_i32_iu8 v38, v13, v234, v19 neg_lo:[1,1,0]
	v_dot4_i32_iu8 v19, v56, v239, v100 neg_lo:[1,1,0]
	v_dot4_i32_iu8 v4, v7, v4, 0 neg_lo:[1,1,0]
	s_delay_alu instid0(VALU_DEP_2) | instskip(SKIP_1) | instid1(VALU_DEP_3)
	v_dot4_i32_iu8 v100, v13, v240, v19 neg_lo:[1,1,0]
	v_lshlrev_b32_e32 v19, 16, v15
	v_dot4_i32_iu8 v4, v6, v5, v4 neg_lo:[1,1,0]
	v_add3_u32 v5, v206, v199, v207
	v_add3_u32 v6, v200, v201, v208
	s_delay_alu instid0(VALU_DEP_4) | instskip(SKIP_4) | instid1(VALU_DEP_1)
	v_perm_b32 v136, v20, v19, 0x7030c0c
	v_add_nc_u32_e32 v19, 0x800, v161
	v_add3_u32 v4, v4, v204, v8
	ds_load_2addr_b32 v[19:20], v19 offset1:7
	v_cvt_f32_i32_e32 v4, v4
	v_fmac_f32_e32 v87, v189, v4
	s_wait_dscnt 0x0
	v_lshlrev_b32_e32 v21, 16, v20
	v_lshlrev_b32_e32 v22, 8, v20
	v_perm_b32 v20, v20, v20, 0xc0c0003
	s_delay_alu instid0(VALU_DEP_2) | instskip(SKIP_1) | instid1(VALU_DEP_2)
	v_perm_b32 v137, v22, v21, 0x7030c0c
	v_add_nc_u32_e32 v21, 0xc00, v161
	v_or_b32_e32 v20, v137, v20
	ds_load_2addr_b32 v[21:22], v21 offset1:7
	v_perm_b32 v137, v9, v9, 0x2010003
	v_dot4_i32_iu8 v61, v20, v60, v61 neg_lo:[1,1,0]
	s_delay_alu instid0(VALU_DEP_2) | instskip(NEXT) | instid1(VALU_DEP_1)
	v_dot4_i32_iu8 v1, v20, v137, v1 neg_lo:[1,1,0]
	v_dot4_i32_iu8 v1, v10, v19, v1 neg_lo:[1,1,0]
	s_wait_dscnt 0x0
	v_lshlrev_b32_e32 v23, 16, v22
	v_lshlrev_b32_e32 v24, 8, v22
	v_perm_b32 v22, v22, v22, 0xc0c0003
	s_delay_alu instid0(VALU_DEP_2) | instskip(SKIP_1) | instid1(VALU_DEP_2)
	v_perm_b32 v138, v24, v23, 0x7030c0c
	v_add_nc_u32_e32 v23, 0x1000, v161
	v_or_b32_e32 v22, v138, v22
	ds_load_2addr_b32 v[23:24], v23 offset1:7
	v_dot4_i32_iu8 v32, v22, v60, v32 neg_lo:[1,1,0]
	s_delay_alu instid0(VALU_DEP_1) | instskip(SKIP_4) | instid1(VALU_DEP_2)
	v_dot4_i32_iu8 v32, v21, v37, v32 neg_lo:[1,1,0]
	s_wait_dscnt 0x0
	v_lshlrev_b32_e32 v25, 16, v24
	v_lshlrev_b32_e32 v26, 8, v24
	v_perm_b32 v24, v24, v24, 0xc0c0003
	v_perm_b32 v139, v26, v25, 0x7030c0c
	v_add_nc_u32_e32 v25, 0x1400, v161
	s_delay_alu instid0(VALU_DEP_2)
	v_or_b32_e32 v24, v139, v24
	ds_load_2addr_b32 v[25:26], v25 offset1:7
	s_wait_dscnt 0x0
	v_lshlrev_b32_e32 v27, 16, v26
	v_lshlrev_b32_e32 v28, 8, v26
	v_perm_b32 v26, v26, v26, 0xc0c0003
	s_delay_alu instid0(VALU_DEP_2) | instskip(SKIP_1) | instid1(VALU_DEP_2)
	v_perm_b32 v142, v28, v27, 0x7030c0c
	v_add_nc_u32_e32 v27, 0x1800, v161
	v_or_b32_e32 v26, v142, v26
	ds_load_2addr_b32 v[27:28], v27 offset1:7
	s_wait_dscnt 0x0
	v_lshlrev_b32_e32 v29, 16, v28
	v_lshlrev_b32_e32 v30, 8, v28
	v_perm_b32 v28, v28, v28, 0xc0c0003
	s_delay_alu instid0(VALU_DEP_2) | instskip(SKIP_2) | instid1(VALU_DEP_3)
	v_perm_b32 v143, v30, v29, 0x7030c0c
	v_add_nc_u32_e32 v29, 0x1c00, v161
	v_add_nc_u32_e32 v161, 32, v161
	v_or_b32_e32 v28, v143, v28
	ds_load_2addr_b32 v[29:30], v29 offset1:7
	s_wait_dscnt 0x0
	v_lshlrev_b32_e32 v144, 16, v30
	v_lshlrev_b32_e32 v145, 8, v30
	v_perm_b32 v30, v30, v30, 0xc0c0003
	s_delay_alu instid0(VALU_DEP_2) | instskip(SKIP_2) | instid1(VALU_DEP_3)
	v_perm_b32 v144, v145, v144, 0x7030c0c
	v_perm_b32 v145, v15, v15, 0xc0c0003
	v_bfe_i32 v15, v15, 16, 8
	v_or_b32_e32 v30, v144, v30
	s_delay_alu instid0(VALU_DEP_3) | instskip(NEXT) | instid1(VALU_DEP_1)
	v_or_b32_e32 v136, v136, v145
	v_dot4_i32_iu8 v0, v136, v114, v0 neg_lo:[1,1,0]
	v_dot4_i32_iu8 v46, v136, v137, v46 neg_lo:[1,1,0]
	v_dot4_i32_iu8 v55, v136, v60, v55 neg_lo:[1,1,0]
	v_perm_b32 v136, v17, v17, 0x2010003
	s_delay_alu instid0(VALU_DEP_4) | instskip(NEXT) | instid1(VALU_DEP_2)
	v_dot4_i32_iu8 v0, v14, v227, v0 neg_lo:[1,1,0]
	v_dot4_i32_iu8 v57, v20, v136, v57 neg_lo:[1,1,0]
	;; [unrolled: 1-line block ×3, first 2 shown]
	s_delay_alu instid0(VALU_DEP_3)
	v_cvt_f32_i32_e32 v0, v0
	v_dot4_i32_iu8 v62, v22, v137, v63 neg_lo:[1,1,0]
	v_dot4_i32_iu8 v63, v22, v136, v75 neg_lo:[1,1,0]
	;; [unrolled: 1-line block ×20, first 2 shown]
	v_fmac_f32_e32 v92, v182, v0
	v_cvt_f32_i32_e32 v0, v1
	v_dot4_i32_iu8 v50, v19, v37, v61 neg_lo:[1,1,0]
	v_dot4_i32_iu8 v19, v19, v227, v20 neg_lo:[1,1,0]
	v_dot4_i32_iu8 v20, v10, v21, v62 neg_lo:[1,1,0]
	v_dot4_i32_iu8 v51, v18, v21, v63 neg_lo:[1,1,0]
	v_fmac_f32_e32 v91, v183, v0
	v_cvt_f32_i32_e32 v0, v42
	v_dot4_i32_iu8 v21, v21, v227, v22 neg_lo:[1,1,0]
	v_dot4_i32_iu8 v22, v10, v23, v34 neg_lo:[1,1,0]
	v_dot4_i32_iu8 v34, v18, v23, v35 neg_lo:[1,1,0]
	v_dot4_i32_iu8 v35, v23, v37, v47 neg_lo:[1,1,0]
	;; [unrolled: 6-line block ×6, first 2 shown]
	v_fmac_f32_e32 v85, v177, v0
	v_cvt_f32_i32_e32 v0, v32
	v_dot4_i32_iu8 v13, v13, v17, v14 neg_lo:[1,1,0]
	v_bfe_i32 v14, v17, 16, 8
	v_cvt_f32_i32_e32 v1, v29
	s_delay_alu instid0(VALU_DEP_4) | instskip(SKIP_1) | instid1(VALU_DEP_4)
	v_fmac_f32_e32 v84, v176, v0
	v_cvt_f32_i32_e32 v0, v21
	v_mul_i32_i24_e32 v14, v15, v14
	s_delay_alu instid0(VALU_DEP_2) | instskip(SKIP_1) | instid1(VALU_DEP_3)
	v_dual_fmac_f32 v64, v196, v1 :: v_dual_fmac_f32 v83, v174, v0
	v_cvt_f32_i32_e32 v0, v22
	v_add3_u32 v14, v202, v203, v14
	s_delay_alu instid0(VALU_DEP_2) | instskip(SKIP_1) | instid1(VALU_DEP_3)
	v_fmac_f32_e32 v82, v175, v0
	v_cvt_f32_i32_e32 v0, v34
	v_add3_u32 v7, v209, v210, v14
	s_delay_alu instid0(VALU_DEP_2) | instskip(SKIP_1) | instid1(VALU_DEP_3)
	v_fmac_f32_e32 v81, v173, v0
	;; [unrolled: 4-line block ×3, first 2 shown]
	v_cvt_f32_i32_e32 v0, v23
	v_cvt_f32_i32_e32 v4, v5
	s_delay_alu instid0(VALU_DEP_2) | instskip(SKIP_1) | instid1(VALU_DEP_3)
	v_fmac_f32_e32 v78, v171, v0
	v_cvt_f32_i32_e32 v0, v24
	v_fmac_f32_e32 v101, v192, v4
	v_cvt_f32_i32_e32 v4, v38
	s_delay_alu instid0(VALU_DEP_3) | instskip(SKIP_1) | instid1(VALU_DEP_3)
	v_fmac_f32_e32 v77, v170, v0
	v_cvt_f32_i32_e32 v0, v36
	v_fmac_f32_e32 v104, v188, v4
	v_cvt_f32_i32_e32 v4, v100
	s_delay_alu instid0(VALU_DEP_3) | instskip(SKIP_1) | instid1(VALU_DEP_3)
	;; [unrolled: 5-line block ×5, first 2 shown]
	v_fmac_f32_e32 v71, v167, v0
	v_cvt_f32_i32_e32 v0, v39
	v_fmac_f32_e32 v96, v185, v4
	s_delay_alu instid0(VALU_DEP_2) | instskip(SKIP_1) | instid1(VALU_DEP_1)
	v_fmac_f32_e32 v70, v191, v0
	v_cvt_f32_i32_e32 v0, v43
	v_fmac_f32_e32 v69, v195, v0
	v_cvt_f32_i32_e32 v0, v27
	s_delay_alu instid0(VALU_DEP_1) | instskip(SKIP_1) | instid1(VALU_DEP_1)
	v_fmac_f32_e32 v68, v197, v0
	v_cvt_f32_i32_e32 v0, v10
	v_fmac_f32_e32 v67, v190, v0
	v_cvt_f32_i32_e32 v0, v18
	s_delay_alu instid0(VALU_DEP_1) | instskip(SKIP_1) | instid1(VALU_DEP_1)
	v_fmac_f32_e32 v66, v194, v0
	v_cvt_f32_i32_e32 v0, v37
	v_fmac_f32_e32 v65, v193, v0
	s_cbranch_scc1 .LBB121_11
; %bb.12:                               ;   in Loop: Header=BB121_6 Depth=1
	s_wait_loadcnt 0x0
	s_barrier_signal -1
	s_barrier_wait -1
	global_inv scope:SCOPE_SE
	s_branch .LBB121_5
.LBB121_13:
	s_clause 0x2
	scratch_load_b32 v1, off, off offset:64 th:TH_LOAD_LU
	scratch_load_b32 v2, off, off offset:68 th:TH_LOAD_LU
	scratch_load_b32 v3, off, off offset:72
.LBB121_14:
	s_mov_b32 s0, exec_lo
	s_wait_loadcnt 0x0
	v_cmpx_gt_u32_e64 s4, v3
	s_cbranch_execz .LBB121_65
; %bb.15:
	v_add_nc_u32_e32 v0, s14, v2
	v_mul_lo_u32 v5, v3, s6
	s_delay_alu instid0(VALU_DEP_2)
	v_cmp_gt_u32_e32 vcc_lo, s6, v0
	s_and_saveexec_b32 s1, vcc_lo
	s_cbranch_execz .LBB121_17
; %bb.16:
	s_delay_alu instid0(VALU_DEP_2) | instskip(NEXT) | instid1(VALU_DEP_1)
	v_dual_mov_b32 v3, 0 :: v_dual_add_nc_u32 v2, v0, v5
	v_lshlrev_b64_e32 v[2:3], 2, v[2:3]
	s_wait_kmcnt 0x0
	s_delay_alu instid0(VALU_DEP_1) | instskip(NEXT) | instid1(VALU_DEP_1)
	v_add_co_u32 v2, s0, s8, v2
	v_add_co_ci_u32_e64 v3, null, s9, v3, s0
	global_store_b32 v[2:3], v87, off
.LBB121_17:
	s_or_b32 exec_lo, exec_lo, s1
	v_add_nc_u32_e32 v2, 32, v0
	s_delay_alu instid0(VALU_DEP_1)
	v_cmp_gt_u32_e64 s0, s6, v2
	s_and_saveexec_b32 s2, s0
	s_cbranch_execz .LBB121_19
; %bb.18:
	v_dual_mov_b32 v4, 0 :: v_dual_add_nc_u32 v3, v2, v5
	s_delay_alu instid0(VALU_DEP_1) | instskip(SKIP_1) | instid1(VALU_DEP_1)
	v_lshlrev_b64_e32 v[3:4], 2, v[3:4]
	s_wait_kmcnt 0x0
	v_add_co_u32 v3, s1, s8, v3
	s_wait_alu 0xf1ff
	s_delay_alu instid0(VALU_DEP_2)
	v_add_co_ci_u32_e64 v4, null, s9, v4, s1
	global_store_b32 v[3:4], v106, off
.LBB121_19:
	s_wait_alu 0xfffe
	s_or_b32 exec_lo, exec_lo, s2
	v_add_nc_u32_e32 v3, 64, v0
	s_delay_alu instid0(VALU_DEP_1)
	v_cmp_gt_u32_e64 s1, s6, v3
	s_and_saveexec_b32 s3, s1
	s_cbranch_execz .LBB121_21
; %bb.20:
	v_dual_mov_b32 v7, 0 :: v_dual_add_nc_u32 v6, v3, v5
	s_delay_alu instid0(VALU_DEP_1) | instskip(SKIP_1) | instid1(VALU_DEP_1)
	v_lshlrev_b64_e32 v[6:7], 2, v[6:7]
	s_wait_kmcnt 0x0
	v_add_co_u32 v6, s2, s8, v6
	s_wait_alu 0xf1ff
	s_delay_alu instid0(VALU_DEP_2)
	v_add_co_ci_u32_e64 v7, null, s9, v7, s2
	global_store_b32 v[6:7], v104, off
.LBB121_21:
	s_wait_alu 0xfffe
	;; [unrolled: 18-line block ×3, first 2 shown]
	s_or_b32 exec_lo, exec_lo, s5
	v_add3_u32 v5, v1, s7, 8
	s_delay_alu instid0(VALU_DEP_1)
	v_cmp_gt_u32_e64 s3, s4, v5
	s_and_b32 exec_lo, exec_lo, s3
	s_cbranch_execz .LBB121_65
; %bb.24:
	v_mul_lo_u32 v5, v5, s6
	s_and_saveexec_b32 s5, vcc_lo
	s_cbranch_execnz .LBB121_66
; %bb.25:
	s_wait_alu 0xfffe
	s_or_b32 exec_lo, exec_lo, s5
	s_and_saveexec_b32 s5, s0
	s_cbranch_execnz .LBB121_67
.LBB121_26:
	s_wait_alu 0xfffe
	s_or_b32 exec_lo, exec_lo, s5
	s_and_saveexec_b32 s5, s1
	s_cbranch_execnz .LBB121_68
.LBB121_27:
	s_wait_alu 0xfffe
	s_or_b32 exec_lo, exec_lo, s5
	s_and_saveexec_b32 s5, s2
	s_cbranch_execz .LBB121_29
.LBB121_28:
	v_dual_mov_b32 v6, 0 :: v_dual_add_nc_u32 v5, v5, v4
	s_delay_alu instid0(VALU_DEP_1) | instskip(SKIP_1) | instid1(VALU_DEP_1)
	v_lshlrev_b64_e32 v[5:6], 2, v[5:6]
	s_wait_kmcnt 0x0
	v_add_co_u32 v5, s3, s8, v5
	s_wait_alu 0xf1ff
	s_delay_alu instid0(VALU_DEP_2)
	v_add_co_ci_u32_e64 v6, null, s9, v6, s3
	global_store_b32 v[5:6], v92, off
.LBB121_29:
	s_wait_alu 0xfffe
	s_or_b32 exec_lo, exec_lo, s5
	v_add3_u32 v5, v1, s7, 16
	s_delay_alu instid0(VALU_DEP_1)
	v_cmp_gt_u32_e64 s3, s4, v5
	s_and_b32 exec_lo, exec_lo, s3
	s_cbranch_execz .LBB121_65
; %bb.30:
	v_mul_lo_u32 v5, v5, s6
	s_and_saveexec_b32 s5, vcc_lo
	s_cbranch_execnz .LBB121_69
; %bb.31:
	s_wait_alu 0xfffe
	s_or_b32 exec_lo, exec_lo, s5
	s_and_saveexec_b32 s5, s0
	s_cbranch_execnz .LBB121_70
.LBB121_32:
	s_wait_alu 0xfffe
	s_or_b32 exec_lo, exec_lo, s5
	s_and_saveexec_b32 s5, s1
	s_cbranch_execnz .LBB121_71
.LBB121_33:
	s_wait_alu 0xfffe
	s_or_b32 exec_lo, exec_lo, s5
	s_and_saveexec_b32 s5, s2
	s_cbranch_execz .LBB121_35
.LBB121_34:
	v_dual_mov_b32 v6, 0 :: v_dual_add_nc_u32 v5, v5, v4
	s_delay_alu instid0(VALU_DEP_1) | instskip(SKIP_1) | instid1(VALU_DEP_1)
	v_lshlrev_b64_e32 v[5:6], 2, v[5:6]
	s_wait_kmcnt 0x0
	v_add_co_u32 v5, s3, s8, v5
	s_wait_alu 0xf1ff
	s_delay_alu instid0(VALU_DEP_2)
	v_add_co_ci_u32_e64 v6, null, s9, v6, s3
	global_store_b32 v[5:6], v88, off
.LBB121_35:
	s_wait_alu 0xfffe
	s_or_b32 exec_lo, exec_lo, s5
	v_add3_u32 v5, v1, s7, 24
	s_delay_alu instid0(VALU_DEP_1)
	v_cmp_gt_u32_e64 s3, s4, v5
	s_and_b32 exec_lo, exec_lo, s3
	s_cbranch_execz .LBB121_65
; %bb.36:
	v_mul_lo_u32 v5, v5, s6
	s_and_saveexec_b32 s5, vcc_lo
	s_cbranch_execnz .LBB121_72
; %bb.37:
	s_wait_alu 0xfffe
	s_or_b32 exec_lo, exec_lo, s5
	s_and_saveexec_b32 s5, s0
	s_cbranch_execnz .LBB121_73
.LBB121_38:
	s_wait_alu 0xfffe
	s_or_b32 exec_lo, exec_lo, s5
	s_and_saveexec_b32 s5, s1
	s_cbranch_execnz .LBB121_74
.LBB121_39:
	s_wait_alu 0xfffe
	s_or_b32 exec_lo, exec_lo, s5
	s_and_saveexec_b32 s5, s2
	s_cbranch_execz .LBB121_41
.LBB121_40:
	v_dual_mov_b32 v6, 0 :: v_dual_add_nc_u32 v5, v5, v4
	s_delay_alu instid0(VALU_DEP_1) | instskip(SKIP_1) | instid1(VALU_DEP_1)
	v_lshlrev_b64_e32 v[5:6], 2, v[5:6]
	s_wait_kmcnt 0x0
	v_add_co_u32 v5, s3, s8, v5
	s_wait_alu 0xf1ff
	s_delay_alu instid0(VALU_DEP_2)
	v_add_co_ci_u32_e64 v6, null, s9, v6, s3
	global_store_b32 v[5:6], v83, off
.LBB121_41:
	s_wait_alu 0xfffe
	s_or_b32 exec_lo, exec_lo, s5
	v_add3_u32 v5, v1, s7, 32
	s_delay_alu instid0(VALU_DEP_1)
	v_cmp_gt_u32_e64 s3, s4, v5
	s_and_b32 exec_lo, exec_lo, s3
	s_cbranch_execz .LBB121_65
; %bb.42:
	v_mul_lo_u32 v5, v5, s6
	s_and_saveexec_b32 s5, vcc_lo
	s_cbranch_execnz .LBB121_75
; %bb.43:
	s_wait_alu 0xfffe
	s_or_b32 exec_lo, exec_lo, s5
	s_and_saveexec_b32 s5, s0
	s_cbranch_execnz .LBB121_76
.LBB121_44:
	s_wait_alu 0xfffe
	s_or_b32 exec_lo, exec_lo, s5
	s_and_saveexec_b32 s5, s1
	s_cbranch_execnz .LBB121_77
.LBB121_45:
	s_wait_alu 0xfffe
	s_or_b32 exec_lo, exec_lo, s5
	s_and_saveexec_b32 s5, s2
	s_cbranch_execz .LBB121_47
.LBB121_46:
	v_dual_mov_b32 v6, 0 :: v_dual_add_nc_u32 v5, v5, v4
	s_delay_alu instid0(VALU_DEP_1) | instskip(SKIP_1) | instid1(VALU_DEP_1)
	v_lshlrev_b64_e32 v[5:6], 2, v[5:6]
	s_wait_kmcnt 0x0
	v_add_co_u32 v5, s3, s8, v5
	s_wait_alu 0xf1ff
	s_delay_alu instid0(VALU_DEP_2)
	v_add_co_ci_u32_e64 v6, null, s9, v6, s3
	global_store_b32 v[5:6], v78, off
.LBB121_47:
	s_wait_alu 0xfffe
	s_or_b32 exec_lo, exec_lo, s5
	v_add3_u32 v5, v1, s7, 40
	s_delay_alu instid0(VALU_DEP_1)
	v_cmp_gt_u32_e64 s3, s4, v5
	s_and_b32 exec_lo, exec_lo, s3
	s_cbranch_execz .LBB121_65
; %bb.48:
	v_mul_lo_u32 v5, v5, s6
	s_and_saveexec_b32 s5, vcc_lo
	s_cbranch_execnz .LBB121_78
; %bb.49:
	s_wait_alu 0xfffe
	s_or_b32 exec_lo, exec_lo, s5
	s_and_saveexec_b32 s5, s0
	s_cbranch_execnz .LBB121_79
.LBB121_50:
	s_wait_alu 0xfffe
	s_or_b32 exec_lo, exec_lo, s5
	s_and_saveexec_b32 s5, s1
	s_cbranch_execnz .LBB121_80
.LBB121_51:
	s_wait_alu 0xfffe
	s_or_b32 exec_lo, exec_lo, s5
	s_and_saveexec_b32 s5, s2
	s_cbranch_execz .LBB121_53
.LBB121_52:
	v_dual_mov_b32 v6, 0 :: v_dual_add_nc_u32 v5, v5, v4
	s_delay_alu instid0(VALU_DEP_1) | instskip(SKIP_1) | instid1(VALU_DEP_1)
	v_lshlrev_b64_e32 v[5:6], 2, v[5:6]
	s_wait_kmcnt 0x0
	v_add_co_u32 v5, s3, s8, v5
	s_wait_alu 0xf1ff
	s_delay_alu instid0(VALU_DEP_2)
	v_add_co_ci_u32_e64 v6, null, s9, v6, s3
	global_store_b32 v[5:6], v72, off
.LBB121_53:
	s_wait_alu 0xfffe
	s_or_b32 exec_lo, exec_lo, s5
	v_add3_u32 v5, v1, s7, 48
	s_delay_alu instid0(VALU_DEP_1)
	v_cmp_gt_u32_e64 s3, s4, v5
	s_and_b32 exec_lo, exec_lo, s3
	s_cbranch_execz .LBB121_65
; %bb.54:
	v_mul_lo_u32 v5, v5, s6
	s_and_saveexec_b32 s5, vcc_lo
	s_cbranch_execnz .LBB121_81
; %bb.55:
	s_wait_alu 0xfffe
	s_or_b32 exec_lo, exec_lo, s5
	s_and_saveexec_b32 s5, s0
	s_cbranch_execnz .LBB121_82
.LBB121_56:
	s_wait_alu 0xfffe
	s_or_b32 exec_lo, exec_lo, s5
	s_and_saveexec_b32 s5, s1
	s_cbranch_execnz .LBB121_83
.LBB121_57:
	s_wait_alu 0xfffe
	s_or_b32 exec_lo, exec_lo, s5
	s_and_saveexec_b32 s5, s2
	s_cbranch_execz .LBB121_59
.LBB121_58:
	v_dual_mov_b32 v6, 0 :: v_dual_add_nc_u32 v5, v5, v4
	s_delay_alu instid0(VALU_DEP_1) | instskip(SKIP_1) | instid1(VALU_DEP_1)
	v_lshlrev_b64_e32 v[5:6], 2, v[5:6]
	s_wait_kmcnt 0x0
	v_add_co_u32 v5, s3, s8, v5
	s_wait_alu 0xf1ff
	s_delay_alu instid0(VALU_DEP_2)
	v_add_co_ci_u32_e64 v6, null, s9, v6, s3
	global_store_b32 v[5:6], v68, off
.LBB121_59:
	s_wait_alu 0xfffe
	s_or_b32 exec_lo, exec_lo, s5
	v_add3_u32 v1, v1, s7, 56
	s_delay_alu instid0(VALU_DEP_1)
	v_cmp_gt_u32_e64 s3, s4, v1
	s_and_b32 exec_lo, exec_lo, s3
	s_cbranch_execz .LBB121_65
; %bb.60:
	v_mul_lo_u32 v1, v1, s6
	s_and_saveexec_b32 s3, vcc_lo
	s_cbranch_execnz .LBB121_84
; %bb.61:
	s_wait_alu 0xfffe
	s_or_b32 exec_lo, exec_lo, s3
	s_and_saveexec_b32 s3, s0
	s_cbranch_execnz .LBB121_85
.LBB121_62:
	s_wait_alu 0xfffe
	s_or_b32 exec_lo, exec_lo, s3
	s_and_saveexec_b32 s0, s1
	s_cbranch_execnz .LBB121_86
.LBB121_63:
	s_wait_alu 0xfffe
	s_or_b32 exec_lo, exec_lo, s0
	s_delay_alu instid0(SALU_CYCLE_1)
	s_and_b32 exec_lo, exec_lo, s2
	s_cbranch_execz .LBB121_65
.LBB121_64:
	v_dual_mov_b32 v1, 0 :: v_dual_add_nc_u32 v0, v1, v4
	s_delay_alu instid0(VALU_DEP_1) | instskip(SKIP_1) | instid1(VALU_DEP_1)
	v_lshlrev_b64_e32 v[0:1], 2, v[0:1]
	s_wait_kmcnt 0x0
	v_add_co_u32 v0, vcc_lo, s8, v0
	s_wait_alu 0xfffd
	s_delay_alu instid0(VALU_DEP_2)
	v_add_co_ci_u32_e64 v1, null, s9, v1, vcc_lo
	global_store_b32 v[0:1], v64, off
.LBB121_65:
	s_nop 0
	s_sendmsg sendmsg(MSG_DEALLOC_VGPRS)
	s_endpgm
.LBB121_66:
	s_delay_alu instid0(VALU_DEP_1) | instskip(NEXT) | instid1(VALU_DEP_1)
	v_dual_mov_b32 v7, 0 :: v_dual_add_nc_u32 v6, v5, v0
	v_lshlrev_b64_e32 v[6:7], 2, v[6:7]
	s_wait_kmcnt 0x0
	s_delay_alu instid0(VALU_DEP_1) | instskip(SKIP_1) | instid1(VALU_DEP_2)
	v_add_co_u32 v6, s3, s8, v6
	s_wait_alu 0xf1ff
	v_add_co_ci_u32_e64 v7, null, s9, v7, s3
	global_store_b32 v[6:7], v102, off
	s_wait_alu 0xfffe
	s_or_b32 exec_lo, exec_lo, s5
	s_and_saveexec_b32 s5, s0
	s_cbranch_execz .LBB121_26
.LBB121_67:
	s_delay_alu instid0(VALU_DEP_1) | instskip(NEXT) | instid1(VALU_DEP_1)
	v_dual_mov_b32 v7, 0 :: v_dual_add_nc_u32 v6, v5, v2
	v_lshlrev_b64_e32 v[6:7], 2, v[6:7]
	s_wait_kmcnt 0x0
	s_delay_alu instid0(VALU_DEP_1) | instskip(SKIP_1) | instid1(VALU_DEP_2)
	v_add_co_u32 v6, s3, s8, v6
	s_wait_alu 0xf1ff
	v_add_co_ci_u32_e64 v7, null, s9, v7, s3
	global_store_b32 v[6:7], v101, off
	s_wait_alu 0xfffe
	s_or_b32 exec_lo, exec_lo, s5
	s_and_saveexec_b32 s5, s1
	s_cbranch_execz .LBB121_27
.LBB121_68:
	v_dual_mov_b32 v7, 0 :: v_dual_add_nc_u32 v6, v5, v3
	s_delay_alu instid0(VALU_DEP_1) | instskip(SKIP_1) | instid1(VALU_DEP_1)
	v_lshlrev_b64_e32 v[6:7], 2, v[6:7]
	s_wait_kmcnt 0x0
	v_add_co_u32 v6, s3, s8, v6
	s_wait_alu 0xf1ff
	s_delay_alu instid0(VALU_DEP_2)
	v_add_co_ci_u32_e64 v7, null, s9, v7, s3
	global_store_b32 v[6:7], v96, off
	s_wait_alu 0xfffe
	s_or_b32 exec_lo, exec_lo, s5
	s_and_saveexec_b32 s5, s2
	s_cbranch_execnz .LBB121_28
	s_branch .LBB121_29
.LBB121_69:
	s_delay_alu instid0(VALU_DEP_1) | instskip(NEXT) | instid1(VALU_DEP_1)
	v_dual_mov_b32 v7, 0 :: v_dual_add_nc_u32 v6, v5, v0
	v_lshlrev_b64_e32 v[6:7], 2, v[6:7]
	s_wait_kmcnt 0x0
	s_delay_alu instid0(VALU_DEP_1) | instskip(SKIP_1) | instid1(VALU_DEP_2)
	v_add_co_u32 v6, s3, s8, v6
	s_wait_alu 0xf1ff
	v_add_co_ci_u32_e64 v7, null, s9, v7, s3
	global_store_b32 v[6:7], v91, off
	s_wait_alu 0xfffe
	s_or_b32 exec_lo, exec_lo, s5
	s_and_saveexec_b32 s5, s0
	s_cbranch_execz .LBB121_32
.LBB121_70:
	s_delay_alu instid0(VALU_DEP_1) | instskip(NEXT) | instid1(VALU_DEP_1)
	v_dual_mov_b32 v7, 0 :: v_dual_add_nc_u32 v6, v5, v2
	v_lshlrev_b64_e32 v[6:7], 2, v[6:7]
	s_wait_kmcnt 0x0
	s_delay_alu instid0(VALU_DEP_1) | instskip(SKIP_1) | instid1(VALU_DEP_2)
	v_add_co_u32 v6, s3, s8, v6
	s_wait_alu 0xf1ff
	v_add_co_ci_u32_e64 v7, null, s9, v7, s3
	global_store_b32 v[6:7], v90, off
	s_wait_alu 0xfffe
	s_or_b32 exec_lo, exec_lo, s5
	s_and_saveexec_b32 s5, s1
	s_cbranch_execz .LBB121_33
.LBB121_71:
	v_dual_mov_b32 v7, 0 :: v_dual_add_nc_u32 v6, v5, v3
	s_delay_alu instid0(VALU_DEP_1) | instskip(SKIP_1) | instid1(VALU_DEP_1)
	v_lshlrev_b64_e32 v[6:7], 2, v[6:7]
	s_wait_kmcnt 0x0
	v_add_co_u32 v6, s3, s8, v6
	s_wait_alu 0xf1ff
	s_delay_alu instid0(VALU_DEP_2)
	v_add_co_ci_u32_e64 v7, null, s9, v7, s3
	global_store_b32 v[6:7], v89, off
	s_wait_alu 0xfffe
	s_or_b32 exec_lo, exec_lo, s5
	s_and_saveexec_b32 s5, s2
	s_cbranch_execnz .LBB121_34
	s_branch .LBB121_35
.LBB121_72:
	s_delay_alu instid0(VALU_DEP_1) | instskip(NEXT) | instid1(VALU_DEP_1)
	v_dual_mov_b32 v7, 0 :: v_dual_add_nc_u32 v6, v5, v0
	v_lshlrev_b64_e32 v[6:7], 2, v[6:7]
	s_wait_kmcnt 0x0
	s_delay_alu instid0(VALU_DEP_1) | instskip(SKIP_1) | instid1(VALU_DEP_2)
	v_add_co_u32 v6, s3, s8, v6
	s_wait_alu 0xf1ff
	v_add_co_ci_u32_e64 v7, null, s9, v7, s3
	global_store_b32 v[6:7], v86, off
	s_wait_alu 0xfffe
	s_or_b32 exec_lo, exec_lo, s5
	s_and_saveexec_b32 s5, s0
	s_cbranch_execz .LBB121_38
.LBB121_73:
	s_delay_alu instid0(VALU_DEP_1) | instskip(NEXT) | instid1(VALU_DEP_1)
	v_dual_mov_b32 v7, 0 :: v_dual_add_nc_u32 v6, v5, v2
	v_lshlrev_b64_e32 v[6:7], 2, v[6:7]
	s_wait_kmcnt 0x0
	s_delay_alu instid0(VALU_DEP_1) | instskip(SKIP_1) | instid1(VALU_DEP_2)
	v_add_co_u32 v6, s3, s8, v6
	s_wait_alu 0xf1ff
	v_add_co_ci_u32_e64 v7, null, s9, v7, s3
	global_store_b32 v[6:7], v85, off
	s_wait_alu 0xfffe
	s_or_b32 exec_lo, exec_lo, s5
	s_and_saveexec_b32 s5, s1
	s_cbranch_execz .LBB121_39
.LBB121_74:
	v_dual_mov_b32 v7, 0 :: v_dual_add_nc_u32 v6, v5, v3
	s_delay_alu instid0(VALU_DEP_1) | instskip(SKIP_1) | instid1(VALU_DEP_1)
	v_lshlrev_b64_e32 v[6:7], 2, v[6:7]
	s_wait_kmcnt 0x0
	v_add_co_u32 v6, s3, s8, v6
	s_wait_alu 0xf1ff
	s_delay_alu instid0(VALU_DEP_2)
	v_add_co_ci_u32_e64 v7, null, s9, v7, s3
	global_store_b32 v[6:7], v84, off
	s_wait_alu 0xfffe
	s_or_b32 exec_lo, exec_lo, s5
	s_and_saveexec_b32 s5, s2
	s_cbranch_execnz .LBB121_40
	s_branch .LBB121_41
.LBB121_75:
	s_delay_alu instid0(VALU_DEP_1) | instskip(NEXT) | instid1(VALU_DEP_1)
	v_dual_mov_b32 v7, 0 :: v_dual_add_nc_u32 v6, v5, v0
	v_lshlrev_b64_e32 v[6:7], 2, v[6:7]
	s_wait_kmcnt 0x0
	s_delay_alu instid0(VALU_DEP_1) | instskip(SKIP_1) | instid1(VALU_DEP_2)
	v_add_co_u32 v6, s3, s8, v6
	s_wait_alu 0xf1ff
	v_add_co_ci_u32_e64 v7, null, s9, v7, s3
	global_store_b32 v[6:7], v82, off
	s_wait_alu 0xfffe
	s_or_b32 exec_lo, exec_lo, s5
	s_and_saveexec_b32 s5, s0
	s_cbranch_execz .LBB121_44
.LBB121_76:
	s_delay_alu instid0(VALU_DEP_1) | instskip(NEXT) | instid1(VALU_DEP_1)
	v_dual_mov_b32 v7, 0 :: v_dual_add_nc_u32 v6, v5, v2
	v_lshlrev_b64_e32 v[6:7], 2, v[6:7]
	s_wait_kmcnt 0x0
	s_delay_alu instid0(VALU_DEP_1) | instskip(SKIP_1) | instid1(VALU_DEP_2)
	v_add_co_u32 v6, s3, s8, v6
	s_wait_alu 0xf1ff
	v_add_co_ci_u32_e64 v7, null, s9, v7, s3
	global_store_b32 v[6:7], v81, off
	s_wait_alu 0xfffe
	s_or_b32 exec_lo, exec_lo, s5
	s_and_saveexec_b32 s5, s1
	s_cbranch_execz .LBB121_45
.LBB121_77:
	v_dual_mov_b32 v7, 0 :: v_dual_add_nc_u32 v6, v5, v3
	s_delay_alu instid0(VALU_DEP_1) | instskip(SKIP_1) | instid1(VALU_DEP_1)
	v_lshlrev_b64_e32 v[6:7], 2, v[6:7]
	s_wait_kmcnt 0x0
	v_add_co_u32 v6, s3, s8, v6
	s_wait_alu 0xf1ff
	s_delay_alu instid0(VALU_DEP_2)
	v_add_co_ci_u32_e64 v7, null, s9, v7, s3
	global_store_b32 v[6:7], v80, off
	s_wait_alu 0xfffe
	s_or_b32 exec_lo, exec_lo, s5
	s_and_saveexec_b32 s5, s2
	s_cbranch_execnz .LBB121_46
	s_branch .LBB121_47
.LBB121_78:
	s_delay_alu instid0(VALU_DEP_1) | instskip(NEXT) | instid1(VALU_DEP_1)
	v_dual_mov_b32 v7, 0 :: v_dual_add_nc_u32 v6, v5, v0
	v_lshlrev_b64_e32 v[6:7], 2, v[6:7]
	s_wait_kmcnt 0x0
	s_delay_alu instid0(VALU_DEP_1) | instskip(SKIP_1) | instid1(VALU_DEP_2)
	v_add_co_u32 v6, s3, s8, v6
	s_wait_alu 0xf1ff
	v_add_co_ci_u32_e64 v7, null, s9, v7, s3
	global_store_b32 v[6:7], v77, off
	s_wait_alu 0xfffe
	s_or_b32 exec_lo, exec_lo, s5
	s_and_saveexec_b32 s5, s0
	s_cbranch_execz .LBB121_50
.LBB121_79:
	s_delay_alu instid0(VALU_DEP_1) | instskip(NEXT) | instid1(VALU_DEP_1)
	v_dual_mov_b32 v7, 0 :: v_dual_add_nc_u32 v6, v5, v2
	v_lshlrev_b64_e32 v[6:7], 2, v[6:7]
	s_wait_kmcnt 0x0
	s_delay_alu instid0(VALU_DEP_1) | instskip(SKIP_1) | instid1(VALU_DEP_2)
	v_add_co_u32 v6, s3, s8, v6
	s_wait_alu 0xf1ff
	v_add_co_ci_u32_e64 v7, null, s9, v7, s3
	global_store_b32 v[6:7], v76, off
	s_wait_alu 0xfffe
	s_or_b32 exec_lo, exec_lo, s5
	s_and_saveexec_b32 s5, s1
	s_cbranch_execz .LBB121_51
.LBB121_80:
	v_dual_mov_b32 v7, 0 :: v_dual_add_nc_u32 v6, v5, v3
	s_delay_alu instid0(VALU_DEP_1) | instskip(SKIP_1) | instid1(VALU_DEP_1)
	v_lshlrev_b64_e32 v[6:7], 2, v[6:7]
	s_wait_kmcnt 0x0
	v_add_co_u32 v6, s3, s8, v6
	s_wait_alu 0xf1ff
	s_delay_alu instid0(VALU_DEP_2)
	v_add_co_ci_u32_e64 v7, null, s9, v7, s3
	global_store_b32 v[6:7], v73, off
	s_wait_alu 0xfffe
	s_or_b32 exec_lo, exec_lo, s5
	s_and_saveexec_b32 s5, s2
	s_cbranch_execnz .LBB121_52
	s_branch .LBB121_53
.LBB121_81:
	s_delay_alu instid0(VALU_DEP_1) | instskip(NEXT) | instid1(VALU_DEP_1)
	v_dual_mov_b32 v7, 0 :: v_dual_add_nc_u32 v6, v5, v0
	v_lshlrev_b64_e32 v[6:7], 2, v[6:7]
	s_wait_kmcnt 0x0
	s_delay_alu instid0(VALU_DEP_1) | instskip(SKIP_1) | instid1(VALU_DEP_2)
	v_add_co_u32 v6, s3, s8, v6
	s_wait_alu 0xf1ff
	v_add_co_ci_u32_e64 v7, null, s9, v7, s3
	global_store_b32 v[6:7], v71, off
	s_wait_alu 0xfffe
	s_or_b32 exec_lo, exec_lo, s5
	s_and_saveexec_b32 s5, s0
	s_cbranch_execz .LBB121_56
.LBB121_82:
	s_delay_alu instid0(VALU_DEP_1) | instskip(NEXT) | instid1(VALU_DEP_1)
	v_dual_mov_b32 v7, 0 :: v_dual_add_nc_u32 v6, v5, v2
	v_lshlrev_b64_e32 v[6:7], 2, v[6:7]
	s_wait_kmcnt 0x0
	s_delay_alu instid0(VALU_DEP_1) | instskip(SKIP_1) | instid1(VALU_DEP_2)
	v_add_co_u32 v6, s3, s8, v6
	s_wait_alu 0xf1ff
	v_add_co_ci_u32_e64 v7, null, s9, v7, s3
	global_store_b32 v[6:7], v70, off
	s_wait_alu 0xfffe
	s_or_b32 exec_lo, exec_lo, s5
	s_and_saveexec_b32 s5, s1
	s_cbranch_execz .LBB121_57
.LBB121_83:
	v_dual_mov_b32 v7, 0 :: v_dual_add_nc_u32 v6, v5, v3
	s_delay_alu instid0(VALU_DEP_1) | instskip(SKIP_1) | instid1(VALU_DEP_1)
	v_lshlrev_b64_e32 v[6:7], 2, v[6:7]
	s_wait_kmcnt 0x0
	v_add_co_u32 v6, s3, s8, v6
	s_wait_alu 0xf1ff
	s_delay_alu instid0(VALU_DEP_2)
	v_add_co_ci_u32_e64 v7, null, s9, v7, s3
	global_store_b32 v[6:7], v69, off
	s_wait_alu 0xfffe
	s_or_b32 exec_lo, exec_lo, s5
	s_and_saveexec_b32 s5, s2
	s_cbranch_execnz .LBB121_58
	s_branch .LBB121_59
.LBB121_84:
	s_delay_alu instid0(VALU_DEP_1) | instskip(NEXT) | instid1(VALU_DEP_1)
	v_dual_mov_b32 v6, 0 :: v_dual_add_nc_u32 v5, v1, v0
	v_lshlrev_b64_e32 v[5:6], 2, v[5:6]
	s_wait_kmcnt 0x0
	s_delay_alu instid0(VALU_DEP_1) | instskip(SKIP_1) | instid1(VALU_DEP_2)
	v_add_co_u32 v5, vcc_lo, s8, v5
	s_wait_alu 0xfffd
	v_add_co_ci_u32_e64 v6, null, s9, v6, vcc_lo
	global_store_b32 v[5:6], v67, off
	s_wait_alu 0xfffe
	s_or_b32 exec_lo, exec_lo, s3
	s_and_saveexec_b32 s3, s0
	s_cbranch_execz .LBB121_62
.LBB121_85:
	s_delay_alu instid0(VALU_DEP_1) | instskip(NEXT) | instid1(VALU_DEP_1)
	v_dual_mov_b32 v6, 0 :: v_dual_add_nc_u32 v5, v1, v2
	v_lshlrev_b64_e32 v[5:6], 2, v[5:6]
	s_wait_kmcnt 0x0
	s_delay_alu instid0(VALU_DEP_1) | instskip(SKIP_1) | instid1(VALU_DEP_2)
	v_add_co_u32 v5, vcc_lo, s8, v5
	s_wait_alu 0xfffd
	v_add_co_ci_u32_e64 v6, null, s9, v6, vcc_lo
	global_store_b32 v[5:6], v66, off
	s_wait_alu 0xfffe
	s_or_b32 exec_lo, exec_lo, s3
	s_and_saveexec_b32 s0, s1
	s_cbranch_execz .LBB121_63
.LBB121_86:
	v_dual_mov_b32 v3, 0 :: v_dual_add_nc_u32 v2, v1, v3
	s_delay_alu instid0(VALU_DEP_1) | instskip(SKIP_1) | instid1(VALU_DEP_1)
	v_lshlrev_b64_e32 v[2:3], 2, v[2:3]
	s_wait_kmcnt 0x0
	v_add_co_u32 v2, vcc_lo, s8, v2
	s_wait_alu 0xfffd
	s_delay_alu instid0(VALU_DEP_2) | instskip(SKIP_3) | instid1(SALU_CYCLE_1)
	v_add_co_ci_u32_e64 v3, null, s9, v3, vcc_lo
	global_store_b32 v[2:3], v65, off
	s_wait_alu 0xfffe
	s_or_b32 exec_lo, exec_lo, s0
	s_and_b32 exec_lo, exec_lo, s2
	s_cbranch_execnz .LBB121_64
	s_branch .LBB121_65
	.section	.rodata,"a",@progbits
	.p2align	6, 0x0
	.amdhsa_kernel _ZL12mul_mat_q5_0IfLb0EEvPKvS1_PT_iiiii
		.amdhsa_group_segment_fixed_size 46720
		.amdhsa_private_segment_fixed_size 80
		.amdhsa_kernarg_size 44
		.amdhsa_user_sgpr_count 2
		.amdhsa_user_sgpr_dispatch_ptr 0
		.amdhsa_user_sgpr_queue_ptr 0
		.amdhsa_user_sgpr_kernarg_segment_ptr 1
		.amdhsa_user_sgpr_dispatch_id 0
		.amdhsa_user_sgpr_private_segment_size 0
		.amdhsa_wavefront_size32 1
		.amdhsa_uses_dynamic_stack 0
		.amdhsa_enable_private_segment 1
		.amdhsa_system_sgpr_workgroup_id_x 1
		.amdhsa_system_sgpr_workgroup_id_y 1
		.amdhsa_system_sgpr_workgroup_id_z 0
		.amdhsa_system_sgpr_workgroup_info 0
		.amdhsa_system_vgpr_workitem_id 1
		.amdhsa_next_free_vgpr 256
		.amdhsa_next_free_sgpr 17
		.amdhsa_reserve_vcc 1
		.amdhsa_float_round_mode_32 0
		.amdhsa_float_round_mode_16_64 0
		.amdhsa_float_denorm_mode_32 3
		.amdhsa_float_denorm_mode_16_64 3
		.amdhsa_fp16_overflow 0
		.amdhsa_workgroup_processor_mode 1
		.amdhsa_memory_ordered 1
		.amdhsa_forward_progress 1
		.amdhsa_inst_pref_size 215
		.amdhsa_round_robin_scheduling 0
		.amdhsa_exception_fp_ieee_invalid_op 0
		.amdhsa_exception_fp_denorm_src 0
		.amdhsa_exception_fp_ieee_div_zero 0
		.amdhsa_exception_fp_ieee_overflow 0
		.amdhsa_exception_fp_ieee_underflow 0
		.amdhsa_exception_fp_ieee_inexact 0
		.amdhsa_exception_int_div_zero 0
	.end_amdhsa_kernel
	.section	.text._ZL12mul_mat_q5_0IfLb0EEvPKvS1_PT_iiiii,"axG",@progbits,_ZL12mul_mat_q5_0IfLb0EEvPKvS1_PT_iiiii,comdat
.Lfunc_end121:
	.size	_ZL12mul_mat_q5_0IfLb0EEvPKvS1_PT_iiiii, .Lfunc_end121-_ZL12mul_mat_q5_0IfLb0EEvPKvS1_PT_iiiii
                                        ; -- End function
	.set _ZL12mul_mat_q5_0IfLb0EEvPKvS1_PT_iiiii.num_vgpr, 256
	.set _ZL12mul_mat_q5_0IfLb0EEvPKvS1_PT_iiiii.num_agpr, 0
	.set _ZL12mul_mat_q5_0IfLb0EEvPKvS1_PT_iiiii.numbered_sgpr, 17
	.set _ZL12mul_mat_q5_0IfLb0EEvPKvS1_PT_iiiii.num_named_barrier, 0
	.set _ZL12mul_mat_q5_0IfLb0EEvPKvS1_PT_iiiii.private_seg_size, 80
	.set _ZL12mul_mat_q5_0IfLb0EEvPKvS1_PT_iiiii.uses_vcc, 1
	.set _ZL12mul_mat_q5_0IfLb0EEvPKvS1_PT_iiiii.uses_flat_scratch, 1
	.set _ZL12mul_mat_q5_0IfLb0EEvPKvS1_PT_iiiii.has_dyn_sized_stack, 0
	.set _ZL12mul_mat_q5_0IfLb0EEvPKvS1_PT_iiiii.has_recursion, 0
	.set _ZL12mul_mat_q5_0IfLb0EEvPKvS1_PT_iiiii.has_indirect_call, 0
	.section	.AMDGPU.csdata,"",@progbits
; Kernel info:
; codeLenInByte = 27504
; TotalNumSgprs: 19
; NumVgprs: 256
; ScratchSize: 80
; MemoryBound: 0
; FloatMode: 240
; IeeeMode: 1
; LDSByteSize: 46720 bytes/workgroup (compile time only)
; SGPRBlocks: 0
; VGPRBlocks: 31
; NumSGPRsForWavesPerEU: 19
; NumVGPRsForWavesPerEU: 256
; Occupancy: 4
; WaveLimiterHint : 0
; COMPUTE_PGM_RSRC2:SCRATCH_EN: 1
; COMPUTE_PGM_RSRC2:USER_SGPR: 2
; COMPUTE_PGM_RSRC2:TRAP_HANDLER: 0
; COMPUTE_PGM_RSRC2:TGID_X_EN: 1
; COMPUTE_PGM_RSRC2:TGID_Y_EN: 1
; COMPUTE_PGM_RSRC2:TGID_Z_EN: 0
; COMPUTE_PGM_RSRC2:TIDIG_COMP_CNT: 1
	.section	.text._ZL12mul_mat_q5_0IfLb1EEvPKvS1_PT_iiiii,"axG",@progbits,_ZL12mul_mat_q5_0IfLb1EEvPKvS1_PT_iiiii,comdat
	.globl	_ZL12mul_mat_q5_0IfLb1EEvPKvS1_PT_iiiii ; -- Begin function _ZL12mul_mat_q5_0IfLb1EEvPKvS1_PT_iiiii
	.p2align	8
	.type	_ZL12mul_mat_q5_0IfLb1EEvPKvS1_PT_iiiii,@function
_ZL12mul_mat_q5_0IfLb1EEvPKvS1_PT_iiiii: ; @_ZL12mul_mat_q5_0IfLb1EEvPKvS1_PT_iiiii
; %bb.0:
	s_clause 0x1
	s_load_b128 s[4:7], s[0:1], 0x18
	s_load_b32 s12, s[0:1], 0x28
	v_bfe_u32 v48, v0, 10, 10
	v_and_b32_e32 v1, 0x3ff, v0
	s_lshl_b32 s13, ttmp7, 6
	scratch_store_b32 off, v1, off offset:56 ; 4-byte Folded Spill
	s_wait_kmcnt 0x0
	s_cmp_gt_i32 s4, 31
	s_cbranch_scc1 .LBB122_2
; %bb.1:
	v_bfe_u32 v1, v0, 10, 10
	v_and_b32_e32 v2, 0x3ff, v0
	s_mov_b32 s2, 0
	s_delay_alu instid0(VALU_DEP_2)
	v_add_nc_u32_e32 v3, s13, v1
	s_branch .LBB122_3
.LBB122_2:
	s_mov_b32 s2, -1
                                        ; implicit-def: $vgpr1
                                        ; implicit-def: $vgpr2
                                        ; implicit-def: $vgpr3
.LBB122_3:
	s_load_b64 s[8:9], s[0:1], 0x10
	v_dual_mov_b32 v80, 0 :: v_dual_mov_b32 v95, 0
	v_dual_mov_b32 v84, 0 :: v_dual_mov_b32 v99, 0
	;; [unrolled: 1-line block ×15, first 2 shown]
	v_mov_b32_e32 v107, 0
	v_mov_b32_e32 v117, 0
	s_and_not1_b32 vcc_lo, exec_lo, s2
	s_lshl_b32 s14, ttmp9, 7
	s_cbranch_vccnz .LBB122_14
; %bb.4:
	v_dual_mov_b32 v122, 0 :: v_dual_and_b32 v49, 0x3ff, v0
	s_not_b32 s16, s14
	v_dual_mov_b32 v94, 0 :: v_dual_add_nc_u32 v37, 8, v48
	s_ashr_i32 s10, s4, 31
	v_dual_mov_b32 v91, 0 :: v_dual_add_nc_u32 v38, 16, v48
	s_add_co_i32 s5, s5, s16
	v_dual_mov_b32 v116, 0 :: v_dual_add_nc_u32 v39, 24, v48
	s_lshr_b32 s10, s10, 27
	v_dual_mov_b32 v87, 0 :: v_dual_add_nc_u32 v40, 32, v48
	v_dual_mov_b32 v117, 0 :: v_dual_and_b32 v18, 3, v0
	v_min_i32_e32 v1, s5, v48
	v_dual_mov_b32 v98, 0 :: v_dual_lshlrev_b32 v17, 3, v49
	v_dual_mov_b32 v102, 0 :: v_dual_add_nc_u32 v41, 40, v48
	s_add_co_i32 s4, s4, s10
	v_min_i32_e32 v3, s5, v37
	v_dual_mov_b32 v83, 0 :: v_dual_add_nc_u32 v42, 48, v48
	v_min_i32_e32 v4, s5, v38
	v_dual_mov_b32 v90, 0 :: v_dual_add_nc_u32 v43, 56, v48
	s_wait_alu 0xfffe
	s_ashr_i32 s15, s4, 5
	v_min_i32_e32 v5, s5, v39
	v_min_i32_e32 v6, s5, v40
	v_mul_lo_u32 v105, v1, s15
	v_mad_co_u64_u32 v[1:2], null, 0x104, v1, v[17:18]
	v_min_i32_e32 v7, s5, v41
	v_mul_lo_u32 v106, v3, s15
	v_mad_co_u64_u32 v[2:3], null, 0x104, v3, v[17:18]
	;; [unrolled: 3-line block ×4, first 2 shown]
	v_dual_mov_b32 v82, 0 :: v_dual_add_nc_u32 v29, s13, v48
	v_mul_lo_u32 v110, v6, s15
	v_mad_co_u64_u32 v[5:6], null, 0x104, v6, v[17:18]
	v_mul_lo_u32 v112, v7, s15
	v_mad_co_u64_u32 v[6:7], null, 0x104, v7, v[17:18]
	v_mul_lo_u32 v113, v8, s15
	v_mad_co_u64_u32 v[7:8], null, 0x104, v8, v[17:18]
	v_mul_lo_u32 v114, v9, s15
	v_mad_co_u64_u32 v[8:9], null, 0x104, v9, v[17:18]
	v_dual_mov_b32 v128, 0 :: v_dual_add_nc_u32 v9, 8, v29
	v_dual_mov_b32 v121, 0 :: v_dual_add_nc_u32 v12, 16, v29
	;; [unrolled: 1-line block ×3, first 2 shown]
	s_ashr_i32 s11, s7, 31
	s_delay_alu instid0(VALU_DEP_3) | instskip(NEXT) | instid1(VALU_DEP_3)
	v_cvt_f64_u32_e32 v[21:22], v9
	v_cvt_f64_u32_e32 v[23:24], v12
	v_dual_mov_b32 v96, 0 :: v_dual_add_nc_u32 v9, 32, v29
	v_cvt_f64_u32_e32 v[25:26], v13
	v_dual_mov_b32 v97, 0 :: v_dual_add_nc_u32 v12, 40, v29
	v_dual_mov_b32 v118, 0 :: v_dual_add_nc_u32 v13, 48, v29
	;; [unrolled: 1-line block ×3, first 2 shown]
	s_lshr_b32 s4, s11, 27
	v_cvt_f64_u32_e32 v[15:16], v29
	s_wait_alu 0xfffe
	s_add_co_i32 s4, s7, s4
	s_add_co_i32 s7, s6, -1
	v_cvt_f64_u32_e32 v[27:28], v9
	v_cvt_f64_i32_e32 v[19:20], s7
	v_cvt_f64_u32_e32 v[31:32], v13
	v_cvt_f64_u32_e32 v[33:34], v33
	v_bfe_u32 v45, v0, 3, 7
	scratch_store_b32 off, v29, off offset:124 ; 4-byte Folded Spill
	v_cvt_f64_u32_e32 v[29:30], v12
	v_dual_mov_b32 v131, 0 :: v_dual_add_nc_u32 v10, 64, v48
	v_dual_mov_b32 v86, 0 :: v_dual_add_nc_u32 v11, 0x48, v48
	;; [unrolled: 1-line block ×5, first 2 shown]
	v_min_i32_e32 v10, s5, v10
	v_min_i32_e32 v11, s5, v11
	;; [unrolled: 1-line block ×4, first 2 shown]
	v_dual_mov_b32 v89, 0 :: v_dual_add_nc_u32 v36, 0x68, v48
	v_min_i32_e32 v35, s5, v35
	v_mul_lo_u32 v120, v10, s15
	v_mad_co_u64_u32 v[9:10], null, 0x104, v10, v[17:18]
	v_mul_lo_u32 v124, v11, s15
	v_mad_co_u64_u32 v[10:11], null, 0x104, v11, v[17:18]
	v_mad_co_u64_u32 v[11:12], null, 0x104, v13, v[17:18]
	v_mul_lo_u32 v125, v13, s15
	v_mad_co_u64_u32 v[12:13], null, 0x104, v14, v[17:18]
	v_mul_lo_u32 v126, v14, s15
	v_min_i32_e32 v44, s5, v36
	v_mul_lo_u32 v129, v35, s15
	v_mad_co_u64_u32 v[13:14], null, 0x104, v35, v[17:18]
	v_min_num_f64_e32 v[35:36], v[15:16], v[19:20]
	v_min_num_f64_e32 v[21:22], v[21:22], v[19:20]
	;; [unrolled: 1-line block ×8, first 2 shown]
	scratch_store_b32 off, v45, off offset:60 ; 4-byte Folded Spill
	v_lshl_add_u32 v45, v48, 2, v45
	v_mad_co_u64_u32 v[14:15], null, 0x104, v44, v[17:18]
	v_mul_lo_u32 v130, v44, s15
	v_dual_mov_b32 v81, 0 :: v_dual_add_nc_u32 v44, 0x78, v48
	s_delay_alu instid0(VALU_DEP_4) | instskip(SKIP_1) | instid1(VALU_DEP_3)
	v_min_i32_e32 v47, s5, v45
	v_dual_mov_b32 v85, 0 :: v_dual_add_nc_u32 v46, 0x70, v48
	v_min_i32_e32 v33, s5, v44
	v_dual_mov_b32 v80, 0 :: v_dual_and_b32 v133, 7, v0
	s_delay_alu instid0(VALU_DEP_4) | instskip(SKIP_2) | instid1(VALU_DEP_4)
	v_ashrrev_i32_e32 v15, 31, v47
	v_dual_mov_b32 v111, 0 :: v_dual_add_nc_u32 v44, 32, v45
	v_min_i32_e32 v16, s5, v46
	v_dual_mov_b32 v95, 0 :: v_dual_lshlrev_b32 v46, 2, v133
	s_delay_alu instid0(VALU_DEP_4) | instskip(NEXT) | instid1(VALU_DEP_4)
	v_lshrrev_b32_e32 v15, 30, v15
	v_min_i32_e32 v44, s5, v44
	v_mov_b32_e32 v123, 0
	v_mul_lo_u32 v132, v16, s15
	v_mul_lo_u32 v134, v33, s15
	v_add_nc_u32_e32 v34, v47, v15
	v_mad_co_u64_u32 v[15:16], null, 0x104, v16, v[17:18]
	v_mad_co_u64_u32 v[16:17], null, 0x104, v33, v[17:18]
	s_delay_alu instid0(VALU_DEP_3) | instskip(SKIP_3) | instid1(VALU_DEP_4)
	v_dual_mov_b32 v99, 0 :: v_dual_and_b32 v34, -4, v34
	v_add_nc_u32_e32 v17, 64, v45
	v_cvt_i32_f64_e32 v21, v[21:22]
	v_bfe_u32 v101, v0, 2, 8
	v_add3_u32 v33, v34, v46, 0xa200
	v_ashrrev_i32_e32 v34, 31, v44
	v_min_i32_e32 v17, s5, v17
	v_cvt_i32_f64_e32 v19, v[19:20]
	v_cvt_i32_f64_e32 v35, v[35:36]
	;; [unrolled: 1-line block ×3, first 2 shown]
	v_lshrrev_b32_e32 v34, 30, v34
	v_ashrrev_i32_e32 v36, 31, v17
	v_cvt_i32_f64_e32 v25, v[25:26]
	v_cvt_i32_f64_e32 v27, v[27:28]
	;; [unrolled: 1-line block ×3, first 2 shown]
	v_add_nc_u32_e32 v22, v44, v34
	v_lshrrev_b32_e32 v26, 30, v36
	v_cvt_i32_f64_e32 v29, v[31:32]
	v_mul_lo_u32 v137, v17, s15
	v_lshlrev_b32_e32 v31, 5, v17
	v_and_b32_e32 v22, -4, v22
	v_add_nc_u32_e32 v26, v17, v26
	s_wait_alu 0xfffe
	s_ashr_i32 s4, s4, 5
	v_dual_mov_b32 v107, 0 :: v_dual_lshlrev_b32 v104, 2, v18
	v_add3_u32 v20, v22, v46, 0xa200
	v_lshl_add_u32 v22, v48, 3, v101
	v_and_b32_e32 v34, 31, v0
	s_load_b128 s[0:3], s[0:1], 0x0
	v_add_nc_u32_e32 v45, 0x60, v45
	v_mul_lo_u32 v136, v44, s15
	v_and_b32_e32 v22, 63, v22
	v_lshlrev_b32_e32 v30, 5, v44
	v_lshl_or_b32 v44, v34, 2, 0x8200
	v_min_i32_e32 v45, s5, v45
	v_lshlrev_b32_e32 v32, 2, v49
	v_or_b32_e32 v17, s13, v22
	v_lshl_or_b32 v22, v22, 4, v104
	v_and_b32_e32 v26, -4, v26
	v_ashrrev_i32_e32 v24, 31, v45
	v_and_b32_e32 v32, 28, v32
	v_min_i32_e32 v17, s7, v17
	v_mul_lo_u32 v135, v47, s15
	v_lshlrev_b32_e32 v47, 5, v47
	v_lshrrev_b32_e32 v24, 30, v24
	v_add3_u32 v26, v26, v46, 0xa200
	v_mad_co_u64_u32 v[17:18], null, v17, s4, v[18:19]
	v_lshlrev_b32_e32 v36, 5, v45
	s_delay_alu instid0(VALU_DEP_4)
	v_add_nc_u32_e32 v24, v45, v24
	v_lshlrev_b32_e32 v34, 7, v43
	s_mul_i32 s10, s15, s14
	v_mul_lo_u32 v138, v45, s15
	s_ashr_i32 s11, s10, 31
	scratch_store_b64 off, v[17:18], off offset:68 ; 8-byte Folded Spill
	v_mul_lo_u32 v18, s4, v21
	v_add_nc_u32_e32 v17, 0xb280, v22
	v_lshlrev_b32_e32 v22, 7, v38
	v_and_b32_e32 v38, 0xfc, v0
	v_lshlrev_b32_e32 v21, 7, v37
	v_and_b32_e32 v24, -4, v24
	scratch_store_b32 off, v17, off         ; 4-byte Folded Spill
	v_mul_lo_u32 v17, s4, v35
	scratch_store_b32 off, v18, off offset:8 ; 4-byte Folded Spill
	v_mul_lo_u32 v18, s4, v23
	v_lshlrev_b32_e32 v35, 5, v49
	v_lshlrev_b32_e32 v23, 7, v39
	v_add3_u32 v24, v24, v46, 0xa200
	v_add_nc_u32_e32 v161, v33, v47
	v_add_nc_u32_e32 v162, v20, v30
	scratch_store_b32 off, v17, off offset:4 ; 4-byte Folded Spill
	v_lshlrev_b32_e32 v17, 7, v48
	scratch_store_b32 off, v18, off offset:12 ; 4-byte Folded Spill
	v_mul_lo_u32 v18, s4, v25
	v_lshlrev_b32_e32 v25, 7, v40
	v_add_nc_u32_e32 v163, v26, v31
	v_add_nc_u32_e32 v164, v24, v36
	;; [unrolled: 1-line block ×3, first 2 shown]
	s_mul_u64 s[10:11], s[10:11], 22
	v_add_nc_u32_e32 v168, v44, v25
	s_mov_b32 s5, 0
	scratch_store_b32 off, v18, off offset:16 ; 4-byte Folded Spill
	v_mul_lo_u32 v18, s4, v27
	v_lshlrev_b32_e32 v27, 7, v41
	s_wait_kmcnt 0x0
	s_add_nc_u64 s[0:1], s[0:1], s[10:11]
	s_add_co_i32 s7, s15, 3
	s_delay_alu instid0(VALU_DEP_1) | instskip(SKIP_3) | instid1(VALU_DEP_1)
	v_add_nc_u32_e32 v169, v44, v27
	scratch_store_b32 off, v18, off offset:20 ; 4-byte Folded Spill
	v_mul_lo_u32 v18, s4, v28
	v_lshlrev_b32_e32 v28, 7, v42
	v_add_nc_u32_e32 v170, v44, v28
	scratch_store_b32 off, v18, off offset:24 ; 4-byte Folded Spill
	v_mul_lo_u32 v18, s4, v29
	v_add_nc_u32_e32 v29, 32, v49
	s_delay_alu instid0(VALU_DEP_1)
	v_lshrrev_b32_e32 v0, 3, v29
	v_and_b32_e32 v37, 0x1fc, v29
	scratch_store_b32 off, v18, off offset:28 ; 4-byte Folded Spill
	v_mul_lo_u32 v18, s4, v19
	v_add_nc_u32_e32 v19, 64, v49
	scratch_store_b32 off, v0, off offset:96 ; 4-byte Folded Spill
	v_add_nc_u32_e32 v37, v35, v37
	v_and_b32_e32 v19, 0x1fc, v19
	scratch_store_b32 off, v18, off offset:32 ; 4-byte Folded Spill
	v_add_nc_u32_e32 v18, 0x60, v49
	v_add_nc_u32_e32 v39, v35, v19
	s_delay_alu instid0(VALU_DEP_2) | instskip(NEXT) | instid1(VALU_DEP_1)
	v_and_b32_e32 v18, 0x1fc, v18
	v_add_nc_u32_e32 v29, v35, v18
	v_add_nc_u32_e32 v35, v35, v38
	v_add_co_u32 v18, s4, s2, v32
	s_wait_alu 0xf1ff
	v_add_co_ci_u32_e64 v19, null, s3, 0, s4
	v_add_nc_u32_e32 v0, 0xae00, v29
	s_movk_i32 s4, 0x80
	scratch_store_b32 off, v0, off offset:80 ; 4-byte Folded Spill
	v_add_nc_u32_e32 v0, 0xaa00, v39
	scratch_store_b32 off, v0, off offset:84 ; 4-byte Folded Spill
	v_add_nc_u32_e32 v0, 0xa600, v37
	scratch_store_b32 off, v0, off offset:88 ; 4-byte Folded Spill
	v_add_nc_u32_e32 v0, 0xa200, v35
	s_clause 0x1
	scratch_store_b32 off, v0, off offset:92
	scratch_store_b32 off, v48, off offset:120
	v_lshl_add_u32 v0, v48, 4, 0xb280
	s_clause 0x1
	scratch_store_b32 off, v0, off offset:36
	scratch_store_b32 off, v17, off offset:76
	v_add_nc_u32_e32 v0, 0x8200, v17
	s_clause 0x1
	scratch_store_b32 off, v44, off offset:64
	scratch_store_b32 off, v0, off offset:40
	v_add_nc_u32_e32 v0, 0xae10, v29
	scratch_store_b32 off, v0, off offset:100 ; 4-byte Folded Spill
	v_add_nc_u32_e32 v0, 0xaa10, v39
	scratch_store_b32 off, v0, off offset:104 ; 4-byte Folded Spill
	;; [unrolled: 2-line block ×4, first 2 shown]
	s_wait_alu 0xfffe
	v_mad_u32_u24 v0, 0x104, v49, s4
	s_mov_b32 s4, s5
	scratch_store_b32 off, v0, off offset:116 ; 4-byte Folded Spill
	v_add_nc_u32_e32 v0, v44, v21
	scratch_store_b32 off, v0, off offset:44 ; 4-byte Folded Spill
	v_add_nc_u32_e32 v0, v44, v22
	scratch_store_b32 off, v0, off offset:48 ; 4-byte Folded Spill
	v_add_nc_u32_e32 v0, v44, v23
	scratch_store_b32 off, v0, off offset:52 ; 4-byte Folded Spill
	s_branch .LBB122_6
.LBB122_5:                              ;   in Loop: Header=BB122_6 Depth=1
	s_add_co_i32 s4, s4, 8
	s_add_co_i32 s7, s7, -8
	s_wait_alu 0xfffe
	s_cmp_ge_i32 s4, s15
	s_cbranch_scc1 .LBB122_13
.LBB122_6:                              ; =>This Loop Header: Depth=1
                                        ;     Child Loop BB122_8 Depth 2
                                        ;     Child Loop BB122_11 Depth 2
	s_wait_alu 0xfffe
	s_mul_u64 s[10:11], s[4:5], 22
	s_cmp_gt_u32 s7, 3
	s_wait_alu 0xfffe
	s_add_nc_u64 s[10:11], s[0:1], s[10:11]
	s_wait_alu 0xfffe
	v_mad_co_u64_u32 v[20:21], null, v101, 22, s[10:11]
	v_mad_co_u64_u32 v[38:39], null, v133, 22, s[10:11]
	s_delay_alu instid0(VALU_DEP_2) | instskip(SKIP_3) | instid1(VALU_DEP_4)
	v_mad_co_i64_i32 v[22:23], null, v105, 22, v[20:21]
	v_mad_co_i64_i32 v[24:25], null, v106, 22, v[20:21]
	;; [unrolled: 1-line block ×4, first 2 shown]
	v_add_co_u32 v34, vcc_lo, v22, v104
	s_wait_alu 0xfffd
	v_add_co_ci_u32_e64 v35, null, 0, v23, vcc_lo
	v_add_co_u32 v36, vcc_lo, v24, v104
	s_wait_alu 0xfffd
	v_add_co_ci_u32_e64 v37, null, 0, v25, vcc_lo
	;; [unrolled: 3-line block ×3, first 2 shown]
	v_add_co_u32 v30, vcc_lo, v32, v104
	s_clause 0x5
	global_load_b32 v49, v[34:35], off offset:6
	global_load_b32 v50, v[36:37], off offset:6
	;; [unrolled: 1-line block ×6, first 2 shown]
	v_mad_co_i64_i32 v[24:25], null, v135, 22, v[38:39]
	v_mad_co_i64_i32 v[26:27], null, v136, 22, v[38:39]
	s_wait_alu 0xfffd
	v_add_co_ci_u32_e64 v31, null, 0, v33, vcc_lo
	v_mad_co_i64_i32 v[32:33], null, v137, 22, v[38:39]
	v_mad_co_i64_i32 v[36:37], null, v112, 22, v[20:21]
	;; [unrolled: 1-line block ×5, first 2 shown]
	s_clause 0x3
	global_load_u16 v55, v[24:25], off
	global_load_u16 v56, v[26:27], off
	;; [unrolled: 1-line block ×4, first 2 shown]
	v_mad_co_i64_i32 v[24:25], null, v114, 22, v[20:21]
	s_clause 0x1
	global_load_b32 v59, v[36:37], off offset:2
	global_load_b32 v60, v[22:23], off offset:2
	v_add_co_u32 v26, vcc_lo, v22, v104
	s_wait_alu 0xfffd
	v_add_co_ci_u32_e64 v27, null, 0, v23, vcc_lo
	v_add_co_u32 v22, vcc_lo, v38, v104
	s_wait_alu 0xfffd
	v_add_co_ci_u32_e64 v23, null, 0, v39, vcc_lo
	;; [unrolled: 3-line block ×4, first 2 shown]
	s_clause 0x7
	global_load_b32 v61, v[28:29], off offset:6
	global_load_b32 v62, v[30:31], off offset:6
	global_load_b32 v33, v[32:33], off offset:6
	global_load_b32 v35, v[22:23], off offset:6
	global_load_b32 v63, v[36:37], off offset:6
	global_load_b32 v64, v[26:27], off offset:6
	global_load_b32 v34, v[24:25], off offset:2
	global_load_b32 v36, v[38:39], off offset:2
	v_mad_co_i64_i32 v[37:38], null, v120, 22, v[20:21]
	v_mad_co_i64_i32 v[39:40], null, v124, 22, v[20:21]
	;; [unrolled: 1-line block ×4, first 2 shown]
	s_delay_alu instid0(VALU_DEP_4)
	v_add_co_u32 v24, vcc_lo, v37, v104
	s_wait_alu 0xfffd
	v_add_co_ci_u32_e64 v25, null, 0, v38, vcc_lo
	v_add_co_u32 v26, vcc_lo, v39, v104
	s_wait_alu 0xfffd
	v_add_co_ci_u32_e64 v27, null, 0, v40, vcc_lo
	;; [unrolled: 3-line block ×4, first 2 shown]
	s_clause 0x7
	global_load_b32 v31, v[24:25], off offset:6
	global_load_b32 v29, v[26:27], off offset:6
	;; [unrolled: 1-line block ×8, first 2 shown]
	v_mad_co_i64_i32 v[22:23], null, v129, 22, v[20:21]
	s_wait_loadcnt 0x1b
	v_and_b32_e32 v43, 0xf0f0f0f, v49
	v_lshrrev_b32_e32 v44, 4, v49
	s_wait_loadcnt 0x1a
	v_and_b32_e32 v46, 0xf0f0f0f, v50
	s_wait_loadcnt 0x18
	v_ashrrev_i32_e32 v48, v104, v52
	s_wait_loadcnt 0x17
	v_ashrrev_i32_e32 v45, v104, v53
	;; [unrolled: 2-line block ×3, first 2 shown]
	v_lshrrev_b32_e32 v47, 4, v50
	v_ashrrev_i32_e32 v51, v104, v51
	v_lshlrev_b32_e32 v178, 4, v48
	v_lshlrev_b32_e32 v79, 4, v45
	v_lshrrev_b32_e32 v76, 12, v42
	v_lshrrev_b32_e32 v77, 5, v42
	v_lshlrev_b32_e32 v72, 4, v42
	v_lshlrev_b32_e32 v73, 11, v42
	;; [unrolled: 1-line block ×8, first 2 shown]
	s_wait_loadcnt 0x15
	v_cvt_f32_f16_e32 v37, v55
	s_wait_loadcnt 0x14
	v_cvt_f32_f16_e32 v38, v56
	;; [unrolled: 2-line block ×4, first 2 shown]
	v_lshlrev_b32_e32 v174, 25, v45
	s_wait_loadcnt 0x11
	v_ashrrev_i32_e32 v41, v104, v59
	s_wait_loadcnt 0x10
	v_ashrrev_i32_e32 v40, v104, v60
	v_lshrrev_b32_e32 v175, 12, v45
	v_lshrrev_b32_e32 v176, 5, v45
	v_lshlrev_b32_e32 v177, 2, v45
	v_lshlrev_b32_e32 v45, 9, v45
	;; [unrolled: 1-line block ×7, first 2 shown]
	s_wait_loadcnt 0xf
	v_and_b32_e32 v49, 0xf0f0f0f, v61
	v_lshrrev_b32_e32 v50, 4, v61
	v_lshlrev_b32_e32 v61, 25, v40
	s_wait_loadcnt 0xe
	v_and_b32_e32 v52, 0xf0f0f0f, v62
	v_lshrrev_b32_e32 v53, 4, v62
	s_wait_loadcnt 0xa
	v_lshrrev_b32_e32 v55, 4, v64
	v_and_b32_e32 v56, 0xf0f0f0f, v63
	v_lshrrev_b32_e32 v57, 4, v63
	v_lshrrev_b32_e32 v62, 12, v40
	;; [unrolled: 1-line block ×3, first 2 shown]
	v_and_b32_e32 v54, 0xf0f0f0f, v64
	v_lshlrev_b32_e32 v64, 2, v40
	v_lshlrev_b32_e32 v40, 9, v40
	;; [unrolled: 1-line block ×5, first 2 shown]
	v_and_b32_e32 v44, 0xf0f0f0f, v44
	v_lshlrev_b32_e32 v180, 18, v48
	v_lshlrev_b32_e32 v181, 25, v48
	v_lshrrev_b32_e32 v182, 12, v48
	v_lshrrev_b32_e32 v183, 5, v48
	v_lshlrev_b32_e32 v184, 2, v48
	v_lshlrev_b32_e32 v48, 9, v48
	;; [unrolled: 1-line block ×6, first 2 shown]
	v_lshrrev_b32_e32 v189, 12, v51
	v_lshrrev_b32_e32 v190, 5, v51
	v_lshlrev_b32_e32 v191, 2, v51
	v_lshlrev_b32_e32 v51, 9, v51
	v_and_b32_e32 v58, 16, v58
	v_and_b32_e32 v59, 0x1000, v59
	;; [unrolled: 1-line block ×38, first 2 shown]
	v_or3_b32 v58, v58, v54, v59
	v_or3_b32 v54, v54, v60, v61
	;; [unrolled: 1-line block ×3, first 2 shown]
	v_and_b32_e32 v72, 16, v72
	v_and_b32_e32 v73, 0x1000, v73
	v_or3_b32 v42, v44, v78, v42
	v_or3_b32 v44, v79, v46, v172
	v_and_b32_e32 v74, 0x100000, v74
	v_and_b32_e32 v75, 0x10000000, v75
	v_or3_b32 v59, v62, v55, v63
	v_or3_b32 v62, v175, v47, v176
	;; [unrolled: 1-line block ×12, first 2 shown]
	v_lshrrev_b32_e32 v53, 16, v54
	v_and_b32_e32 v54, 0x1f00, v58
	v_lshlrev_b16 v58, 8, v58
	v_and_b32_e32 v68, 0x1f00, v61
	v_lshlrev_b16 v61, 8, v61
	v_and_b32_e32 v173, 0x100000, v173
	v_and_b32_e32 v174, 0x10000000, v174
	v_or3_b32 v60, v72, v43, v73
	v_and_b32_e32 v72, 0x1f00, v44
	v_lshlrev_b16 v44, 8, v44
	v_and_b32_e32 v180, 0x100000, v180
	v_and_b32_e32 v181, 0x10000000, v181
	v_or3_b32 v43, v43, v74, v75
	v_and_b32_e32 v74, 0x1f00, v47
	v_lshlrev_b16 v47, 8, v47
	v_and_b32_e32 v187, 0x100000, v187
	v_and_b32_e32 v188, 0x10000000, v188
	;; [unrolled: 1-line block ×3, first 2 shown]
	v_lshlrev_b16 v50, 8, v50
	v_add_nc_u16 v58, 0xf000, v58
	v_add_nc_u16 v61, 0xf000, v61
	v_or3_b32 v46, v46, v173, v174
	v_add_nc_u16 v44, 0xf000, v44
	v_or3_b32 v49, v49, v180, v181
	;; [unrolled: 2-line block ×3, first 2 shown]
	v_lshrrev_b32_e32 v40, 16, v40
	v_and_b32_e32 v65, 0x1f00, v59
	v_lshlrev_b16 v59, 8, v59
	v_lshrrev_b32_e32 v43, 16, v43
	v_and_b32_e32 v67, 0x1f00, v60
	v_lshlrev_b16 v60, 8, v60
	v_lshrrev_b32_e32 v42, 16, v42
	v_add_nc_u16 v50, 0xf000, v50
	v_lshrrev_b16 v58, 8, v58
	v_lshrrev_b16 v61, 8, v61
	v_lshrrev_b32_e32 v46, 16, v46
	v_lshrrev_b32_e32 v45, 16, v45
	v_and_b32_e32 v73, 0x1f00, v62
	v_lshlrev_b16 v62, 8, v62
	v_lshrrev_b16 v44, 8, v44
	v_lshrrev_b32_e32 v49, 16, v49
	v_lshrrev_b32_e32 v48, 16, v48
	v_and_b32_e32 v75, 0x1f00, v63
	v_lshlrev_b16 v63, 8, v63
	;; [unrolled: 5-line block ×3, first 2 shown]
	v_add_nc_u16 v65, 0xf000, v65
	v_add_nc_u16 v59, 0xf000, v59
	v_and_b32_e32 v79, 0x1f00, v40
	v_add_nc_u16 v67, 0xf000, v67
	v_add_nc_u16 v60, 0xf000, v60
	v_and_b32_e32 v172, 0x1f00, v43
	v_lshlrev_b16 v43, 8, v43
	v_and_b32_e32 v173, 0x1f00, v42
	v_lshlrev_b16 v42, 8, v42
	v_lshrrev_b16 v50, 8, v50
	v_or_b32_e32 v54, v54, v58
	v_or_b32_e32 v58, v68, v61
	v_and_b32_e32 v174, 0x1f00, v46
	v_lshlrev_b16 v46, 8, v46
	v_add_nc_u16 v73, 0xf000, v73
	v_add_nc_u16 v62, 0xf000, v62
	v_and_b32_e32 v175, 0x1f00, v45
	v_lshlrev_b16 v45, 8, v45
	v_or_b32_e32 v44, v72, v44
	v_and_b32_e32 v176, 0x1f00, v49
	v_lshlrev_b16 v49, 8, v49
	v_add_nc_u16 v75, 0xf000, v75
	v_add_nc_u16 v63, 0xf000, v63
	v_and_b32_e32 v177, 0x1f00, v48
	v_lshlrev_b16 v48, 8, v48
	v_or_b32_e32 v47, v74, v47
	v_and_b32_e32 v78, 0x1f00, v53
	v_lshlrev_b16 v53, 8, v53
	v_lshlrev_b16 v40, 8, v40
	v_and_b32_e32 v178, 0x1f00, v52
	v_lshlrev_b16 v52, 8, v52
	v_add_nc_u16 v77, 0xf000, v77
	v_add_nc_u16 v64, 0xf000, v64
	v_and_b32_e32 v179, 0x1f00, v51
	v_lshlrev_b16 v51, 8, v51
	v_perm_b32 v59, v59, v65, 0xc0c0105
	v_add_nc_u16 v65, 0xf000, v79
	v_perm_b32 v60, v60, v67, 0xc0c0105
	v_add_nc_u16 v67, 0xf000, v172
	v_add_nc_u16 v43, 0xf000, v43
	;; [unrolled: 1-line block ×4, first 2 shown]
	v_or_b32_e32 v50, v76, v50
	v_add_nc_u16 v58, 0xf000, v58
	v_add_nc_u16 v172, 0xf000, v174
	;; [unrolled: 1-line block ×3, first 2 shown]
	v_perm_b32 v62, v62, v73, 0xc0c0105
	v_add_nc_u16 v73, 0xf000, v175
	v_add_nc_u16 v45, 0xf000, v45
	;; [unrolled: 1-line block ×5, first 2 shown]
	v_perm_b32 v63, v63, v75, 0xc0c0105
	v_add_nc_u16 v75, 0xf000, v177
	v_add_nc_u16 v48, 0xf000, v48
	;; [unrolled: 1-line block ×8, first 2 shown]
	v_perm_b32 v64, v64, v77, 0xc0c0105
	v_add_nc_u16 v77, 0xf000, v179
	v_add_nc_u16 v51, 0xf000, v51
	v_perm_b32 v43, v43, v67, 0xc0c0105
	v_perm_b32 v42, v42, v79, 0xc0c0105
	v_add_nc_u16 v54, 0xf000, v54
	v_add_nc_u16 v50, 0xf000, v50
	v_and_b32_e32 v58, 0xffff, v58
	v_lshrrev_b32_e32 v69, 12, v41
	v_lshrrev_b32_e32 v70, 5, v41
	v_lshlrev_b32_e32 v71, 2, v41
	v_lshlrev_b32_e32 v41, 9, v41
	v_perm_b32 v46, v46, v172, 0xc0c0105
	v_perm_b32 v45, v45, v73, 0xc0c0105
	v_and_b32_e32 v44, 0xffff, v44
	v_perm_b32 v49, v49, v173, 0xc0c0105
	v_perm_b32 v48, v48, v75, 0xc0c0105
	v_and_b32_e32 v47, 0xffff, v47
	v_perm_b32 v53, v53, v78, 0xc0c0105
	v_perm_b32 v40, v40, v65, 0xc0c0105
	;; [unrolled: 1-line block ×4, first 2 shown]
	v_lshl_or_b32 v43, v43, 16, v60
	v_and_b32_e32 v54, 0xffff, v54
	v_and_b32_e32 v50, 0xffff, v50
	v_lshl_or_b32 v42, v42, 16, v58
	v_and_b32_e32 v57, 0xf0f0f0f, v57
	v_and_b32_e32 v71, 0x100000, v71
	;; [unrolled: 1-line block ×3, first 2 shown]
	v_lshl_or_b32 v45, v45, 16, v62
	v_lshl_or_b32 v44, v46, 16, v44
	;; [unrolled: 1-line block ×8, first 2 shown]
	ds_store_2addr_b32 v1, v43, v42 offset1:1
	ds_store_b32 v161, v37
	ds_store_2addr_b32 v2, v44, v45 offset1:1
	ds_store_b32 v162, v38
	;; [unrolled: 2-line block ×3, first 2 shown]
	ds_store_2addr_b32 v4, v47, v51 offset1:1
	ds_store_2addr_b32 v5, v53, v40 offset1:1
	v_mad_co_i64_i32 v[37:38], null, v130, 22, v[20:21]
	v_or3_b32 v52, v57, v71, v41
	v_mad_co_i64_i32 v[41:42], null, v132, 22, v[20:21]
	v_mad_co_i64_i32 v[20:21], null, v134, 22, v[20:21]
	v_add_co_u32 v39, vcc_lo, v22, v104
	s_wait_alu 0xfffd
	v_add_co_ci_u32_e64 v40, null, 0, v23, vcc_lo
	v_add_co_u32 v43, vcc_lo, v37, v104
	s_wait_alu 0xfffd
	v_add_co_ci_u32_e64 v44, null, 0, v38, vcc_lo
	;; [unrolled: 3-line block ×4, first 2 shown]
	s_clause 0x7
	global_load_b32 v39, v[39:40], off offset:6
	global_load_b32 v40, v[43:44], off offset:6
	;; [unrolled: 1-line block ×8, first 2 shown]
	v_and_b32_e32 v69, 16, v69
	v_and_b32_e32 v70, 0x1000, v70
	v_lshrrev_b32_e32 v56, 16, v56
	v_lshrrev_b32_e32 v42, 16, v52
	v_and_b32_e32 v66, 0x1f00, v55
	v_lshlrev_b16 v55, 8, v55
	v_or3_b32 v51, v69, v57, v70
	v_and_b32_e32 v50, 0x1f00, v56
	v_lshlrev_b16 v38, 8, v56
	v_and_b32_e32 v47, 0x1f00, v42
	v_lshlrev_b16 v42, 8, v42
	v_lshlrev_b16 v53, 8, v51
	v_add_nc_u16 v41, 0xf000, v50
	v_add_nc_u16 v38, 0xf000, v38
	;; [unrolled: 1-line block ×5, first 2 shown]
	s_wait_loadcnt 0x10
	v_ashrrev_i32_e32 v36, v104, v36
	v_perm_b32 v38, v38, v41, 0xc0c0105
	v_add_nc_u16 v41, 0xf000, v47
	v_add_nc_u16 v42, 0xf000, v42
	v_and_b32_e32 v45, 0x1f00, v51
	v_lshrrev_b16 v23, 8, v23
	v_perm_b32 v46, v49, v66, 0xc0c0105
	v_lshrrev_b32_e32 v47, 12, v36
	v_perm_b32 v41, v42, v41, 0xc0c0105
	v_and_b32_e32 v42, 0xf0f0f0f, v35
	v_lshrrev_b32_e32 v35, 4, v35
	v_lshrrev_b32_e32 v48, 5, v36
	v_or_b32_e32 v23, v45, v23
	v_lshl_or_b32 v38, v38, 16, v46
	v_lshlrev_b32_e32 v45, 4, v36
	v_lshlrev_b32_e32 v46, 11, v36
	;; [unrolled: 1-line block ×4, first 2 shown]
	v_and_b32_e32 v35, 0xf0f0f0f, v35
	v_and_b32_e32 v47, 16, v47
	;; [unrolled: 1-line block ×6, first 2 shown]
	v_lshlrev_b32_e32 v51, 2, v36
	v_lshlrev_b32_e32 v36, 9, v36
	v_and_b32_e32 v50, 0x10000000, v50
	v_or3_b32 v47, v47, v35, v48
	v_or3_b32 v45, v45, v42, v46
	v_and_b32_e32 v46, 0x100000, v51
	v_and_b32_e32 v36, 0x10000000, v36
	v_or3_b32 v42, v42, v49, v50
	v_lshlrev_b16 v48, 8, v47
	v_and_b32_e32 v49, 0x1f00, v45
	v_and_b32_e32 v47, 0x1f00, v47
	v_or3_b32 v35, v35, v46, v36
	v_lshrrev_b32_e32 v36, 16, v42
	v_add_nc_u16 v42, 0xf000, v48
	v_lshlrev_b16 v45, 8, v45
	v_add_nc_u16 v46, 0xf000, v49
	v_lshrrev_b32_e32 v35, 16, v35
	v_and_b32_e32 v48, 0x1f00, v36
	v_lshrrev_b16 v42, 8, v42
	v_lshlrev_b16 v36, 8, v36
	v_add_nc_u16 v23, 0xf000, v23
	v_and_b32_e32 v49, 0x1f00, v35
	v_lshlrev_b16 v35, 8, v35
	v_or_b32_e32 v42, v47, v42
	v_add_nc_u16 v45, 0xf000, v45
	v_add_nc_u16 v47, 0xf000, v48
	;; [unrolled: 1-line block ×6, first 2 shown]
	v_and_b32_e32 v23, 0xffff, v23
	v_perm_b32 v45, v45, v46, 0xc0c0105
	v_ashrrev_i32_e32 v34, v104, v34
	v_perm_b32 v36, v36, v47, 0xc0c0105
	v_perm_b32 v35, v35, v48, 0xc0c0105
	v_and_b32_e32 v42, 0xffff, v42
	v_lshl_or_b32 v23, v41, 16, v23
	v_lshlrev_b32_e32 v41, 4, v34
	v_lshl_or_b32 v36, v36, 16, v45
	v_lshlrev_b32_e32 v45, 11, v34
	v_lshl_or_b32 v35, v35, 16, v42
	v_and_b32_e32 v42, 0xf0f0f0f, v33
	v_lshrrev_b32_e32 v33, 4, v33
	v_lshrrev_b32_e32 v47, 12, v34
	;; [unrolled: 1-line block ×3, first 2 shown]
	v_and_b32_e32 v41, 16, v41
	v_lshlrev_b32_e32 v46, 18, v34
	v_and_b32_e32 v45, 0x1000, v45
	v_lshlrev_b32_e32 v49, 25, v34
	v_and_b32_e32 v33, 0xf0f0f0f, v33
	v_and_b32_e32 v47, 16, v47
	;; [unrolled: 1-line block ×4, first 2 shown]
	v_lshlrev_b32_e32 v50, 2, v34
	v_lshlrev_b32_e32 v34, 9, v34
	v_and_b32_e32 v49, 0x10000000, v49
	v_or3_b32 v41, v41, v42, v45
	v_or3_b32 v45, v47, v33, v48
	v_and_b32_e32 v47, 0x100000, v50
	v_and_b32_e32 v34, 0x10000000, v34
	v_or3_b32 v42, v42, v46, v49
	v_and_b32_e32 v46, 0x1f00, v41
	v_lshlrev_b16 v48, 8, v45
	v_and_b32_e32 v45, 0x1f00, v45
	v_or3_b32 v33, v33, v47, v34
	v_lshrrev_b32_e32 v34, 16, v42
	v_add_nc_u16 v42, 0xf000, v46
	v_add_nc_u16 v46, 0xf000, v48
	v_lshlrev_b16 v41, 8, v41
	v_lshrrev_b32_e32 v33, 16, v33
	v_and_b32_e32 v47, 0x1f00, v34
	v_lshlrev_b16 v34, 8, v34
	v_lshrrev_b16 v46, 8, v46
	v_add_nc_u16 v41, 0xf000, v41
	v_and_b32_e32 v48, 0x1f00, v33
	v_lshlrev_b16 v33, 8, v33
	v_add_nc_u16 v47, 0xf000, v47
	v_or_b32_e32 v45, v45, v46
	v_add_nc_u16 v34, 0xf000, v34
	v_add_nc_u16 v46, 0xf000, v48
	;; [unrolled: 1-line block ×3, first 2 shown]
	s_wait_loadcnt 0x8
	v_ashrrev_i32_e32 v32, v104, v32
	v_add_nc_u16 v45, 0xf000, v45
	v_perm_b32 v41, v41, v42, 0xc0c0105
	v_perm_b32 v34, v34, v47, 0xc0c0105
	;; [unrolled: 1-line block ×3, first 2 shown]
	v_lshlrev_b32_e32 v42, 4, v32
	v_and_b32_e32 v45, 0xffff, v45
	v_lshlrev_b32_e32 v46, 11, v32
	v_lshlrev_b32_e32 v48, 18, v32
	;; [unrolled: 1-line block ×3, first 2 shown]
	v_lshl_or_b32 v34, v34, 16, v41
	v_lshl_or_b32 v33, v33, 16, v45
	v_and_b32_e32 v47, 0xf0f0f0f, v31
	v_and_b32_e32 v42, 16, v42
	;; [unrolled: 1-line block ×5, first 2 shown]
	ds_store_2addr_b32 v6, v38, v23 offset1:1
	ds_store_2addr_b32 v7, v36, v35 offset1:1
	;; [unrolled: 1-line block ×3, first 2 shown]
	v_lshrrev_b32_e32 v31, 4, v31
	v_lshrrev_b32_e32 v34, 12, v32
	;; [unrolled: 1-line block ×3, first 2 shown]
	v_or3_b32 v42, v42, v47, v46
	v_or3_b32 v23, v47, v41, v45
	v_lshlrev_b32_e32 v36, 2, v32
	v_lshlrev_b32_e32 v32, 9, v32
	v_and_b32_e32 v31, 0xf0f0f0f, v31
	v_and_b32_e32 v34, 16, v34
	;; [unrolled: 1-line block ×6, first 2 shown]
	v_lshlrev_b16 v38, 8, v42
	v_lshrrev_b32_e32 v23, 16, v23
	v_or3_b32 v34, v34, v31, v35
	v_add_nc_u16 v33, 0xf000, v33
	v_or3_b32 v31, v31, v36, v32
	v_add_nc_u16 v32, 0xf000, v38
	v_and_b32_e32 v35, 0x1f00, v23
	v_lshlrev_b16 v36, 8, v34
	v_lshlrev_b16 v23, 8, v23
	v_lshrrev_b32_e32 v31, 16, v31
	v_perm_b32 v32, v32, v33, 0xc0c0105
	v_add_nc_u16 v33, 0xf000, v35
	v_add_nc_u16 v35, 0xf000, v36
	;; [unrolled: 1-line block ×3, first 2 shown]
	v_and_b32_e32 v36, 0x1f00, v31
	v_ashrrev_i32_e32 v30, v104, v30
	v_and_b32_e32 v34, 0x1f00, v34
	v_lshrrev_b16 v35, 8, v35
	v_perm_b32 v23, v23, v33, 0xc0c0105
	v_add_nc_u16 v33, 0xf000, v36
	v_lshlrev_b32_e32 v36, 4, v30
	v_lshlrev_b16 v31, 8, v31
	v_or_b32_e32 v34, v34, v35
	v_lshlrev_b32_e32 v35, 11, v30
	v_lshlrev_b32_e32 v41, 18, v30
	v_lshlrev_b32_e32 v42, 25, v30
	v_and_b32_e32 v38, 0xf0f0f0f, v29
	v_and_b32_e32 v36, 16, v36
	;; [unrolled: 1-line block ×3, first 2 shown]
	v_add_nc_u16 v31, 0xf000, v31
	v_and_b32_e32 v41, 0x100000, v41
	v_and_b32_e32 v42, 0x10000000, v42
	v_lshrrev_b32_e32 v29, 4, v29
	v_or3_b32 v35, v36, v38, v35
	v_perm_b32 v31, v31, v33, 0xc0c0105
	v_lshrrev_b32_e32 v36, 12, v30
	v_or3_b32 v33, v38, v41, v42
	v_lshrrev_b32_e32 v38, 5, v30
	v_lshlrev_b32_e32 v41, 2, v30
	v_lshlrev_b32_e32 v30, 9, v30
	v_add_nc_u16 v34, 0xf000, v34
	v_and_b32_e32 v29, 0xf0f0f0f, v29
	v_and_b32_e32 v36, 16, v36
	;; [unrolled: 1-line block ×5, first 2 shown]
	v_lshl_or_b32 v23, v23, 16, v32
	v_and_b32_e32 v32, 0xffff, v34
	v_and_b32_e32 v34, 0x1f00, v35
	v_lshlrev_b16 v35, 8, v35
	v_lshrrev_b32_e32 v33, 16, v33
	v_or3_b32 v36, v36, v29, v38
	v_or3_b32 v29, v29, v41, v30
	v_add_nc_u16 v34, 0xf000, v34
	v_add_nc_u16 v30, 0xf000, v35
	v_and_b32_e32 v35, 0x1f00, v33
	v_lshlrev_b16 v38, 8, v36
	v_lshrrev_b32_e32 v29, 16, v29
	v_lshl_or_b32 v31, v31, 16, v32
	v_perm_b32 v30, v30, v34, 0xc0c0105
	v_add_nc_u16 v32, 0xf000, v35
	v_add_nc_u16 v34, 0xf000, v38
	v_and_b32_e32 v35, 0x1f00, v29
	v_lshlrev_b16 v29, 8, v29
	v_lshlrev_b16 v33, 8, v33
	v_ashrrev_i32_e32 v28, v104, v28
	v_and_b32_e32 v36, 0x1f00, v36
	v_add_nc_u16 v35, 0xf000, v35
	v_add_nc_u16 v29, 0xf000, v29
	v_lshrrev_b16 v34, 8, v34
	v_add_nc_u16 v33, 0xf000, v33
	v_lshrrev_b32_e32 v38, 12, v28
	v_lshrrev_b32_e32 v41, 5, v28
	v_perm_b32 v29, v29, v35, 0xc0c0105
	v_and_b32_e32 v35, 0xf0f0f0f, v27
	v_lshrrev_b32_e32 v27, 4, v27
	v_or_b32_e32 v34, v36, v34
	v_perm_b32 v32, v33, v32, 0xc0c0105
	v_lshlrev_b32_e32 v33, 4, v28
	v_lshlrev_b32_e32 v36, 11, v28
	;; [unrolled: 1-line block ×4, first 2 shown]
	v_and_b32_e32 v27, 0xf0f0f0f, v27
	v_and_b32_e32 v38, 16, v38
	;; [unrolled: 1-line block ×6, first 2 shown]
	v_lshlrev_b32_e32 v46, 2, v28
	v_lshlrev_b32_e32 v28, 9, v28
	v_and_b32_e32 v45, 0x10000000, v45
	v_or3_b32 v38, v38, v27, v41
	v_or3_b32 v33, v33, v35, v36
	v_and_b32_e32 v36, 0x100000, v46
	v_and_b32_e32 v28, 0x10000000, v28
	v_or3_b32 v35, v35, v42, v45
	v_lshlrev_b16 v41, 8, v38
	v_and_b32_e32 v42, 0x1f00, v33
	v_and_b32_e32 v38, 0x1f00, v38
	v_or3_b32 v27, v27, v36, v28
	v_lshrrev_b32_e32 v28, 16, v35
	v_add_nc_u16 v35, 0xf000, v41
	v_lshlrev_b16 v33, 8, v33
	v_add_nc_u16 v36, 0xf000, v42
	v_lshrrev_b32_e32 v27, 16, v27
	v_and_b32_e32 v41, 0x1f00, v28
	v_lshrrev_b16 v35, 8, v35
	v_lshlrev_b16 v28, 8, v28
	v_add_nc_u16 v34, 0xf000, v34
	v_and_b32_e32 v42, 0x1f00, v27
	v_lshlrev_b16 v27, 8, v27
	v_or_b32_e32 v35, v38, v35
	v_add_nc_u16 v33, 0xf000, v33
	v_add_nc_u16 v38, 0xf000, v41
	v_add_nc_u16 v28, 0xf000, v28
	v_add_nc_u16 v41, 0xf000, v42
	v_add_nc_u16 v27, 0xf000, v27
	v_add_nc_u16 v35, 0xf000, v35
	v_and_b32_e32 v34, 0xffff, v34
	v_perm_b32 v33, v33, v36, 0xc0c0105
	v_perm_b32 v28, v28, v38, 0xc0c0105
	;; [unrolled: 1-line block ×3, first 2 shown]
	v_and_b32_e32 v35, 0xffff, v35
	v_lshl_or_b32 v30, v32, 16, v30
	v_ashrrev_i32_e32 v26, v104, v26
	v_lshl_or_b32 v29, v29, 16, v34
	v_lshl_or_b32 v28, v28, 16, v33
	;; [unrolled: 1-line block ×3, first 2 shown]
	ds_store_2addr_b32 v9, v23, v31 offset1:1
	v_lshlrev_b32_e32 v31, 11, v26
	ds_store_2addr_b32 v10, v30, v29 offset1:1
	ds_store_2addr_b32 v11, v28, v27 offset1:1
	v_and_b32_e32 v27, 0xf0f0f0f, v25
	v_lshrrev_b32_e32 v25, 4, v25
	v_lshrrev_b32_e32 v29, 12, v26
	;; [unrolled: 1-line block ×3, first 2 shown]
	v_lshlrev_b32_e32 v23, 4, v26
	v_and_b32_e32 v28, 0x1000, v31
	v_lshlrev_b32_e32 v31, 18, v26
	v_lshlrev_b32_e32 v32, 25, v26
	v_and_b32_e32 v25, 0xf0f0f0f, v25
	v_and_b32_e32 v29, 16, v29
	;; [unrolled: 1-line block ×5, first 2 shown]
	v_lshlrev_b32_e32 v33, 2, v26
	v_lshlrev_b32_e32 v26, 9, v26
	v_and_b32_e32 v32, 0x10000000, v32
	v_or3_b32 v29, v29, v25, v30
	v_or3_b32 v23, v23, v27, v28
	v_and_b32_e32 v28, 0x100000, v33
	v_and_b32_e32 v26, 0x10000000, v26
	v_or3_b32 v27, v27, v31, v32
	v_lshlrev_b16 v30, 8, v29
	v_and_b32_e32 v31, 0x1f00, v23
	v_lshlrev_b16 v23, 8, v23
	v_or3_b32 v25, v25, v28, v26
	v_lshrrev_b32_e32 v26, 16, v27
	v_add_nc_u16 v27, 0xf000, v30
	v_and_b32_e32 v29, 0x1f00, v29
	v_add_nc_u16 v28, 0xf000, v31
	v_lshrrev_b32_e32 v25, 16, v25
	v_and_b32_e32 v30, 0x1f00, v26
	v_lshrrev_b16 v27, 8, v27
	v_lshlrev_b16 v26, 8, v26
	v_add_nc_u16 v23, 0xf000, v23
	v_and_b32_e32 v31, 0x1f00, v25
	v_lshlrev_b16 v25, 8, v25
	v_or_b32_e32 v27, v29, v27
	v_add_nc_u16 v29, 0xf000, v30
	v_add_nc_u16 v26, 0xf000, v26
	s_wait_loadcnt 0x0
	v_ashrrev_i32_e32 v22, v104, v22
	v_add_nc_u16 v30, 0xf000, v31
	v_add_nc_u16 v25, 0xf000, v25
	v_add_nc_u16 v27, 0xf000, v27
	v_perm_b32 v23, v23, v28, 0xc0c0105
	v_perm_b32 v26, v26, v29, 0xc0c0105
	v_lshlrev_b32_e32 v28, 18, v22
	v_lshlrev_b32_e32 v29, 25, v22
	v_perm_b32 v25, v25, v30, 0xc0c0105
	v_and_b32_e32 v27, 0xffff, v27
	v_and_b32_e32 v30, 0xf0f0f0f, v39
	v_lshlrev_b32_e32 v31, 4, v22
	v_lshlrev_b32_e32 v32, 11, v22
	v_and_b32_e32 v28, 0x100000, v28
	v_and_b32_e32 v29, 0x10000000, v29
	v_lshl_or_b32 v23, v26, 16, v23
	v_lshl_or_b32 v25, v25, 16, v27
	v_and_b32_e32 v26, 16, v31
	v_and_b32_e32 v27, 0x1000, v32
	v_or3_b32 v28, v30, v28, v29
	v_lshrrev_b32_e32 v29, 4, v39
	v_lshrrev_b32_e32 v31, 12, v22
	v_lshrrev_b32_e32 v32, 5, v22
	v_or3_b32 v26, v26, v30, v27
	v_lshrrev_b32_e32 v27, 16, v28
	v_and_b32_e32 v28, 0xf0f0f0f, v29
	v_and_b32_e32 v29, 16, v31
	;; [unrolled: 1-line block ×3, first 2 shown]
	v_lshlrev_b32_e32 v31, 2, v22
	v_lshlrev_b32_e32 v22, 9, v22
	v_and_b32_e32 v32, 0x1f00, v26
	v_lshlrev_b16 v26, 8, v26
	v_or3_b32 v29, v29, v28, v30
	v_and_b32_e32 v30, 0x100000, v31
	v_and_b32_e32 v22, 0x10000000, v22
	v_add_nc_u16 v31, 0xf000, v32
	v_add_nc_u16 v26, 0xf000, v26
	v_lshlrev_b16 v32, 8, v29
	ds_store_2addr_b32 v12, v23, v25 offset1:1
	v_or3_b32 v22, v28, v30, v22
	v_and_b32_e32 v23, 0x1f00, v27
	v_perm_b32 v25, v26, v31, 0xc0c0105
	v_add_nc_u16 v26, 0xf000, v32
	v_lshlrev_b16 v27, 8, v27
	v_lshrrev_b32_e32 v22, 16, v22
	v_and_b32_e32 v28, 0x1f00, v29
	v_add_nc_u16 v23, 0xf000, v23
	v_lshrrev_b16 v26, 8, v26
	v_add_nc_u16 v27, 0xf000, v27
	v_and_b32_e32 v29, 0x1f00, v22
	v_ashrrev_i32_e32 v30, v104, v37
	v_lshlrev_b16 v22, 8, v22
	v_or_b32_e32 v26, v28, v26
	v_perm_b32 v23, v27, v23, 0xc0c0105
	v_add_nc_u16 v27, 0xf000, v29
	v_lshlrev_b32_e32 v28, 4, v30
	v_add_nc_u16 v22, 0xf000, v22
	v_add_nc_u16 v26, 0xf000, v26
	v_lshlrev_b32_e32 v29, 11, v30
	v_lshlrev_b32_e32 v32, 18, v30
	;; [unrolled: 1-line block ×3, first 2 shown]
	v_and_b32_e32 v31, 0xf0f0f0f, v40
	v_and_b32_e32 v28, 16, v28
	;; [unrolled: 1-line block ×3, first 2 shown]
	v_perm_b32 v22, v22, v27, 0xc0c0105
	v_and_b32_e32 v26, 0xffff, v26
	v_and_b32_e32 v27, 0x100000, v32
	;; [unrolled: 1-line block ×3, first 2 shown]
	v_or3_b32 v28, v28, v31, v29
	v_lshl_or_b32 v23, v23, 16, v25
	v_lshl_or_b32 v22, v22, 16, v26
	v_lshrrev_b32_e32 v25, 4, v40
	v_or3_b32 v26, v31, v27, v32
	v_lshlrev_b32_e32 v29, 2, v30
	v_lshlrev_b32_e32 v31, 9, v30
	v_lshrrev_b32_e32 v32, 12, v30
	v_lshrrev_b32_e32 v30, 5, v30
	v_and_b32_e32 v25, 0xf0f0f0f, v25
	v_and_b32_e32 v29, 0x100000, v29
	;; [unrolled: 1-line block ×3, first 2 shown]
	v_lshrrev_b32_e32 v26, 16, v26
	v_and_b32_e32 v32, 16, v32
	v_and_b32_e32 v30, 0x1000, v30
	;; [unrolled: 1-line block ×3, first 2 shown]
	v_or3_b32 v29, v25, v29, v31
	v_lshlrev_b16 v28, 8, v28
	v_and_b32_e32 v31, 0x1f00, v26
	v_or3_b32 v25, v32, v25, v30
	v_add_nc_u16 v27, 0xf000, v27
	v_lshlrev_b16 v26, 8, v26
	v_lshrrev_b32_e32 v29, 16, v29
	v_add_nc_u16 v28, 0xf000, v28
	v_add_nc_u16 v30, 0xf000, v31
	v_lshlrev_b16 v31, 8, v25
	v_add_nc_u16 v26, 0xf000, v26
	v_and_b32_e32 v32, 0x1f00, v29
	v_perm_b32 v27, v28, v27, 0xc0c0105
	v_ashrrev_i32_e32 v21, v104, v21
	v_add_nc_u16 v28, 0xf000, v31
	v_perm_b32 v26, v26, v30, 0xc0c0105
	v_add_nc_u16 v30, 0xf000, v32
	v_lshlrev_b16 v29, 8, v29
	v_lshlrev_b32_e32 v31, 4, v21
	v_and_b32_e32 v25, 0x1f00, v25
	v_lshrrev_b16 v28, 8, v28
	v_lshlrev_b32_e32 v32, 11, v21
	v_lshlrev_b32_e32 v34, 18, v21
	;; [unrolled: 1-line block ×3, first 2 shown]
	v_and_b32_e32 v33, 0xf0f0f0f, v43
	v_and_b32_e32 v31, 16, v31
	;; [unrolled: 1-line block ×3, first 2 shown]
	v_add_nc_u16 v29, 0xf000, v29
	v_or_b32_e32 v25, v25, v28
	v_and_b32_e32 v28, 0x100000, v34
	v_and_b32_e32 v34, 0x10000000, v35
	v_or3_b32 v31, v31, v33, v32
	v_lshl_or_b32 v26, v26, 16, v27
	v_perm_b32 v27, v29, v30, 0xc0c0105
	v_lshrrev_b32_e32 v30, 4, v43
	v_or3_b32 v28, v33, v28, v34
	v_lshrrev_b32_e32 v32, 12, v21
	v_lshrrev_b32_e32 v33, 5, v21
	v_lshlrev_b32_e32 v34, 2, v21
	v_lshlrev_b32_e32 v21, 9, v21
	v_and_b32_e32 v30, 0xf0f0f0f, v30
	v_and_b32_e32 v32, 16, v32
	;; [unrolled: 1-line block ×6, first 2 shown]
	v_lshlrev_b16 v31, 8, v31
	v_lshrrev_b32_e32 v28, 16, v28
	v_or3_b32 v32, v32, v30, v33
	v_add_nc_u16 v29, 0xf000, v29
	v_or3_b32 v21, v30, v34, v21
	v_add_nc_u16 v30, 0xf000, v31
	v_and_b32_e32 v31, 0x1f00, v28
	v_lshlrev_b16 v33, 8, v32
	v_lshlrev_b16 v28, 8, v28
	v_lshrrev_b32_e32 v21, 16, v21
	v_perm_b32 v29, v30, v29, 0xc0c0105
	v_add_nc_u16 v30, 0xf000, v31
	v_add_nc_u16 v31, 0xf000, v33
	v_ashrrev_i32_e32 v20, v104, v20
	v_and_b32_e32 v33, 0x1f00, v21
	v_lshlrev_b16 v21, 8, v21
	v_and_b32_e32 v32, 0x1f00, v32
	v_lshrrev_b16 v31, 8, v31
	v_add_nc_u16 v28, 0xf000, v28
	v_lshrrev_b32_e32 v34, 4, v44
	v_lshrrev_b32_e32 v35, 12, v20
	;; [unrolled: 1-line block ×3, first 2 shown]
	v_add_nc_u16 v33, 0xf000, v33
	v_add_nc_u16 v21, 0xf000, v21
	v_or_b32_e32 v31, v32, v31
	v_perm_b32 v28, v28, v30, 0xc0c0105
	v_lshlrev_b32_e32 v30, 4, v20
	v_lshlrev_b32_e32 v32, 11, v20
	;; [unrolled: 1-line block ×4, first 2 shown]
	v_and_b32_e32 v34, 0xf0f0f0f, v34
	v_and_b32_e32 v35, 16, v35
	v_and_b32_e32 v36, 0x1000, v36
	v_perm_b32 v21, v21, v33, 0xc0c0105
	v_and_b32_e32 v33, 0xf0f0f0f, v44
	v_and_b32_e32 v30, 16, v30
	;; [unrolled: 1-line block ×4, first 2 shown]
	v_lshlrev_b32_e32 v39, 2, v20
	v_lshlrev_b32_e32 v20, 9, v20
	v_and_b32_e32 v38, 0x10000000, v38
	v_or3_b32 v35, v35, v34, v36
	v_or3_b32 v30, v30, v33, v32
	v_and_b32_e32 v32, 0x100000, v39
	v_and_b32_e32 v20, 0x10000000, v20
	v_or3_b32 v33, v33, v37, v38
	v_lshlrev_b16 v36, 8, v35
	v_and_b32_e32 v37, 0x1f00, v30
	v_and_b32_e32 v35, 0x1f00, v35
	v_or3_b32 v20, v34, v32, v20
	v_lshrrev_b32_e32 v32, 16, v33
	v_add_nc_u16 v33, 0xf000, v36
	v_lshlrev_b16 v30, 8, v30
	v_add_nc_u16 v34, 0xf000, v37
	v_lshrrev_b32_e32 v20, 16, v20
	v_and_b32_e32 v36, 0x1f00, v32
	v_lshrrev_b16 v33, 8, v33
	v_lshlrev_b16 v32, 8, v32
	v_add_nc_u16 v25, 0xf000, v25
	v_and_b32_e32 v37, 0x1f00, v20
	v_lshlrev_b16 v20, 8, v20
	v_or_b32_e32 v33, v35, v33
	v_add_nc_u16 v30, 0xf000, v30
	v_add_nc_u16 v35, 0xf000, v36
	;; [unrolled: 1-line block ×7, first 2 shown]
	v_and_b32_e32 v25, 0xffff, v25
	v_perm_b32 v30, v30, v34, 0xc0c0105
	v_perm_b32 v32, v32, v35, 0xc0c0105
	;; [unrolled: 1-line block ×3, first 2 shown]
	v_and_b32_e32 v33, 0xffff, v33
	v_and_b32_e32 v31, 0xffff, v31
	v_lshl_or_b32 v25, v27, 16, v25
	v_lshl_or_b32 v27, v28, 16, v29
	;; [unrolled: 1-line block ×5, first 2 shown]
	ds_store_2addr_b32 v13, v23, v22 offset1:1
	ds_store_2addr_b32 v14, v26, v25 offset1:1
	;; [unrolled: 1-line block ×4, first 2 shown]
	ds_store_b32 v164, v24
	s_cbranch_scc0 .LBB122_5
; %bb.7:                                ;   in Loop: Header=BB122_6 Depth=1
	s_clause 0x1
	scratch_load_b32 v0, off, off offset:60
	scratch_load_b64 v[20:21], off, off offset:68
	s_mov_b32 s10, -4
	s_wait_loadcnt 0x1
	v_add_nc_u32_e32 v28, s4, v0
	scratch_load_b32 v0, off, off offset:4  ; 4-byte Folded Reload
	s_wait_loadcnt 0x1
	v_add_nc_u32_e32 v172, s4, v20
	s_wait_loadcnt 0x0
	v_add_nc_u32_e32 v20, v28, v0
	scratch_load_b32 v0, off, off offset:8  ; 4-byte Folded Reload
	v_mad_co_i64_i32 v[20:21], null, v20, 36, v[18:19]
	s_wait_loadcnt 0x0
	v_add_nc_u32_e32 v22, v28, v0
	scratch_load_b32 v0, off, off offset:12 ; 4-byte Folded Reload
	v_mad_co_i64_i32 v[22:23], null, v22, 36, v[18:19]
	s_wait_loadcnt 0x0
	v_add_nc_u32_e32 v24, v28, v0
	scratch_load_b32 v0, off, off offset:16 ; 4-byte Folded Reload
	;; [unrolled: 4-line block ×6, first 2 shown]
	v_mad_co_i64_i32 v[30:31], null, v30, 36, v[18:19]
	s_wait_loadcnt 0x0
	v_add_nc_u32_e32 v36, v28, v0
	v_mad_co_u64_u32 v[28:29], null, v172, 36, s[2:3]
	s_delay_alu instid0(VALU_DEP_2)
	v_mad_co_i64_i32 v[36:37], null, v36, 36, v[18:19]
	s_clause 0x8
	global_load_b32 v28, v[28:29], off
	global_load_b32 v29, v[30:31], off offset:4
	global_load_b32 v20, v[20:21], off offset:4
	;; [unrolled: 1-line block ×8, first 2 shown]
	s_clause 0x1
	scratch_load_b32 v0, off, off offset:64
	scratch_load_b32 v17, off, off offset:76
	s_wait_loadcnt 0xa
	v_cvt_f32_f16_e32 v27, v28
	s_wait_loadcnt 0x0
	v_add_nc_u32_e32 v173, v0, v17
	s_clause 0x6
	scratch_load_b32 v174, off, off offset:40
	scratch_load_b32 v0, off, off offset:56
	;; [unrolled: 1-line block ×7, first 2 shown]
	ds_store_b32 v171, v29
	ds_store_b32 v173, v20
	s_wait_loadcnt 0x5
	v_mul_u32_u24_e32 v180, 0x104, v0
	scratch_load_b32 v0, off, off offset:44 ; 4-byte Folded Reload
	s_wait_loadcnt 0x0
	ds_store_b32 v0, v21
	scratch_load_b32 v0, off, off offset:48 ; 4-byte Folded Reload
	s_wait_loadcnt 0x0
	ds_store_b32 v0, v22
	;; [unrolled: 3-line block ×3, first 2 shown]
	ds_store_b32 v168, v24
	ds_store_b32 v169, v25
	;; [unrolled: 1-line block ×3, first 2 shown]
	scratch_load_b32 v0, off, off           ; 4-byte Folded Reload
	s_wait_loadcnt 0x0
	ds_store_b32 v0, v27
	s_wait_storecnt_dscnt 0x0
	s_barrier_signal -1
	s_barrier_wait -1
	global_inv scope:SCOPE_SE
.LBB122_8:                              ;   Parent Loop BB122_6 Depth=1
                                        ; =>  This Inner Loop Header: Depth=2
	ds_load_2addr_b32 v[20:21], v175 offset1:32
	ds_load_b32 v25, v176
	ds_load_b32 v24, v177
	ds_load_b32 v23, v178
	ds_load_b32 v22, v179
	v_add_nc_u32_e32 v38, 0x2098, v180
	v_add_nc_u32_e32 v74, 0x1814, v174
	;; [unrolled: 1-line block ×6, first 2 shown]
	s_wait_alu 0xfffe
	s_add_co_i32 s10, s10, 4
	s_wait_alu 0xfffe
	s_cmp_lt_u32 s10, 12
	s_wait_dscnt 0x3
	v_mul_f32_e32 v204, v20, v25
	s_wait_dscnt 0x1
	v_dual_mul_f32 v201, v20, v24 :: v_dual_mul_f32 v200, v23, v21
	v_mul_f32_e32 v203, v20, v23
	s_wait_dscnt 0x0
	v_dual_mul_f32 v202, v20, v22 :: v_dual_mul_f32 v199, v25, v21
	v_mul_f32_e32 v207, v24, v21
	v_mul_f32_e32 v197, v22, v21
	ds_load_2addr_b32 v[20:21], v175 offset0:64 offset1:96
	v_add_nc_u32_e32 v56, 0x80c, v174
	s_wait_dscnt 0x0
	v_mul_f32_e32 v198, v25, v20
	v_mul_f32_e32 v196, v24, v20
	;; [unrolled: 1-line block ×3, first 2 shown]
	v_dual_mul_f32 v194, v22, v20 :: v_dual_mul_f32 v193, v25, v21
	v_mul_f32_e32 v192, v24, v21
	v_mul_f32_e32 v191, v23, v21
	;; [unrolled: 1-line block ×3, first 2 shown]
	ds_load_2addr_b32 v[20:21], v175 offset0:128 offset1:160
	s_wait_dscnt 0x0
	v_dual_mul_f32 v190, v25, v20 :: v_dual_add_nc_u32 v41, 0x414, v174
	v_mul_f32_e32 v188, v24, v20
	v_mul_f32_e32 v187, v23, v20
	v_dual_mul_f32 v186, v22, v20 :: v_dual_mul_f32 v185, v25, v21
	v_mul_f32_e32 v184, v24, v21
	v_mul_f32_e32 v183, v23, v21
	v_mul_f32_e32 v181, v22, v21
	ds_load_2addr_b32 v[20:21], v175 offset0:192 offset1:224
	s_wait_dscnt 0x0
	v_dual_mul_f32 v182, v25, v20 :: v_dual_add_nc_u32 v175, 4, v175
	v_dual_mul_f32 v205, v25, v21 :: v_dual_mul_f32 v212, v22, v20
	v_mul_f32_e32 v206, v24, v20
	v_dual_mul_f32 v209, v24, v21 :: v_dual_mul_f32 v210, v23, v20
	v_mul_f32_e32 v208, v23, v21
	v_mul_f32_e32 v211, v22, v21
	ds_load_2addr_b32 v[28:29], v174 offset1:7
	ds_load_2addr_b32 v[26:27], v180 offset1:1
	ds_load_2addr_b32 v[20:21], v180 offset0:2 offset1:3
	ds_load_2addr_b32 v[22:23], v180 offset0:4 offset1:5
	;; [unrolled: 1-line block ×3, first 2 shown]
	s_wait_dscnt 0x4
	v_lshlrev_b32_e32 v226, 8, v29
	s_wait_dscnt 0x3
	v_perm_b32 v30, v28, v27, 0xc0c0703
	s_wait_dscnt 0x2
	v_perm_b32 v31, v21, v20, 0x7030c0c
	v_lshlrev_b32_e32 v228, 16, v29
	s_wait_dscnt 0x0
	v_perm_b32 v33, v25, v24, 0x7030c0c
	s_delay_alu instid0(VALU_DEP_3)
	v_or_b32_e32 v30, v31, v30
	v_add_nc_u32_e32 v31, 0x1c14, v174
	ds_load_2addr_b32 v[42:43], v31 offset1:1
	ds_load_2addr_b32 v[36:37], v174 offset0:3 offset1:4
	ds_load_2addr_b32 v[46:47], v174 offset0:5 offset1:6
	;; [unrolled: 1-line block ×3, first 2 shown]
	s_wait_dscnt 0x2
	v_perm_b32 v31, v26, v37, 0xc0c0703
	v_perm_b32 v34, v29, v36, 0x7030c0c
	s_wait_dscnt 0x0
	v_perm_b32 v32, v46, v48, 0x7030c0c
	v_lshlrev_b32_e32 v142, 8, v48
	v_lshlrev_b32_e32 v0, 8, v46
	;; [unrolled: 1-line block ×4, first 2 shown]
	v_or_b32_e32 v31, v32, v31
	v_perm_b32 v32, v23, v22, 0xc0c0703
	v_lshlrev_b32_e32 v232, 8, v47
	v_perm_b32 v63, v26, v156, 0xc0c0603
	v_lshlrev_b32_e32 v227, 8, v36
	v_dot4_i32_iu8 v30, v31, v30, 0 neg_lo:[1,1,0]
	v_or_b32_e32 v32, v33, v32
	v_perm_b32 v33, v47, v49, 0xc0c0703
	v_add_nc_u32_e32 v31, 0x400, v174
	v_perm_b32 v66, v226, v227, 0x7030c0c
	v_lshlrev_b32_e32 v157, 16, v48
	v_lshlrev_b32_e32 v158, 16, v46
	v_or_b32_e32 v33, v34, v33
	v_lshlrev_b32_e32 v159, 16, v37
	v_lshlrev_b32_e32 v231, 16, v49
	;; [unrolled: 1-line block ×4, first 2 shown]
	v_dot4_i32_iu8 v213, v33, v32, v30 neg_lo:[1,1,0]
	v_add_nc_u32_e32 v30, 0x2080, v180
	v_add_nc_u32_e32 v32, 0x2088, v180
	;; [unrolled: 1-line block ×3, first 2 shown]
	ds_load_2addr_b32 v[34:35], v30 offset1:1
	ds_load_2addr_b32 v[30:31], v31 offset1:7
	;; [unrolled: 1-line block ×5, first 2 shown]
	s_wait_dscnt 0x4
	v_bfe_i32 v38, v34, 16, 8
	s_wait_dscnt 0x3
	v_bfe_i32 v39, v30, 16, 8
	v_bfe_i32 v40, v30, 0, 8
	v_perm_b32 v152, v35, v35, 0x2010003
	s_delay_alu instid0(VALU_DEP_3) | instskip(SKIP_1) | instid1(VALU_DEP_1)
	v_mul_i32_i24_e32 v38, v39, v38
	v_bfe_i32 v39, v34, 0, 8
	v_mad_i32_i24 v52, v40, v39, v38
	v_ashrrev_i32_e32 v38, 24, v34
	v_ashrrev_i32_e32 v39, 24, v30
	v_lshrrev_b16 v40, 8, v30
	s_delay_alu instid0(VALU_DEP_2) | instskip(SKIP_1) | instid1(VALU_DEP_3)
	v_mul_i32_i24_e32 v38, v39, v38
	v_lshrrev_b16 v39, 8, v34
	v_bfe_i32 v40, v40, 0, 8
	s_delay_alu instid0(VALU_DEP_2) | instskip(NEXT) | instid1(VALU_DEP_1)
	v_bfe_i32 v39, v39, 0, 8
	v_mad_i32_i24 v53, v40, v39, v38
	v_add_nc_u32_e32 v38, 0x40c, v174
	v_add_nc_u32_e32 v40, 0x404, v174
	ds_load_2addr_b32 v[38:39], v38 offset1:1
	ds_load_2addr_b32 v[54:55], v40 offset1:1
	;; [unrolled: 1-line block ×4, first 2 shown]
	v_bfe_i32 v56, v35, 8, 8
	s_wait_dscnt 0x3
	v_bfe_i32 v57, v39, 8, 8
	v_ashrrev_i32_e32 v58, 24, v39
	s_wait_dscnt 0x2
	v_bfe_i32 v59, v54, 16, 8
	s_wait_dscnt 0x1
	v_bfe_i32 v60, v51, 0, 8
	v_bfe_i32 v61, v38, 0, 8
	v_mul_i32_i24_e32 v56, v57, v56
	v_ashrrev_i32_e32 v57, 24, v35
	v_bfe_i32 v62, v38, 16, 8
	s_delay_alu instid0(VALU_DEP_2) | instskip(SKIP_3) | instid1(VALU_DEP_2)
	v_mad_i32_i24 v214, v58, v57, v56
	v_bfe_i32 v56, v64, 8, 8
	v_bfe_i32 v57, v54, 8, 8
	;; [unrolled: 1-line block ×3, first 2 shown]
	v_mul_i32_i24_e32 v56, v57, v56
	v_bfe_i32 v57, v64, 0, 8
	s_delay_alu instid0(VALU_DEP_1) | instskip(SKIP_2) | instid1(VALU_DEP_1)
	v_mad_i32_i24 v56, v58, v57, v56
	v_ashrrev_i32_e32 v57, 24, v65
	v_ashrrev_i32_e32 v58, 24, v50
	v_mul_i32_i24_e32 v57, v58, v57
	v_bfe_i32 v58, v64, 16, 8
	s_delay_alu instid0(VALU_DEP_1) | instskip(SKIP_3) | instid1(VALU_DEP_2)
	v_mad_i32_i24 v215, v59, v58, v57
	v_bfe_i32 v57, v65, 8, 8
	v_bfe_i32 v58, v50, 8, 8
	;; [unrolled: 1-line block ×3, first 2 shown]
	v_mul_i32_i24_e32 v57, v58, v57
	v_bfe_i32 v58, v65, 0, 8
	s_delay_alu instid0(VALU_DEP_1) | instskip(SKIP_3) | instid1(VALU_DEP_2)
	v_mad_i32_i24 v216, v59, v58, v57
	v_bfe_i32 v57, v44, 8, 8
	v_bfe_i32 v58, v55, 8, 8
	;; [unrolled: 1-line block ×3, first 2 shown]
	v_mul_i32_i24_e32 v57, v58, v57
	v_bfe_i32 v58, v44, 0, 8
	s_delay_alu instid0(VALU_DEP_1) | instskip(SKIP_2) | instid1(VALU_DEP_1)
	v_mad_i32_i24 v57, v59, v58, v57
	v_bfe_i32 v58, v45, 8, 8
	v_bfe_i32 v59, v51, 8, 8
	v_mul_i32_i24_e32 v58, v59, v58
	v_bfe_i32 v59, v45, 0, 8
	s_delay_alu instid0(VALU_DEP_1) | instskip(SKIP_2) | instid1(VALU_DEP_1)
	v_mad_i32_i24 v58, v60, v59, v58
	v_bfe_i32 v59, v32, 8, 8
	v_bfe_i32 v60, v38, 8, 8
	v_mul_i32_i24_e32 v59, v60, v59
	v_bfe_i32 v60, v32, 0, 8
	s_delay_alu instid0(VALU_DEP_1) | instskip(SKIP_2) | instid1(VALU_DEP_1)
	v_mad_i32_i24 v59, v61, v60, v59
	v_ashrrev_i32_e32 v60, 24, v33
	v_ashrrev_i32_e32 v61, 24, v31
	v_mul_i32_i24_e32 v60, v61, v60
	v_bfe_i32 v61, v32, 16, 8
	s_delay_alu instid0(VALU_DEP_1) | instskip(SKIP_3) | instid1(VALU_DEP_2)
	v_mad_i32_i24 v217, v62, v61, v60
	v_bfe_i32 v60, v33, 8, 8
	v_bfe_i32 v61, v31, 8, 8
	;; [unrolled: 1-line block ×3, first 2 shown]
	v_mul_i32_i24_e32 v60, v61, v60
	v_bfe_i32 v61, v33, 0, 8
	s_delay_alu instid0(VALU_DEP_1) | instskip(SKIP_3) | instid1(VALU_DEP_2)
	v_mad_i32_i24 v218, v62, v61, v60
	v_perm_b32 v60, v28, v27, 0xc0c0602
	v_perm_b32 v61, v21, v20, 0x6020c0c
	;; [unrolled: 1-line block ×3, first 2 shown]
	v_or_b32_e32 v60, v61, v60
	v_perm_b32 v61, v23, v22, 0xc0c0602
	s_delay_alu instid0(VALU_DEP_1) | instskip(SKIP_2) | instid1(VALU_DEP_2)
	v_or_b32_e32 v61, v62, v61
	v_perm_b32 v62, v0, v142, 0x7030c0c
	v_perm_b32 v0, v46, v0, 0x7030c0c
	v_or_b32_e32 v62, v62, v63
	v_perm_b32 v63, v232, v233, 0xc0c0703
	s_delay_alu instid0(VALU_DEP_2) | instskip(NEXT) | instid1(VALU_DEP_2)
	v_dot4_i32_iu8 v60, v62, v60, 0 neg_lo:[1,1,0]
	v_or_b32_e32 v63, v66, v63
	v_perm_b32 v62, v25, v24, 0x5010c0c
	v_perm_b32 v66, v228, v229, 0x7030c0c
	s_delay_alu instid0(VALU_DEP_3) | instskip(SKIP_3) | instid1(VALU_DEP_2)
	v_dot4_i32_iu8 v219, v63, v61, v60 neg_lo:[1,1,0]
	v_perm_b32 v60, v28, v27, 0xc0c0501
	v_perm_b32 v61, v21, v20, 0x5010c0c
	;; [unrolled: 1-line block ×3, first 2 shown]
	v_or_b32_e32 v60, v61, v60
	v_perm_b32 v61, v23, v22, 0xc0c0501
	s_delay_alu instid0(VALU_DEP_1) | instskip(SKIP_1) | instid1(VALU_DEP_1)
	v_or_b32_e32 v61, v62, v61
	v_perm_b32 v62, v158, v157, 0x7030c0c
	v_or_b32_e32 v62, v62, v63
	v_perm_b32 v63, v230, v231, 0xc0c0703
	s_delay_alu instid0(VALU_DEP_2) | instskip(NEXT) | instid1(VALU_DEP_2)
	v_dot4_i32_iu8 v60, v62, v60, 0 neg_lo:[1,1,0]
	v_or_b32_e32 v63, v66, v63
	s_delay_alu instid0(VALU_DEP_1) | instskip(SKIP_2) | instid1(VALU_DEP_1)
	v_dot4_i32_iu8 v220, v63, v61, v60 neg_lo:[1,1,0]
	v_bfe_i32 v60, v39, 0, 8
	v_bfe_i32 v61, v35, 0, 8
	v_mul_i32_i24_e32 v60, v60, v61
	v_add_nc_u32_e32 v61, 0x1414, v174
	s_delay_alu instid0(VALU_DEP_2) | instskip(SKIP_3) | instid1(VALU_DEP_2)
	v_add3_u32 v221, v52, v53, v60
	v_bfe_i32 v52, v39, 16, 8
	v_bfe_i32 v53, v35, 16, 8
	v_ashrrev_i32_e32 v60, 24, v64
	v_mul_i32_i24_e32 v52, v52, v53
	v_ashrrev_i32_e32 v53, 24, v54
	s_delay_alu instid0(VALU_DEP_1) | instskip(SKIP_1) | instid1(VALU_DEP_2)
	v_mul_i32_i24_e32 v53, v53, v60
	v_add_nc_u32_e32 v60, 0x1014, v174
	v_add3_u32 v222, v52, v53, v56
	v_bfe_i32 v52, v50, 16, 8
	v_bfe_i32 v53, v65, 16, 8
	v_ashrrev_i32_e32 v56, 24, v44
	s_delay_alu instid0(VALU_DEP_2) | instskip(SKIP_1) | instid1(VALU_DEP_1)
	v_mul_i32_i24_e32 v52, v52, v53
	v_ashrrev_i32_e32 v53, 24, v55
	v_mul_i32_i24_e32 v53, v53, v56
	v_ashrrev_i32_e32 v56, 24, v45
	s_delay_alu instid0(VALU_DEP_2) | instskip(SKIP_2) | instid1(VALU_DEP_1)
	v_add3_u32 v223, v52, v53, v57
	v_bfe_i32 v52, v55, 16, 8
	v_bfe_i32 v53, v44, 16, 8
	v_mul_i32_i24_e32 v52, v52, v53
	v_ashrrev_i32_e32 v53, 24, v51
	s_delay_alu instid0(VALU_DEP_1) | instskip(SKIP_1) | instid1(VALU_DEP_2)
	v_mul_i32_i24_e32 v53, v53, v56
	v_ashrrev_i32_e32 v56, 24, v32
	v_add3_u32 v224, v52, v53, v58
	v_bfe_i32 v52, v51, 16, 8
	v_bfe_i32 v53, v45, 16, 8
	v_add_nc_u32_e32 v58, 0x1004, v174
	s_delay_alu instid0(VALU_DEP_2) | instskip(SKIP_1) | instid1(VALU_DEP_1)
	v_mul_i32_i24_e32 v52, v52, v53
	v_ashrrev_i32_e32 v53, 24, v38
	v_mul_i32_i24_e32 v53, v53, v56
	v_add_nc_u32_e32 v56, 0x814, v174
	s_delay_alu instid0(VALU_DEP_2) | instskip(SKIP_4) | instid1(VALU_DEP_3)
	v_add3_u32 v225, v52, v53, v59
	v_lshlrev_b32_e32 v52, 16, v39
	v_lshlrev_b32_e32 v53, 8, v39
	v_add_nc_u32_e32 v59, 0xc14, v174
	v_perm_b32 v39, v39, v39, 0xc0c0003
	v_perm_b32 v242, v53, v52, 0x7030c0c
	v_lshlrev_b32_e32 v52, 16, v54
	v_lshlrev_b32_e32 v53, 8, v54
	v_perm_b32 v54, v54, v54, 0xc0c0003
	s_delay_alu instid0(VALU_DEP_4) | instskip(NEXT) | instid1(VALU_DEP_3)
	v_or_b32_e32 v39, v242, v39
	v_perm_b32 v243, v53, v52, 0x7030c0c
	s_wait_dscnt 0x0
	v_lshlrev_b32_e32 v52, 16, v41
	v_lshlrev_b32_e32 v53, 8, v41
	v_perm_b32 v41, v41, v41, 0xc0c0003
	v_or_b32_e32 v103, v243, v54
	s_delay_alu instid0(VALU_DEP_3)
	v_perm_b32 v244, v53, v52, 0x7030c0c
	v_add_nc_u32_e32 v52, 0x804, v174
	v_add_nc_u32_e32 v53, 0xc04, v174
	ds_load_2addr_b32 v[78:79], v52 offset1:1
	ds_load_2addr_b32 v[76:77], v53 offset1:1
	;; [unrolled: 1-line block ×3, first 2 shown]
	v_or_b32_e32 v41, v244, v41
	v_add_nc_u32_e32 v244, 0x4108, v180
	s_delay_alu instid0(VALU_DEP_2) | instskip(SKIP_4) | instid1(VALU_DEP_2)
	v_dot4_i32_iu8 v127, v41, v152, 0 neg_lo:[1,1,0]
	s_wait_dscnt 0x2
	v_lshlrev_b32_e32 v52, 16, v78
	v_lshlrev_b32_e32 v53, 8, v78
	v_perm_b32 v54, v78, v78, 0xc0c0003
	v_perm_b32 v245, v53, v52, 0x7030c0c
	v_add_nc_u32_e32 v52, 0xc0c, v174
	s_delay_alu instid0(VALU_DEP_2)
	v_or_b32_e32 v78, v245, v54
	ds_load_2addr_b32 v[52:53], v52 offset1:1
	s_wait_dscnt 0x0
	v_lshlrev_b32_e32 v56, 16, v53
	v_lshlrev_b32_e32 v57, 8, v53
	v_perm_b32 v53, v53, v53, 0xc0c0003
	s_delay_alu instid0(VALU_DEP_2) | instskip(SKIP_2) | instid1(VALU_DEP_3)
	v_perm_b32 v246, v57, v56, 0x7030c0c
	v_lshlrev_b32_e32 v56, 16, v76
	v_lshlrev_b32_e32 v57, 8, v76
	v_or_b32_e32 v154, v246, v53
	v_perm_b32 v53, v76, v76, 0xc0c0003
	s_delay_alu instid0(VALU_DEP_3)
	v_perm_b32 v247, v57, v56, 0x7030c0c
	v_add_nc_u32_e32 v56, 0x100c, v174
	ds_load_2addr_b32 v[56:57], v56 offset1:1
	ds_load_2addr_b32 v[234:235], v58 offset1:1
	;; [unrolled: 1-line block ×4, first 2 shown]
	v_add_nc_u32_e32 v60, 0x1404, v174
	v_or_b32_e32 v76, v247, v53
	v_add_nc_u32_e32 v246, 0x4110, v180
	v_dot4_i32_iu8 v140, v154, v152, 0 neg_lo:[1,1,0]
	s_wait_dscnt 0x3
	v_lshlrev_b32_e32 v58, 16, v57
	v_lshlrev_b32_e32 v59, 8, v57
	v_perm_b32 v53, v57, v57, 0xc0c0003
	s_delay_alu instid0(VALU_DEP_2) | instskip(SKIP_3) | instid1(VALU_DEP_3)
	v_perm_b32 v248, v59, v58, 0x7030c0c
	s_wait_dscnt 0x2
	v_lshlrev_b32_e32 v58, 16, v234
	v_lshlrev_b32_e32 v59, 8, v234
	v_or_b32_e32 v57, v248, v53
	v_perm_b32 v53, v234, v234, 0xc0c0003
	s_delay_alu instid0(VALU_DEP_3)
	v_perm_b32 v249, v59, v58, 0x7030c0c
	v_add_nc_u32_e32 v58, 0x140c, v174
	ds_load_2addr_b32 v[58:59], v58 offset1:1
	ds_load_2addr_b32 v[236:237], v60 offset1:1
	;; [unrolled: 1-line block ×3, first 2 shown]
	v_or_b32_e32 v234, v249, v53
	v_add_nc_u32_e32 v248, 0x4118, v180
	v_dot4_i32_iu8 v93, v57, v152, 0 neg_lo:[1,1,0]
	s_wait_dscnt 0x2
	v_lshlrev_b32_e32 v60, 16, v59
	v_lshlrev_b32_e32 v61, 8, v59
	v_perm_b32 v53, v59, v59, 0xc0c0003
	s_delay_alu instid0(VALU_DEP_2) | instskip(SKIP_3) | instid1(VALU_DEP_3)
	v_perm_b32 v250, v61, v60, 0x7030c0c
	s_wait_dscnt 0x1
	v_lshlrev_b32_e32 v60, 16, v236
	v_lshlrev_b32_e32 v61, 8, v236
	v_or_b32_e32 v59, v250, v53
	v_perm_b32 v53, v236, v236, 0xc0c0003
	s_delay_alu instid0(VALU_DEP_3) | instskip(SKIP_3) | instid1(VALU_DEP_4)
	v_perm_b32 v251, v61, v60, 0x7030c0c
	v_add_nc_u32_e32 v60, 0x180c, v174
	v_add_nc_u32_e32 v250, 0x6188, v180
	v_dot4_i32_iu8 v146, v59, v152, 0 neg_lo:[1,1,0]
	v_or_b32_e32 v236, v251, v53
	ds_load_2addr_b32 v[60:61], v60 offset1:1
	s_wait_dscnt 0x0
	v_lshlrev_b32_e32 v62, 16, v61
	v_lshlrev_b32_e32 v63, 8, v61
	v_perm_b32 v53, v61, v61, 0xc0c0003
	s_delay_alu instid0(VALU_DEP_2)
	v_perm_b32 v252, v63, v62, 0x7030c0c
	v_add_nc_u32_e32 v62, 0x1804, v174
	v_add_nc_u32_e32 v63, 0x1c04, v174
	ds_load_2addr_b32 v[238:239], v62 offset1:1
	ds_load_2addr_b32 v[240:241], v63 offset1:1
	;; [unrolled: 1-line block ×3, first 2 shown]
	v_or_b32_e32 v61, v252, v53
	v_add_nc_u32_e32 v252, 0x6190, v180
	s_delay_alu instid0(VALU_DEP_2)
	v_dot4_i32_iu8 v149, v61, v152, 0 neg_lo:[1,1,0]
	s_wait_dscnt 0x2
	v_lshlrev_b32_e32 v62, 16, v238
	v_lshlrev_b32_e32 v63, 8, v238
	v_perm_b32 v53, v238, v238, 0xc0c0003
	s_wait_dscnt 0x1
	v_lshlrev_b32_e32 v160, 8, v240
	s_delay_alu instid0(VALU_DEP_3) | instskip(SKIP_1) | instid1(VALU_DEP_2)
	v_perm_b32 v253, v63, v62, 0x7030c0c
	v_add_nc_u32_e32 v62, 0x1c0c, v174
	v_or_b32_e32 v238, v253, v53
	ds_load_2addr_b32 v[62:63], v62 offset1:1
	s_wait_dscnt 0x0
	v_lshlrev_b32_e32 v254, 16, v63
	v_lshlrev_b32_e32 v255, 8, v63
	v_perm_b32 v53, v63, v63, 0xc0c0003
	s_delay_alu instid0(VALU_DEP_2) | instskip(SKIP_1) | instid1(VALU_DEP_2)
	v_perm_b32 v254, v255, v254, 0x7030c0c
	v_lshlrev_b32_e32 v255, 16, v240
	v_or_b32_e32 v63, v254, v53
	s_delay_alu instid0(VALU_DEP_2) | instskip(SKIP_4) | instid1(VALU_DEP_4)
	v_perm_b32 v160, v160, v255, 0x7030c0c
	v_perm_b32 v53, v240, v240, 0xc0c0003
	v_add_nc_u32_e32 v240, 0x6180, v180
	v_add_nc_u32_e32 v254, 0x6198, v180
	v_dot4_i32_iu8 v152, v63, v152, 0 neg_lo:[1,1,0]
	v_or_b32_e32 v160, v160, v53
	v_add_nc_u32_e32 v53, 0x4100, v180
	ds_load_2addr_b32 v[53:54], v53 offset1:1
	ds_load_2addr_b32 v[242:243], v240 offset1:1
	;; [unrolled: 1-line block ×8, first 2 shown]
	v_perm_b32 v240, v27, v27, 0x2010003
	v_perm_b32 v27, v28, v27, 0xc0c0400
	v_add_nc_u32_e32 v180, 32, v180
	s_delay_alu instid0(VALU_DEP_3)
	v_dot4_i32_iu8 v150, v39, v240, 0 neg_lo:[1,1,0]
	v_dot4_i32_iu8 v153, v41, v240, 0 neg_lo:[1,1,0]
	;; [unrolled: 1-line block ×7, first 2 shown]
	s_wait_dscnt 0x7
	v_perm_b32 v155, v54, v54, 0x2010003
	s_wait_dscnt 0x6
	v_perm_b32 v17, v243, v243, 0x2010003
	;; [unrolled: 2-line block ×3, first 2 shown]
	v_dot4_i32_iu8 v151, v39, v155, 0 neg_lo:[1,1,0]
	s_delay_alu instid0(VALU_DEP_3)
	v_dot4_i32_iu8 v39, v39, v17, 0 neg_lo:[1,1,0]
	v_dot4_i32_iu8 v92, v41, v155, 0 neg_lo:[1,1,0]
	;; [unrolled: 1-line block ×13, first 2 shown]
	v_perm_b32 v63, v20, v20, 0x2010003
	s_wait_dscnt 0x2
	v_perm_b32 v167, v250, v250, 0x2010003
	v_dot4_i32_iu8 v151, v103, v166, v151 neg_lo:[1,1,0]
	v_dot4_i32_iu8 v92, v78, v166, v92 neg_lo:[1,1,0]
	v_perm_b32 v20, v21, v20, 0x4000c0c
	v_dot4_i32_iu8 v150, v103, v63, v150 neg_lo:[1,1,0]
	v_dot4_i32_iu8 v39, v103, v167, v39 neg_lo:[1,1,0]
	v_dot4_i32_iu8 v103, v78, v63, v153 neg_lo:[1,1,0]
	v_perm_b32 v153, v64, v64, 0x2010003
	v_dot4_i32_iu8 v41, v78, v167, v41 neg_lo:[1,1,0]
	v_dot4_i32_iu8 v17, v160, v167, v17 neg_lo:[1,1,0]
	;; [unrolled: 1-line block ×18, first 2 shown]
	v_lshlrev_b32_e32 v155, 24, v37
	v_dot4_i32_iu8 v76, v76, v167, v154 neg_lo:[1,1,0]
	v_perm_b32 v154, v37, v156, 0x7030c0c
	v_dot4_i32_iu8 v63, v160, v63, v240 neg_lo:[1,1,0]
	v_lshlrev_b32_e32 v160, 8, v74
	v_perm_b32 v37, v159, v155, 0xc0c0703
	v_lshlrev_b32_e32 v159, 8, v72
	v_dot4_i32_iu8 v149, v238, v166, v165 neg_lo:[1,1,0]
	v_lshlrev_b32_e32 v165, 8, v42
	v_dot4_i32_iu8 v61, v238, v167, v61 neg_lo:[1,1,0]
	v_or_b32_e32 v37, v154, v37
	v_lshlrev_b32_e32 v154, 24, v48
	v_perm_b32 v48, v48, v142, 0x7030c0c
	v_lshlrev_b32_e32 v142, 24, v46
	v_dot4_i32_iu8 v46, v28, v53, 0 neg_lo:[1,1,0]
	v_or_b32_e32 v20, v20, v27
	v_perm_b32 v156, v157, v154, 0xc0c0703
	v_perm_b32 v157, v251, v251, 0x2010003
	s_delay_alu instid0(VALU_DEP_4) | instskip(SKIP_1) | instid1(VALU_DEP_4)
	v_dot4_i32_iu8 v46, v37, v54, v46 neg_lo:[1,1,0]
	v_perm_b32 v54, v245, v245, 0x2010003
	v_or_b32_e32 v48, v48, v156
	v_perm_b32 v156, v158, v142, 0xc0c0703
	v_dot4_i32_iu8 v158, v34, v28, 0 neg_lo:[1,1,0]
	s_delay_alu instid0(VALU_DEP_3) | instskip(NEXT) | instid1(VALU_DEP_3)
	v_dot4_i32_iu8 v46, v48, v244, v46 neg_lo:[1,1,0]
	v_or_b32_e32 v0, v0, v156
	v_dot4_i32_iu8 v156, v28, v242, 0 neg_lo:[1,1,0]
	s_delay_alu instid0(VALU_DEP_4)
	v_dot4_i32_iu8 v35, v37, v35, v158 neg_lo:[1,1,0]
	v_lshlrev_b32_e32 v158, 8, v68
	v_perm_b32 v28, v26, v155, 0xc0c0403
	v_dot4_i32_iu8 v46, v0, v245, v46 neg_lo:[1,1,0]
	v_dot4_i32_iu8 v156, v37, v243, v156 neg_lo:[1,1,0]
	v_dot4_i32_iu8 v35, v48, v64, v35 neg_lo:[1,1,0]
	v_lshlrev_b32_e32 v37, 16, v50
	v_lshlrev_b32_e32 v64, 8, v66
	s_delay_alu instid0(VALU_DEP_4) | instskip(SKIP_2) | instid1(VALU_DEP_3)
	v_dot4_i32_iu8 v156, v48, v250, v156 neg_lo:[1,1,0]
	v_lshlrev_b32_e32 v48, 8, v50
	v_perm_b32 v50, v50, v50, 0xc0c0003
	v_dot4_i32_iu8 v156, v0, v251, v156 neg_lo:[1,1,0]
	s_delay_alu instid0(VALU_DEP_3)
	v_perm_b32 v37, v48, v37, 0x7030c0c
	v_lshlrev_b32_e32 v48, 16, v66
	v_dot4_i32_iu8 v0, v0, v65, v35 neg_lo:[1,1,0]
	v_perm_b32 v35, v65, v65, 0x2010003
	v_lshlrev_b32_e32 v65, 8, v70
	v_or_b32_e32 v37, v37, v50
	v_perm_b32 v48, v64, v48, 0x7030c0c
	v_lshlrev_b32_e32 v64, 16, v70
	v_perm_b32 v50, v66, v66, 0xc0c0003
	v_perm_b32 v66, v74, v74, 0xc0c0003
	s_delay_alu instid0(VALU_DEP_3) | instskip(SKIP_1) | instid1(VALU_DEP_4)
	v_perm_b32 v64, v65, v64, 0x7030c0c
	v_lshlrev_b32_e32 v65, 16, v68
	v_or_b32_e32 v48, v48, v50
	v_perm_b32 v50, v70, v70, 0xc0c0003
	s_delay_alu instid0(VALU_DEP_3) | instskip(SKIP_1) | instid1(VALU_DEP_3)
	v_perm_b32 v65, v158, v65, 0x7030c0c
	v_lshlrev_b32_e32 v158, 16, v72
	v_or_b32_e32 v50, v64, v50
	v_perm_b32 v64, v68, v68, 0xc0c0003
	v_perm_b32 v68, v21, v21, 0x2010003
	v_dot4_i32_iu8 v92, v48, v54, v92 neg_lo:[1,1,0]
	v_perm_b32 v158, v159, v158, 0x7030c0c
	v_lshlrev_b32_e32 v159, 16, v74
	v_or_b32_e32 v64, v65, v64
	v_perm_b32 v65, v72, v72, 0xc0c0003
	v_dot4_i32_iu8 v70, v37, v68, v150 neg_lo:[1,1,0]
	v_dot4_i32_iu8 v72, v37, v54, v151 neg_lo:[1,1,0]
	v_perm_b32 v159, v160, v159, 0x7030c0c
	v_lshlrev_b32_e32 v160, 16, v42
	v_perm_b32 v42, v42, v42, 0xc0c0003
	v_or_b32_e32 v65, v158, v65
	v_dot4_i32_iu8 v37, v37, v157, v39 neg_lo:[1,1,0]
	v_or_b32_e32 v66, v159, v66
	v_perm_b32 v160, v165, v160, 0x7030c0c
	v_dot4_i32_iu8 v39, v48, v68, v103 neg_lo:[1,1,0]
	v_dot4_i32_iu8 v74, v48, v35, v127 neg_lo:[1,1,0]
	;; [unrolled: 1-line block ×4, first 2 shown]
	v_or_b32_e32 v42, v160, v42
	v_dot4_i32_iu8 v78, v50, v35, v139 neg_lo:[1,1,0]
	v_dot4_i32_iu8 v103, v50, v54, v140 neg_lo:[1,1,0]
	;; [unrolled: 1-line block ×19, first 2 shown]
	v_lshlrev_b32_e32 v42, 16, v55
	v_lshlrev_b32_e32 v66, 8, v55
	;; [unrolled: 1-line block ×14, first 2 shown]
	v_perm_b32 v55, v55, v55, 0xc0c0003
	v_perm_b32 v79, v79, v79, 0xc0c0003
	v_perm_b32 v77, v77, v77, 0xc0c0003
	v_perm_b32 v149, v235, v235, 0xc0c0003
	v_perm_b32 v152, v237, v237, 0xc0c0003
	v_perm_b32 v158, v239, v239, 0xc0c0003
	v_perm_b32 v165, v241, v241, 0xc0c0003
	v_perm_b32 v42, v66, v42, 0x7030c0c
	v_perm_b32 v66, v144, v68, 0x7030c0c
	v_perm_b32 v68, v146, v145, 0x7030c0c
	v_perm_b32 v144, v148, v147, 0x7030c0c
	v_perm_b32 v145, v151, v150, 0x7030c0c
	v_perm_b32 v146, v157, v153, 0x7030c0c
	v_perm_b32 v147, v160, v159, 0x7030c0c
	v_or_b32_e32 v42, v42, v55
	v_or_b32_e32 v55, v66, v79
	;; [unrolled: 1-line block ×7, first 2 shown]
	v_perm_b32 v145, v22, v22, 0x2010003
	v_perm_b32 v146, v246, v246, 0x2010003
	s_wait_dscnt 0x1
	v_perm_b32 v147, v252, v252, 0x2010003
	v_lshlrev_b32_e32 v148, 16, v73
	v_lshlrev_b32_e32 v149, 8, v73
	v_dot4_i32_iu8 v70, v42, v145, v70 neg_lo:[1,1,0]
	v_dot4_i32_iu8 v72, v42, v146, v72 neg_lo:[1,1,0]
	;; [unrolled: 1-line block ×3, first 2 shown]
	v_perm_b32 v42, v44, v44, 0x2010003
	v_dot4_i32_iu8 v39, v55, v145, v39 neg_lo:[1,1,0]
	v_dot4_i32_iu8 v92, v55, v146, v92 neg_lo:[1,1,0]
	;; [unrolled: 1-line block ×19, first 2 shown]
	v_perm_b32 v54, v49, v233, 0x7030c0c
	v_lshlrev_b32_e32 v49, 24, v49
	v_dot4_i32_iu8 v65, v79, v145, v65 neg_lo:[1,1,0]
	v_dot4_i32_iu8 v127, v79, v146, v143 neg_lo:[1,1,0]
	;; [unrolled: 1-line block ×3, first 2 shown]
	v_perm_b32 v79, v47, v232, 0x7030c0c
	v_lshlrev_b32_e32 v47, 24, v47
	v_perm_b32 v157, v231, v49, 0xc0c0703
	v_dot4_i32_iu8 v63, v144, v145, v63 neg_lo:[1,1,0]
	v_dot4_i32_iu8 v17, v144, v147, v17 neg_lo:[1,1,0]
	v_lshlrev_b32_e32 v139, 16, v51
	v_lshlrev_b32_e32 v140, 8, v51
	v_or_b32_e32 v54, v54, v157
	v_perm_b32 v157, v230, v47, 0xc0c0703
	v_lshlrev_b32_e32 v141, 16, v67
	v_lshlrev_b32_e32 v143, 8, v67
	;; [unrolled: 1-line block ×10, first 2 shown]
	v_or_b32_e32 v79, v79, v157
	v_dot4_i32_iu8 v46, v54, v246, v46 neg_lo:[1,1,0]
	v_dot4_i32_iu8 v156, v54, v252, v156 neg_lo:[1,1,0]
	;; [unrolled: 1-line block ×3, first 2 shown]
	v_perm_b32 v51, v51, v51, 0xc0c0003
	v_perm_b32 v67, v67, v67, 0xc0c0003
	;; [unrolled: 1-line block ×7, first 2 shown]
	v_dot4_i32_iu8 v46, v79, v247, v46 neg_lo:[1,1,0]
	v_dot4_i32_iu8 v156, v79, v253, v156 neg_lo:[1,1,0]
	;; [unrolled: 1-line block ×3, first 2 shown]
	v_perm_b32 v44, v45, v45, 0x2010003
	v_perm_b32 v45, v140, v139, 0x7030c0c
	;; [unrolled: 1-line block ×10, first 2 shown]
	v_or_b32_e32 v45, v45, v51
	v_or_b32_e32 v51, v54, v67
	;; [unrolled: 1-line block ×7, first 2 shown]
	v_perm_b32 v73, v23, v23, 0x2010003
	v_dot4_i32_iu8 v72, v45, v157, v72 neg_lo:[1,1,0]
	v_dot4_i32_iu8 v37, v45, v158, v37 neg_lo:[1,1,0]
	;; [unrolled: 1-line block ×27, first 2 shown]
	v_lshlrev_b32_e32 v43, 16, v38
	v_lshlrev_b32_e32 v44, 8, v38
	;; [unrolled: 1-line block ×10, first 2 shown]
	v_perm_b32 v38, v38, v38, 0xc0c0003
	v_perm_b32 v40, v40, v40, 0xc0c0003
	;; [unrolled: 1-line block ×3, first 2 shown]
	v_lshlrev_b32_e32 v93, 16, v58
	v_lshlrev_b32_e32 v103, 8, v58
	v_perm_b32 v60, v60, v60, 0xc0c0003
	v_lshlrev_b32_e32 v140, 16, v62
	v_lshlrev_b32_e32 v141, 8, v62
	v_perm_b32 v43, v44, v43, 0x7030c0c
	v_perm_b32 v44, v73, v71, 0x7030c0c
	;; [unrolled: 1-line block ×10, first 2 shown]
	v_or_b32_e32 v38, v43, v38
	v_or_b32_e32 v40, v44, v40
	;; [unrolled: 1-line block ×4, first 2 shown]
	v_perm_b32 v60, v24, v24, 0x2010003
	v_or_b32_e32 v43, v71, v52
	v_or_b32_e32 v52, v77, v58
	;; [unrolled: 1-line block ×3, first 2 shown]
	v_perm_b32 v92, v249, v249, 0x2010003
	v_dot4_i32_iu8 v62, v38, v60, v70 neg_lo:[1,1,0]
	v_perm_b32 v70, v248, v248, 0x2010003
	v_dot4_i32_iu8 v77, v40, v60, v39 neg_lo:[1,1,0]
	v_dot4_i32_iu8 v48, v43, v60, v48 neg_lo:[1,1,0]
	;; [unrolled: 1-line block ×5, first 2 shown]
	s_wait_dscnt 0x0
	v_perm_b32 v72, v254, v254, 0x2010003
	v_dot4_i32_iu8 v68, v52, v70, v68 neg_lo:[1,1,0]
	v_dot4_i32_iu8 v74, v40, v70, v74 neg_lo:[1,1,0]
	;; [unrolled: 1-line block ×5, first 2 shown]
	v_perm_b32 v37, v32, v32, 0x2010003
	v_dot4_i32_iu8 v17, v58, v72, v17 neg_lo:[1,1,0]
	v_dot4_i32_iu8 v79, v40, v72, v41 neg_lo:[1,1,0]
	;; [unrolled: 1-line block ×13, first 2 shown]
	v_lshlrev_b32_e32 v58, 24, v36
	v_perm_b32 v35, v36, v227, 0x7030c0c
	v_lshlrev_b32_e32 v72, 24, v29
	v_perm_b32 v29, v29, v226, 0x7030c0c
	v_dot4_i32_iu8 v78, v40, v37, v45 neg_lo:[1,1,0]
	v_perm_b32 v36, v229, v58, 0xc0c0703
	v_dot4_i32_iu8 v51, v43, v37, v51 neg_lo:[1,1,0]
	v_dot4_i32_iu8 v66, v44, v37, v66 neg_lo:[1,1,0]
	v_perm_b32 v103, v255, v255, 0x2010003
	v_perm_b32 v21, v23, v22, 0xc0c0400
	v_or_b32_e32 v70, v35, v36
	v_perm_b32 v35, v228, v72, 0xc0c0703
	v_lshlrev_b32_e32 v36, 8, v31
	v_perm_b32 v22, v25, v24, 0x4000c0c
	v_perm_b32 v23, v142, v154, 0x7030c0c
	v_dot4_i32_iu8 v0, v70, v32, v0 neg_lo:[1,1,0]
	v_or_b32_e32 v29, v29, v35
	v_dot4_i32_iu8 v35, v70, v248, v46 neg_lo:[1,1,0]
	v_or_b32_e32 v21, v22, v21
	v_perm_b32 v22, v47, v49, 0xc0c0703
	v_perm_b32 v24, v72, v58, 0x7030c0c
	v_dot4_i32_iu8 v0, v29, v33, v0 neg_lo:[1,1,0]
	v_dot4_i32_iu8 v76, v29, v249, v35 neg_lo:[1,1,0]
	;; [unrolled: 1-line block ×3, first 2 shown]
	v_or_b32_e32 v23, v23, v28
	v_or_b32_e32 v22, v24, v22
	v_cvt_f32_i32_e32 v0, v0
	v_add_nc_u32_e32 v24, v220, v213
	v_dot4_i32_iu8 v93, v29, v255, v35 neg_lo:[1,1,0]
	v_lshlrev_b32_e32 v35, 16, v31
	v_bfe_i32 v29, v33, 16, 8
	v_fmac_f32_e32 v131, v201, v0
	v_dot4_i32_iu8 v20, v23, v20, 0 neg_lo:[1,1,0]
	s_delay_alu instid0(VALU_DEP_4) | instskip(SKIP_1) | instid1(VALU_DEP_3)
	v_perm_b32 v127, v36, v35, 0x7030c0c
	v_add_nc_u32_e32 v35, 0x800, v174
	v_dot4_i32_iu8 v20, v22, v21, v20 neg_lo:[1,1,0]
	v_add3_u32 v21, v221, v214, v222
	v_add3_u32 v22, v215, v216, v223
	ds_load_2addr_b32 v[35:36], v35 offset1:7
	v_add3_u32 v20, v20, v219, v24
	s_delay_alu instid0(VALU_DEP_1) | instskip(NEXT) | instid1(VALU_DEP_1)
	v_cvt_f32_i32_e32 v20, v20
	v_fmac_f32_e32 v94, v204, v20
	s_wait_dscnt 0x0
	v_lshlrev_b32_e32 v37, 16, v36
	v_lshlrev_b32_e32 v38, 8, v36
	v_perm_b32 v36, v36, v36, 0xc0c0003
	s_delay_alu instid0(VALU_DEP_2) | instskip(SKIP_1) | instid1(VALU_DEP_2)
	v_perm_b32 v139, v38, v37, 0x7030c0c
	v_add_nc_u32_e32 v37, 0xc00, v174
	v_or_b32_e32 v36, v139, v36
	ds_load_2addr_b32 v[37:38], v37 offset1:7
	v_perm_b32 v139, v25, v25, 0x2010003
	v_dot4_i32_iu8 v74, v36, v92, v74 neg_lo:[1,1,0]
	s_delay_alu instid0(VALU_DEP_2) | instskip(SKIP_4) | instid1(VALU_DEP_2)
	v_dot4_i32_iu8 v77, v36, v139, v77 neg_lo:[1,1,0]
	s_wait_dscnt 0x0
	v_lshlrev_b32_e32 v39, 16, v38
	v_lshlrev_b32_e32 v40, 8, v38
	v_perm_b32 v38, v38, v38, 0xc0c0003
	v_perm_b32 v140, v40, v39, 0x7030c0c
	v_add_nc_u32_e32 v39, 0x1000, v174
	s_delay_alu instid0(VALU_DEP_2)
	v_or_b32_e32 v38, v140, v38
	ds_load_2addr_b32 v[39:40], v39 offset1:7
	v_dot4_i32_iu8 v48, v38, v139, v48 neg_lo:[1,1,0]
	v_dot4_i32_iu8 v55, v38, v92, v55 neg_lo:[1,1,0]
	s_wait_dscnt 0x0
	v_lshlrev_b32_e32 v41, 16, v40
	v_lshlrev_b32_e32 v42, 8, v40
	v_perm_b32 v40, v40, v40, 0xc0c0003
	s_delay_alu instid0(VALU_DEP_2) | instskip(SKIP_1) | instid1(VALU_DEP_2)
	v_perm_b32 v141, v42, v41, 0x7030c0c
	v_add_nc_u32_e32 v41, 0x1400, v174
	v_or_b32_e32 v40, v141, v40
	ds_load_2addr_b32 v[41:42], v41 offset1:7
	s_wait_dscnt 0x0
	v_lshlrev_b32_e32 v43, 16, v42
	v_lshlrev_b32_e32 v44, 8, v42
	v_perm_b32 v42, v42, v42, 0xc0c0003
	s_delay_alu instid0(VALU_DEP_2) | instskip(SKIP_1) | instid1(VALU_DEP_2)
	v_perm_b32 v143, v44, v43, 0x7030c0c
	v_add_nc_u32_e32 v43, 0x1800, v174
	v_or_b32_e32 v42, v143, v42
	ds_load_2addr_b32 v[43:44], v43 offset1:7
	s_wait_dscnt 0x0
	v_lshlrev_b32_e32 v45, 16, v44
	v_lshlrev_b32_e32 v46, 8, v44
	v_perm_b32 v44, v44, v44, 0xc0c0003
	s_delay_alu instid0(VALU_DEP_2) | instskip(SKIP_2) | instid1(VALU_DEP_3)
	v_perm_b32 v144, v46, v45, 0x7030c0c
	v_add_nc_u32_e32 v45, 0x1c00, v174
	v_add_nc_u32_e32 v174, 32, v174
	v_or_b32_e32 v44, v144, v44
	ds_load_2addr_b32 v[45:46], v45 offset1:7
	s_wait_dscnt 0x0
	v_lshlrev_b32_e32 v145, 16, v46
	v_lshlrev_b32_e32 v146, 8, v46
	v_perm_b32 v46, v46, v46, 0xc0c0003
	s_delay_alu instid0(VALU_DEP_2) | instskip(SKIP_2) | instid1(VALU_DEP_3)
	v_perm_b32 v145, v146, v145, 0x7030c0c
	v_perm_b32 v146, v31, v31, 0xc0c0003
	v_bfe_i32 v31, v31, 16, 8
	v_or_b32_e32 v46, v145, v46
	s_delay_alu instid0(VALU_DEP_3) | instskip(NEXT) | instid1(VALU_DEP_3)
	v_or_b32_e32 v127, v127, v146
	v_mul_i32_i24_e32 v29, v31, v29
	s_delay_alu instid0(VALU_DEP_3) | instskip(NEXT) | instid1(VALU_DEP_3)
	v_dot4_i32_iu8 v17, v46, v103, v17 neg_lo:[1,1,0]
	v_dot4_i32_iu8 v62, v127, v139, v62 neg_lo:[1,1,0]
	;; [unrolled: 1-line block ×4, first 2 shown]
	v_perm_b32 v127, v33, v33, 0x2010003
	v_add3_u32 v29, v217, v218, v29
	v_dot4_i32_iu8 v17, v45, v242, v17 neg_lo:[1,1,0]
	s_delay_alu instid0(VALU_DEP_3)
	v_dot4_i32_iu8 v78, v36, v127, v78 neg_lo:[1,1,0]
	v_dot4_i32_iu8 v36, v36, v103, v79 neg_lo:[1,1,0]
	v_dot4_i32_iu8 v51, v38, v127, v51 neg_lo:[1,1,0]
	v_dot4_i32_iu8 v38, v38, v103, v50 neg_lo:[1,1,0]
	v_dot4_i32_iu8 v50, v40, v139, v54 neg_lo:[1,1,0]
	v_dot4_i32_iu8 v54, v40, v127, v66 neg_lo:[1,1,0]
	v_dot4_i32_iu8 v66, v40, v92, v75 neg_lo:[1,1,0]
	v_dot4_i32_iu8 v40, v40, v103, v57 neg_lo:[1,1,0]
	v_dot4_i32_iu8 v57, v42, v139, v64 neg_lo:[1,1,0]
	v_dot4_i32_iu8 v64, v42, v127, v67 neg_lo:[1,1,0]
	v_dot4_i32_iu8 v67, v42, v92, v68 neg_lo:[1,1,0]
	v_dot4_i32_iu8 v42, v42, v103, v52 neg_lo:[1,1,0]
	v_dot4_i32_iu8 v52, v44, v139, v59 neg_lo:[1,1,0]
	v_dot4_i32_iu8 v59, v44, v127, v65 neg_lo:[1,1,0]
	v_dot4_i32_iu8 v65, v44, v92, v69 neg_lo:[1,1,0]
	v_dot4_i32_iu8 v44, v44, v103, v56 neg_lo:[1,1,0]
	v_dot4_i32_iu8 v56, v46, v139, v60 neg_lo:[1,1,0]
	v_dot4_i32_iu8 v60, v46, v127, v61 neg_lo:[1,1,0]
	v_dot4_i32_iu8 v61, v46, v92, v63 neg_lo:[1,1,0]
	v_dot4_i32_iu8 v46, v26, v35, v77 neg_lo:[1,1,0]
	v_dot4_i32_iu8 v63, v34, v35, v78 neg_lo:[1,1,0]
	v_dot4_i32_iu8 v68, v35, v53, v74 neg_lo:[1,1,0]
	v_dot4_i32_iu8 v35, v35, v242, v36 neg_lo:[1,1,0]
	v_dot4_i32_iu8 v36, v26, v37, v48 neg_lo:[1,1,0]
	v_dot4_i32_iu8 v48, v34, v37, v51 neg_lo:[1,1,0]
	v_dot4_i32_iu8 v51, v37, v53, v55 neg_lo:[1,1,0]
	v_dot4_i32_iu8 v37, v37, v242, v38 neg_lo:[1,1,0]
	v_dot4_i32_iu8 v38, v26, v39, v50 neg_lo:[1,1,0]
	v_dot4_i32_iu8 v50, v34, v39, v54 neg_lo:[1,1,0]
	v_dot4_i32_iu8 v54, v39, v53, v66 neg_lo:[1,1,0]
	v_dot4_i32_iu8 v39, v39, v242, v40 neg_lo:[1,1,0]
	v_dot4_i32_iu8 v40, v26, v41, v57 neg_lo:[1,1,0]
	v_dot4_i32_iu8 v55, v34, v41, v64 neg_lo:[1,1,0]
	v_dot4_i32_iu8 v57, v41, v53, v67 neg_lo:[1,1,0]
	v_dot4_i32_iu8 v41, v41, v242, v42 neg_lo:[1,1,0]
	v_dot4_i32_iu8 v42, v26, v43, v52 neg_lo:[1,1,0]
	v_dot4_i32_iu8 v52, v34, v43, v59 neg_lo:[1,1,0]
	v_dot4_i32_iu8 v59, v43, v53, v65 neg_lo:[1,1,0]
	v_dot4_i32_iu8 v43, v43, v242, v44 neg_lo:[1,1,0]
	v_dot4_i32_iu8 v44, v30, v26, v62 neg_lo:[1,1,0]
	v_dot4_i32_iu8 v26, v26, v45, v56 neg_lo:[1,1,0]
	v_dot4_i32_iu8 v56, v30, v53, v71 neg_lo:[1,1,0]
	v_dot4_i32_iu8 v30, v30, v242, v73 neg_lo:[1,1,0]
	v_add3_u32 v23, v224, v225, v29
	v_cvt_f32_i32_e32 v0, v44
	v_dot4_i32_iu8 v34, v34, v45, v60 neg_lo:[1,1,0]
	v_dot4_i32_iu8 v53, v45, v53, v61 neg_lo:[1,1,0]
	v_cvt_f32_i32_e32 v17, v17
	v_add3_u32 v21, v21, v22, v23
	v_fmac_f32_e32 v122, v199, v0
	v_cvt_f32_i32_e32 v0, v56
	s_delay_alu instid0(VALU_DEP_4) | instskip(NEXT) | instid1(VALU_DEP_4)
	v_fmac_f32_e32 v80, v211, v17
	v_cvt_f32_i32_e32 v20, v21
	s_delay_alu instid0(VALU_DEP_3) | instskip(SKIP_1) | instid1(VALU_DEP_3)
	v_fmac_f32_e32 v119, v200, v0
	v_cvt_f32_i32_e32 v0, v30
	v_fmac_f32_e32 v121, v207, v20
	v_cvt_f32_i32_e32 v20, v76
	s_delay_alu instid0(VALU_DEP_3) | instskip(SKIP_1) | instid1(VALU_DEP_3)
	v_fmac_f32_e32 v118, v197, v0
	v_cvt_f32_i32_e32 v0, v46
	;; [unrolled: 5-line block ×3, first 2 shown]
	v_fmac_f32_e32 v123, v202, v20
	s_delay_alu instid0(VALU_DEP_2) | instskip(SKIP_1) | instid1(VALU_DEP_1)
	v_fmac_f32_e32 v116, v196, v0
	v_cvt_f32_i32_e32 v0, v68
	v_fmac_f32_e32 v115, v195, v0
	v_cvt_f32_i32_e32 v0, v35
	s_delay_alu instid0(VALU_DEP_1) | instskip(SKIP_1) | instid1(VALU_DEP_1)
	v_fmac_f32_e32 v111, v194, v0
	v_cvt_f32_i32_e32 v0, v36
	v_fmac_f32_e32 v107, v193, v0
	v_cvt_f32_i32_e32 v0, v48
	s_delay_alu instid0(VALU_DEP_1) | instskip(SKIP_1) | instid1(VALU_DEP_1)
	;; [unrolled: 5-line block ×10, first 2 shown]
	v_fmac_f32_e32 v82, v209, v0
	v_cvt_f32_i32_e32 v0, v53
	v_fmac_f32_e32 v81, v208, v0
	s_cbranch_scc1 .LBB122_8
; %bb.9:                                ;   in Loop: Header=BB122_6 Depth=1
	s_and_b32 s10, s7, -4
	s_wait_loadcnt 0x0
	s_wait_alu 0xfffe
	s_cmp_eq_u32 s10, 4
	s_barrier_signal -1
	s_barrier_wait -1
	global_inv scope:SCOPE_SE
	s_cbranch_scc1 .LBB122_5
; %bb.10:                               ;   in Loop: Header=BB122_6 Depth=1
	s_clause 0x3
	scratch_load_b32 v0, off, off offset:96
	scratch_load_b32 v17, off, off offset:4
	;; [unrolled: 1-line block ×4, first 2 shown]
	v_add_nc_u32_e32 v28, 4, v172
	s_mov_b32 s10, 12
	s_wait_loadcnt 0x3
	v_add_nc_u32_e32 v0, s4, v0
	s_wait_loadcnt 0x1
	s_delay_alu instid0(VALU_DEP_1)
	v_add_nc_u32_e32 v22, v0, v20
	scratch_load_b32 v20, off, off offset:12 ; 4-byte Folded Reload
	s_wait_loadcnt 0x1
	v_add_nc_u32_e32 v34, v0, v29
	scratch_load_b32 v29, off, off offset:32 ; 4-byte Folded Reload
	v_add_nc_u32_e32 v17, v0, v17
	v_mad_co_i64_i32 v[22:23], null, v22, 36, v[18:19]
	v_mad_co_i64_i32 v[34:35], null, v34, 36, v[18:19]
	s_wait_loadcnt 0x0
	v_add_nc_u32_e32 v30, v0, v29
	scratch_load_b32 v29, off, off offset:28 ; 4-byte Folded Reload
	v_add_nc_u32_e32 v24, v0, v20
	scratch_load_b32 v20, off, off offset:16 ; 4-byte Folded Reload
	v_mad_co_i64_i32 v[30:31], null, v30, 36, v[18:19]
	v_mad_co_i64_i32 v[24:25], null, v24, 36, v[18:19]
	s_wait_loadcnt 0x0
	v_add_nc_u32_e32 v26, v0, v20
	v_mad_co_i64_i32 v[20:21], null, v17, 36, v[18:19]
	scratch_load_b32 v17, off, off offset:20 ; 4-byte Folded Reload
	v_mad_co_i64_i32 v[26:27], null, v26, 36, v[18:19]
	s_wait_loadcnt 0x0
	v_add_nc_u32_e32 v17, v0, v17
	v_add_nc_u32_e32 v0, v0, v29
	v_mad_co_u64_u32 v[28:29], null, v28, 36, s[2:3]
	s_delay_alu instid0(VALU_DEP_3) | instskip(NEXT) | instid1(VALU_DEP_3)
	v_mad_co_i64_i32 v[32:33], null, v17, 36, v[18:19]
	v_mad_co_i64_i32 v[36:37], null, v0, 36, v[18:19]
	s_clause 0x8
	global_load_b32 v0, v[28:29], off
	global_load_b32 v17, v[30:31], off offset:4
	global_load_b32 v20, v[20:21], off offset:4
	;; [unrolled: 1-line block ×8, first 2 shown]
	s_clause 0x6
	scratch_load_b32 v172, off, off offset:36
	scratch_load_b32 v174, off, off offset:40
	;; [unrolled: 1-line block ×7, first 2 shown]
	s_wait_loadcnt 0xe
	ds_store_b32 v171, v17
	s_wait_loadcnt 0xd
	ds_store_b32 v173, v20
	scratch_load_b32 v17, off, off offset:44 ; 4-byte Folded Reload
	v_cvt_f32_f16_e32 v0, v0
	s_wait_loadcnt 0x0
	ds_store_b32 v17, v21
	scratch_load_b32 v17, off, off offset:48 ; 4-byte Folded Reload
	s_wait_loadcnt 0x0
	ds_store_b32 v17, v22
	scratch_load_b32 v17, off, off offset:52 ; 4-byte Folded Reload
	s_wait_loadcnt 0x0
	ds_store_b32 v17, v23
	ds_store_b32 v168, v24
	;; [unrolled: 1-line block ×4, first 2 shown]
	scratch_load_b32 v17, off, off          ; 4-byte Folded Reload
	s_wait_loadcnt 0x0
	ds_store_b32 v17, v0
	s_wait_dscnt 0x0
	s_barrier_signal -1
	s_barrier_wait -1
	global_inv scope:SCOPE_SE
.LBB122_11:                             ;   Parent Loop BB122_6 Depth=1
                                        ; =>  This Inner Loop Header: Depth=2
	ds_load_2addr_b32 v[20:21], v172 offset1:32
	ds_load_b32 v25, v176
	ds_load_b32 v24, v177
	;; [unrolled: 1-line block ×4, first 2 shown]
	v_add_nc_u32_e32 v74, 0x1814, v174
	v_add_nc_u32_e32 v179, 4, v179
	;; [unrolled: 1-line block ×5, first 2 shown]
	s_wait_alu 0xfffe
	s_add_co_i32 s10, s10, 4
	v_add_nc_u32_e32 v33, 0x2090, v175
	s_wait_alu 0xfffe
	s_cmp_lt_u32 s10, 28
	s_wait_dscnt 0x3
	v_mul_f32_e32 v202, v20, v25
	s_wait_dscnt 0x1
	v_dual_mul_f32 v199, v20, v24 :: v_dual_mul_f32 v198, v23, v21
	v_mul_f32_e32 v201, v20, v23
	s_wait_dscnt 0x0
	v_dual_mul_f32 v200, v20, v22 :: v_dual_mul_f32 v197, v25, v21
	v_mul_f32_e32 v205, v24, v21
	v_mul_f32_e32 v195, v22, v21
	ds_load_2addr_b32 v[20:21], v172 offset0:64 offset1:96
	v_add_nc_u32_e32 v38, 0x2098, v175
	v_add_nc_u32_e32 v40, 0x404, v174
	s_wait_dscnt 0x0
	v_mul_f32_e32 v196, v25, v20
	v_mul_f32_e32 v194, v24, v20
	;; [unrolled: 1-line block ×3, first 2 shown]
	v_dual_mul_f32 v192, v22, v20 :: v_dual_mul_f32 v191, v25, v21
	v_mul_f32_e32 v190, v24, v21
	v_mul_f32_e32 v189, v23, v21
	;; [unrolled: 1-line block ×3, first 2 shown]
	ds_load_2addr_b32 v[20:21], v172 offset0:128 offset1:160
	v_add_nc_u32_e32 v41, 0x414, v174
	v_add_nc_u32_e32 v52, 0x80c, v174
	s_wait_dscnt 0x0
	v_mul_f32_e32 v188, v25, v20
	v_mul_f32_e32 v186, v24, v20
	v_mul_f32_e32 v185, v23, v20
	v_dual_mul_f32 v184, v22, v20 :: v_dual_mul_f32 v183, v25, v21
	v_mul_f32_e32 v182, v24, v21
	v_mul_f32_e32 v181, v23, v21
	;; [unrolled: 1-line block ×3, first 2 shown]
	ds_load_2addr_b32 v[20:21], v172 offset0:192 offset1:224
	v_add_nc_u32_e32 v172, 4, v172
	s_wait_dscnt 0x0
	v_mul_f32_e32 v180, v25, v20
	v_dual_mul_f32 v203, v25, v21 :: v_dual_mul_f32 v210, v22, v20
	v_mul_f32_e32 v204, v24, v20
	v_dual_mul_f32 v207, v24, v21 :: v_dual_mul_f32 v208, v23, v20
	v_mul_f32_e32 v206, v23, v21
	v_mul_f32_e32 v209, v22, v21
	ds_load_2addr_b32 v[28:29], v174 offset1:7
	ds_load_2addr_b32 v[26:27], v175 offset1:1
	ds_load_2addr_b32 v[20:21], v175 offset0:2 offset1:3
	ds_load_2addr_b32 v[22:23], v175 offset0:4 offset1:5
	;; [unrolled: 1-line block ×3, first 2 shown]
	s_wait_dscnt 0x4
	v_lshlrev_b32_e32 v224, 8, v29
	s_wait_dscnt 0x3
	v_perm_b32 v0, v28, v27, 0xc0c0703
	s_wait_dscnt 0x2
	v_perm_b32 v17, v21, v20, 0x7030c0c
	v_lshlrev_b32_e32 v226, 16, v29
	s_wait_dscnt 0x0
	v_perm_b32 v31, v25, v24, 0x7030c0c
	s_delay_alu instid0(VALU_DEP_3)
	v_or_b32_e32 v30, v17, v0
	v_add_nc_u32_e32 v0, 0x1c14, v174
	ds_load_2addr_b32 v[42:43], v0 offset1:1
	ds_load_2addr_b32 v[36:37], v174 offset0:3 offset1:4
	ds_load_2addr_b32 v[46:47], v174 offset0:5 offset1:6
	;; [unrolled: 1-line block ×3, first 2 shown]
	s_wait_dscnt 0x2
	v_perm_b32 v0, v26, v37, 0xc0c0703
	v_perm_b32 v32, v29, v36, 0x7030c0c
	s_wait_dscnt 0x0
	v_perm_b32 v17, v46, v48, 0x7030c0c
	v_lshlrev_b32_e32 v92, 8, v48
	v_lshlrev_b32_e32 v93, 8, v46
	;; [unrolled: 1-line block ×4, first 2 shown]
	v_or_b32_e32 v0, v17, v0
	v_perm_b32 v17, v23, v22, 0xc0c0703
	v_lshlrev_b32_e32 v230, 8, v47
	v_perm_b32 v61, v26, v103, 0xc0c0603
	v_lshlrev_b32_e32 v127, 16, v48
	v_dot4_i32_iu8 v0, v0, v30, 0 neg_lo:[1,1,0]
	v_or_b32_e32 v17, v31, v17
	v_perm_b32 v31, v47, v49, 0xc0c0703
	v_lshlrev_b32_e32 v139, 16, v46
	v_lshlrev_b32_e32 v140, 16, v37
	;; [unrolled: 1-line block ×4, first 2 shown]
	v_or_b32_e32 v31, v32, v31
	v_add_nc_u32_e32 v32, 0x2088, v175
	v_lshlrev_b32_e32 v227, 16, v36
	v_perm_b32 v103, v37, v103, 0x7030c0c
	s_delay_alu instid0(VALU_DEP_4)
	v_dot4_i32_iu8 v211, v31, v17, v0 neg_lo:[1,1,0]
	v_add_nc_u32_e32 v0, 0x2080, v175
	v_add_nc_u32_e32 v17, 0x400, v174
	ds_load_2addr_b32 v[34:35], v0 offset1:1
	ds_load_2addr_b32 v[30:31], v17 offset1:7
	;; [unrolled: 1-line block ×5, first 2 shown]
	v_lshlrev_b32_e32 v225, 8, v36
	s_delay_alu instid0(VALU_DEP_1)
	v_perm_b32 v62, v224, v225, 0x7030c0c
	s_wait_dscnt 0x4
	v_bfe_i32 v0, v34, 16, 8
	s_wait_dscnt 0x3
	v_bfe_i32 v17, v30, 16, 8
	v_bfe_i32 v38, v30, 0, 8
	v_lshrrev_b16 v39, 8, v30
	s_delay_alu instid0(VALU_DEP_3) | instskip(SKIP_1) | instid1(VALU_DEP_3)
	v_mul_i32_i24_e32 v0, v17, v0
	v_bfe_i32 v17, v34, 0, 8
	v_bfe_i32 v39, v39, 0, 8
	s_delay_alu instid0(VALU_DEP_2) | instskip(SKIP_2) | instid1(VALU_DEP_1)
	v_mad_i32_i24 v0, v38, v17, v0
	v_ashrrev_i32_e32 v17, 24, v34
	v_ashrrev_i32_e32 v38, 24, v30
	v_mul_i32_i24_e32 v17, v38, v17
	v_lshrrev_b16 v38, 8, v34
	s_delay_alu instid0(VALU_DEP_1) | instskip(NEXT) | instid1(VALU_DEP_1)
	v_bfe_i32 v38, v38, 0, 8
	v_mad_i32_i24 v17, v39, v38, v17
	v_add_nc_u32_e32 v38, 0x40c, v174
	ds_load_2addr_b32 v[38:39], v38 offset1:1
	ds_load_2addr_b32 v[54:55], v40 offset1:1
	;; [unrolled: 1-line block ×4, first 2 shown]
	v_bfe_i32 v52, v35, 8, 8
	s_wait_dscnt 0x3
	v_bfe_i32 v53, v39, 8, 8
	v_ashrrev_i32_e32 v56, 24, v39
	s_wait_dscnt 0x2
	v_bfe_i32 v57, v54, 16, 8
	s_wait_dscnt 0x1
	v_bfe_i32 v58, v51, 0, 8
	v_bfe_i32 v59, v38, 0, 8
	v_mul_i32_i24_e32 v52, v53, v52
	v_ashrrev_i32_e32 v53, 24, v35
	v_bfe_i32 v60, v38, 16, 8
	s_delay_alu instid0(VALU_DEP_2) | instskip(SKIP_3) | instid1(VALU_DEP_2)
	v_mad_i32_i24 v212, v56, v53, v52
	v_bfe_i32 v52, v64, 8, 8
	v_bfe_i32 v53, v54, 8, 8
	;; [unrolled: 1-line block ×3, first 2 shown]
	v_mul_i32_i24_e32 v52, v53, v52
	v_bfe_i32 v53, v64, 0, 8
	s_delay_alu instid0(VALU_DEP_1) | instskip(SKIP_2) | instid1(VALU_DEP_1)
	v_mad_i32_i24 v52, v56, v53, v52
	v_ashrrev_i32_e32 v53, 24, v65
	v_ashrrev_i32_e32 v56, 24, v50
	v_mul_i32_i24_e32 v53, v56, v53
	v_bfe_i32 v56, v64, 16, 8
	s_delay_alu instid0(VALU_DEP_1) | instskip(SKIP_3) | instid1(VALU_DEP_2)
	v_mad_i32_i24 v213, v57, v56, v53
	v_bfe_i32 v53, v65, 8, 8
	v_bfe_i32 v56, v50, 8, 8
	v_bfe_i32 v57, v50, 0, 8
	v_mul_i32_i24_e32 v53, v56, v53
	v_bfe_i32 v56, v65, 0, 8
	s_delay_alu instid0(VALU_DEP_1) | instskip(SKIP_3) | instid1(VALU_DEP_2)
	v_mad_i32_i24 v214, v57, v56, v53
	v_bfe_i32 v53, v44, 8, 8
	v_bfe_i32 v56, v55, 8, 8
	;; [unrolled: 1-line block ×3, first 2 shown]
	v_mul_i32_i24_e32 v53, v56, v53
	v_bfe_i32 v56, v44, 0, 8
	s_delay_alu instid0(VALU_DEP_1) | instskip(SKIP_2) | instid1(VALU_DEP_1)
	v_mad_i32_i24 v53, v57, v56, v53
	v_bfe_i32 v56, v45, 8, 8
	v_bfe_i32 v57, v51, 8, 8
	v_mul_i32_i24_e32 v56, v57, v56
	v_bfe_i32 v57, v45, 0, 8
	s_delay_alu instid0(VALU_DEP_1) | instskip(SKIP_2) | instid1(VALU_DEP_1)
	v_mad_i32_i24 v56, v58, v57, v56
	v_bfe_i32 v57, v32, 8, 8
	v_bfe_i32 v58, v38, 8, 8
	v_mul_i32_i24_e32 v57, v58, v57
	v_bfe_i32 v58, v32, 0, 8
	s_delay_alu instid0(VALU_DEP_1) | instskip(SKIP_2) | instid1(VALU_DEP_1)
	v_mad_i32_i24 v57, v59, v58, v57
	v_ashrrev_i32_e32 v58, 24, v33
	v_ashrrev_i32_e32 v59, 24, v31
	v_mul_i32_i24_e32 v58, v59, v58
	v_bfe_i32 v59, v32, 16, 8
	s_delay_alu instid0(VALU_DEP_1) | instskip(SKIP_3) | instid1(VALU_DEP_2)
	v_mad_i32_i24 v215, v60, v59, v58
	v_bfe_i32 v58, v33, 8, 8
	v_bfe_i32 v59, v31, 8, 8
	;; [unrolled: 1-line block ×3, first 2 shown]
	v_mul_i32_i24_e32 v58, v59, v58
	v_bfe_i32 v59, v33, 0, 8
	s_delay_alu instid0(VALU_DEP_1) | instskip(SKIP_3) | instid1(VALU_DEP_2)
	v_mad_i32_i24 v216, v60, v59, v58
	v_perm_b32 v58, v28, v27, 0xc0c0602
	v_perm_b32 v59, v21, v20, 0x6020c0c
	;; [unrolled: 1-line block ×3, first 2 shown]
	v_or_b32_e32 v58, v59, v58
	v_perm_b32 v59, v23, v22, 0xc0c0602
	s_delay_alu instid0(VALU_DEP_1) | instskip(SKIP_1) | instid1(VALU_DEP_1)
	v_or_b32_e32 v59, v60, v59
	v_perm_b32 v60, v93, v92, 0x7030c0c
	v_or_b32_e32 v60, v60, v61
	v_perm_b32 v61, v230, v231, 0xc0c0703
	s_delay_alu instid0(VALU_DEP_2) | instskip(NEXT) | instid1(VALU_DEP_2)
	v_dot4_i32_iu8 v58, v60, v58, 0 neg_lo:[1,1,0]
	v_or_b32_e32 v61, v62, v61
	v_perm_b32 v60, v25, v24, 0x5010c0c
	v_perm_b32 v62, v226, v227, 0x7030c0c
	s_delay_alu instid0(VALU_DEP_3) | instskip(SKIP_3) | instid1(VALU_DEP_2)
	v_dot4_i32_iu8 v217, v61, v59, v58 neg_lo:[1,1,0]
	v_perm_b32 v58, v28, v27, 0xc0c0501
	v_perm_b32 v59, v21, v20, 0x5010c0c
	v_perm_b32 v61, v26, v140, 0xc0c0503
	v_or_b32_e32 v58, v59, v58
	v_perm_b32 v59, v23, v22, 0xc0c0501
	s_delay_alu instid0(VALU_DEP_1) | instskip(SKIP_1) | instid1(VALU_DEP_1)
	v_or_b32_e32 v59, v60, v59
	v_perm_b32 v60, v139, v127, 0x7030c0c
	v_or_b32_e32 v60, v60, v61
	v_perm_b32 v61, v228, v229, 0xc0c0703
	s_delay_alu instid0(VALU_DEP_2) | instskip(NEXT) | instid1(VALU_DEP_2)
	v_dot4_i32_iu8 v58, v60, v58, 0 neg_lo:[1,1,0]
	v_or_b32_e32 v61, v62, v61
	v_add_nc_u32_e32 v60, 0x1014, v174
	s_delay_alu instid0(VALU_DEP_2) | instskip(SKIP_3) | instid1(VALU_DEP_2)
	v_dot4_i32_iu8 v218, v61, v59, v58 neg_lo:[1,1,0]
	v_bfe_i32 v58, v39, 0, 8
	v_bfe_i32 v59, v35, 0, 8
	v_add_nc_u32_e32 v61, 0x1414, v174
	v_mul_i32_i24_e32 v58, v58, v59
	v_add_nc_u32_e32 v59, 0xc14, v174
	s_delay_alu instid0(VALU_DEP_2) | instskip(SKIP_3) | instid1(VALU_DEP_2)
	v_add3_u32 v219, v0, v17, v58
	v_bfe_i32 v0, v39, 16, 8
	v_bfe_i32 v17, v35, 16, 8
	v_ashrrev_i32_e32 v58, 24, v64
	v_mul_i32_i24_e32 v0, v0, v17
	v_ashrrev_i32_e32 v17, 24, v54
	s_delay_alu instid0(VALU_DEP_1) | instskip(SKIP_1) | instid1(VALU_DEP_2)
	v_mul_i32_i24_e32 v17, v17, v58
	v_add_nc_u32_e32 v58, 0x1004, v174
	v_add3_u32 v220, v0, v17, v52
	v_bfe_i32 v0, v50, 16, 8
	v_bfe_i32 v17, v65, 16, 8
	v_ashrrev_i32_e32 v52, 24, v44
	s_delay_alu instid0(VALU_DEP_2) | instskip(SKIP_1) | instid1(VALU_DEP_1)
	v_mul_i32_i24_e32 v0, v0, v17
	v_ashrrev_i32_e32 v17, 24, v55
	v_mul_i32_i24_e32 v17, v17, v52
	v_ashrrev_i32_e32 v52, 24, v45
	s_delay_alu instid0(VALU_DEP_2) | instskip(SKIP_4) | instid1(VALU_DEP_2)
	v_add3_u32 v221, v0, v17, v53
	v_bfe_i32 v0, v55, 16, 8
	v_bfe_i32 v17, v44, 16, 8
	s_wait_dscnt 0x0
	v_lshlrev_b32_e32 v53, 8, v41
	v_mul_i32_i24_e32 v0, v0, v17
	v_ashrrev_i32_e32 v17, 24, v51
	s_delay_alu instid0(VALU_DEP_1) | instskip(SKIP_1) | instid1(VALU_DEP_2)
	v_mul_i32_i24_e32 v17, v17, v52
	v_ashrrev_i32_e32 v52, 24, v32
	v_add3_u32 v222, v0, v17, v56
	v_bfe_i32 v0, v51, 16, 8
	v_bfe_i32 v17, v45, 16, 8
	v_add_nc_u32_e32 v56, 0x814, v174
	s_delay_alu instid0(VALU_DEP_2) | instskip(SKIP_1) | instid1(VALU_DEP_1)
	v_mul_i32_i24_e32 v0, v0, v17
	v_ashrrev_i32_e32 v17, 24, v38
	v_mul_i32_i24_e32 v17, v17, v52
	v_lshlrev_b32_e32 v52, 8, v54
	s_delay_alu instid0(VALU_DEP_2) | instskip(SKIP_3) | instid1(VALU_DEP_2)
	v_add3_u32 v223, v0, v17, v57
	v_lshlrev_b32_e32 v0, 16, v39
	v_lshlrev_b32_e32 v17, 8, v39
	v_perm_b32 v39, v39, v39, 0xc0c0003
	v_perm_b32 v0, v17, v0, 0x7030c0c
	v_lshlrev_b32_e32 v17, 16, v54
	s_delay_alu instid0(VALU_DEP_2) | instskip(NEXT) | instid1(VALU_DEP_2)
	v_or_b32_e32 v0, v0, v39
	v_perm_b32 v17, v52, v17, 0x7030c0c
	v_lshlrev_b32_e32 v52, 16, v41
	v_perm_b32 v39, v54, v54, 0xc0c0003
	s_delay_alu instid0(VALU_DEP_2)
	v_perm_b32 v141, v53, v52, 0x7030c0c
	v_add_nc_u32_e32 v52, 0x804, v174
	v_add_nc_u32_e32 v53, 0xc04, v174
	ds_load_2addr_b32 v[78:79], v52 offset1:1
	ds_load_2addr_b32 v[76:77], v53 offset1:1
	;; [unrolled: 1-line block ×3, first 2 shown]
	v_or_b32_e32 v17, v17, v39
	v_perm_b32 v39, v41, v41, 0xc0c0003
	s_delay_alu instid0(VALU_DEP_1) | instskip(SKIP_4) | instid1(VALU_DEP_2)
	v_or_b32_e32 v39, v141, v39
	s_wait_dscnt 0x2
	v_lshlrev_b32_e32 v52, 16, v78
	v_lshlrev_b32_e32 v53, 8, v78
	v_perm_b32 v41, v78, v78, 0xc0c0003
	v_perm_b32 v142, v53, v52, 0x7030c0c
	v_add_nc_u32_e32 v52, 0xc0c, v174
	s_delay_alu instid0(VALU_DEP_2)
	v_or_b32_e32 v41, v142, v41
	ds_load_2addr_b32 v[52:53], v52 offset1:1
	s_wait_dscnt 0x0
	v_lshlrev_b32_e32 v56, 16, v53
	v_lshlrev_b32_e32 v57, 8, v53
	v_perm_b32 v53, v53, v53, 0xc0c0003
	s_delay_alu instid0(VALU_DEP_2) | instskip(SKIP_2) | instid1(VALU_DEP_3)
	v_perm_b32 v143, v57, v56, 0x7030c0c
	v_lshlrev_b32_e32 v56, 16, v76
	v_lshlrev_b32_e32 v57, 8, v76
	v_or_b32_e32 v78, v143, v53
	v_perm_b32 v53, v76, v76, 0xc0c0003
	s_delay_alu instid0(VALU_DEP_3)
	v_perm_b32 v144, v57, v56, 0x7030c0c
	v_add_nc_u32_e32 v56, 0x100c, v174
	ds_load_2addr_b32 v[56:57], v56 offset1:1
	ds_load_2addr_b32 v[232:233], v58 offset1:1
	;; [unrolled: 1-line block ×4, first 2 shown]
	v_add_nc_u32_e32 v60, 0x1404, v174
	v_or_b32_e32 v76, v144, v53
	s_wait_dscnt 0x3
	v_lshlrev_b32_e32 v58, 16, v57
	v_lshlrev_b32_e32 v59, 8, v57
	v_perm_b32 v53, v57, v57, 0xc0c0003
	s_delay_alu instid0(VALU_DEP_2) | instskip(SKIP_3) | instid1(VALU_DEP_3)
	v_perm_b32 v145, v59, v58, 0x7030c0c
	s_wait_dscnt 0x2
	v_lshlrev_b32_e32 v58, 16, v232
	v_lshlrev_b32_e32 v59, 8, v232
	v_or_b32_e32 v57, v145, v53
	v_perm_b32 v53, v232, v232, 0xc0c0003
	s_delay_alu instid0(VALU_DEP_3)
	v_perm_b32 v146, v59, v58, 0x7030c0c
	v_add_nc_u32_e32 v58, 0x140c, v174
	ds_load_2addr_b32 v[58:59], v58 offset1:1
	ds_load_2addr_b32 v[234:235], v60 offset1:1
	ds_load_2addr_b32 v[72:73], v61 offset1:1
	v_or_b32_e32 v141, v146, v53
	v_add_nc_u32_e32 v145, 0x6180, v175
	v_add_nc_u32_e32 v146, 0x4108, v175
	s_wait_dscnt 0x2
	v_lshlrev_b32_e32 v60, 16, v59
	v_lshlrev_b32_e32 v61, 8, v59
	v_perm_b32 v53, v59, v59, 0xc0c0003
	s_delay_alu instid0(VALU_DEP_2) | instskip(SKIP_3) | instid1(VALU_DEP_3)
	v_perm_b32 v147, v61, v60, 0x7030c0c
	s_wait_dscnt 0x1
	v_lshlrev_b32_e32 v60, 16, v234
	v_lshlrev_b32_e32 v61, 8, v234
	v_or_b32_e32 v59, v147, v53
	v_perm_b32 v53, v234, v234, 0xc0c0003
	s_delay_alu instid0(VALU_DEP_3) | instskip(SKIP_2) | instid1(VALU_DEP_3)
	v_perm_b32 v148, v61, v60, 0x7030c0c
	v_add_nc_u32_e32 v60, 0x180c, v174
	v_add_nc_u32_e32 v147, 0x6188, v175
	v_or_b32_e32 v142, v148, v53
	ds_load_2addr_b32 v[60:61], v60 offset1:1
	v_add_nc_u32_e32 v148, 0x4110, v175
	s_wait_dscnt 0x0
	v_lshlrev_b32_e32 v62, 16, v61
	v_lshlrev_b32_e32 v63, 8, v61
	v_perm_b32 v53, v61, v61, 0xc0c0003
	s_delay_alu instid0(VALU_DEP_2)
	v_perm_b32 v149, v63, v62, 0x7030c0c
	v_add_nc_u32_e32 v62, 0x1804, v174
	v_add_nc_u32_e32 v63, 0x1c04, v174
	ds_load_2addr_b32 v[236:237], v62 offset1:1
	ds_load_2addr_b32 v[238:239], v63 offset1:1
	ds_load_2addr_b32 v[74:75], v74 offset1:1
	v_or_b32_e32 v61, v149, v53
	v_add_nc_u32_e32 v149, 0x6190, v175
	s_wait_dscnt 0x2
	v_lshlrev_b32_e32 v62, 16, v236
	v_lshlrev_b32_e32 v63, 8, v236
	v_perm_b32 v53, v236, v236, 0xc0c0003
	s_wait_dscnt 0x1
	v_lshlrev_b32_e32 v153, 8, v238
	s_delay_alu instid0(VALU_DEP_3) | instskip(SKIP_1) | instid1(VALU_DEP_2)
	v_perm_b32 v150, v63, v62, 0x7030c0c
	v_add_nc_u32_e32 v62, 0x1c0c, v174
	v_or_b32_e32 v143, v150, v53
	ds_load_2addr_b32 v[62:63], v62 offset1:1
	v_add_nc_u32_e32 v150, 0x4118, v175
	s_wait_dscnt 0x0
	v_lshlrev_b32_e32 v151, 16, v63
	v_lshlrev_b32_e32 v152, 8, v63
	v_perm_b32 v53, v63, v63, 0xc0c0003
	s_delay_alu instid0(VALU_DEP_2) | instskip(SKIP_1) | instid1(VALU_DEP_2)
	v_perm_b32 v151, v152, v151, 0x7030c0c
	v_lshlrev_b32_e32 v152, 16, v238
	v_or_b32_e32 v63, v151, v53
	s_delay_alu instid0(VALU_DEP_2) | instskip(SKIP_2) | instid1(VALU_DEP_2)
	v_perm_b32 v152, v153, v152, 0x7030c0c
	v_perm_b32 v53, v238, v238, 0xc0c0003
	v_add_nc_u32_e32 v151, 0x6198, v175
	v_or_b32_e32 v144, v152, v53
	v_add_nc_u32_e32 v53, 0x4100, v175
	ds_load_2addr_b32 v[53:54], v53 offset1:1
	ds_load_2addr_b32 v[240:241], v145 offset1:1
	;; [unrolled: 1-line block ×8, first 2 shown]
	v_perm_b32 v145, v27, v27, 0x2010003
	v_perm_b32 v150, v35, v35, 0x2010003
	;; [unrolled: 1-line block ×3, first 2 shown]
	v_add_nc_u32_e32 v175, 32, v175
	s_delay_alu instid0(VALU_DEP_4)
	v_dot4_i32_iu8 v148, v0, v145, 0 neg_lo:[1,1,0]
	v_dot4_i32_iu8 v151, v39, v145, 0 neg_lo:[1,1,0]
	;; [unrolled: 1-line block ×7, first 2 shown]
	s_wait_dscnt 0x7
	v_perm_b32 v146, v54, v54, 0x2010003
	s_wait_dscnt 0x6
	v_perm_b32 v147, v241, v241, 0x2010003
	v_dot4_i32_iu8 v160, v59, v145, 0 neg_lo:[1,1,0]
	v_dot4_i32_iu8 v165, v59, v150, 0 neg_lo:[1,1,0]
	;; [unrolled: 1-line block ×20, first 2 shown]
	v_perm_b32 v147, v20, v20, 0x2010003
	s_wait_dscnt 0x5
	v_perm_b32 v236, v242, v242, 0x2010003
	s_wait_dscnt 0x2
	v_perm_b32 v238, v248, v248, 0x2010003
	v_perm_b32 v20, v21, v20, 0x4000c0c
	v_dot4_i32_iu8 v148, v17, v147, v148 neg_lo:[1,1,0]
	v_dot4_i32_iu8 v149, v17, v236, v149 neg_lo:[1,1,0]
	s_delay_alu instid0(VALU_DEP_4)
	v_dot4_i32_iu8 v0, v17, v238, v0 neg_lo:[1,1,0]
	v_dot4_i32_iu8 v17, v41, v147, v151 neg_lo:[1,1,0]
	v_perm_b32 v151, v64, v64, 0x2010003
	v_dot4_i32_iu8 v153, v41, v236, v153 neg_lo:[1,1,0]
	v_dot4_i32_iu8 v39, v41, v238, v39 neg_lo:[1,1,0]
	;; [unrolled: 1-line block ×23, first 2 shown]
	v_lshlrev_b32_e32 v144, 24, v37
	v_lshlrev_b32_e32 v147, 8, v72
	;; [unrolled: 1-line block ×4, first 2 shown]
	v_or_b32_e32 v20, v20, v27
	v_perm_b32 v37, v140, v144, 0xc0c0703
	v_dot4_i32_iu8 v140, v34, v28, 0 neg_lo:[1,1,0]
	s_delay_alu instid0(VALU_DEP_2)
	v_or_b32_e32 v37, v103, v37
	v_lshlrev_b32_e32 v103, 24, v48
	v_perm_b32 v48, v48, v92, 0x7030c0c
	v_lshlrev_b32_e32 v92, 24, v46
	v_perm_b32 v46, v46, v93, 0x7030c0c
	v_dot4_i32_iu8 v93, v28, v53, 0 neg_lo:[1,1,0]
	v_perm_b32 v127, v127, v103, 0xc0c0703
	v_dot4_i32_iu8 v35, v37, v35, v140 neg_lo:[1,1,0]
	v_lshlrev_b32_e32 v140, 8, v68
	s_delay_alu instid0(VALU_DEP_4) | instskip(NEXT) | instid1(VALU_DEP_4)
	v_dot4_i32_iu8 v54, v37, v54, v93 neg_lo:[1,1,0]
	v_or_b32_e32 v48, v48, v127
	v_perm_b32 v127, v139, v92, 0xc0c0703
	v_perm_b32 v93, v243, v243, 0x2010003
	;; [unrolled: 1-line block ×3, first 2 shown]
	s_delay_alu instid0(VALU_DEP_4) | instskip(NEXT) | instid1(VALU_DEP_4)
	v_dot4_i32_iu8 v54, v48, v242, v54 neg_lo:[1,1,0]
	v_or_b32_e32 v46, v46, v127
	v_dot4_i32_iu8 v127, v28, v240, 0 neg_lo:[1,1,0]
	v_dot4_i32_iu8 v35, v48, v64, v35 neg_lo:[1,1,0]
	v_lshlrev_b32_e32 v64, 8, v66
	v_perm_b32 v28, v26, v144, 0xc0c0403
	v_dot4_i32_iu8 v54, v46, v243, v54 neg_lo:[1,1,0]
	v_dot4_i32_iu8 v127, v37, v241, v127 neg_lo:[1,1,0]
	v_dot4_i32_iu8 v35, v46, v65, v35 neg_lo:[1,1,0]
	v_perm_b32 v37, v65, v65, 0x2010003
	v_lshlrev_b32_e32 v65, 8, v70
	s_delay_alu instid0(VALU_DEP_4) | instskip(SKIP_1) | instid1(VALU_DEP_2)
	v_dot4_i32_iu8 v127, v48, v248, v127 neg_lo:[1,1,0]
	v_lshlrev_b32_e32 v48, 8, v50
	v_dot4_i32_iu8 v127, v46, v249, v127 neg_lo:[1,1,0]
	v_lshlrev_b32_e32 v46, 16, v50
	v_perm_b32 v50, v50, v50, 0xc0c0003
	s_delay_alu instid0(VALU_DEP_2) | instskip(SKIP_1) | instid1(VALU_DEP_2)
	v_perm_b32 v46, v48, v46, 0x7030c0c
	v_lshlrev_b32_e32 v48, 16, v66
	v_or_b32_e32 v46, v46, v50
	s_delay_alu instid0(VALU_DEP_2) | instskip(SKIP_4) | instid1(VALU_DEP_4)
	v_perm_b32 v48, v64, v48, 0x7030c0c
	v_lshlrev_b32_e32 v64, 16, v70
	v_perm_b32 v50, v66, v66, 0xc0c0003
	v_perm_b32 v66, v74, v74, 0xc0c0003
	v_dot4_i32_iu8 v0, v46, v139, v0 neg_lo:[1,1,0]
	v_perm_b32 v64, v65, v64, 0x7030c0c
	v_lshlrev_b32_e32 v65, 16, v68
	v_or_b32_e32 v48, v48, v50
	v_perm_b32 v50, v70, v70, 0xc0c0003
	s_delay_alu instid0(VALU_DEP_3) | instskip(SKIP_1) | instid1(VALU_DEP_3)
	v_perm_b32 v65, v140, v65, 0x7030c0c
	v_lshlrev_b32_e32 v140, 16, v72
	v_or_b32_e32 v50, v64, v50
	v_perm_b32 v64, v68, v68, 0xc0c0003
	v_perm_b32 v68, v21, v21, 0x2010003
	v_dot4_i32_iu8 v39, v48, v139, v39 neg_lo:[1,1,0]
	v_perm_b32 v140, v147, v140, 0x7030c0c
	v_lshlrev_b32_e32 v147, 16, v74
	v_or_b32_e32 v64, v65, v64
	v_perm_b32 v65, v72, v72, 0xc0c0003
	v_dot4_i32_iu8 v70, v46, v68, v148 neg_lo:[1,1,0]
	v_dot4_i32_iu8 v72, v46, v93, v149 neg_lo:[1,1,0]
	v_perm_b32 v147, v150, v147, 0x7030c0c
	v_lshlrev_b32_e32 v150, 16, v42
	v_perm_b32 v42, v42, v42, 0xc0c0003
	v_or_b32_e32 v65, v140, v65
	v_dot4_i32_iu8 v17, v48, v68, v17 neg_lo:[1,1,0]
	v_or_b32_e32 v66, v147, v66
	v_perm_b32 v150, v151, v150, 0x7030c0c
	v_dot4_i32_iu8 v46, v48, v37, v152 neg_lo:[1,1,0]
	v_dot4_i32_iu8 v74, v48, v93, v153 neg_lo:[1,1,0]
	;; [unrolled: 1-line block ×4, first 2 shown]
	v_or_b32_e32 v42, v150, v42
	v_dot4_i32_iu8 v140, v50, v93, v155 neg_lo:[1,1,0]
	v_dot4_i32_iu8 v50, v50, v139, v76 neg_lo:[1,1,0]
	;; [unrolled: 1-line block ×18, first 2 shown]
	v_lshlrev_b32_e32 v63, 16, v55
	v_lshlrev_b32_e32 v93, 8, v55
	;; [unrolled: 1-line block ×14, first 2 shown]
	v_perm_b32 v55, v55, v55, 0xc0c0003
	v_perm_b32 v79, v79, v79, 0xc0c0003
	;; [unrolled: 1-line block ×14, first 2 shown]
	v_or_b32_e32 v55, v63, v55
	v_or_b32_e32 v63, v93, v79
	;; [unrolled: 1-line block ×7, first 2 shown]
	v_perm_b32 v145, v22, v22, 0x2010003
	v_perm_b32 v146, v244, v244, 0x2010003
	s_wait_dscnt 0x1
	v_perm_b32 v150, v250, v250, 0x2010003
	v_lshlrev_b32_e32 v151, 16, v73
	v_lshlrev_b32_e32 v152, 8, v73
	v_dot4_i32_iu8 v70, v55, v145, v70 neg_lo:[1,1,0]
	v_dot4_i32_iu8 v72, v55, v146, v72 neg_lo:[1,1,0]
	;; [unrolled: 1-line block ×3, first 2 shown]
	v_perm_b32 v55, v44, v44, 0x2010003
	v_dot4_i32_iu8 v17, v63, v145, v17 neg_lo:[1,1,0]
	v_dot4_i32_iu8 v74, v63, v146, v74 neg_lo:[1,1,0]
	;; [unrolled: 1-line block ×19, first 2 shown]
	v_perm_b32 v68, v49, v231, 0x7030c0c
	v_lshlrev_b32_e32 v49, 24, v49
	v_dot4_i32_iu8 v65, v139, v145, v65 neg_lo:[1,1,0]
	v_dot4_i32_iu8 v141, v139, v146, v149 neg_lo:[1,1,0]
	;; [unrolled: 1-line block ×3, first 2 shown]
	v_perm_b32 v139, v47, v230, 0x7030c0c
	v_lshlrev_b32_e32 v47, 24, v47
	v_perm_b32 v157, v229, v49, 0xc0c0703
	v_dot4_i32_iu8 v66, v143, v145, v66 neg_lo:[1,1,0]
	v_dot4_i32_iu8 v42, v143, v150, v42 neg_lo:[1,1,0]
	v_lshlrev_b32_e32 v142, 16, v51
	v_lshlrev_b32_e32 v143, 8, v51
	v_or_b32_e32 v68, v68, v157
	v_perm_b32 v157, v228, v47, 0xc0c0703
	v_lshlrev_b32_e32 v145, 16, v67
	v_lshlrev_b32_e32 v146, 8, v67
	;; [unrolled: 1-line block ×10, first 2 shown]
	v_or_b32_e32 v139, v139, v157
	v_dot4_i32_iu8 v54, v68, v244, v54 neg_lo:[1,1,0]
	v_dot4_i32_iu8 v127, v68, v250, v127 neg_lo:[1,1,0]
	;; [unrolled: 1-line block ×3, first 2 shown]
	v_perm_b32 v51, v51, v51, 0xc0c0003
	v_perm_b32 v67, v67, v67, 0xc0c0003
	;; [unrolled: 1-line block ×7, first 2 shown]
	v_dot4_i32_iu8 v54, v139, v245, v54 neg_lo:[1,1,0]
	v_dot4_i32_iu8 v127, v139, v251, v127 neg_lo:[1,1,0]
	v_dot4_i32_iu8 v68, v139, v45, v35 neg_lo:[1,1,0]
	v_perm_b32 v35, v45, v45, 0x2010003
	v_perm_b32 v44, v143, v142, 0x7030c0c
	;; [unrolled: 1-line block ×10, first 2 shown]
	v_or_b32_e32 v44, v44, v51
	v_or_b32_e32 v45, v45, v67
	;; [unrolled: 1-line block ×7, first 2 shown]
	v_perm_b32 v73, v23, v23, 0x2010003
	v_dot4_i32_iu8 v72, v44, v157, v72 neg_lo:[1,1,0]
	v_dot4_i32_iu8 v0, v44, v158, v0 neg_lo:[1,1,0]
	;; [unrolled: 1-line block ×27, first 2 shown]
	v_lshlrev_b32_e32 v43, 16, v38
	v_lshlrev_b32_e32 v55, 8, v38
	;; [unrolled: 1-line block ×10, first 2 shown]
	v_perm_b32 v38, v38, v38, 0xc0c0003
	v_perm_b32 v52, v52, v52, 0xc0c0003
	;; [unrolled: 1-line block ×3, first 2 shown]
	v_lshlrev_b32_e32 v139, 16, v58
	v_lshlrev_b32_e32 v140, 8, v58
	v_perm_b32 v60, v60, v60, 0xc0c0003
	v_lshlrev_b32_e32 v143, 16, v62
	v_lshlrev_b32_e32 v145, 8, v62
	v_perm_b32 v43, v55, v43, 0x7030c0c
	v_perm_b32 v55, v73, v71, 0x7030c0c
	;; [unrolled: 1-line block ×10, first 2 shown]
	v_or_b32_e32 v38, v43, v38
	v_or_b32_e32 v43, v71, v52
	;; [unrolled: 1-line block ×4, first 2 shown]
	v_perm_b32 v60, v24, v24, 0x2010003
	v_or_b32_e32 v40, v55, v40
	v_or_b32_e32 v55, v77, v58
	;; [unrolled: 1-line block ×3, first 2 shown]
	s_wait_dscnt 0x0
	v_perm_b32 v139, v253, v253, 0x2010003
	v_dot4_i32_iu8 v62, v38, v60, v70 neg_lo:[1,1,0]
	v_perm_b32 v70, v246, v246, 0x2010003
	v_dot4_i32_iu8 v17, v40, v60, v17 neg_lo:[1,1,0]
	v_dot4_i32_iu8 v79, v43, v60, v41 neg_lo:[1,1,0]
	;; [unrolled: 1-line block ×3, first 2 shown]
	v_perm_b32 v21, v23, v22, 0xc0c0400
	v_dot4_i32_iu8 v71, v38, v70, v72 neg_lo:[1,1,0]
	v_perm_b32 v72, v252, v252, 0x2010003
	v_dot4_i32_iu8 v77, v40, v70, v46 neg_lo:[1,1,0]
	v_dot4_i32_iu8 v48, v43, v70, v48 neg_lo:[1,1,0]
	;; [unrolled: 1-line block ×3, first 2 shown]
	v_perm_b32 v22, v25, v24, 0x4000c0c
	v_dot4_i32_iu8 v0, v38, v72, v0 neg_lo:[1,1,0]
	v_perm_b32 v38, v32, v32, 0x2010003
	v_dot4_i32_iu8 v78, v40, v72, v39 neg_lo:[1,1,0]
	v_dot4_i32_iu8 v50, v43, v72, v50 neg_lo:[1,1,0]
	v_perm_b32 v23, v92, v103, 0x7030c0c
	v_or_b32_e32 v21, v22, v21
	v_dot4_i32_iu8 v63, v52, v38, v63 neg_lo:[1,1,0]
	v_dot4_i32_iu8 v52, v52, v72, v57 neg_lo:[1,1,0]
	;; [unrolled: 1-line block ×11, first 2 shown]
	v_lshlrev_b32_e32 v70, 24, v36
	v_dot4_i32_iu8 v56, v56, v72, v61 neg_lo:[1,1,0]
	v_dot4_i32_iu8 v61, v58, v38, v35 neg_lo:[1,1,0]
	v_perm_b32 v35, v36, v225, 0x7030c0c
	v_lshlrev_b32_e32 v75, 24, v29
	v_perm_b32 v36, v227, v70, 0xc0c0703
	v_dot4_i32_iu8 v58, v58, v72, v42 neg_lo:[1,1,0]
	v_perm_b32 v29, v29, v224, 0x7030c0c
	v_dot4_i32_iu8 v73, v40, v38, v44 neg_lo:[1,1,0]
	v_dot4_i32_iu8 v93, v43, v38, v45 neg_lo:[1,1,0]
	v_or_b32_e32 v72, v35, v36
	v_perm_b32 v35, v226, v75, 0xc0c0703
	v_lshlrev_b32_e32 v36, 8, v31
	v_perm_b32 v76, v247, v247, 0x2010003
	v_perm_b32 v22, v47, v49, 0xc0c0703
	;; [unrolled: 1-line block ×3, first 2 shown]
	v_or_b32_e32 v29, v29, v35
	v_dot4_i32_iu8 v35, v72, v246, v54 neg_lo:[1,1,0]
	v_or_b32_e32 v23, v23, v28
	s_delay_alu instid0(VALU_DEP_4) | instskip(SKIP_1) | instid1(VALU_DEP_4)
	v_or_b32_e32 v22, v24, v22
	v_add_nc_u32_e32 v24, v218, v211
	v_dot4_i32_iu8 v54, v29, v247, v35 neg_lo:[1,1,0]
	v_dot4_i32_iu8 v35, v72, v252, v127 neg_lo:[1,1,0]
	;; [unrolled: 1-line block ×3, first 2 shown]
	s_delay_alu instid0(VALU_DEP_2) | instskip(SKIP_1) | instid1(VALU_DEP_3)
	v_dot4_i32_iu8 v127, v29, v253, v35 neg_lo:[1,1,0]
	v_lshlrev_b32_e32 v35, 16, v31
	v_dot4_i32_iu8 v20, v22, v21, v20 neg_lo:[1,1,0]
	v_add3_u32 v21, v219, v212, v220
	v_add3_u32 v22, v213, v214, v221
	s_delay_alu instid0(VALU_DEP_4) | instskip(SKIP_4) | instid1(VALU_DEP_1)
	v_perm_b32 v140, v36, v35, 0x7030c0c
	v_add_nc_u32_e32 v35, 0x800, v174
	v_add3_u32 v20, v20, v217, v24
	ds_load_2addr_b32 v[35:36], v35 offset1:7
	v_cvt_f32_i32_e32 v20, v20
	v_fmac_f32_e32 v94, v202, v20
	s_wait_dscnt 0x0
	v_lshlrev_b32_e32 v37, 16, v36
	v_lshlrev_b32_e32 v38, 8, v36
	v_perm_b32 v36, v36, v36, 0xc0c0003
	s_delay_alu instid0(VALU_DEP_2) | instskip(SKIP_1) | instid1(VALU_DEP_2)
	v_perm_b32 v141, v38, v37, 0x7030c0c
	v_add_nc_u32_e32 v37, 0xc00, v174
	v_or_b32_e32 v36, v141, v36
	ds_load_2addr_b32 v[37:38], v37 offset1:7
	v_perm_b32 v141, v25, v25, 0x2010003
	v_dot4_i32_iu8 v77, v36, v76, v77 neg_lo:[1,1,0]
	s_delay_alu instid0(VALU_DEP_2) | instskip(NEXT) | instid1(VALU_DEP_1)
	v_dot4_i32_iu8 v17, v36, v141, v17 neg_lo:[1,1,0]
	v_dot4_i32_iu8 v17, v26, v35, v17 neg_lo:[1,1,0]
	s_wait_dscnt 0x0
	v_lshlrev_b32_e32 v39, 16, v38
	v_lshlrev_b32_e32 v40, 8, v38
	v_perm_b32 v38, v38, v38, 0xc0c0003
	s_delay_alu instid0(VALU_DEP_2) | instskip(SKIP_1) | instid1(VALU_DEP_2)
	v_perm_b32 v142, v40, v39, 0x7030c0c
	v_add_nc_u32_e32 v39, 0x1000, v174
	v_or_b32_e32 v38, v142, v38
	ds_load_2addr_b32 v[39:40], v39 offset1:7
	v_dot4_i32_iu8 v48, v38, v76, v48 neg_lo:[1,1,0]
	s_delay_alu instid0(VALU_DEP_1) | instskip(SKIP_4) | instid1(VALU_DEP_2)
	v_dot4_i32_iu8 v48, v37, v53, v48 neg_lo:[1,1,0]
	s_wait_dscnt 0x0
	v_lshlrev_b32_e32 v41, 16, v40
	v_lshlrev_b32_e32 v42, 8, v40
	v_perm_b32 v40, v40, v40, 0xc0c0003
	v_perm_b32 v143, v42, v41, 0x7030c0c
	v_add_nc_u32_e32 v41, 0x1400, v174
	s_delay_alu instid0(VALU_DEP_2)
	v_or_b32_e32 v40, v143, v40
	ds_load_2addr_b32 v[41:42], v41 offset1:7
	s_wait_dscnt 0x0
	v_lshlrev_b32_e32 v43, 16, v42
	v_lshlrev_b32_e32 v44, 8, v42
	v_perm_b32 v42, v42, v42, 0xc0c0003
	s_delay_alu instid0(VALU_DEP_2) | instskip(SKIP_1) | instid1(VALU_DEP_2)
	v_perm_b32 v145, v44, v43, 0x7030c0c
	v_add_nc_u32_e32 v43, 0x1800, v174
	v_or_b32_e32 v42, v145, v42
	ds_load_2addr_b32 v[43:44], v43 offset1:7
	s_wait_dscnt 0x0
	v_lshlrev_b32_e32 v45, 16, v44
	v_lshlrev_b32_e32 v46, 8, v44
	v_perm_b32 v44, v44, v44, 0xc0c0003
	s_delay_alu instid0(VALU_DEP_2) | instskip(SKIP_2) | instid1(VALU_DEP_3)
	v_perm_b32 v146, v46, v45, 0x7030c0c
	v_add_nc_u32_e32 v45, 0x1c00, v174
	v_add_nc_u32_e32 v174, 32, v174
	v_or_b32_e32 v44, v146, v44
	ds_load_2addr_b32 v[45:46], v45 offset1:7
	s_wait_dscnt 0x0
	v_lshlrev_b32_e32 v147, 16, v46
	v_lshlrev_b32_e32 v148, 8, v46
	v_perm_b32 v46, v46, v46, 0xc0c0003
	s_delay_alu instid0(VALU_DEP_2) | instskip(SKIP_2) | instid1(VALU_DEP_3)
	v_perm_b32 v147, v148, v147, 0x7030c0c
	v_perm_b32 v148, v31, v31, 0xc0c0003
	v_bfe_i32 v31, v31, 16, 8
	v_or_b32_e32 v46, v147, v46
	s_delay_alu instid0(VALU_DEP_3) | instskip(NEXT) | instid1(VALU_DEP_1)
	v_or_b32_e32 v140, v140, v148
	v_dot4_i32_iu8 v0, v140, v139, v0 neg_lo:[1,1,0]
	v_dot4_i32_iu8 v62, v140, v141, v62 neg_lo:[1,1,0]
	v_dot4_i32_iu8 v71, v140, v76, v71 neg_lo:[1,1,0]
	v_perm_b32 v140, v33, v33, 0x2010003
	s_delay_alu instid0(VALU_DEP_4) | instskip(NEXT) | instid1(VALU_DEP_2)
	v_dot4_i32_iu8 v0, v30, v240, v0 neg_lo:[1,1,0]
	v_dot4_i32_iu8 v73, v36, v140, v73 neg_lo:[1,1,0]
	;; [unrolled: 1-line block ×3, first 2 shown]
	s_delay_alu instid0(VALU_DEP_3)
	v_cvt_f32_i32_e32 v0, v0
	v_dot4_i32_iu8 v78, v38, v141, v79 neg_lo:[1,1,0]
	v_dot4_i32_iu8 v79, v38, v140, v93 neg_lo:[1,1,0]
	;; [unrolled: 1-line block ×20, first 2 shown]
	v_fmac_f32_e32 v118, v195, v0
	v_cvt_f32_i32_e32 v0, v17
	v_dot4_i32_iu8 v66, v35, v53, v77 neg_lo:[1,1,0]
	v_dot4_i32_iu8 v35, v35, v240, v36 neg_lo:[1,1,0]
	v_dot4_i32_iu8 v36, v26, v37, v78 neg_lo:[1,1,0]
	v_dot4_i32_iu8 v67, v34, v37, v79 neg_lo:[1,1,0]
	v_fmac_f32_e32 v117, v196, v0
	v_cvt_f32_i32_e32 v0, v58
	v_dot4_i32_iu8 v37, v37, v240, v38 neg_lo:[1,1,0]
	v_dot4_i32_iu8 v38, v26, v39, v50 neg_lo:[1,1,0]
	v_dot4_i32_iu8 v50, v34, v39, v51 neg_lo:[1,1,0]
	v_dot4_i32_iu8 v51, v39, v53, v63 neg_lo:[1,1,0]
	;; [unrolled: 6-line block ×6, first 2 shown]
	v_fmac_f32_e32 v102, v190, v0
	v_cvt_f32_i32_e32 v0, v48
	v_dot4_i32_iu8 v29, v29, v33, v30 neg_lo:[1,1,0]
	v_bfe_i32 v30, v33, 16, 8
	v_cvt_f32_i32_e32 v17, v45
	s_delay_alu instid0(VALU_DEP_4) | instskip(SKIP_1) | instid1(VALU_DEP_4)
	v_fmac_f32_e32 v100, v189, v0
	v_cvt_f32_i32_e32 v0, v37
	v_mul_i32_i24_e32 v30, v31, v30
	s_delay_alu instid0(VALU_DEP_2) | instskip(SKIP_1) | instid1(VALU_DEP_3)
	v_dual_fmac_f32 v80, v209, v17 :: v_dual_fmac_f32 v99, v187, v0
	v_cvt_f32_i32_e32 v0, v38
	v_add3_u32 v30, v215, v216, v30
	s_delay_alu instid0(VALU_DEP_2) | instskip(SKIP_1) | instid1(VALU_DEP_3)
	v_fmac_f32_e32 v98, v188, v0
	v_cvt_f32_i32_e32 v0, v50
	v_add3_u32 v23, v222, v223, v30
	s_delay_alu instid0(VALU_DEP_2) | instskip(SKIP_1) | instid1(VALU_DEP_3)
	v_fmac_f32_e32 v97, v186, v0
	;; [unrolled: 4-line block ×3, first 2 shown]
	v_cvt_f32_i32_e32 v0, v39
	v_cvt_f32_i32_e32 v20, v21
	s_delay_alu instid0(VALU_DEP_2) | instskip(SKIP_1) | instid1(VALU_DEP_3)
	v_fmac_f32_e32 v95, v184, v0
	v_cvt_f32_i32_e32 v0, v40
	v_fmac_f32_e32 v121, v205, v20
	v_cvt_f32_i32_e32 v20, v54
	s_delay_alu instid0(VALU_DEP_3) | instskip(SKIP_1) | instid1(VALU_DEP_3)
	v_fmac_f32_e32 v91, v183, v0
	v_cvt_f32_i32_e32 v0, v52
	v_fmac_f32_e32 v128, v201, v20
	v_cvt_f32_i32_e32 v20, v127
	s_delay_alu instid0(VALU_DEP_3) | instskip(SKIP_1) | instid1(VALU_DEP_3)
	;; [unrolled: 5-line block ×5, first 2 shown]
	v_fmac_f32_e32 v87, v180, v0
	v_cvt_f32_i32_e32 v0, v55
	v_fmac_f32_e32 v119, v198, v20
	s_delay_alu instid0(VALU_DEP_2) | instskip(SKIP_1) | instid1(VALU_DEP_1)
	v_fmac_f32_e32 v86, v204, v0
	v_cvt_f32_i32_e32 v0, v59
	v_fmac_f32_e32 v85, v208, v0
	v_cvt_f32_i32_e32 v0, v43
	s_delay_alu instid0(VALU_DEP_1) | instskip(SKIP_1) | instid1(VALU_DEP_1)
	v_fmac_f32_e32 v84, v210, v0
	v_cvt_f32_i32_e32 v0, v26
	v_fmac_f32_e32 v83, v203, v0
	v_cvt_f32_i32_e32 v0, v34
	s_delay_alu instid0(VALU_DEP_1) | instskip(SKIP_1) | instid1(VALU_DEP_1)
	v_fmac_f32_e32 v82, v207, v0
	v_cvt_f32_i32_e32 v0, v53
	v_fmac_f32_e32 v81, v206, v0
	s_cbranch_scc1 .LBB122_11
; %bb.12:                               ;   in Loop: Header=BB122_6 Depth=1
	s_wait_loadcnt 0x0
	s_barrier_signal -1
	s_barrier_wait -1
	global_inv scope:SCOPE_SE
	s_branch .LBB122_5
.LBB122_13:
	s_clause 0x2
	scratch_load_b32 v1, off, off offset:120 th:TH_LOAD_LU
	scratch_load_b32 v2, off, off offset:56 th:TH_LOAD_LU
	scratch_load_b32 v3, off, off offset:124
.LBB122_14:
	s_mov_b32 s0, exec_lo
	s_wait_loadcnt 0x0
	v_cmpx_gt_u32_e64 s6, v3
	s_cbranch_execz .LBB122_65
; %bb.15:
	v_add_nc_u32_e32 v0, s14, v2
	v_mul_lo_u32 v5, v3, s12
	s_delay_alu instid0(VALU_DEP_2)
	v_cmp_gt_u32_e32 vcc_lo, s12, v0
	s_and_saveexec_b32 s1, vcc_lo
	s_cbranch_execz .LBB122_17
; %bb.16:
	s_delay_alu instid0(VALU_DEP_2) | instskip(NEXT) | instid1(VALU_DEP_1)
	v_dual_mov_b32 v3, 0 :: v_dual_add_nc_u32 v2, v0, v5
	v_lshlrev_b64_e32 v[2:3], 2, v[2:3]
	s_wait_kmcnt 0x0
	s_delay_alu instid0(VALU_DEP_1) | instskip(NEXT) | instid1(VALU_DEP_1)
	v_add_co_u32 v2, s0, s8, v2
	v_add_co_ci_u32_e64 v3, null, s9, v3, s0
	global_store_b32 v[2:3], v94, off
.LBB122_17:
	s_or_b32 exec_lo, exec_lo, s1
	v_add_nc_u32_e32 v2, 32, v0
	s_delay_alu instid0(VALU_DEP_1)
	v_cmp_gt_u32_e64 s0, s12, v2
	s_and_saveexec_b32 s2, s0
	s_cbranch_execz .LBB122_19
; %bb.18:
	v_dual_mov_b32 v4, 0 :: v_dual_add_nc_u32 v3, v2, v5
	s_delay_alu instid0(VALU_DEP_1) | instskip(SKIP_1) | instid1(VALU_DEP_1)
	v_lshlrev_b64_e32 v[3:4], 2, v[3:4]
	s_wait_kmcnt 0x0
	v_add_co_u32 v3, s1, s8, v3
	s_wait_alu 0xf1ff
	s_delay_alu instid0(VALU_DEP_2)
	v_add_co_ci_u32_e64 v4, null, s9, v4, s1
	global_store_b32 v[3:4], v131, off
.LBB122_19:
	s_wait_alu 0xfffe
	s_or_b32 exec_lo, exec_lo, s2
	v_add_nc_u32_e32 v3, 64, v0
	s_delay_alu instid0(VALU_DEP_1)
	v_cmp_gt_u32_e64 s1, s12, v3
	s_and_saveexec_b32 s3, s1
	s_cbranch_execz .LBB122_21
; %bb.20:
	v_dual_mov_b32 v7, 0 :: v_dual_add_nc_u32 v6, v3, v5
	s_delay_alu instid0(VALU_DEP_1) | instskip(SKIP_1) | instid1(VALU_DEP_1)
	v_lshlrev_b64_e32 v[6:7], 2, v[6:7]
	s_wait_kmcnt 0x0
	v_add_co_u32 v6, s2, s8, v6
	s_wait_alu 0xf1ff
	s_delay_alu instid0(VALU_DEP_2)
	v_add_co_ci_u32_e64 v7, null, s9, v7, s2
	global_store_b32 v[6:7], v128, off
.LBB122_21:
	s_wait_alu 0xfffe
	;; [unrolled: 18-line block ×3, first 2 shown]
	s_or_b32 exec_lo, exec_lo, s4
	v_add3_u32 v5, v1, s13, 8
	s_delay_alu instid0(VALU_DEP_1)
	v_cmp_gt_u32_e64 s3, s6, v5
	s_and_b32 exec_lo, exec_lo, s3
	s_cbranch_execz .LBB122_65
; %bb.24:
	v_mul_lo_u32 v5, v5, s12
	s_and_saveexec_b32 s4, vcc_lo
	s_cbranch_execnz .LBB122_66
; %bb.25:
	s_wait_alu 0xfffe
	s_or_b32 exec_lo, exec_lo, s4
	s_and_saveexec_b32 s4, s0
	s_cbranch_execnz .LBB122_67
.LBB122_26:
	s_wait_alu 0xfffe
	s_or_b32 exec_lo, exec_lo, s4
	s_and_saveexec_b32 s4, s1
	s_cbranch_execnz .LBB122_68
.LBB122_27:
	s_wait_alu 0xfffe
	s_or_b32 exec_lo, exec_lo, s4
	s_and_saveexec_b32 s4, s2
	s_cbranch_execz .LBB122_29
.LBB122_28:
	v_dual_mov_b32 v6, 0 :: v_dual_add_nc_u32 v5, v5, v4
	s_delay_alu instid0(VALU_DEP_1) | instskip(SKIP_1) | instid1(VALU_DEP_1)
	v_lshlrev_b64_e32 v[5:6], 2, v[5:6]
	s_wait_kmcnt 0x0
	v_add_co_u32 v5, s3, s8, v5
	s_wait_alu 0xf1ff
	s_delay_alu instid0(VALU_DEP_2)
	v_add_co_ci_u32_e64 v6, null, s9, v6, s3
	global_store_b32 v[5:6], v118, off
.LBB122_29:
	s_wait_alu 0xfffe
	s_or_b32 exec_lo, exec_lo, s4
	v_add3_u32 v5, v1, s13, 16
	s_delay_alu instid0(VALU_DEP_1)
	v_cmp_gt_u32_e64 s3, s6, v5
	s_and_b32 exec_lo, exec_lo, s3
	s_cbranch_execz .LBB122_65
; %bb.30:
	v_mul_lo_u32 v5, v5, s12
	s_and_saveexec_b32 s4, vcc_lo
	s_cbranch_execnz .LBB122_69
; %bb.31:
	s_wait_alu 0xfffe
	s_or_b32 exec_lo, exec_lo, s4
	s_and_saveexec_b32 s4, s0
	s_cbranch_execnz .LBB122_70
.LBB122_32:
	s_wait_alu 0xfffe
	s_or_b32 exec_lo, exec_lo, s4
	s_and_saveexec_b32 s4, s1
	s_cbranch_execnz .LBB122_71
.LBB122_33:
	s_wait_alu 0xfffe
	s_or_b32 exec_lo, exec_lo, s4
	s_and_saveexec_b32 s4, s2
	s_cbranch_execz .LBB122_35
.LBB122_34:
	v_dual_mov_b32 v6, 0 :: v_dual_add_nc_u32 v5, v5, v4
	s_delay_alu instid0(VALU_DEP_1) | instskip(SKIP_1) | instid1(VALU_DEP_1)
	v_lshlrev_b64_e32 v[5:6], 2, v[5:6]
	s_wait_kmcnt 0x0
	v_add_co_u32 v5, s3, s8, v5
	s_wait_alu 0xf1ff
	s_delay_alu instid0(VALU_DEP_2)
	v_add_co_ci_u32_e64 v6, null, s9, v6, s3
	global_store_b32 v[5:6], v111, off
.LBB122_35:
	s_wait_alu 0xfffe
	s_or_b32 exec_lo, exec_lo, s4
	v_add3_u32 v5, v1, s13, 24
	s_delay_alu instid0(VALU_DEP_1)
	v_cmp_gt_u32_e64 s3, s6, v5
	s_and_b32 exec_lo, exec_lo, s3
	s_cbranch_execz .LBB122_65
; %bb.36:
	v_mul_lo_u32 v5, v5, s12
	s_and_saveexec_b32 s4, vcc_lo
	s_cbranch_execnz .LBB122_72
; %bb.37:
	s_wait_alu 0xfffe
	s_or_b32 exec_lo, exec_lo, s4
	s_and_saveexec_b32 s4, s0
	s_cbranch_execnz .LBB122_73
.LBB122_38:
	s_wait_alu 0xfffe
	s_or_b32 exec_lo, exec_lo, s4
	s_and_saveexec_b32 s4, s1
	s_cbranch_execnz .LBB122_74
.LBB122_39:
	s_wait_alu 0xfffe
	s_or_b32 exec_lo, exec_lo, s4
	s_and_saveexec_b32 s4, s2
	s_cbranch_execz .LBB122_41
.LBB122_40:
	v_dual_mov_b32 v6, 0 :: v_dual_add_nc_u32 v5, v5, v4
	s_delay_alu instid0(VALU_DEP_1) | instskip(SKIP_1) | instid1(VALU_DEP_1)
	v_lshlrev_b64_e32 v[5:6], 2, v[5:6]
	s_wait_kmcnt 0x0
	v_add_co_u32 v5, s3, s8, v5
	s_wait_alu 0xf1ff
	s_delay_alu instid0(VALU_DEP_2)
	v_add_co_ci_u32_e64 v6, null, s9, v6, s3
	global_store_b32 v[5:6], v99, off
.LBB122_41:
	s_wait_alu 0xfffe
	s_or_b32 exec_lo, exec_lo, s4
	v_add3_u32 v5, v1, s13, 32
	s_delay_alu instid0(VALU_DEP_1)
	v_cmp_gt_u32_e64 s3, s6, v5
	s_and_b32 exec_lo, exec_lo, s3
	s_cbranch_execz .LBB122_65
; %bb.42:
	v_mul_lo_u32 v5, v5, s12
	s_and_saveexec_b32 s4, vcc_lo
	s_cbranch_execnz .LBB122_75
; %bb.43:
	s_wait_alu 0xfffe
	s_or_b32 exec_lo, exec_lo, s4
	s_and_saveexec_b32 s4, s0
	s_cbranch_execnz .LBB122_76
.LBB122_44:
	s_wait_alu 0xfffe
	s_or_b32 exec_lo, exec_lo, s4
	s_and_saveexec_b32 s4, s1
	s_cbranch_execnz .LBB122_77
.LBB122_45:
	s_wait_alu 0xfffe
	s_or_b32 exec_lo, exec_lo, s4
	s_and_saveexec_b32 s4, s2
	s_cbranch_execz .LBB122_47
.LBB122_46:
	v_dual_mov_b32 v6, 0 :: v_dual_add_nc_u32 v5, v5, v4
	s_delay_alu instid0(VALU_DEP_1) | instskip(SKIP_1) | instid1(VALU_DEP_1)
	v_lshlrev_b64_e32 v[5:6], 2, v[5:6]
	s_wait_kmcnt 0x0
	v_add_co_u32 v5, s3, s8, v5
	s_wait_alu 0xf1ff
	s_delay_alu instid0(VALU_DEP_2)
	v_add_co_ci_u32_e64 v6, null, s9, v6, s3
	global_store_b32 v[5:6], v95, off
.LBB122_47:
	s_wait_alu 0xfffe
	s_or_b32 exec_lo, exec_lo, s4
	v_add3_u32 v5, v1, s13, 40
	s_delay_alu instid0(VALU_DEP_1)
	v_cmp_gt_u32_e64 s3, s6, v5
	s_and_b32 exec_lo, exec_lo, s3
	s_cbranch_execz .LBB122_65
; %bb.48:
	v_mul_lo_u32 v5, v5, s12
	s_and_saveexec_b32 s4, vcc_lo
	s_cbranch_execnz .LBB122_78
; %bb.49:
	s_wait_alu 0xfffe
	s_or_b32 exec_lo, exec_lo, s4
	s_and_saveexec_b32 s4, s0
	s_cbranch_execnz .LBB122_79
.LBB122_50:
	s_wait_alu 0xfffe
	s_or_b32 exec_lo, exec_lo, s4
	s_and_saveexec_b32 s4, s1
	s_cbranch_execnz .LBB122_80
.LBB122_51:
	s_wait_alu 0xfffe
	s_or_b32 exec_lo, exec_lo, s4
	s_and_saveexec_b32 s4, s2
	s_cbranch_execz .LBB122_53
.LBB122_52:
	v_dual_mov_b32 v6, 0 :: v_dual_add_nc_u32 v5, v5, v4
	s_delay_alu instid0(VALU_DEP_1) | instskip(SKIP_1) | instid1(VALU_DEP_1)
	v_lshlrev_b64_e32 v[5:6], 2, v[5:6]
	s_wait_kmcnt 0x0
	v_add_co_u32 v5, s3, s8, v5
	s_wait_alu 0xf1ff
	s_delay_alu instid0(VALU_DEP_2)
	v_add_co_ci_u32_e64 v6, null, s9, v6, s3
	global_store_b32 v[5:6], v88, off
.LBB122_53:
	s_wait_alu 0xfffe
	s_or_b32 exec_lo, exec_lo, s4
	v_add3_u32 v5, v1, s13, 48
	s_delay_alu instid0(VALU_DEP_1)
	v_cmp_gt_u32_e64 s3, s6, v5
	s_and_b32 exec_lo, exec_lo, s3
	s_cbranch_execz .LBB122_65
; %bb.54:
	v_mul_lo_u32 v5, v5, s12
	s_and_saveexec_b32 s4, vcc_lo
	s_cbranch_execnz .LBB122_81
; %bb.55:
	s_wait_alu 0xfffe
	s_or_b32 exec_lo, exec_lo, s4
	s_and_saveexec_b32 s4, s0
	s_cbranch_execnz .LBB122_82
.LBB122_56:
	s_wait_alu 0xfffe
	s_or_b32 exec_lo, exec_lo, s4
	s_and_saveexec_b32 s4, s1
	s_cbranch_execnz .LBB122_83
.LBB122_57:
	s_wait_alu 0xfffe
	s_or_b32 exec_lo, exec_lo, s4
	s_and_saveexec_b32 s4, s2
	s_cbranch_execz .LBB122_59
.LBB122_58:
	v_dual_mov_b32 v6, 0 :: v_dual_add_nc_u32 v5, v5, v4
	s_delay_alu instid0(VALU_DEP_1) | instskip(SKIP_1) | instid1(VALU_DEP_1)
	v_lshlrev_b64_e32 v[5:6], 2, v[5:6]
	s_wait_kmcnt 0x0
	v_add_co_u32 v5, s3, s8, v5
	s_wait_alu 0xf1ff
	s_delay_alu instid0(VALU_DEP_2)
	v_add_co_ci_u32_e64 v6, null, s9, v6, s3
	global_store_b32 v[5:6], v84, off
.LBB122_59:
	s_wait_alu 0xfffe
	s_or_b32 exec_lo, exec_lo, s4
	v_add3_u32 v1, v1, s13, 56
	s_delay_alu instid0(VALU_DEP_1)
	v_cmp_gt_u32_e64 s3, s6, v1
	s_and_b32 exec_lo, exec_lo, s3
	s_cbranch_execz .LBB122_65
; %bb.60:
	v_mul_lo_u32 v1, v1, s12
	s_and_saveexec_b32 s3, vcc_lo
	s_cbranch_execnz .LBB122_84
; %bb.61:
	s_wait_alu 0xfffe
	s_or_b32 exec_lo, exec_lo, s3
	s_and_saveexec_b32 s3, s0
	s_cbranch_execnz .LBB122_85
.LBB122_62:
	s_wait_alu 0xfffe
	s_or_b32 exec_lo, exec_lo, s3
	s_and_saveexec_b32 s0, s1
	s_cbranch_execnz .LBB122_86
.LBB122_63:
	s_wait_alu 0xfffe
	s_or_b32 exec_lo, exec_lo, s0
	s_delay_alu instid0(SALU_CYCLE_1)
	s_and_b32 exec_lo, exec_lo, s2
	s_cbranch_execz .LBB122_65
.LBB122_64:
	v_dual_mov_b32 v1, 0 :: v_dual_add_nc_u32 v0, v1, v4
	s_delay_alu instid0(VALU_DEP_1) | instskip(SKIP_1) | instid1(VALU_DEP_1)
	v_lshlrev_b64_e32 v[0:1], 2, v[0:1]
	s_wait_kmcnt 0x0
	v_add_co_u32 v0, vcc_lo, s8, v0
	s_wait_alu 0xfffd
	s_delay_alu instid0(VALU_DEP_2)
	v_add_co_ci_u32_e64 v1, null, s9, v1, vcc_lo
	global_store_b32 v[0:1], v80, off
.LBB122_65:
	s_nop 0
	s_sendmsg sendmsg(MSG_DEALLOC_VGPRS)
	s_endpgm
.LBB122_66:
	s_delay_alu instid0(VALU_DEP_1) | instskip(NEXT) | instid1(VALU_DEP_1)
	v_dual_mov_b32 v7, 0 :: v_dual_add_nc_u32 v6, v5, v0
	v_lshlrev_b64_e32 v[6:7], 2, v[6:7]
	s_wait_kmcnt 0x0
	s_delay_alu instid0(VALU_DEP_1) | instskip(SKIP_1) | instid1(VALU_DEP_2)
	v_add_co_u32 v6, s3, s8, v6
	s_wait_alu 0xf1ff
	v_add_co_ci_u32_e64 v7, null, s9, v7, s3
	global_store_b32 v[6:7], v122, off
	s_wait_alu 0xfffe
	s_or_b32 exec_lo, exec_lo, s4
	s_and_saveexec_b32 s4, s0
	s_cbranch_execz .LBB122_26
.LBB122_67:
	s_delay_alu instid0(VALU_DEP_1) | instskip(NEXT) | instid1(VALU_DEP_1)
	v_dual_mov_b32 v7, 0 :: v_dual_add_nc_u32 v6, v5, v2
	v_lshlrev_b64_e32 v[6:7], 2, v[6:7]
	s_wait_kmcnt 0x0
	s_delay_alu instid0(VALU_DEP_1) | instskip(SKIP_1) | instid1(VALU_DEP_2)
	v_add_co_u32 v6, s3, s8, v6
	s_wait_alu 0xf1ff
	v_add_co_ci_u32_e64 v7, null, s9, v7, s3
	global_store_b32 v[6:7], v121, off
	s_wait_alu 0xfffe
	s_or_b32 exec_lo, exec_lo, s4
	s_and_saveexec_b32 s4, s1
	s_cbranch_execz .LBB122_27
.LBB122_68:
	v_dual_mov_b32 v7, 0 :: v_dual_add_nc_u32 v6, v5, v3
	s_delay_alu instid0(VALU_DEP_1) | instskip(SKIP_1) | instid1(VALU_DEP_1)
	v_lshlrev_b64_e32 v[6:7], 2, v[6:7]
	s_wait_kmcnt 0x0
	v_add_co_u32 v6, s3, s8, v6
	s_wait_alu 0xf1ff
	s_delay_alu instid0(VALU_DEP_2)
	v_add_co_ci_u32_e64 v7, null, s9, v7, s3
	global_store_b32 v[6:7], v119, off
	s_wait_alu 0xfffe
	s_or_b32 exec_lo, exec_lo, s4
	s_and_saveexec_b32 s4, s2
	s_cbranch_execnz .LBB122_28
	s_branch .LBB122_29
.LBB122_69:
	s_delay_alu instid0(VALU_DEP_1) | instskip(NEXT) | instid1(VALU_DEP_1)
	v_dual_mov_b32 v7, 0 :: v_dual_add_nc_u32 v6, v5, v0
	v_lshlrev_b64_e32 v[6:7], 2, v[6:7]
	s_wait_kmcnt 0x0
	s_delay_alu instid0(VALU_DEP_1) | instskip(SKIP_1) | instid1(VALU_DEP_2)
	v_add_co_u32 v6, s3, s8, v6
	s_wait_alu 0xf1ff
	v_add_co_ci_u32_e64 v7, null, s9, v7, s3
	global_store_b32 v[6:7], v117, off
	s_wait_alu 0xfffe
	s_or_b32 exec_lo, exec_lo, s4
	s_and_saveexec_b32 s4, s0
	s_cbranch_execz .LBB122_32
.LBB122_70:
	s_delay_alu instid0(VALU_DEP_1) | instskip(NEXT) | instid1(VALU_DEP_1)
	v_dual_mov_b32 v7, 0 :: v_dual_add_nc_u32 v6, v5, v2
	v_lshlrev_b64_e32 v[6:7], 2, v[6:7]
	s_wait_kmcnt 0x0
	s_delay_alu instid0(VALU_DEP_1) | instskip(SKIP_1) | instid1(VALU_DEP_2)
	v_add_co_u32 v6, s3, s8, v6
	s_wait_alu 0xf1ff
	v_add_co_ci_u32_e64 v7, null, s9, v7, s3
	global_store_b32 v[6:7], v116, off
	s_wait_alu 0xfffe
	s_or_b32 exec_lo, exec_lo, s4
	s_and_saveexec_b32 s4, s1
	s_cbranch_execz .LBB122_33
.LBB122_71:
	v_dual_mov_b32 v7, 0 :: v_dual_add_nc_u32 v6, v5, v3
	s_delay_alu instid0(VALU_DEP_1) | instskip(SKIP_1) | instid1(VALU_DEP_1)
	v_lshlrev_b64_e32 v[6:7], 2, v[6:7]
	s_wait_kmcnt 0x0
	v_add_co_u32 v6, s3, s8, v6
	s_wait_alu 0xf1ff
	s_delay_alu instid0(VALU_DEP_2)
	v_add_co_ci_u32_e64 v7, null, s9, v7, s3
	global_store_b32 v[6:7], v115, off
	s_wait_alu 0xfffe
	s_or_b32 exec_lo, exec_lo, s4
	s_and_saveexec_b32 s4, s2
	s_cbranch_execnz .LBB122_34
	s_branch .LBB122_35
.LBB122_72:
	s_delay_alu instid0(VALU_DEP_1) | instskip(NEXT) | instid1(VALU_DEP_1)
	v_dual_mov_b32 v7, 0 :: v_dual_add_nc_u32 v6, v5, v0
	v_lshlrev_b64_e32 v[6:7], 2, v[6:7]
	s_wait_kmcnt 0x0
	s_delay_alu instid0(VALU_DEP_1) | instskip(SKIP_1) | instid1(VALU_DEP_2)
	v_add_co_u32 v6, s3, s8, v6
	s_wait_alu 0xf1ff
	v_add_co_ci_u32_e64 v7, null, s9, v7, s3
	global_store_b32 v[6:7], v107, off
	s_wait_alu 0xfffe
	s_or_b32 exec_lo, exec_lo, s4
	s_and_saveexec_b32 s4, s0
	s_cbranch_execz .LBB122_38
.LBB122_73:
	s_delay_alu instid0(VALU_DEP_1) | instskip(NEXT) | instid1(VALU_DEP_1)
	v_dual_mov_b32 v7, 0 :: v_dual_add_nc_u32 v6, v5, v2
	v_lshlrev_b64_e32 v[6:7], 2, v[6:7]
	s_wait_kmcnt 0x0
	s_delay_alu instid0(VALU_DEP_1) | instskip(SKIP_1) | instid1(VALU_DEP_2)
	v_add_co_u32 v6, s3, s8, v6
	s_wait_alu 0xf1ff
	v_add_co_ci_u32_e64 v7, null, s9, v7, s3
	global_store_b32 v[6:7], v102, off
	s_wait_alu 0xfffe
	s_or_b32 exec_lo, exec_lo, s4
	s_and_saveexec_b32 s4, s1
	s_cbranch_execz .LBB122_39
.LBB122_74:
	v_dual_mov_b32 v7, 0 :: v_dual_add_nc_u32 v6, v5, v3
	s_delay_alu instid0(VALU_DEP_1) | instskip(SKIP_1) | instid1(VALU_DEP_1)
	v_lshlrev_b64_e32 v[6:7], 2, v[6:7]
	s_wait_kmcnt 0x0
	v_add_co_u32 v6, s3, s8, v6
	s_wait_alu 0xf1ff
	s_delay_alu instid0(VALU_DEP_2)
	v_add_co_ci_u32_e64 v7, null, s9, v7, s3
	global_store_b32 v[6:7], v100, off
	s_wait_alu 0xfffe
	s_or_b32 exec_lo, exec_lo, s4
	s_and_saveexec_b32 s4, s2
	s_cbranch_execnz .LBB122_40
	s_branch .LBB122_41
.LBB122_75:
	s_delay_alu instid0(VALU_DEP_1) | instskip(NEXT) | instid1(VALU_DEP_1)
	v_dual_mov_b32 v7, 0 :: v_dual_add_nc_u32 v6, v5, v0
	v_lshlrev_b64_e32 v[6:7], 2, v[6:7]
	s_wait_kmcnt 0x0
	s_delay_alu instid0(VALU_DEP_1) | instskip(SKIP_1) | instid1(VALU_DEP_2)
	v_add_co_u32 v6, s3, s8, v6
	s_wait_alu 0xf1ff
	v_add_co_ci_u32_e64 v7, null, s9, v7, s3
	global_store_b32 v[6:7], v98, off
	s_wait_alu 0xfffe
	s_or_b32 exec_lo, exec_lo, s4
	s_and_saveexec_b32 s4, s0
	s_cbranch_execz .LBB122_44
.LBB122_76:
	s_delay_alu instid0(VALU_DEP_1) | instskip(NEXT) | instid1(VALU_DEP_1)
	v_dual_mov_b32 v7, 0 :: v_dual_add_nc_u32 v6, v5, v2
	v_lshlrev_b64_e32 v[6:7], 2, v[6:7]
	s_wait_kmcnt 0x0
	s_delay_alu instid0(VALU_DEP_1) | instskip(SKIP_1) | instid1(VALU_DEP_2)
	v_add_co_u32 v6, s3, s8, v6
	s_wait_alu 0xf1ff
	v_add_co_ci_u32_e64 v7, null, s9, v7, s3
	global_store_b32 v[6:7], v97, off
	s_wait_alu 0xfffe
	s_or_b32 exec_lo, exec_lo, s4
	s_and_saveexec_b32 s4, s1
	s_cbranch_execz .LBB122_45
.LBB122_77:
	v_dual_mov_b32 v7, 0 :: v_dual_add_nc_u32 v6, v5, v3
	s_delay_alu instid0(VALU_DEP_1) | instskip(SKIP_1) | instid1(VALU_DEP_1)
	v_lshlrev_b64_e32 v[6:7], 2, v[6:7]
	s_wait_kmcnt 0x0
	v_add_co_u32 v6, s3, s8, v6
	s_wait_alu 0xf1ff
	s_delay_alu instid0(VALU_DEP_2)
	v_add_co_ci_u32_e64 v7, null, s9, v7, s3
	global_store_b32 v[6:7], v96, off
	s_wait_alu 0xfffe
	s_or_b32 exec_lo, exec_lo, s4
	s_and_saveexec_b32 s4, s2
	s_cbranch_execnz .LBB122_46
	s_branch .LBB122_47
.LBB122_78:
	s_delay_alu instid0(VALU_DEP_1) | instskip(NEXT) | instid1(VALU_DEP_1)
	v_dual_mov_b32 v7, 0 :: v_dual_add_nc_u32 v6, v5, v0
	v_lshlrev_b64_e32 v[6:7], 2, v[6:7]
	s_wait_kmcnt 0x0
	s_delay_alu instid0(VALU_DEP_1) | instskip(SKIP_1) | instid1(VALU_DEP_2)
	v_add_co_u32 v6, s3, s8, v6
	s_wait_alu 0xf1ff
	v_add_co_ci_u32_e64 v7, null, s9, v7, s3
	global_store_b32 v[6:7], v91, off
	s_wait_alu 0xfffe
	s_or_b32 exec_lo, exec_lo, s4
	s_and_saveexec_b32 s4, s0
	s_cbranch_execz .LBB122_50
.LBB122_79:
	s_delay_alu instid0(VALU_DEP_1) | instskip(NEXT) | instid1(VALU_DEP_1)
	v_dual_mov_b32 v7, 0 :: v_dual_add_nc_u32 v6, v5, v2
	v_lshlrev_b64_e32 v[6:7], 2, v[6:7]
	s_wait_kmcnt 0x0
	s_delay_alu instid0(VALU_DEP_1) | instskip(SKIP_1) | instid1(VALU_DEP_2)
	v_add_co_u32 v6, s3, s8, v6
	s_wait_alu 0xf1ff
	v_add_co_ci_u32_e64 v7, null, s9, v7, s3
	global_store_b32 v[6:7], v90, off
	s_wait_alu 0xfffe
	s_or_b32 exec_lo, exec_lo, s4
	s_and_saveexec_b32 s4, s1
	s_cbranch_execz .LBB122_51
.LBB122_80:
	v_dual_mov_b32 v7, 0 :: v_dual_add_nc_u32 v6, v5, v3
	s_delay_alu instid0(VALU_DEP_1) | instskip(SKIP_1) | instid1(VALU_DEP_1)
	v_lshlrev_b64_e32 v[6:7], 2, v[6:7]
	s_wait_kmcnt 0x0
	v_add_co_u32 v6, s3, s8, v6
	s_wait_alu 0xf1ff
	s_delay_alu instid0(VALU_DEP_2)
	v_add_co_ci_u32_e64 v7, null, s9, v7, s3
	global_store_b32 v[6:7], v89, off
	s_wait_alu 0xfffe
	s_or_b32 exec_lo, exec_lo, s4
	s_and_saveexec_b32 s4, s2
	s_cbranch_execnz .LBB122_52
	s_branch .LBB122_53
.LBB122_81:
	s_delay_alu instid0(VALU_DEP_1) | instskip(NEXT) | instid1(VALU_DEP_1)
	v_dual_mov_b32 v7, 0 :: v_dual_add_nc_u32 v6, v5, v0
	v_lshlrev_b64_e32 v[6:7], 2, v[6:7]
	s_wait_kmcnt 0x0
	s_delay_alu instid0(VALU_DEP_1) | instskip(SKIP_1) | instid1(VALU_DEP_2)
	v_add_co_u32 v6, s3, s8, v6
	s_wait_alu 0xf1ff
	v_add_co_ci_u32_e64 v7, null, s9, v7, s3
	global_store_b32 v[6:7], v87, off
	s_wait_alu 0xfffe
	s_or_b32 exec_lo, exec_lo, s4
	s_and_saveexec_b32 s4, s0
	s_cbranch_execz .LBB122_56
.LBB122_82:
	s_delay_alu instid0(VALU_DEP_1) | instskip(NEXT) | instid1(VALU_DEP_1)
	v_dual_mov_b32 v7, 0 :: v_dual_add_nc_u32 v6, v5, v2
	v_lshlrev_b64_e32 v[6:7], 2, v[6:7]
	s_wait_kmcnt 0x0
	s_delay_alu instid0(VALU_DEP_1) | instskip(SKIP_1) | instid1(VALU_DEP_2)
	v_add_co_u32 v6, s3, s8, v6
	s_wait_alu 0xf1ff
	v_add_co_ci_u32_e64 v7, null, s9, v7, s3
	global_store_b32 v[6:7], v86, off
	s_wait_alu 0xfffe
	s_or_b32 exec_lo, exec_lo, s4
	s_and_saveexec_b32 s4, s1
	s_cbranch_execz .LBB122_57
.LBB122_83:
	v_dual_mov_b32 v7, 0 :: v_dual_add_nc_u32 v6, v5, v3
	s_delay_alu instid0(VALU_DEP_1) | instskip(SKIP_1) | instid1(VALU_DEP_1)
	v_lshlrev_b64_e32 v[6:7], 2, v[6:7]
	s_wait_kmcnt 0x0
	v_add_co_u32 v6, s3, s8, v6
	s_wait_alu 0xf1ff
	s_delay_alu instid0(VALU_DEP_2)
	v_add_co_ci_u32_e64 v7, null, s9, v7, s3
	global_store_b32 v[6:7], v85, off
	s_wait_alu 0xfffe
	s_or_b32 exec_lo, exec_lo, s4
	s_and_saveexec_b32 s4, s2
	s_cbranch_execnz .LBB122_58
	s_branch .LBB122_59
.LBB122_84:
	s_delay_alu instid0(VALU_DEP_1) | instskip(NEXT) | instid1(VALU_DEP_1)
	v_dual_mov_b32 v6, 0 :: v_dual_add_nc_u32 v5, v1, v0
	v_lshlrev_b64_e32 v[5:6], 2, v[5:6]
	s_wait_kmcnt 0x0
	s_delay_alu instid0(VALU_DEP_1) | instskip(SKIP_1) | instid1(VALU_DEP_2)
	v_add_co_u32 v5, vcc_lo, s8, v5
	s_wait_alu 0xfffd
	v_add_co_ci_u32_e64 v6, null, s9, v6, vcc_lo
	global_store_b32 v[5:6], v83, off
	s_wait_alu 0xfffe
	s_or_b32 exec_lo, exec_lo, s3
	s_and_saveexec_b32 s3, s0
	s_cbranch_execz .LBB122_62
.LBB122_85:
	s_delay_alu instid0(VALU_DEP_1) | instskip(NEXT) | instid1(VALU_DEP_1)
	v_dual_mov_b32 v6, 0 :: v_dual_add_nc_u32 v5, v1, v2
	v_lshlrev_b64_e32 v[5:6], 2, v[5:6]
	s_wait_kmcnt 0x0
	s_delay_alu instid0(VALU_DEP_1) | instskip(SKIP_1) | instid1(VALU_DEP_2)
	v_add_co_u32 v5, vcc_lo, s8, v5
	s_wait_alu 0xfffd
	v_add_co_ci_u32_e64 v6, null, s9, v6, vcc_lo
	global_store_b32 v[5:6], v82, off
	s_wait_alu 0xfffe
	s_or_b32 exec_lo, exec_lo, s3
	s_and_saveexec_b32 s0, s1
	s_cbranch_execz .LBB122_63
.LBB122_86:
	v_dual_mov_b32 v3, 0 :: v_dual_add_nc_u32 v2, v1, v3
	s_delay_alu instid0(VALU_DEP_1) | instskip(SKIP_1) | instid1(VALU_DEP_1)
	v_lshlrev_b64_e32 v[2:3], 2, v[2:3]
	s_wait_kmcnt 0x0
	v_add_co_u32 v2, vcc_lo, s8, v2
	s_wait_alu 0xfffd
	s_delay_alu instid0(VALU_DEP_2) | instskip(SKIP_3) | instid1(SALU_CYCLE_1)
	v_add_co_ci_u32_e64 v3, null, s9, v3, vcc_lo
	global_store_b32 v[2:3], v81, off
	s_wait_alu 0xfffe
	s_or_b32 exec_lo, exec_lo, s0
	s_and_b32 exec_lo, exec_lo, s2
	s_cbranch_execnz .LBB122_64
	s_branch .LBB122_65
	.section	.rodata,"a",@progbits
	.p2align	6, 0x0
	.amdhsa_kernel _ZL12mul_mat_q5_0IfLb1EEvPKvS1_PT_iiiii
		.amdhsa_group_segment_fixed_size 46720
		.amdhsa_private_segment_fixed_size 132
		.amdhsa_kernarg_size 44
		.amdhsa_user_sgpr_count 2
		.amdhsa_user_sgpr_dispatch_ptr 0
		.amdhsa_user_sgpr_queue_ptr 0
		.amdhsa_user_sgpr_kernarg_segment_ptr 1
		.amdhsa_user_sgpr_dispatch_id 0
		.amdhsa_user_sgpr_private_segment_size 0
		.amdhsa_wavefront_size32 1
		.amdhsa_uses_dynamic_stack 0
		.amdhsa_enable_private_segment 1
		.amdhsa_system_sgpr_workgroup_id_x 1
		.amdhsa_system_sgpr_workgroup_id_y 1
		.amdhsa_system_sgpr_workgroup_id_z 0
		.amdhsa_system_sgpr_workgroup_info 0
		.amdhsa_system_vgpr_workitem_id 1
		.amdhsa_next_free_vgpr 256
		.amdhsa_next_free_sgpr 17
		.amdhsa_reserve_vcc 1
		.amdhsa_float_round_mode_32 0
		.amdhsa_float_round_mode_16_64 0
		.amdhsa_float_denorm_mode_32 3
		.amdhsa_float_denorm_mode_16_64 3
		.amdhsa_fp16_overflow 0
		.amdhsa_workgroup_processor_mode 1
		.amdhsa_memory_ordered 1
		.amdhsa_forward_progress 1
		.amdhsa_inst_pref_size 222
		.amdhsa_round_robin_scheduling 0
		.amdhsa_exception_fp_ieee_invalid_op 0
		.amdhsa_exception_fp_denorm_src 0
		.amdhsa_exception_fp_ieee_div_zero 0
		.amdhsa_exception_fp_ieee_overflow 0
		.amdhsa_exception_fp_ieee_underflow 0
		.amdhsa_exception_fp_ieee_inexact 0
		.amdhsa_exception_int_div_zero 0
	.end_amdhsa_kernel
	.section	.text._ZL12mul_mat_q5_0IfLb1EEvPKvS1_PT_iiiii,"axG",@progbits,_ZL12mul_mat_q5_0IfLb1EEvPKvS1_PT_iiiii,comdat
.Lfunc_end122:
	.size	_ZL12mul_mat_q5_0IfLb1EEvPKvS1_PT_iiiii, .Lfunc_end122-_ZL12mul_mat_q5_0IfLb1EEvPKvS1_PT_iiiii
                                        ; -- End function
	.set _ZL12mul_mat_q5_0IfLb1EEvPKvS1_PT_iiiii.num_vgpr, 256
	.set _ZL12mul_mat_q5_0IfLb1EEvPKvS1_PT_iiiii.num_agpr, 0
	.set _ZL12mul_mat_q5_0IfLb1EEvPKvS1_PT_iiiii.numbered_sgpr, 17
	.set _ZL12mul_mat_q5_0IfLb1EEvPKvS1_PT_iiiii.num_named_barrier, 0
	.set _ZL12mul_mat_q5_0IfLb1EEvPKvS1_PT_iiiii.private_seg_size, 132
	.set _ZL12mul_mat_q5_0IfLb1EEvPKvS1_PT_iiiii.uses_vcc, 1
	.set _ZL12mul_mat_q5_0IfLb1EEvPKvS1_PT_iiiii.uses_flat_scratch, 1
	.set _ZL12mul_mat_q5_0IfLb1EEvPKvS1_PT_iiiii.has_dyn_sized_stack, 0
	.set _ZL12mul_mat_q5_0IfLb1EEvPKvS1_PT_iiiii.has_recursion, 0
	.set _ZL12mul_mat_q5_0IfLb1EEvPKvS1_PT_iiiii.has_indirect_call, 0
	.section	.AMDGPU.csdata,"",@progbits
; Kernel info:
; codeLenInByte = 28408
; TotalNumSgprs: 19
; NumVgprs: 256
; ScratchSize: 132
; MemoryBound: 0
; FloatMode: 240
; IeeeMode: 1
; LDSByteSize: 46720 bytes/workgroup (compile time only)
; SGPRBlocks: 0
; VGPRBlocks: 31
; NumSGPRsForWavesPerEU: 19
; NumVGPRsForWavesPerEU: 256
; Occupancy: 4
; WaveLimiterHint : 0
; COMPUTE_PGM_RSRC2:SCRATCH_EN: 1
; COMPUTE_PGM_RSRC2:USER_SGPR: 2
; COMPUTE_PGM_RSRC2:TRAP_HANDLER: 0
; COMPUTE_PGM_RSRC2:TGID_X_EN: 1
; COMPUTE_PGM_RSRC2:TGID_Y_EN: 1
; COMPUTE_PGM_RSRC2:TGID_Z_EN: 0
; COMPUTE_PGM_RSRC2:TIDIG_COMP_CNT: 1
	.section	.text._ZL12mul_mat_q5_1IfLb0EEvPKvS1_PT_iiiii,"axG",@progbits,_ZL12mul_mat_q5_1IfLb0EEvPKvS1_PT_iiiii,comdat
	.globl	_ZL12mul_mat_q5_1IfLb0EEvPKvS1_PT_iiiii ; -- Begin function _ZL12mul_mat_q5_1IfLb0EEvPKvS1_PT_iiiii
	.p2align	8
	.type	_ZL12mul_mat_q5_1IfLb0EEvPKvS1_PT_iiiii,@function
_ZL12mul_mat_q5_1IfLb0EEvPKvS1_PT_iiiii: ; @_ZL12mul_mat_q5_1IfLb0EEvPKvS1_PT_iiiii
; %bb.0:
	s_clause 0x1
	s_load_b32 s2, s[0:1], 0x18
	s_load_b96 s[4:6], s[0:1], 0x20
	v_bfe_u32 v34, v0, 10, 10
	v_and_b32_e32 v35, 0x3ff, v0
	s_lshl_b32 s7, ttmp7, 6
	s_wait_kmcnt 0x0
	s_cmp_gt_i32 s2, 31
	s_cbranch_scc1 .LBB123_2
; %bb.1:
	v_bfe_u32 v1, v0, 10, 10
	v_and_b32_e32 v2, 0x3ff, v0
	s_mov_b32 s3, 0
	s_delay_alu instid0(VALU_DEP_2)
	v_add_nc_u32_e32 v3, s7, v1
	s_branch .LBB123_3
.LBB123_2:
	s_mov_b32 s3, -1
                                        ; implicit-def: $vgpr1
                                        ; implicit-def: $vgpr2
                                        ; implicit-def: $vgpr3
.LBB123_3:
	s_load_b64 s[8:9], s[0:1], 0x10
	v_dual_mov_b32 v64, 0 :: v_dual_mov_b32 v83, 0
	v_dual_mov_b32 v68, 0 :: v_dual_mov_b32 v65, 0
	;; [unrolled: 1-line block ×15, first 2 shown]
	v_mov_b32_e32 v86, 0
	v_mov_b32_e32 v104, 0
	s_and_not1_b32 vcc_lo, exec_lo, s3
	s_lshl_b32 s14, ttmp9, 7
	s_cbranch_vccnz .LBB123_14
; %bb.4:
	v_dual_mov_b32 v87, 0 :: v_dual_add_nc_u32 v10, s7, v34
	s_add_co_i32 s10, s4, -1
	v_bfe_u32 v94, v0, 2, 8
	v_cvt_f64_i32_e32 v[1:2], s10
	s_delay_alu instid0(VALU_DEP_3) | instskip(SKIP_3) | instid1(VALU_DEP_4)
	v_dual_mov_b32 v104, 0 :: v_dual_add_nc_u32 v5, 8, v10
	v_dual_mov_b32 v86, 0 :: v_dual_add_nc_u32 v7, 16, v10
	v_cvt_f64_u32_e32 v[3:4], v10
	v_dual_mov_b32 v108, 0 :: v_dual_add_nc_u32 v11, 32, v10
	v_cvt_f64_u32_e32 v[5:6], v5
	s_delay_alu instid0(VALU_DEP_4) | instskip(SKIP_1) | instid1(VALU_DEP_4)
	v_cvt_f64_u32_e32 v[7:8], v7
	v_dual_mov_b32 v82, 0 :: v_dual_add_nc_u32 v9, 24, v10
	v_cvt_f64_u32_e32 v[11:12], v11
	v_dual_mov_b32 v100, 0 :: v_dual_add_nc_u32 v13, 40, v10
	v_dual_mov_b32 v90, 0 :: v_dual_add_nc_u32 v15, 48, v10
	scratch_store_b32 off, v10, off offset:72 ; 4-byte Folded Spill
	v_dual_mov_b32 v74, 0 :: v_dual_add_nc_u32 v17, 56, v10
	v_cvt_f64_u32_e32 v[9:10], v9
	v_cvt_f64_u32_e32 v[13:14], v13
	;; [unrolled: 1-line block ×3, first 2 shown]
	s_delay_alu instid0(VALU_DEP_4) | instskip(SKIP_4) | instid1(VALU_DEP_4)
	v_cvt_f64_u32_e32 v[17:18], v17
	v_dual_mov_b32 v91, 0 :: v_dual_lshlrev_b32 v20, 3, v35
	v_bfe_u32 v24, v0, 3, 7
	v_dual_mov_b32 v71, 0 :: v_dual_lshlrev_b32 v22, 2, v35
	v_dual_mov_b32 v70, 0 :: v_dual_and_b32 v19, 3, v0
	v_mad_u32_u24 v103, 0x104, v34, v20
	s_delay_alu instid0(VALU_DEP_3)
	v_dual_mov_b32 v81, 0 :: v_dual_and_b32 v20, 28, v22
	v_lshl_add_u32 v22, v34, 3, v94
	s_ashr_i32 s3, s2, 31
	v_dual_mov_b32 v66, 0 :: v_dual_and_b32 v97, 7, v0
	s_lshr_b32 s3, s3, 27
	v_dual_mov_b32 v88, 0 :: v_dual_lshlrev_b32 v101, 2, v19
	s_add_co_i32 s11, s2, s3
	s_ashr_i32 s12, s5, 31
	v_min_num_f64_e32 v[3:4], v[3:4], v[1:2]
	s_wait_alu 0xfffe
	s_ashr_i32 s15, s11, 5
	s_lshr_b32 s12, s12, 27
	v_min_num_f64_e32 v[5:6], v[5:6], v[1:2]
	v_min_num_f64_e32 v[7:8], v[7:8], v[1:2]
	v_mul_lo_u32 v93, s15, v34
	s_add_co_i32 s5, s5, s12
	v_min_num_f64_e32 v[11:12], v[11:12], v[1:2]
	s_ashr_i32 s5, s5, 5
	v_mov_b32_e32 v85, 0
	s_lshl_b32 s16, s15, 3
	v_dual_mov_b32 v84, 0 :: v_dual_and_b32 v21, 31, v0
	s_delay_alu instid0(VALU_DEP_4)
	v_dual_mov_b32 v77, 0 :: v_dual_add_nc_u32 v96, s16, v93
	v_min_num_f64_e32 v[9:10], v[9:10], v[1:2]
	v_min_num_f64_e32 v[13:14], v[13:14], v[1:2]
	;; [unrolled: 1-line block ×4, first 2 shown]
	v_lshl_add_u32 v17, v34, 2, v24
	v_lshlrev_b32_e32 v18, 2, v97
	v_dual_mov_b32 v106, 0 :: v_dual_add_nc_u32 v99, s16, v96
	v_mov_b32_e32 v67, 0
	s_delay_alu instid0(VALU_DEP_4)
	v_add_nc_u32_e32 v33, 32, v17
	v_mul_lo_u32 v116, s15, v17
	v_and_b32_e32 v31, 0x7fc, v17
	v_dual_mov_b32 v83, 0 :: v_dual_lshlrev_b32 v32, 5, v17
	v_add_nc_u32_e32 v102, s16, v99
	v_mov_b32_e32 v78, 0
	v_dual_mov_b32 v68, 0 :: v_dual_mov_b32 v79, 0
	s_load_b128 s[0:3], s[0:1], 0x0
	s_delay_alu instid0(VALU_DEP_3) | instskip(SKIP_3) | instid1(VALU_DEP_3)
	v_add_nc_u32_e32 v105, s16, v102
	s_and_not1_b32 s11, s11, 31
	v_dual_mov_b32 v92, 0 :: v_dual_lshlrev_b32 v23, 7, v34
	v_cvt_i32_f64_e32 v3, v[3:4]
	v_add_nc_u32_e32 v109, s16, v105
	s_wait_alu 0xfffe
	v_add_nc_u32_e32 v121, s11, v116
	v_cvt_i32_f64_e32 v4, v[5:6]
	v_cvt_i32_f64_e32 v5, v[7:8]
	v_lshl_or_b32 v21, v21, 2, 0x8200
	v_add_nc_u32_e32 v110, s16, v109
	v_cvt_i32_f64_e32 v7, v[11:12]
	v_and_b32_e32 v11, 63, v22
	v_add3_u32 v12, v31, v18, 0xa200
	v_dual_mov_b32 v72, 0 :: v_dual_add_nc_u32 v25, 0x800, v23
	v_add_nc_u32_e32 v111, s16, v110
	v_dual_mov_b32 v95, 0 :: v_dual_add_nc_u32 v26, 0xc00, v23
	v_cvt_i32_f64_e32 v6, v[9:10]
	v_cvt_i32_f64_e32 v8, v[13:14]
	v_cvt_i32_f64_e32 v9, v[15:16]
	v_cvt_i32_f64_e32 v10, v[1:2]
	v_add_nc_u32_e32 v1, 64, v17
	v_add_nc_u32_e32 v2, 0x60, v17
	v_and_b32_e32 v13, 0xffc, v33
	v_add_nc_u32_e32 v115, s16, v111
	v_dual_mov_b32 v64, 0 :: v_dual_add_nc_u32 v27, 0x1000, v23
	v_and_b32_e32 v15, 0xffc, v1
	v_lshlrev_b32_e32 v16, 5, v1
	v_and_b32_e32 v1, 0xffc, v2
	v_lshlrev_b32_e32 v17, 5, v2
	v_or_b32_e32 v2, s7, v11
	v_lshl_or_b32 v11, v11, 4, v101
	v_add3_u32 v13, v13, v18, 0xa200
	v_add3_u32 v15, v15, v18, 0xa200
	;; [unrolled: 1-line block ×3, first 2 shown]
	v_min_i32_e32 v1, s10, v2
	v_add_nc_u32_e32 v2, 0xb280, v11
	v_add_nc_u32_e32 v117, s16, v115
	v_dual_mov_b32 v89, 0 :: v_dual_add_nc_u32 v28, 0x1400, v23
	v_mul_lo_u32 v128, s5, v3
	v_add_nc_u32_e32 v3, 64, v35
	v_mul_lo_u32 v129, s5, v4
	v_add_nc_u32_e32 v4, 32, v35
	v_mul_lo_u32 v130, s5, v5
	scratch_store_b32 off, v2, off          ; 4-byte Folded Spill
	v_mad_co_u64_u32 v[1:2], null, v1, s5, v[19:20]
	v_mul_lo_u32 v132, s5, v7
	v_and_b32_e32 v7, 0xfc, v0
	v_lshrrev_b32_e32 v0, 3, v4
	scratch_store_b32 off, v24, off offset:8 ; 4-byte Folded Spill
	v_lshlrev_b32_e32 v5, 5, v35
	v_and_b32_e32 v3, 0x1fc, v3
	scratch_store_b64 off, v[1:2], off offset:12 ; 8-byte Folded Spill
	v_add_nc_u32_e32 v2, 0x60, v35
	v_mul_lo_u32 v131, s5, v6
	v_and_b32_e32 v6, 0x1fc, v4
	v_mul_lo_u32 v133, s5, v8
	v_mul_u32_u24_e32 v1, 0x104, v35
	v_and_b32_e32 v2, 0x1fc, v2
	scratch_store_b32 off, v0, off offset:40 ; 4-byte Folded Spill
	v_add_nc_u32_e32 v8, v5, v3
	v_add_nc_u32_e32 v6, v5, v6
	;; [unrolled: 1-line block ×5, first 2 shown]
	v_dual_mov_b32 v107, 0 :: v_dual_add_nc_u32 v24, 0x400, v23
	s_delay_alu instid0(VALU_DEP_4) | instskip(NEXT) | instid1(VALU_DEP_4)
	v_add_nc_u32_e32 v119, s16, v118
	v_add_nc_u32_e32 v0, 0xae00, v4
	scratch_store_b32 off, v1, off offset:20 ; 4-byte Folded Spill
	v_add_nc_u32_e32 v29, 0x1800, v23
	v_dual_mov_b32 v73, 0 :: v_dual_add_nc_u32 v30, 0x1c00, v23
	scratch_store_b32 off, v0, off offset:24 ; 4-byte Folded Spill
	v_add_nc_u32_e32 v0, 0xaa00, v8
	v_add_nc_u32_e32 v120, s16, v119
	v_lshlrev_b32_e32 v14, 5, v33
	v_add_nc_u32_e32 v123, s11, v121
	v_mul_lo_u32 v134, s5, v9
	scratch_store_b32 off, v0, off offset:28 ; 4-byte Folded Spill
	v_add_nc_u32_e32 v0, 0xa600, v6
	v_add_nc_u32_e32 v122, s16, v120
	v_mul_lo_u32 v135, s5, v10
	s_wait_kmcnt 0x0
	v_add_co_u32 v2, s5, s2, v20
	scratch_store_b32 off, v0, off offset:32 ; 4-byte Folded Spill
	v_add_nc_u32_e32 v0, 0xa200, v5
	s_clause 0x1
	scratch_store_b32 off, v0, off offset:36
	scratch_store_b32 off, v34, off offset:64
	v_lshl_add_u32 v0, v34, 4, 0xb280
	v_add_nc_u32_e32 v124, s16, v122
	s_mul_i32 s12, s15, s14
	v_add_co_ci_u32_e64 v3, null, s3, 0, s5
	scratch_store_b32 off, v0, off offset:4 ; 4-byte Folded Spill
	v_add_nc_u32_e32 v0, 0xae10, v4
	s_movk_i32 s5, 0x80
	s_ashr_i32 s13, s12, 31
	v_dual_mov_b32 v69, 0 :: v_dual_add_nc_u32 v140, 0x69a0, v103
	scratch_store_b32 off, v0, off offset:44 ; 4-byte Folded Spill
	v_add_nc_u32_e32 v0, 0xaa10, v8
	v_dual_mov_b32 v65, 0 :: v_dual_add_nc_u32 v98, 0x71c0, v103
	v_add_nc_u32_e32 v125, 0x79e0, v103
	v_add_nc_u32_e32 v126, s11, v123
	scratch_store_b32 off, v0, off offset:48 ; 4-byte Folded Spill
	v_add_nc_u32_e32 v0, 0xa610, v6
	v_add_nc_u32_e32 v127, s16, v124
	;; [unrolled: 1-line block ×5, first 2 shown]
	scratch_store_b32 off, v0, off offset:52 ; 4-byte Folded Spill
	v_add_nc_u32_e32 v0, 0xa210, v5
	s_clause 0x1
	scratch_store_b32 off, v0, off offset:56
	scratch_store_b32 off, v35, off offset:68
	s_wait_alu 0xfffe
	v_mad_u32_u24 v0, 0x104, v35, s5
	v_add_nc_u32_e32 v150, v15, v16
	v_add_nc_u32_e32 v151, v18, v17
	;; [unrolled: 1-line block ×10, first 2 shown]
	s_mul_u64 s[12:13], s[12:13], 24
	s_mov_b32 s11, 0
	s_add_nc_u64 s[0:1], s[0:1], s[12:13]
	s_add_co_i32 s5, s15, 3
	s_wait_alu 0xfffe
	s_mov_b32 s10, s11
	scratch_store_b32 off, v0, off offset:60 ; 4-byte Folded Spill
	s_branch .LBB123_6
.LBB123_5:                              ;   in Loop: Header=BB123_6 Depth=1
	s_add_co_i32 s10, s10, 8
	s_add_co_i32 s5, s5, -8
	s_wait_alu 0xfffe
	s_cmp_ge_i32 s10, s15
	s_cbranch_scc1 .LBB123_13
.LBB123_6:                              ; =>This Loop Header: Depth=1
                                        ;     Child Loop BB123_8 Depth 2
                                        ;     Child Loop BB123_11 Depth 2
	s_wait_alu 0xfffe
	s_mul_u64 s[12:13], s[10:11], 24
	v_add_nc_u32_e32 v44, 0x820, v103
	s_wait_alu 0xfffe
	s_add_nc_u64 s[12:13], s[0:1], s[12:13]
	v_add_nc_u32_e32 v45, 0x1040, v103
	s_wait_alu 0xfffe
	v_mad_co_u64_u32 v[4:5], null, v94, 24, s[12:13]
	v_add_nc_u32_e32 v48, 0x28a0, v103
	v_add_nc_u32_e32 v49, 0x30c0, v103
	;; [unrolled: 1-line block ×3, first 2 shown]
	s_cmp_gt_u32 s5, 3
	s_delay_alu instid0(VALU_DEP_4) | instskip(SKIP_3) | instid1(VALU_DEP_4)
	v_mad_co_u64_u32 v[6:7], null, v93, 24, v[4:5]
	v_mad_co_u64_u32 v[8:9], null, v96, 24, v[4:5]
	;; [unrolled: 1-line block ×4, first 2 shown]
	v_add_co_u32 v10, vcc_lo, v6, v101
	v_mad_co_u64_u32 v[24:25], null, v105, 24, v[4:5]
	s_wait_alu 0xfffd
	v_add_co_ci_u32_e64 v11, null, 0, v7, vcc_lo
	v_add_co_u32 v12, vcc_lo, v8, v101
	v_mad_co_u64_u32 v[26:27], null, v109, 24, v[4:5]
	s_wait_alu 0xfffd
	v_add_co_ci_u32_e64 v13, null, 0, v9, vcc_lo
	v_add_co_u32 v20, vcc_lo, v16, v101
	s_wait_alu 0xfffd
	v_add_co_ci_u32_e64 v21, null, 0, v17, vcc_lo
	v_add_co_u32 v22, vcc_lo, v18, v101
	;; [unrolled: 3-line block ×3, first 2 shown]
	s_wait_alu 0xfffd
	v_add_co_ci_u32_e64 v29, null, 0, v25, vcc_lo
	v_mad_co_u64_u32 v[30:31], null, v110, 24, v[4:5]
	v_mad_co_u64_u32 v[32:33], null, v111, 24, v[4:5]
	v_add_co_u32 v34, vcc_lo, v26, v101
	s_wait_alu 0xfffd
	v_add_co_ci_u32_e64 v35, null, 0, v27, vcc_lo
	s_clause 0x7
	global_load_b32 v15, v[10:11], off offset:8
	global_load_b32 v14, v[12:13], off offset:8
	;; [unrolled: 1-line block ×8, first 2 shown]
	v_mad_co_u64_u32 v[6:7], null, v117, 24, v[4:5]
	v_mad_co_u64_u32 v[8:9], null, v115, 24, v[4:5]
	s_clause 0x7
	global_load_b32 v22, v[28:29], off offset:8
	global_load_b32 v20, v[34:35], off offset:8
	;; [unrolled: 1-line block ×8, first 2 shown]
	v_mad_co_u64_u32 v[25:26], null, v118, 24, v[4:5]
	v_add_co_u32 v36, vcc_lo, v30, v101
	v_mad_co_u64_u32 v[27:28], null, v119, 24, v[4:5]
	s_wait_alu 0xfffd
	v_add_co_ci_u32_e64 v37, null, 0, v31, vcc_lo
	v_add_co_u32 v38, vcc_lo, v32, v101
	s_wait_alu 0xfffd
	v_add_co_ci_u32_e64 v39, null, 0, v33, vcc_lo
	v_add_co_u32 v29, vcc_lo, v8, v101
	s_wait_alu 0xfffd
	v_add_co_ci_u32_e64 v30, null, 0, v9, vcc_lo
	v_add_co_u32 v8, vcc_lo, v25, v101
	s_wait_alu 0xfffd
	v_add_co_ci_u32_e64 v9, null, 0, v26, vcc_lo
	v_add_co_u32 v31, vcc_lo, v27, v101
	s_wait_alu 0xfffd
	v_add_co_ci_u32_e64 v32, null, 0, v28, vcc_lo
	v_add_co_u32 v33, vcc_lo, v6, v101
	s_wait_alu 0xfffd
	v_add_co_ci_u32_e64 v34, null, 0, v7, vcc_lo
	s_clause 0x7
	global_load_b32 v42, v[36:37], off offset:8
	global_load_b32 v39, v[38:39], off offset:8
	;; [unrolled: 1-line block ×8, first 2 shown]
	v_mad_co_u64_u32 v[27:28], null, v120, 24, v[4:5]
	v_mad_co_u64_u32 v[29:30], null, v122, 24, v[4:5]
	v_mad_co_u64_u32 v[31:32], null, v127, 24, v[4:5]
	v_mad_co_u64_u32 v[4:5], null, v124, 24, v[4:5]
	global_load_b32 v46, v[27:28], off offset:4
	v_add_co_u32 v33, vcc_lo, v27, v101
	s_wait_alu 0xfffd
	v_add_co_ci_u32_e64 v34, null, 0, v28, vcc_lo
	v_add_co_u32 v27, vcc_lo, v29, v101
	s_wait_alu 0xfffd
	v_add_co_ci_u32_e64 v28, null, 0, v30, vcc_lo
	;; [unrolled: 3-line block ×4, first 2 shown]
	s_clause 0x6
	global_load_b32 v31, v[31:32], off offset:4
	global_load_b32 v32, v[4:5], off offset:4
	;; [unrolled: 1-line block ×7, first 2 shown]
	v_mad_co_u64_u32 v[25:26], null, v97, 24, s[12:13]
	v_add_nc_u32_e32 v34, 0x1860, v103
	v_add_nc_u32_e32 v38, 0x2080, v103
	s_delay_alu instid0(VALU_DEP_3)
	v_mad_co_u64_u32 v[4:5], null, v116, 24, v[25:26]
	v_mad_co_u64_u32 v[27:28], null, v121, 24, v[25:26]
	;; [unrolled: 1-line block ×4, first 2 shown]
	s_clause 0x3
	global_load_b32 v4, v[4:5], off
	global_load_b32 v5, v[27:28], off
	;; [unrolled: 1-line block ×4, first 2 shown]
	s_wait_loadcnt 0x23
	v_and_b32_e32 v29, 0xf0f0f0f, v15
	v_lshrrev_b32_e32 v15, 4, v15
	s_wait_loadcnt 0x22
	v_and_b32_e32 v30, 0xf0f0f0f, v14
	v_lshrrev_b32_e32 v14, 4, v14
	s_wait_loadcnt 0x1f
	v_ashrrev_i32_e32 v13, v101, v13
	s_wait_loadcnt 0x1e
	v_ashrrev_i32_e32 v16, v101, v16
	;; [unrolled: 2-line block ×7, first 2 shown]
	v_ashrrev_i32_e32 v19, v101, v19
	v_lshlrev_b32_e32 v162, 4, v18
	v_lshlrev_b32_e32 v163, 11, v18
	v_lshrrev_b32_e32 v166, 12, v18
	v_lshrrev_b32_e32 v167, 5, v18
	v_lshlrev_b32_e32 v169, 4, v17
	v_lshlrev_b32_e32 v170, 11, v17
	v_lshrrev_b32_e32 v173, 12, v17
	v_lshrrev_b32_e32 v174, 5, v17
	s_wait_loadcnt 0x15
	v_ashrrev_i32_e32 v28, v101, v40
	v_and_b32_e32 v40, 0xf0f0f0f, v12
	v_lshrrev_b32_e32 v12, 4, v12
	v_lshlrev_b32_e32 v176, 4, v16
	v_lshlrev_b32_e32 v177, 11, v16
	v_lshrrev_b32_e32 v180, 12, v16
	v_lshrrev_b32_e32 v181, 5, v16
	s_wait_loadcnt 0x14
	v_ashrrev_i32_e32 v26, v101, v41
	v_and_b32_e32 v41, 0xf0f0f0f, v11
	v_lshrrev_b32_e32 v11, 4, v11
	v_lshlrev_b32_e32 v183, 4, v13
	v_lshlrev_b32_e32 v184, 11, v13
	v_lshrrev_b32_e32 v187, 12, v13
	v_lshrrev_b32_e32 v188, 5, v13
	v_and_b32_e32 v51, 0xf0f0f0f, v22
	v_lshrrev_b32_e32 v22, 4, v22
	v_lshlrev_b32_e32 v190, 4, v24
	v_lshlrev_b32_e32 v191, 11, v24
	v_lshrrev_b32_e32 v194, 12, v24
	v_lshrrev_b32_e32 v195, 5, v24
	v_and_b32_e32 v52, 0xf0f0f0f, v20
	v_lshrrev_b32_e32 v20, 4, v20
	s_wait_loadcnt 0x13
	v_and_b32_e32 v53, 0xf0f0f0f, v42
	v_lshrrev_b32_e32 v42, 4, v42
	s_wait_loadcnt 0x12
	v_and_b32_e32 v54, 0xf0f0f0f, v39
	v_lshrrev_b32_e32 v39, 4, v39
	v_lshlrev_b32_e32 v164, 18, v18
	v_lshlrev_b32_e32 v165, 25, v18
	v_and_b32_e32 v15, 0xf0f0f0f, v15
	v_lshlrev_b32_e32 v168, 2, v18
	v_lshlrev_b32_e32 v18, 9, v18
	v_lshlrev_b32_e32 v197, 4, v23
	v_lshlrev_b32_e32 v198, 11, v23
	v_lshrrev_b32_e32 v201, 12, v23
	v_lshrrev_b32_e32 v202, 5, v23
	v_lshlrev_b32_e32 v204, 4, v21
	v_lshlrev_b32_e32 v205, 11, v21
	v_lshrrev_b32_e32 v208, 12, v21
	v_lshrrev_b32_e32 v209, 5, v21
	v_lshlrev_b32_e32 v211, 4, v19
	v_lshlrev_b32_e32 v212, 11, v19
	v_lshrrev_b32_e32 v215, 12, v19
	v_lshrrev_b32_e32 v216, 5, v19
	v_and_b32_e32 v162, 16, v162
	v_and_b32_e32 v163, 0x1000, v163
	v_and_b32_e32 v166, 16, v166
	v_and_b32_e32 v167, 0x1000, v167
	v_lshlrev_b32_e32 v171, 18, v17
	v_lshlrev_b32_e32 v172, 25, v17
	v_and_b32_e32 v14, 0xf0f0f0f, v14
	v_lshlrev_b32_e32 v175, 2, v17
	v_lshlrev_b32_e32 v17, 9, v17
	v_and_b32_e32 v169, 16, v169
	v_and_b32_e32 v170, 0x1000, v170
	v_and_b32_e32 v173, 16, v173
	v_and_b32_e32 v174, 0x1000, v174
	v_lshlrev_b32_e32 v178, 18, v16
	v_lshlrev_b32_e32 v179, 25, v16
	v_and_b32_e32 v12, 0xf0f0f0f, v12
	v_lshlrev_b32_e32 v182, 2, v16
	v_lshlrev_b32_e32 v16, 9, v16
	;; [unrolled: 9-line block ×5, first 2 shown]
	v_lshlrev_b32_e32 v206, 18, v21
	v_lshlrev_b32_e32 v207, 25, v21
	v_and_b32_e32 v42, 0xf0f0f0f, v42
	v_lshlrev_b32_e32 v210, 2, v21
	v_lshlrev_b32_e32 v21, 9, v21
	;; [unrolled: 1-line block ×4, first 2 shown]
	v_and_b32_e32 v39, 0xf0f0f0f, v39
	v_lshlrev_b32_e32 v217, 2, v19
	v_lshlrev_b32_e32 v19, 9, v19
	v_and_b32_e32 v164, 0x100000, v164
	v_and_b32_e32 v165, 0x10000000, v165
	;; [unrolled: 1-line block ×16, first 2 shown]
	v_or3_b32 v29, v162, v29, v163
	v_or3_b32 v15, v166, v15, v167
	v_and_b32_e32 v171, 0x100000, v171
	v_and_b32_e32 v172, 0x10000000, v172
	v_and_b32_e32 v175, 0x100000, v175
	v_and_b32_e32 v17, 0x10000000, v17
	v_or3_b32 v30, v169, v30, v170
	v_or3_b32 v14, v173, v14, v174
	v_and_b32_e32 v178, 0x100000, v178
	v_and_b32_e32 v179, 0x10000000, v179
	v_and_b32_e32 v182, 0x100000, v182
	v_and_b32_e32 v16, 0x10000000, v16
	;; [unrolled: 6-line block ×5, first 2 shown]
	v_and_b32_e32 v206, 0x100000, v206
	v_and_b32_e32 v207, 0x10000000, v207
	;; [unrolled: 1-line block ×8, first 2 shown]
	v_or3_b32 v52, v197, v52, v198
	v_or3_b32 v20, v201, v20, v202
	;; [unrolled: 1-line block ×16, first 2 shown]
	s_wait_loadcnt 0xe
	v_and_b32_e32 v55, 0xf0f0f0f, v43
	v_lshrrev_b32_e32 v43, 4, v43
	v_and_b32_e32 v56, 0xf0f0f0f, v10
	v_lshlrev_b32_e32 v57, 4, v26
	v_lshlrev_b32_e32 v58, 11, v26
	v_lshrrev_b32_e32 v61, 12, v26
	v_lshrrev_b32_e32 v62, 5, v26
	v_or3_b32 v24, v52, v199, v200
	v_or3_b32 v20, v20, v203, v23
	;; [unrolled: 1-line block ×6, first 2 shown]
	ds_store_2addr_b32 v103, v29, v15 offset1:1
	ds_store_2addr_b32 v44, v18, v14 offset1:1
	;; [unrolled: 1-line block ×8, first 2 shown]
	v_lshrrev_b32_e32 v10, 4, v10
	v_lshrrev_b32_e32 v15, 12, v28
	;; [unrolled: 1-line block ×3, first 2 shown]
	v_lshlrev_b32_e32 v59, 18, v26
	v_lshlrev_b32_e32 v60, 25, v26
	;; [unrolled: 1-line block ×6, first 2 shown]
	v_and_b32_e32 v43, 0xf0f0f0f, v43
	v_and_b32_e32 v57, 16, v57
	;; [unrolled: 1-line block ×8, first 2 shown]
	s_wait_loadcnt 0xd
	v_ashrrev_i32_e32 v9, v101, v9
	v_and_b32_e32 v59, 0x100000, v59
	v_and_b32_e32 v60, 0x10000000, v60
	;; [unrolled: 1-line block ×6, first 2 shown]
	v_or3_b32 v55, v57, v55, v58
	v_or3_b32 v43, v61, v43, v62
	v_lshlrev_b32_e32 v13, 18, v28
	v_lshlrev_b32_e32 v17, 25, v28
	v_or3_b32 v10, v15, v10, v16
	v_lshlrev_b32_e32 v15, 4, v9
	v_lshlrev_b32_e32 v16, 11, v9
	v_or3_b32 v11, v55, v59, v60
	v_or3_b32 v12, v43, v63, v26
	;; [unrolled: 1-line block ×3, first 2 shown]
	v_and_b32_e32 v13, 0x100000, v13
	v_and_b32_e32 v17, 0x10000000, v17
	v_add_nc_u32_e32 v20, 0x4100, v103
	v_and_b32_e32 v21, 0xf0f0f0f, v8
	v_and_b32_e32 v15, 16, v15
	;; [unrolled: 1-line block ×3, first 2 shown]
	v_lshlrev_b32_e32 v18, 2, v28
	v_lshlrev_b32_e32 v19, 9, v28
	ds_store_2addr_b32 v20, v11, v12 offset1:1
	v_or3_b32 v11, v14, v13, v17
	v_or3_b32 v13, v15, v21, v16
	v_lshrrev_b32_e32 v8, 4, v8
	v_lshrrev_b32_e32 v14, 12, v9
	;; [unrolled: 1-line block ×3, first 2 shown]
	v_and_b32_e32 v18, 0x100000, v18
	v_and_b32_e32 v19, 0x10000000, v19
	v_lshlrev_b32_e32 v12, 18, v9
	v_lshlrev_b32_e32 v16, 25, v9
	v_and_b32_e32 v8, 0xf0f0f0f, v8
	v_and_b32_e32 v14, 16, v14
	;; [unrolled: 1-line block ×3, first 2 shown]
	s_wait_loadcnt 0xc
	v_ashrrev_i32_e32 v7, v101, v7
	v_or3_b32 v10, v10, v18, v19
	v_and_b32_e32 v12, 0x100000, v12
	v_and_b32_e32 v16, 0x10000000, v16
	v_or3_b32 v8, v14, v8, v15
	v_lshlrev_b32_e32 v14, 4, v7
	v_lshlrev_b32_e32 v15, 11, v7
	v_add_nc_u32_e32 v18, 0x4920, v103
	v_lshlrev_b32_e32 v17, 2, v9
	v_lshlrev_b32_e32 v9, 9, v9
	v_and_b32_e32 v19, 0xf0f0f0f, v6
	v_and_b32_e32 v14, 16, v14
	;; [unrolled: 1-line block ×3, first 2 shown]
	ds_store_2addr_b32 v18, v11, v10 offset1:1
	v_or3_b32 v10, v13, v12, v16
	v_lshrrev_b32_e32 v6, 4, v6
	v_lshrrev_b32_e32 v12, 12, v7
	;; [unrolled: 1-line block ×3, first 2 shown]
	v_and_b32_e32 v17, 0x100000, v17
	v_and_b32_e32 v9, 0x10000000, v9
	v_or3_b32 v11, v14, v19, v15
	v_and_b32_e32 v6, 0xf0f0f0f, v6
	v_and_b32_e32 v12, 16, v12
	;; [unrolled: 1-line block ×3, first 2 shown]
	s_wait_loadcnt 0xb
	v_ashrrev_i32_e32 v15, v101, v46
	v_or3_b32 v8, v8, v17, v9
	v_lshlrev_b32_e32 v9, 18, v7
	v_lshlrev_b32_e32 v14, 25, v7
	v_or3_b32 v6, v12, v6, v13
	v_lshlrev_b32_e32 v12, 4, v15
	v_lshlrev_b32_e32 v13, 11, v15
	v_and_b32_e32 v9, 0x100000, v9
	v_and_b32_e32 v14, 0x10000000, v14
	v_add_nc_u32_e32 v17, 0x5140, v103
	s_wait_loadcnt 0x4
	v_and_b32_e32 v18, 0xf0f0f0f, v33
	v_and_b32_e32 v12, 16, v12
	;; [unrolled: 1-line block ×3, first 2 shown]
	v_lshlrev_b32_e32 v16, 2, v7
	v_lshlrev_b32_e32 v7, 9, v7
	ds_store_2addr_b32 v17, v10, v8 offset1:1
	v_or3_b32 v8, v11, v9, v14
	v_or3_b32 v9, v12, v18, v13
	v_lshrrev_b32_e32 v10, 4, v33
	v_lshrrev_b32_e32 v11, 12, v15
	;; [unrolled: 1-line block ×3, first 2 shown]
	v_and_b32_e32 v16, 0x100000, v16
	v_and_b32_e32 v7, 0x10000000, v7
	;; [unrolled: 1-line block ×5, first 2 shown]
	v_ashrrev_i32_e32 v14, v101, v47
	v_or3_b32 v6, v6, v16, v7
	v_lshlrev_b32_e32 v7, 18, v15
	v_lshlrev_b32_e32 v13, 25, v15
	;; [unrolled: 1-line block ×4, first 2 shown]
	v_or3_b32 v10, v11, v10, v12
	v_lshlrev_b32_e32 v11, 4, v14
	v_lshlrev_b32_e32 v12, 11, v14
	v_and_b32_e32 v7, 0x100000, v7
	v_and_b32_e32 v13, 0x10000000, v13
	;; [unrolled: 1-line block ×7, first 2 shown]
	v_lshlrev_b32_e32 v18, 18, v14
	v_lshlrev_b32_e32 v19, 25, v14
	v_or3_b32 v7, v9, v7, v13
	v_or3_b32 v9, v10, v16, v15
	;; [unrolled: 1-line block ×3, first 2 shown]
	v_and_b32_e32 v11, 0x100000, v18
	v_and_b32_e32 v12, 0x10000000, v19
	v_lshrrev_b32_e32 v13, 4, v37
	v_lshrrev_b32_e32 v15, 12, v14
	v_lshrrev_b32_e32 v16, 5, v14
	v_ashrrev_i32_e32 v17, v101, v32
	v_or3_b32 v10, v10, v11, v12
	v_and_b32_e32 v11, 0xf0f0f0f, v13
	v_and_b32_e32 v12, 16, v15
	;; [unrolled: 1-line block ×3, first 2 shown]
	v_lshlrev_b32_e32 v15, 4, v17
	v_lshlrev_b32_e32 v16, 11, v17
	;; [unrolled: 1-line block ×4, first 2 shown]
	v_and_b32_e32 v19, 0xf0f0f0f, v36
	v_and_b32_e32 v15, 16, v15
	;; [unrolled: 1-line block ×3, first 2 shown]
	v_lshlrev_b32_e32 v20, 18, v17
	v_or3_b32 v11, v12, v11, v13
	v_and_b32_e32 v13, 0x10000000, v14
	v_and_b32_e32 v12, 0x100000, v18
	v_or3_b32 v14, v15, v19, v16
	v_and_b32_e32 v15, 0x100000, v20
	v_ashrrev_i32_e32 v20, v101, v31
	v_lshrrev_b32_e32 v16, 4, v36
	v_lshrrev_b32_e32 v18, 12, v17
	;; [unrolled: 1-line block ×3, first 2 shown]
	v_lshlrev_b32_e32 v24, 2, v17
	v_lshlrev_b32_e32 v22, 4, v20
	;; [unrolled: 1-line block ×3, first 2 shown]
	v_and_b32_e32 v16, 0xf0f0f0f, v16
	v_and_b32_e32 v18, 16, v18
	v_and_b32_e32 v19, 0x1000, v19
	v_and_b32_e32 v26, 0xf0f0f0f, v35
	v_and_b32_e32 v22, 16, v22
	v_and_b32_e32 v23, 0x1000, v23
	v_lshlrev_b32_e32 v21, 25, v17
	v_or3_b32 v16, v18, v16, v19
	v_and_b32_e32 v18, 0x100000, v24
	v_lshrrev_b32_e32 v24, 5, v20
	v_or3_b32 v19, v22, v26, v23
	v_lshrrev_b32_e32 v22, 4, v35
	v_lshrrev_b32_e32 v23, 12, v20
	v_lshlrev_b32_e32 v17, 9, v17
	v_lshlrev_b32_e32 v26, 18, v20
	;; [unrolled: 1-line block ×3, first 2 shown]
	v_and_b32_e32 v22, 0xf0f0f0f, v22
	v_and_b32_e32 v23, 16, v23
	;; [unrolled: 1-line block ×3, first 2 shown]
	v_lshlrev_b32_e32 v29, 2, v20
	v_lshlrev_b32_e32 v20, 9, v20
	v_and_b32_e32 v21, 0x10000000, v21
	v_and_b32_e32 v17, 0x10000000, v17
	;; [unrolled: 1-line block ×4, first 2 shown]
	v_or3_b32 v22, v23, v22, v24
	v_and_b32_e32 v23, 0x100000, v29
	v_and_b32_e32 v20, 0x10000000, v20
	v_or3_b32 v11, v11, v12, v13
	v_add_nc_u32_e32 v13, 0x5960, v103
	v_or3_b32 v12, v14, v15, v21
	v_add_nc_u32_e32 v14, 0x6180, v103
	v_or3_b32 v15, v16, v18, v17
	v_or3_b32 v16, v19, v26, v28
	;; [unrolled: 1-line block ×3, first 2 shown]
	ds_store_2addr_b32 v13, v8, v6 offset1:1
	ds_store_2addr_b32 v14, v7, v9 offset1:1
	;; [unrolled: 1-line block ×5, first 2 shown]
	s_wait_loadcnt 0x3
	ds_store_b32 v148, v4
	s_wait_loadcnt 0x2
	ds_store_b32 v149, v5
	s_wait_loadcnt 0x1
	ds_store_b32 v150, v27
	s_wait_loadcnt 0x0
	ds_store_b32 v151, v25
	s_cbranch_scc0 .LBB123_5
; %bb.7:                                ;   in Loop: Header=BB123_6 Depth=1
	scratch_load_b32 v0, off, off offset:8  ; 4-byte Folded Reload
	s_mov_b32 s12, -4
	s_wait_loadcnt 0x0
	v_dual_mov_b32 v161, v142 :: v_dual_add_nc_u32 v12, s10, v0
	scratch_load_b64 v[0:1], off, off offset:12 ; 8-byte Folded Reload
	v_add_nc_u32_e32 v13, v12, v135
	v_add_nc_u32_e32 v4, v12, v128
	v_add_nc_u32_e32 v6, v12, v129
	v_add_nc_u32_e32 v8, v12, v130
	v_add_nc_u32_e32 v10, v12, v131
	v_add_nc_u32_e32 v14, v12, v132
	v_add_nc_u32_e32 v16, v12, v133
	v_add_nc_u32_e32 v18, v12, v134
	v_mad_co_i64_i32 v[12:13], null, v13, 36, v[2:3]
	v_mad_co_i64_i32 v[4:5], null, v4, 36, v[2:3]
	;; [unrolled: 1-line block ×8, first 2 shown]
	s_wait_loadcnt 0x0
	v_add_nc_u32_e32 v160, s10, v0
	s_delay_alu instid0(VALU_DEP_1)
	v_mad_co_u64_u32 v[20:21], null, v160, 36, s[2:3]
	s_clause 0x8
	global_load_b32 v12, v[12:13], off offset:4
	global_load_b32 v4, v[4:5], off offset:4
	;; [unrolled: 1-line block ×8, first 2 shown]
	global_load_b32 v11, v[20:21], off
	s_clause 0x5
	scratch_load_b32 v162, off, off offset:20
	scratch_load_b32 v163, off, off offset:4
	;; [unrolled: 1-line block ×6, first 2 shown]
	s_wait_loadcnt 0xe
	ds_store_b32 v159, v12
	s_wait_loadcnt 0xd
	ds_store_b32 v152, v4
	;; [unrolled: 2-line block ×8, first 2 shown]
	scratch_load_b32 v0, off, off           ; 4-byte Folded Reload
	s_wait_loadcnt 0x0
	ds_store_b32 v0, v11
	s_wait_storecnt_dscnt 0x0
	s_barrier_signal -1
	s_barrier_wait -1
	global_inv scope:SCOPE_SE
.LBB123_8:                              ;   Parent Loop BB123_6 Depth=1
                                        ; =>  This Inner Loop Header: Depth=2
	ds_load_2addr_b32 v[4:5], v163 offset1:32
	ds_load_b32 v9, v164
	ds_load_b32 v8, v165
	;; [unrolled: 1-line block ×4, first 2 shown]
	v_add_nc_u32_e32 v22, 0x2098, v162
	v_add_nc_u32_e32 v25, 0x414, v161
	;; [unrolled: 1-line block ×8, first 2 shown]
	s_wait_alu 0xfffe
	s_add_co_i32 s12, s12, 4
	s_wait_alu 0xfffe
	s_cmp_lt_u32 s12, 12
	s_wait_dscnt 0x3
	v_pk_mul_f16 v192, v4, v9
	s_wait_dscnt 0x2
	v_pk_mul_f16 v188, v4, v8
	;; [unrolled: 2-line block ×4, first 2 shown]
	v_pk_mul_f16 v186, v9, v5
	v_pk_mul_f16 v195, v8, v5
	;; [unrolled: 1-line block ×4, first 2 shown]
	ds_load_2addr_b32 v[4:5], v163 offset0:64 offset1:96
	s_wait_dscnt 0x0
	v_pk_mul_f16 v185, v9, v4
	v_pk_mul_f16 v183, v8, v4
	;; [unrolled: 1-line block ×8, first 2 shown]
	ds_load_2addr_b32 v[4:5], v163 offset0:128 offset1:160
	s_wait_dscnt 0x0
	v_pk_mul_f16 v177, v9, v4
	v_pk_mul_f16 v175, v8, v4
	;; [unrolled: 1-line block ×8, first 2 shown]
	ds_load_2addr_b32 v[4:5], v163 offset0:192 offset1:224
	v_add_nc_u32_e32 v163, 4, v163
	s_wait_dscnt 0x0
	v_pk_mul_f16 v169, v9, v4
	v_pk_mul_f16 v190, v9, v5
	;; [unrolled: 1-line block ×8, first 2 shown]
	ds_load_2addr_b32 v[12:13], v161 offset1:7
	ds_load_2addr_b32 v[10:11], v162 offset1:1
	ds_load_2addr_b32 v[4:5], v162 offset0:2 offset1:3
	ds_load_2addr_b32 v[6:7], v162 offset0:4 offset1:5
	;; [unrolled: 1-line block ×3, first 2 shown]
	s_wait_dscnt 0x4
	v_lshlrev_b32_e32 v213, 8, v13
	s_wait_dscnt 0x3
	v_perm_b32 v14, v12, v11, 0xc0c0703
	s_wait_dscnt 0x2
	v_perm_b32 v15, v5, v4, 0x7030c0c
	v_lshlrev_b32_e32 v215, 16, v13
	s_wait_dscnt 0x0
	v_perm_b32 v17, v9, v8, 0x7030c0c
	v_perm_b32 v251, v11, v11, 0x2010003
	v_or_b32_e32 v14, v15, v14
	v_add_nc_u32_e32 v15, 0x1c14, v161
	ds_load_2addr_b32 v[26:27], v15 offset1:1
	ds_load_2addr_b32 v[20:21], v161 offset0:3 offset1:4
	ds_load_2addr_b32 v[30:31], v161 offset0:5 offset1:6
	;; [unrolled: 1-line block ×3, first 2 shown]
	s_wait_dscnt 0x2
	v_perm_b32 v15, v10, v21, 0xc0c0703
	v_perm_b32 v18, v13, v20, 0x7030c0c
	s_wait_dscnt 0x0
	v_perm_b32 v16, v30, v32, 0x7030c0c
	v_lshlrev_b32_e32 v243, 8, v32
	v_lshlrev_b32_e32 v244, 8, v30
	;; [unrolled: 1-line block ×4, first 2 shown]
	v_or_b32_e32 v15, v16, v15
	v_perm_b32 v16, v7, v6, 0xc0c0703
	v_lshlrev_b32_e32 v219, 8, v31
	v_perm_b32 v47, v10, v245, 0xc0c0603
	v_lshlrev_b32_e32 v214, 8, v20
	v_dot4_i32_iu8 v14, v15, v14, 0 neg_lo:[1,1,0]
	v_or_b32_e32 v16, v17, v16
	v_perm_b32 v17, v31, v33, 0xc0c0703
	v_add_nc_u32_e32 v15, 0x400, v161
	v_perm_b32 v50, v213, v214, 0x7030c0c
	v_lshlrev_b32_e32 v246, 16, v32
	v_lshlrev_b32_e32 v247, 16, v30
	v_or_b32_e32 v17, v18, v17
	v_lshlrev_b32_e32 v248, 16, v21
	v_lshlrev_b32_e32 v218, 16, v33
	;; [unrolled: 1-line block ×4, first 2 shown]
	v_dot4_i32_iu8 v200, v17, v16, v14 neg_lo:[1,1,0]
	v_add_nc_u32_e32 v14, 0x2080, v162
	v_add_nc_u32_e32 v16, 0x2088, v162
	;; [unrolled: 1-line block ×3, first 2 shown]
	ds_load_2addr_b32 v[18:19], v14 offset1:1
	ds_load_2addr_b32 v[14:15], v15 offset1:7
	;; [unrolled: 1-line block ×5, first 2 shown]
	s_wait_dscnt 0x4
	v_bfe_i32 v22, v18, 16, 8
	s_wait_dscnt 0x3
	v_bfe_i32 v23, v14, 16, 8
	v_bfe_i32 v24, v14, 0, 8
	v_perm_b32 v136, v19, v19, 0x2010003
	s_delay_alu instid0(VALU_DEP_3) | instskip(SKIP_1) | instid1(VALU_DEP_1)
	v_mul_i32_i24_e32 v22, v23, v22
	v_bfe_i32 v23, v18, 0, 8
	v_mad_i32_i24 v36, v24, v23, v22
	v_ashrrev_i32_e32 v22, 24, v18
	v_ashrrev_i32_e32 v23, 24, v14
	v_lshrrev_b16 v24, 8, v14
	s_delay_alu instid0(VALU_DEP_2) | instskip(SKIP_1) | instid1(VALU_DEP_3)
	v_mul_i32_i24_e32 v22, v23, v22
	v_lshrrev_b16 v23, 8, v18
	v_bfe_i32 v24, v24, 0, 8
	s_delay_alu instid0(VALU_DEP_2) | instskip(NEXT) | instid1(VALU_DEP_1)
	v_bfe_i32 v23, v23, 0, 8
	v_mad_i32_i24 v37, v24, v23, v22
	v_add_nc_u32_e32 v22, 0x40c, v161
	v_add_nc_u32_e32 v24, 0x404, v161
	ds_load_2addr_b32 v[22:23], v22 offset1:1
	ds_load_2addr_b32 v[38:39], v24 offset1:1
	;; [unrolled: 1-line block ×4, first 2 shown]
	v_bfe_i32 v40, v19, 8, 8
	s_wait_dscnt 0x3
	v_bfe_i32 v41, v23, 8, 8
	v_ashrrev_i32_e32 v42, 24, v23
	s_wait_dscnt 0x2
	v_bfe_i32 v43, v38, 16, 8
	s_wait_dscnt 0x1
	v_bfe_i32 v44, v35, 0, 8
	v_bfe_i32 v45, v22, 0, 8
	v_mul_i32_i24_e32 v40, v41, v40
	v_ashrrev_i32_e32 v41, 24, v19
	v_bfe_i32 v46, v22, 16, 8
	s_delay_alu instid0(VALU_DEP_2) | instskip(SKIP_3) | instid1(VALU_DEP_2)
	v_mad_i32_i24 v201, v42, v41, v40
	v_bfe_i32 v40, v48, 8, 8
	v_bfe_i32 v41, v38, 8, 8
	;; [unrolled: 1-line block ×3, first 2 shown]
	v_mul_i32_i24_e32 v40, v41, v40
	v_bfe_i32 v41, v48, 0, 8
	s_delay_alu instid0(VALU_DEP_1) | instskip(SKIP_2) | instid1(VALU_DEP_1)
	v_mad_i32_i24 v40, v42, v41, v40
	v_ashrrev_i32_e32 v41, 24, v49
	v_ashrrev_i32_e32 v42, 24, v34
	v_mul_i32_i24_e32 v41, v42, v41
	v_bfe_i32 v42, v48, 16, 8
	s_delay_alu instid0(VALU_DEP_1) | instskip(SKIP_3) | instid1(VALU_DEP_2)
	v_mad_i32_i24 v202, v43, v42, v41
	v_bfe_i32 v41, v49, 8, 8
	v_bfe_i32 v42, v34, 8, 8
	;; [unrolled: 1-line block ×3, first 2 shown]
	v_mul_i32_i24_e32 v41, v42, v41
	v_bfe_i32 v42, v49, 0, 8
	s_delay_alu instid0(VALU_DEP_1) | instskip(SKIP_3) | instid1(VALU_DEP_2)
	v_mad_i32_i24 v203, v43, v42, v41
	v_bfe_i32 v41, v28, 8, 8
	v_bfe_i32 v42, v39, 8, 8
	;; [unrolled: 1-line block ×3, first 2 shown]
	v_mul_i32_i24_e32 v41, v42, v41
	v_bfe_i32 v42, v28, 0, 8
	s_delay_alu instid0(VALU_DEP_1) | instskip(SKIP_2) | instid1(VALU_DEP_1)
	v_mad_i32_i24 v41, v43, v42, v41
	v_bfe_i32 v42, v29, 8, 8
	v_bfe_i32 v43, v35, 8, 8
	v_mul_i32_i24_e32 v42, v43, v42
	v_bfe_i32 v43, v29, 0, 8
	s_delay_alu instid0(VALU_DEP_1) | instskip(SKIP_2) | instid1(VALU_DEP_1)
	v_mad_i32_i24 v42, v44, v43, v42
	v_bfe_i32 v43, v16, 8, 8
	v_bfe_i32 v44, v22, 8, 8
	v_mul_i32_i24_e32 v43, v44, v43
	v_bfe_i32 v44, v16, 0, 8
	s_delay_alu instid0(VALU_DEP_1) | instskip(SKIP_2) | instid1(VALU_DEP_1)
	v_mad_i32_i24 v43, v45, v44, v43
	v_ashrrev_i32_e32 v44, 24, v17
	v_ashrrev_i32_e32 v45, 24, v15
	v_mul_i32_i24_e32 v44, v45, v44
	v_bfe_i32 v45, v16, 16, 8
	s_delay_alu instid0(VALU_DEP_1) | instskip(SKIP_3) | instid1(VALU_DEP_2)
	v_mad_i32_i24 v204, v46, v45, v44
	v_bfe_i32 v44, v17, 8, 8
	v_bfe_i32 v45, v15, 8, 8
	;; [unrolled: 1-line block ×3, first 2 shown]
	v_mul_i32_i24_e32 v44, v45, v44
	v_bfe_i32 v45, v17, 0, 8
	s_delay_alu instid0(VALU_DEP_1) | instskip(SKIP_3) | instid1(VALU_DEP_2)
	v_mad_i32_i24 v205, v46, v45, v44
	v_perm_b32 v44, v12, v11, 0xc0c0602
	v_perm_b32 v45, v5, v4, 0x6020c0c
	;; [unrolled: 1-line block ×3, first 2 shown]
	v_or_b32_e32 v44, v45, v44
	v_perm_b32 v45, v7, v6, 0xc0c0602
	s_delay_alu instid0(VALU_DEP_1) | instskip(SKIP_1) | instid1(VALU_DEP_1)
	v_or_b32_e32 v45, v46, v45
	v_perm_b32 v46, v244, v243, 0x7030c0c
	v_or_b32_e32 v46, v46, v47
	v_perm_b32 v47, v219, v220, 0xc0c0703
	s_delay_alu instid0(VALU_DEP_2) | instskip(NEXT) | instid1(VALU_DEP_2)
	v_dot4_i32_iu8 v44, v46, v44, 0 neg_lo:[1,1,0]
	v_or_b32_e32 v47, v50, v47
	v_perm_b32 v46, v9, v8, 0x5010c0c
	v_perm_b32 v50, v215, v216, 0x7030c0c
	s_delay_alu instid0(VALU_DEP_3) | instskip(SKIP_4) | instid1(VALU_DEP_3)
	v_dot4_i32_iu8 v206, v47, v45, v44 neg_lo:[1,1,0]
	v_perm_b32 v44, v12, v11, 0xc0c0501
	v_perm_b32 v45, v5, v4, 0x5010c0c
	v_perm_b32 v47, v10, v248, 0xc0c0503
	v_perm_b32 v11, v12, v11, 0xc0c0400
	v_or_b32_e32 v44, v45, v44
	v_perm_b32 v45, v7, v6, 0xc0c0501
	s_delay_alu instid0(VALU_DEP_1) | instskip(SKIP_1) | instid1(VALU_DEP_1)
	v_or_b32_e32 v45, v46, v45
	v_perm_b32 v46, v247, v246, 0x7030c0c
	v_or_b32_e32 v46, v46, v47
	v_perm_b32 v47, v217, v218, 0xc0c0703
	s_delay_alu instid0(VALU_DEP_2) | instskip(NEXT) | instid1(VALU_DEP_2)
	v_dot4_i32_iu8 v44, v46, v44, 0 neg_lo:[1,1,0]
	v_or_b32_e32 v47, v50, v47
	s_delay_alu instid0(VALU_DEP_1) | instskip(SKIP_2) | instid1(VALU_DEP_1)
	v_dot4_i32_iu8 v207, v47, v45, v44 neg_lo:[1,1,0]
	v_bfe_i32 v44, v23, 0, 8
	v_bfe_i32 v45, v19, 0, 8
	v_mul_i32_i24_e32 v44, v44, v45
	v_add_nc_u32_e32 v45, 0x1414, v161
	s_delay_alu instid0(VALU_DEP_2) | instskip(SKIP_3) | instid1(VALU_DEP_2)
	v_add3_u32 v208, v36, v37, v44
	v_bfe_i32 v36, v23, 16, 8
	v_bfe_i32 v37, v19, 16, 8
	v_ashrrev_i32_e32 v44, 24, v48
	v_mul_i32_i24_e32 v36, v36, v37
	v_ashrrev_i32_e32 v37, 24, v38
	s_delay_alu instid0(VALU_DEP_1) | instskip(SKIP_1) | instid1(VALU_DEP_2)
	v_mul_i32_i24_e32 v37, v37, v44
	v_add_nc_u32_e32 v44, 0x1014, v161
	v_add3_u32 v209, v36, v37, v40
	v_bfe_i32 v36, v34, 16, 8
	v_bfe_i32 v37, v49, 16, 8
	v_ashrrev_i32_e32 v40, 24, v28
	s_delay_alu instid0(VALU_DEP_2) | instskip(SKIP_1) | instid1(VALU_DEP_1)
	v_mul_i32_i24_e32 v36, v36, v37
	v_ashrrev_i32_e32 v37, 24, v39
	v_mul_i32_i24_e32 v37, v37, v40
	v_ashrrev_i32_e32 v40, 24, v29
	s_delay_alu instid0(VALU_DEP_2) | instskip(SKIP_2) | instid1(VALU_DEP_1)
	v_add3_u32 v210, v36, v37, v41
	v_bfe_i32 v36, v39, 16, 8
	v_bfe_i32 v37, v28, 16, 8
	v_mul_i32_i24_e32 v36, v36, v37
	v_ashrrev_i32_e32 v37, 24, v35
	s_delay_alu instid0(VALU_DEP_1) | instskip(SKIP_1) | instid1(VALU_DEP_2)
	v_mul_i32_i24_e32 v37, v37, v40
	v_ashrrev_i32_e32 v40, 24, v16
	v_add3_u32 v211, v36, v37, v42
	v_bfe_i32 v36, v35, 16, 8
	v_bfe_i32 v37, v29, 16, 8
	v_add_nc_u32_e32 v42, 0x1004, v161
	s_delay_alu instid0(VALU_DEP_2) | instskip(SKIP_1) | instid1(VALU_DEP_1)
	v_mul_i32_i24_e32 v36, v36, v37
	v_ashrrev_i32_e32 v37, 24, v22
	v_mul_i32_i24_e32 v37, v37, v40
	v_add_nc_u32_e32 v40, 0x814, v161
	s_delay_alu instid0(VALU_DEP_2) | instskip(SKIP_4) | instid1(VALU_DEP_3)
	v_add3_u32 v212, v36, v37, v43
	v_lshlrev_b32_e32 v36, 16, v23
	v_lshlrev_b32_e32 v37, 8, v23
	v_add_nc_u32_e32 v43, 0xc14, v161
	v_perm_b32 v23, v23, v23, 0xc0c0003
	v_perm_b32 v229, v37, v36, 0x7030c0c
	v_lshlrev_b32_e32 v36, 16, v38
	v_lshlrev_b32_e32 v37, 8, v38
	v_perm_b32 v38, v38, v38, 0xc0c0003
	s_delay_alu instid0(VALU_DEP_4) | instskip(SKIP_1) | instid1(VALU_DEP_4)
	v_or_b32_e32 v23, v229, v23
	v_add_nc_u32_e32 v229, 0x6180, v162
	v_perm_b32 v230, v37, v36, 0x7030c0c
	s_wait_dscnt 0x0
	v_lshlrev_b32_e32 v36, 16, v25
	v_lshlrev_b32_e32 v37, 8, v25
	v_perm_b32 v25, v25, v25, 0xc0c0003
	v_dot4_i32_iu8 v254, v23, v251, 0 neg_lo:[1,1,0]
	s_delay_alu instid0(VALU_DEP_3)
	v_perm_b32 v231, v37, v36, 0x7030c0c
	v_add_nc_u32_e32 v36, 0x804, v161
	v_add_nc_u32_e32 v37, 0xc04, v161
	ds_load_2addr_b32 v[62:63], v36 offset1:1
	ds_load_2addr_b32 v[60:61], v37 offset1:1
	;; [unrolled: 1-line block ×3, first 2 shown]
	v_or_b32_e32 v25, v231, v25
	v_add_nc_u32_e32 v231, 0x4108, v162
	s_delay_alu instid0(VALU_DEP_2) | instskip(SKIP_4) | instid1(VALU_DEP_1)
	v_dot4_i32_iu8 v0, v25, v251, 0 neg_lo:[1,1,0]
	v_dot4_i32_iu8 v143, v25, v136, 0 neg_lo:[1,1,0]
	s_wait_dscnt 0x2
	v_lshlrev_b32_e32 v36, 16, v62
	v_lshlrev_b32_e32 v37, 8, v62
	v_perm_b32 v232, v37, v36, 0x7030c0c
	v_add_nc_u32_e32 v36, 0xc0c, v161
	ds_load_2addr_b32 v[36:37], v36 offset1:1
	s_wait_dscnt 0x0
	v_lshlrev_b32_e32 v40, 16, v37
	v_lshlrev_b32_e32 v41, 8, v37
	v_perm_b32 v37, v37, v37, 0xc0c0003
	s_delay_alu instid0(VALU_DEP_2) | instskip(SKIP_2) | instid1(VALU_DEP_3)
	v_perm_b32 v233, v41, v40, 0x7030c0c
	v_lshlrev_b32_e32 v40, 16, v60
	v_lshlrev_b32_e32 v41, 8, v60
	v_or_b32_e32 v250, v233, v37
	v_perm_b32 v37, v60, v60, 0xc0c0003
	s_delay_alu instid0(VALU_DEP_3)
	v_perm_b32 v234, v41, v40, 0x7030c0c
	v_add_nc_u32_e32 v40, 0x100c, v161
	ds_load_2addr_b32 v[40:41], v40 offset1:1
	ds_load_2addr_b32 v[221:222], v42 offset1:1
	;; [unrolled: 1-line block ×4, first 2 shown]
	v_add_nc_u32_e32 v44, 0x1404, v161
	v_or_b32_e32 v60, v234, v37
	v_add_nc_u32_e32 v233, 0x4110, v162
	v_dot4_i32_iu8 v145, v250, v251, 0 neg_lo:[1,1,0]
	v_dot4_i32_iu8 v146, v250, v136, 0 neg_lo:[1,1,0]
	s_wait_dscnt 0x3
	v_lshlrev_b32_e32 v42, 16, v41
	v_lshlrev_b32_e32 v43, 8, v41
	v_perm_b32 v37, v41, v41, 0xc0c0003
	s_delay_alu instid0(VALU_DEP_2) | instskip(SKIP_3) | instid1(VALU_DEP_3)
	v_perm_b32 v235, v43, v42, 0x7030c0c
	s_wait_dscnt 0x2
	v_lshlrev_b32_e32 v42, 16, v221
	v_lshlrev_b32_e32 v43, 8, v221
	v_or_b32_e32 v41, v235, v37
	v_perm_b32 v37, v221, v221, 0xc0c0003
	s_delay_alu instid0(VALU_DEP_3)
	v_perm_b32 v236, v43, v42, 0x7030c0c
	v_add_nc_u32_e32 v42, 0x140c, v161
	ds_load_2addr_b32 v[42:43], v42 offset1:1
	ds_load_2addr_b32 v[223:224], v44 offset1:1
	;; [unrolled: 1-line block ×3, first 2 shown]
	v_or_b32_e32 v221, v236, v37
	v_add_nc_u32_e32 v235, 0x4118, v162
	v_dot4_i32_iu8 v75, v41, v251, 0 neg_lo:[1,1,0]
	v_dot4_i32_iu8 v76, v41, v136, 0 neg_lo:[1,1,0]
	s_wait_dscnt 0x2
	v_lshlrev_b32_e32 v44, 16, v43
	v_lshlrev_b32_e32 v45, 8, v43
	v_perm_b32 v37, v43, v43, 0xc0c0003
	s_delay_alu instid0(VALU_DEP_2) | instskip(SKIP_3) | instid1(VALU_DEP_3)
	v_perm_b32 v237, v45, v44, 0x7030c0c
	s_wait_dscnt 0x1
	v_lshlrev_b32_e32 v44, 16, v223
	v_lshlrev_b32_e32 v45, 8, v223
	v_or_b32_e32 v43, v237, v37
	v_perm_b32 v37, v223, v223, 0xc0c0003
	s_delay_alu instid0(VALU_DEP_3)
	v_perm_b32 v238, v45, v44, 0x7030c0c
	v_add_nc_u32_e32 v44, 0x180c, v161
	v_add_nc_u32_e32 v237, 0x6188, v162
	v_dot4_i32_iu8 v141, v43, v251, 0 neg_lo:[1,1,0]
	v_dot4_i32_iu8 v112, v43, v136, 0 neg_lo:[1,1,0]
	v_or_b32_e32 v223, v238, v37
	ds_load_2addr_b32 v[44:45], v44 offset1:1
	s_wait_dscnt 0x0
	v_lshlrev_b32_e32 v46, 16, v45
	v_lshlrev_b32_e32 v47, 8, v45
	v_perm_b32 v37, v45, v45, 0xc0c0003
	s_delay_alu instid0(VALU_DEP_2)
	v_perm_b32 v239, v47, v46, 0x7030c0c
	v_add_nc_u32_e32 v46, 0x1804, v161
	v_add_nc_u32_e32 v47, 0x1c04, v161
	ds_load_2addr_b32 v[225:226], v46 offset1:1
	ds_load_2addr_b32 v[227:228], v47 offset1:1
	;; [unrolled: 1-line block ×3, first 2 shown]
	v_or_b32_e32 v45, v239, v37
	v_add_nc_u32_e32 v239, 0x6190, v162
	s_delay_alu instid0(VALU_DEP_2)
	v_dot4_i32_iu8 v114, v45, v251, 0 neg_lo:[1,1,0]
	v_dot4_i32_iu8 v1, v45, v136, 0 neg_lo:[1,1,0]
	s_wait_dscnt 0x2
	v_lshlrev_b32_e32 v46, 16, v225
	v_lshlrev_b32_e32 v47, 8, v225
	v_perm_b32 v37, v225, v225, 0xc0c0003
	s_wait_dscnt 0x1
	v_lshlrev_b32_e32 v249, 8, v227
	s_delay_alu instid0(VALU_DEP_3) | instskip(SKIP_1) | instid1(VALU_DEP_2)
	v_perm_b32 v240, v47, v46, 0x7030c0c
	v_add_nc_u32_e32 v46, 0x1c0c, v161
	v_or_b32_e32 v225, v240, v37
	ds_load_2addr_b32 v[46:47], v46 offset1:1
	s_wait_dscnt 0x0
	v_lshlrev_b32_e32 v241, 16, v47
	v_lshlrev_b32_e32 v242, 8, v47
	v_perm_b32 v37, v47, v47, 0xc0c0003
	s_delay_alu instid0(VALU_DEP_2) | instskip(SKIP_1) | instid1(VALU_DEP_2)
	v_perm_b32 v241, v242, v241, 0x7030c0c
	v_lshlrev_b32_e32 v242, 16, v227
	v_or_b32_e32 v47, v241, v37
	s_delay_alu instid0(VALU_DEP_2)
	v_perm_b32 v242, v249, v242, 0x7030c0c
	v_perm_b32 v37, v227, v227, 0xc0c0003
	v_or_b32_e32 v249, v230, v38
	v_perm_b32 v38, v62, v62, 0xc0c0003
	v_add_nc_u32_e32 v241, 0x6198, v162
	v_dot4_i32_iu8 v251, v47, v251, 0 neg_lo:[1,1,0]
	v_or_b32_e32 v227, v242, v37
	v_add_nc_u32_e32 v37, 0x4100, v162
	v_or_b32_e32 v62, v232, v38
	ds_load_2addr_b32 v[37:38], v37 offset1:1
	ds_load_2addr_b32 v[229:230], v229 offset1:1
	;; [unrolled: 1-line block ×8, first 2 shown]
	v_dot4_i32_iu8 v136, v47, v136, 0 neg_lo:[1,1,0]
	v_add_nc_u32_e32 v162, 32, v162
	s_wait_dscnt 0x7
	v_perm_b32 v252, v38, v38, 0x2010003
	s_wait_dscnt 0x6
	v_perm_b32 v253, v230, v230, 0x2010003
	;; [unrolled: 2-line block ×3, first 2 shown]
	v_dot4_i32_iu8 v255, v23, v252, 0 neg_lo:[1,1,0]
	s_delay_alu instid0(VALU_DEP_3)
	v_dot4_i32_iu8 v23, v23, v253, 0 neg_lo:[1,1,0]
	v_dot4_i32_iu8 v144, v25, v252, 0 neg_lo:[1,1,0]
	;; [unrolled: 1-line block ×13, first 2 shown]
	v_perm_b32 v253, v4, v4, 0x2010003
	s_wait_dscnt 0x2
	v_perm_b32 v139, v237, v237, 0x2010003
	v_dot4_i32_iu8 v255, v249, v138, v255 neg_lo:[1,1,0]
	v_dot4_i32_iu8 v80, v221, v138, v80 neg_lo:[1,1,0]
	;; [unrolled: 1-line block ×5, first 2 shown]
	v_perm_b32 v249, v48, v48, 0x2010003
	v_dot4_i32_iu8 v75, v221, v253, v75 neg_lo:[1,1,0]
	v_dot4_i32_iu8 v41, v221, v139, v41 neg_lo:[1,1,0]
	;; [unrolled: 1-line block ×5, first 2 shown]
	v_lshlrev_b32_e32 v221, 24, v21
	v_dot4_i32_iu8 v143, v62, v249, v143 neg_lo:[1,1,0]
	v_dot4_i32_iu8 v62, v60, v253, v145 neg_lo:[1,1,0]
	;; [unrolled: 1-line block ×8, first 2 shown]
	v_perm_b32 v139, v21, v245, 0x7030c0c
	v_perm_b32 v21, v248, v221, 0xc0c0703
	v_dot4_i32_iu8 v141, v223, v253, v141 neg_lo:[1,1,0]
	v_dot4_i32_iu8 v112, v223, v249, v112 neg_lo:[1,1,0]
	;; [unrolled: 1-line block ×4, first 2 shown]
	v_or_b32_e32 v21, v139, v21
	v_lshlrev_b32_e32 v139, 24, v32
	v_perm_b32 v32, v32, v243, 0x7030c0c
	v_dot4_i32_iu8 v1, v225, v249, v1 neg_lo:[1,1,0]
	v_dot4_i32_iu8 v137, v225, v138, v137 neg_lo:[1,1,0]
	;; [unrolled: 1-line block ×3, first 2 shown]
	v_perm_b32 v223, v246, v139, 0xc0c0703
	v_dot4_i32_iu8 v136, v227, v249, v136 neg_lo:[1,1,0]
	v_dot4_i32_iu8 v138, v227, v138, v252 neg_lo:[1,1,0]
	;; [unrolled: 1-line block ×3, first 2 shown]
	v_perm_b32 v4, v5, v4, 0x4000c0c
	v_or_b32_e32 v32, v32, v223
	v_lshlrev_b32_e32 v223, 24, v30
	v_perm_b32 v30, v30, v244, 0x7030c0c
	v_dot4_i32_iu8 v227, v21, v230, v227 neg_lo:[1,1,0]
	v_perm_b32 v230, v238, v238, 0x2010003
	v_or_b32_e32 v4, v4, v11
	v_perm_b32 v225, v247, v223, 0xc0c0703
	s_delay_alu instid0(VALU_DEP_4) | instskip(SKIP_1) | instid1(VALU_DEP_3)
	v_dot4_i32_iu8 v227, v32, v237, v227 neg_lo:[1,1,0]
	v_lshlrev_b32_e32 v237, 8, v58
	v_or_b32_e32 v30, v30, v225
	v_dot4_i32_iu8 v225, v12, v37, 0 neg_lo:[1,1,0]
	s_delay_alu instid0(VALU_DEP_2) | instskip(NEXT) | instid1(VALU_DEP_2)
	v_dot4_i32_iu8 v227, v30, v238, v227 neg_lo:[1,1,0]
	v_dot4_i32_iu8 v38, v21, v38, v225 neg_lo:[1,1,0]
	v_perm_b32 v225, v232, v232, 0x2010003
	v_lshlrev_b32_e32 v238, 8, v26
	s_delay_alu instid0(VALU_DEP_3) | instskip(SKIP_2) | instid1(VALU_DEP_3)
	v_dot4_i32_iu8 v38, v32, v231, v38 neg_lo:[1,1,0]
	v_dot4_i32_iu8 v231, v18, v12, 0 neg_lo:[1,1,0]
	v_perm_b32 v12, v10, v221, 0xc0c0403
	v_dot4_i32_iu8 v38, v30, v232, v38 neg_lo:[1,1,0]
	s_delay_alu instid0(VALU_DEP_3) | instskip(SKIP_3) | instid1(VALU_DEP_4)
	v_dot4_i32_iu8 v19, v21, v19, v231 neg_lo:[1,1,0]
	v_perm_b32 v21, v49, v49, 0x2010003
	v_lshlrev_b32_e32 v231, 8, v52
	v_lshlrev_b32_e32 v232, 8, v56
	v_dot4_i32_iu8 v19, v32, v48, v19 neg_lo:[1,1,0]
	v_lshlrev_b32_e32 v32, 8, v34
	v_lshlrev_b32_e32 v48, 8, v50
	s_delay_alu instid0(VALU_DEP_3) | instskip(SKIP_3) | instid1(VALU_DEP_3)
	v_dot4_i32_iu8 v19, v30, v49, v19 neg_lo:[1,1,0]
	v_lshlrev_b32_e32 v30, 16, v34
	v_lshlrev_b32_e32 v49, 8, v54
	v_perm_b32 v34, v34, v34, 0xc0c0003
	v_perm_b32 v30, v32, v30, 0x7030c0c
	v_lshlrev_b32_e32 v32, 16, v50
	s_delay_alu instid0(VALU_DEP_2) | instskip(NEXT) | instid1(VALU_DEP_2)
	v_or_b32_e32 v30, v30, v34
	v_perm_b32 v32, v48, v32, 0x7030c0c
	v_lshlrev_b32_e32 v48, 16, v54
	v_perm_b32 v34, v50, v50, 0xc0c0003
	v_perm_b32 v50, v58, v58, 0xc0c0003
	v_dot4_i32_iu8 v23, v30, v230, v23 neg_lo:[1,1,0]
	s_delay_alu instid0(VALU_DEP_4) | instskip(SKIP_3) | instid1(VALU_DEP_3)
	v_perm_b32 v48, v49, v48, 0x7030c0c
	v_lshlrev_b32_e32 v49, 16, v52
	v_or_b32_e32 v32, v32, v34
	v_perm_b32 v34, v54, v54, 0xc0c0003
	v_perm_b32 v49, v231, v49, 0x7030c0c
	v_lshlrev_b32_e32 v231, 16, v56
	s_delay_alu instid0(VALU_DEP_3)
	v_or_b32_e32 v34, v48, v34
	v_perm_b32 v48, v52, v52, 0xc0c0003
	v_perm_b32 v52, v5, v5, 0x2010003
	v_dot4_i32_iu8 v25, v32, v230, v25 neg_lo:[1,1,0]
	v_perm_b32 v231, v232, v231, 0x7030c0c
	v_lshlrev_b32_e32 v232, 16, v58
	v_or_b32_e32 v48, v49, v48
	v_perm_b32 v49, v56, v56, 0xc0c0003
	v_dot4_i32_iu8 v54, v30, v52, v254 neg_lo:[1,1,0]
	v_dot4_i32_iu8 v56, v30, v225, v255 neg_lo:[1,1,0]
	v_perm_b32 v232, v237, v232, 0x7030c0c
	v_lshlrev_b32_e32 v237, 16, v26
	v_perm_b32 v26, v26, v26, 0xc0c0003
	v_or_b32_e32 v49, v231, v49
	v_dot4_i32_iu8 v0, v32, v52, v0 neg_lo:[1,1,0]
	v_or_b32_e32 v50, v232, v50
	v_perm_b32 v237, v238, v237, 0x7030c0c
	v_dot4_i32_iu8 v30, v32, v21, v143 neg_lo:[1,1,0]
	v_dot4_i32_iu8 v58, v32, v225, v144 neg_lo:[1,1,0]
	;; [unrolled: 1-line block ×4, first 2 shown]
	v_or_b32_e32 v26, v237, v26
	v_dot4_i32_iu8 v143, v34, v225, v146 neg_lo:[1,1,0]
	v_dot4_i32_iu8 v34, v34, v230, v60 neg_lo:[1,1,0]
	v_dot4_i32_iu8 v60, v48, v52, v75 neg_lo:[1,1,0]
	v_dot4_i32_iu8 v75, v48, v21, v76 neg_lo:[1,1,0]
	v_dot4_i32_iu8 v76, v48, v225, v80 neg_lo:[1,1,0]
	v_dot4_i32_iu8 v41, v48, v230, v41 neg_lo:[1,1,0]
	v_dot4_i32_iu8 v48, v49, v52, v141 neg_lo:[1,1,0]
	v_dot4_i32_iu8 v80, v49, v21, v112 neg_lo:[1,1,0]
	v_dot4_i32_iu8 v112, v49, v225, v113 neg_lo:[1,1,0]
	v_dot4_i32_iu8 v43, v49, v230, v43 neg_lo:[1,1,0]
	v_dot4_i32_iu8 v49, v50, v52, v114 neg_lo:[1,1,0]
	v_dot4_i32_iu8 v1, v50, v21, v1 neg_lo:[1,1,0]
	v_dot4_i32_iu8 v113, v50, v225, v137 neg_lo:[1,1,0]
	v_dot4_i32_iu8 v45, v50, v230, v45 neg_lo:[1,1,0]
	v_dot4_i32_iu8 v50, v26, v52, v147 neg_lo:[1,1,0]
	v_dot4_i32_iu8 v21, v26, v21, v136 neg_lo:[1,1,0]
	v_dot4_i32_iu8 v52, v26, v225, v138 neg_lo:[1,1,0]
	v_dot4_i32_iu8 v26, v26, v230, v47 neg_lo:[1,1,0]
	v_lshlrev_b32_e32 v47, 16, v39
	v_lshlrev_b32_e32 v114, 8, v39
	v_lshlrev_b32_e32 v136, 16, v63
	v_lshlrev_b32_e32 v137, 8, v63
	v_lshlrev_b32_e32 v138, 16, v61
	v_lshlrev_b32_e32 v141, 8, v61
	v_lshlrev_b32_e32 v144, 16, v222
	v_lshlrev_b32_e32 v145, 8, v222
	v_perm_b32 v146, v222, v222, 0xc0c0003
	v_lshlrev_b32_e32 v147, 16, v224
	v_lshlrev_b32_e32 v222, 8, v224
	;; [unrolled: 1-line block ×6, first 2 shown]
	v_perm_b32 v39, v39, v39, 0xc0c0003
	v_perm_b32 v63, v63, v63, 0xc0c0003
	;; [unrolled: 1-line block ×13, first 2 shown]
	v_or_b32_e32 v39, v47, v39
	v_or_b32_e32 v47, v114, v63
	;; [unrolled: 1-line block ×7, first 2 shown]
	v_perm_b32 v138, v6, v6, 0x2010003
	v_perm_b32 v141, v233, v233, 0x2010003
	s_wait_dscnt 0x1
	v_perm_b32 v144, v239, v239, 0x2010003
	v_lshlrev_b32_e32 v145, 16, v57
	v_lshlrev_b32_e32 v146, 8, v57
	v_dot4_i32_iu8 v54, v39, v138, v54 neg_lo:[1,1,0]
	v_dot4_i32_iu8 v56, v39, v141, v56 neg_lo:[1,1,0]
	;; [unrolled: 1-line block ×3, first 2 shown]
	v_perm_b32 v39, v28, v28, 0x2010003
	v_dot4_i32_iu8 v0, v47, v138, v0 neg_lo:[1,1,0]
	v_dot4_i32_iu8 v58, v47, v141, v58 neg_lo:[1,1,0]
	;; [unrolled: 1-line block ×16, first 2 shown]
	v_perm_b32 v52, v33, v220, 0x7030c0c
	v_lshlrev_b32_e32 v33, 24, v33
	v_dot4_i32_iu8 v76, v114, v141, v112 neg_lo:[1,1,0]
	v_perm_b32 v112, v31, v219, 0x7030c0c
	v_lshlrev_b32_e32 v31, 24, v31
	v_dot4_i32_iu8 v48, v114, v138, v48 neg_lo:[1,1,0]
	v_perm_b32 v218, v218, v33, 0xc0c0703
	v_dot4_i32_iu8 v43, v114, v144, v43 neg_lo:[1,1,0]
	v_dot4_i32_iu8 v49, v136, v138, v49 neg_lo:[1,1,0]
	v_perm_b32 v217, v217, v31, 0xc0c0703
	v_dot4_i32_iu8 v80, v136, v141, v113 neg_lo:[1,1,0]
	v_or_b32_e32 v52, v52, v218
	v_dot4_i32_iu8 v45, v136, v144, v45 neg_lo:[1,1,0]
	v_dot4_i32_iu8 v50, v137, v138, v50 neg_lo:[1,1,0]
	;; [unrolled: 1-line block ×3, first 2 shown]
	v_lshlrev_b32_e32 v113, 16, v35
	v_lshlrev_b32_e32 v114, 8, v35
	;; [unrolled: 1-line block ×12, first 2 shown]
	v_or_b32_e32 v112, v112, v217
	v_dot4_i32_iu8 v38, v52, v233, v38 neg_lo:[1,1,0]
	v_dot4_i32_iu8 v218, v52, v239, v227 neg_lo:[1,1,0]
	;; [unrolled: 1-line block ×3, first 2 shown]
	v_perm_b32 v35, v35, v35, 0xc0c0003
	v_perm_b32 v51, v51, v51, 0xc0c0003
	v_perm_b32 v55, v55, v55, 0xc0c0003
	v_perm_b32 v53, v53, v53, 0xc0c0003
	v_perm_b32 v57, v57, v57, 0xc0c0003
	v_perm_b32 v59, v59, v59, 0xc0c0003
	v_perm_b32 v27, v27, v27, 0xc0c0003
	v_dot4_i32_iu8 v38, v112, v234, v38 neg_lo:[1,1,0]
	v_dot4_i32_iu8 v218, v112, v240, v218 neg_lo:[1,1,0]
	;; [unrolled: 1-line block ×3, first 2 shown]
	v_perm_b32 v19, v29, v29, 0x2010003
	v_perm_b32 v28, v114, v113, 0x7030c0c
	;; [unrolled: 1-line block ×10, first 2 shown]
	v_or_b32_e32 v28, v28, v35
	v_or_b32_e32 v29, v29, v51
	;; [unrolled: 1-line block ×7, first 2 shown]
	v_perm_b32 v57, v7, v7, 0x2010003
	v_dot4_i32_iu8 v56, v28, v217, v56 neg_lo:[1,1,0]
	v_dot4_i32_iu8 v23, v28, v224, v23 neg_lo:[1,1,0]
	;; [unrolled: 1-line block ×27, first 2 shown]
	v_lshlrev_b32_e32 v27, 16, v22
	v_lshlrev_b32_e32 v39, 8, v22
	;; [unrolled: 1-line block ×10, first 2 shown]
	v_perm_b32 v22, v22, v22, 0xc0c0003
	v_perm_b32 v36, v36, v36, 0xc0c0003
	;; [unrolled: 1-line block ×3, first 2 shown]
	v_lshlrev_b32_e32 v76, 16, v42
	v_lshlrev_b32_e32 v80, 8, v42
	v_perm_b32 v44, v44, v44, 0xc0c0003
	v_lshlrev_b32_e32 v114, 16, v46
	v_lshlrev_b32_e32 v136, 8, v46
	v_perm_b32 v27, v39, v27, 0x7030c0c
	v_perm_b32 v39, v57, v55, 0x7030c0c
	;; [unrolled: 1-line block ×10, first 2 shown]
	v_or_b32_e32 v22, v27, v22
	v_or_b32_e32 v27, v55, v36
	v_or_b32_e32 v36, v57, v40
	v_or_b32_e32 v40, v62, v44
	v_perm_b32 v44, v8, v8, 0x2010003
	v_or_b32_e32 v24, v39, v24
	v_or_b32_e32 v39, v61, v42
	v_or_b32_e32 v42, v63, v46
	v_perm_b32 v5, v7, v6, 0xc0c0400
	v_dot4_i32_iu8 v46, v22, v44, v54 neg_lo:[1,1,0]
	v_perm_b32 v54, v235, v235, 0x2010003
	v_dot4_i32_iu8 v35, v36, v44, v35 neg_lo:[1,1,0]
	v_dot4_i32_iu8 v0, v24, v44, v0 neg_lo:[1,1,0]
	;; [unrolled: 1-line block ×3, first 2 shown]
	v_perm_b32 v6, v9, v8, 0x4000c0c
	v_dot4_i32_iu8 v55, v22, v54, v56 neg_lo:[1,1,0]
	s_wait_dscnt 0x0
	v_perm_b32 v56, v241, v241, 0x2010003
	v_dot4_i32_iu8 v59, v36, v54, v59 neg_lo:[1,1,0]
	v_dot4_i32_iu8 v62, v24, v54, v30 neg_lo:[1,1,0]
	;; [unrolled: 1-line block ×3, first 2 shown]
	v_perm_b32 v7, v223, v139, 0x7030c0c
	v_dot4_i32_iu8 v57, v22, v56, v23 neg_lo:[1,1,0]
	v_perm_b32 v22, v16, v16, 0x2010003
	v_dot4_i32_iu8 v63, v24, v56, v25 neg_lo:[1,1,0]
	v_dot4_i32_iu8 v34, v27, v56, v34 neg_lo:[1,1,0]
	v_or_b32_e32 v5, v6, v5
	v_perm_b32 v6, v31, v33, 0xc0c0703
	v_dot4_i32_iu8 v58, v36, v22, v58 neg_lo:[1,1,0]
	v_dot4_i32_iu8 v36, v36, v56, v41 neg_lo:[1,1,0]
	;; [unrolled: 1-line block ×8, first 2 shown]
	v_lshlrev_b32_e32 v53, 24, v20
	v_dot4_i32_iu8 v1, v40, v22, v1 neg_lo:[1,1,0]
	v_dot4_i32_iu8 v40, v40, v56, v45 neg_lo:[1,1,0]
	;; [unrolled: 1-line block ×6, first 2 shown]
	v_perm_b32 v19, v20, v214, 0x7030c0c
	v_perm_b32 v20, v216, v53, 0xc0c0703
	v_lshlrev_b32_e32 v56, 24, v13
	v_perm_b32 v13, v13, v213, 0x7030c0c
	v_dot4_i32_iu8 v61, v24, v22, v28 neg_lo:[1,1,0]
	v_dot4_i32_iu8 v32, v27, v22, v32 neg_lo:[1,1,0]
	v_or_b32_e32 v54, v19, v20
	v_perm_b32 v19, v215, v56, 0xc0c0703
	v_lshlrev_b32_e32 v20, 8, v15
	v_perm_b32 v8, v56, v53, 0x7030c0c
	v_or_b32_e32 v7, v7, v12
	v_dot4_i32_iu8 v16, v54, v16, v52 neg_lo:[1,1,0]
	v_or_b32_e32 v13, v13, v19
	v_dot4_i32_iu8 v19, v54, v235, v38 neg_lo:[1,1,0]
	;; [unrolled: 2-line block ×3, first 2 shown]
	v_add_nc_u32_e32 v8, v207, v200
	v_perm_b32 v60, v236, v236, 0x2010003
	v_dot4_i32_iu8 v38, v13, v236, v19 neg_lo:[1,1,0]
	v_dot4_i32_iu8 v19, v54, v241, v218 neg_lo:[1,1,0]
	;; [unrolled: 1-line block ×3, first 2 shown]
	v_add3_u32 v5, v208, v201, v209
	v_add3_u32 v6, v202, v203, v210
	v_perm_b32 v80, v242, v242, 0x2010003
	v_dot4_i32_iu8 v76, v13, v242, v19 neg_lo:[1,1,0]
	v_lshlrev_b32_e32 v19, 16, v15
	v_dot4_i32_iu8 v13, v13, v17, v16 neg_lo:[1,1,0]
	v_bfe_i32 v16, v17, 16, 8
	v_add3_u32 v4, v4, v206, v8
	s_delay_alu instid0(VALU_DEP_4) | instskip(SKIP_1) | instid1(VALU_DEP_3)
	v_perm_b32 v112, v20, v19, 0x7030c0c
	v_add_nc_u32_e32 v19, 0x800, v161
	v_cvt_f32_i32_e32 v4, v4
	ds_load_2addr_b32 v[19:20], v19 offset1:7
	v_fma_mix_f32 v4, v192, v4, v192 op_sel:[0,0,1] op_sel_hi:[1,0,1]
	s_delay_alu instid0(VALU_DEP_1) | instskip(SKIP_1) | instid1(VALU_DEP_1)
	v_add_f32_e32 v87, v87, v4
	v_cvt_f32_i32_e32 v4, v38
	v_fma_mix_f32 v4, v191, v4, v191 op_sel:[0,0,1] op_sel_hi:[1,0,1]
	s_delay_alu instid0(VALU_DEP_1) | instskip(SKIP_4) | instid1(VALU_DEP_2)
	v_add_f32_e32 v107, v107, v4
	s_wait_dscnt 0x0
	v_lshlrev_b32_e32 v21, 16, v20
	v_lshlrev_b32_e32 v22, 8, v20
	v_perm_b32 v20, v20, v20, 0xc0c0003
	v_perm_b32 v113, v22, v21, 0x7030c0c
	v_add_nc_u32_e32 v21, 0xc00, v161
	s_delay_alu instid0(VALU_DEP_2) | instskip(SKIP_3) | instid1(VALU_DEP_2)
	v_or_b32_e32 v20, v113, v20
	ds_load_2addr_b32 v[21:22], v21 offset1:7
	v_perm_b32 v113, v9, v9, 0x2010003
	v_dot4_i32_iu8 v62, v20, v60, v62 neg_lo:[1,1,0]
	v_dot4_i32_iu8 v0, v20, v113, v0 neg_lo:[1,1,0]
	s_delay_alu instid0(VALU_DEP_1) | instskip(NEXT) | instid1(VALU_DEP_1)
	v_dot4_i32_iu8 v0, v10, v19, v0 neg_lo:[1,1,0]
	v_cvt_f32_i32_e32 v0, v0
	s_wait_dscnt 0x0
	v_lshlrev_b32_e32 v23, 16, v22
	v_lshlrev_b32_e32 v24, 8, v22
	v_perm_b32 v22, v22, v22, 0xc0c0003
	v_fma_mix_f32 v0, v185, v0, v185 op_sel:[0,0,1] op_sel_hi:[1,0,1]
	s_delay_alu instid0(VALU_DEP_3) | instskip(SKIP_1) | instid1(VALU_DEP_3)
	v_perm_b32 v114, v24, v23, 0x7030c0c
	v_add_nc_u32_e32 v23, 0x1000, v161
	v_add_f32_e32 v91, v91, v0
	s_delay_alu instid0(VALU_DEP_3) | instskip(SKIP_2) | instid1(VALU_DEP_1)
	v_or_b32_e32 v22, v114, v22
	ds_load_2addr_b32 v[23:24], v23 offset1:7
	v_dot4_i32_iu8 v47, v22, v60, v47 neg_lo:[1,1,0]
	v_dot4_i32_iu8 v47, v21, v37, v47 neg_lo:[1,1,0]
	s_wait_dscnt 0x0
	v_lshlrev_b32_e32 v25, 16, v24
	v_lshlrev_b32_e32 v26, 8, v24
	v_perm_b32 v24, v24, v24, 0xc0c0003
	s_delay_alu instid0(VALU_DEP_2) | instskip(SKIP_1) | instid1(VALU_DEP_2)
	v_perm_b32 v136, v26, v25, 0x7030c0c
	v_add_nc_u32_e32 v25, 0x1400, v161
	v_or_b32_e32 v24, v136, v24
	ds_load_2addr_b32 v[25:26], v25 offset1:7
	s_wait_dscnt 0x0
	v_lshlrev_b32_e32 v27, 16, v26
	v_lshlrev_b32_e32 v28, 8, v26
	v_perm_b32 v26, v26, v26, 0xc0c0003
	s_delay_alu instid0(VALU_DEP_2) | instskip(SKIP_1) | instid1(VALU_DEP_2)
	v_perm_b32 v137, v28, v27, 0x7030c0c
	v_add_nc_u32_e32 v27, 0x1800, v161
	v_or_b32_e32 v26, v137, v26
	ds_load_2addr_b32 v[27:28], v27 offset1:7
	s_wait_dscnt 0x0
	v_lshlrev_b32_e32 v29, 16, v28
	v_lshlrev_b32_e32 v30, 8, v28
	v_perm_b32 v28, v28, v28, 0xc0c0003
	s_delay_alu instid0(VALU_DEP_2) | instskip(SKIP_2) | instid1(VALU_DEP_3)
	v_perm_b32 v138, v30, v29, 0x7030c0c
	v_add_nc_u32_e32 v29, 0x1c00, v161
	v_add_nc_u32_e32 v161, 32, v161
	v_or_b32_e32 v28, v138, v28
	ds_load_2addr_b32 v[29:30], v29 offset1:7
	s_wait_dscnt 0x0
	v_lshlrev_b32_e32 v141, 16, v30
	v_lshlrev_b32_e32 v143, 8, v30
	v_perm_b32 v30, v30, v30, 0xc0c0003
	s_delay_alu instid0(VALU_DEP_2) | instskip(SKIP_2) | instid1(VALU_DEP_3)
	v_perm_b32 v141, v143, v141, 0x7030c0c
	v_perm_b32 v143, v15, v15, 0xc0c0003
	v_bfe_i32 v15, v15, 16, 8
	v_or_b32_e32 v30, v141, v30
	s_delay_alu instid0(VALU_DEP_3) | instskip(NEXT) | instid1(VALU_DEP_3)
	v_or_b32_e32 v112, v112, v143
	v_mul_i32_i24_e32 v15, v15, v16
	s_delay_alu instid0(VALU_DEP_2) | instskip(NEXT) | instid1(VALU_DEP_2)
	v_dot4_i32_iu8 v46, v112, v113, v46 neg_lo:[1,1,0]
	v_add3_u32 v15, v204, v205, v15
	v_dot4_i32_iu8 v55, v112, v60, v55 neg_lo:[1,1,0]
	v_dot4_i32_iu8 v57, v112, v80, v57 neg_lo:[1,1,0]
	v_perm_b32 v112, v17, v17, 0x2010003
	s_delay_alu instid0(VALU_DEP_4) | instskip(NEXT) | instid1(VALU_DEP_2)
	v_add3_u32 v7, v211, v212, v15
	v_dot4_i32_iu8 v61, v20, v112, v61 neg_lo:[1,1,0]
	v_dot4_i32_iu8 v20, v20, v80, v63 neg_lo:[1,1,0]
	s_delay_alu instid0(VALU_DEP_3)
	v_add3_u32 v5, v5, v6, v7
	v_dot4_i32_iu8 v63, v22, v113, v75 neg_lo:[1,1,0]
	v_dot4_i32_iu8 v32, v22, v112, v32 neg_lo:[1,1,0]
	;; [unrolled: 1-line block ×4, first 2 shown]
	v_cvt_f32_i32_e32 v5, v5
	v_dot4_i32_iu8 v35, v24, v112, v58 neg_lo:[1,1,0]
	v_dot4_i32_iu8 v58, v24, v60, v59 neg_lo:[1,1,0]
	;; [unrolled: 1-line block ×4, first 2 shown]
	v_fma_mix_f32 v5, v195, v5, v195 op_sel:[0,0,1] op_sel_hi:[1,0,1]
	v_dot4_i32_iu8 v41, v26, v112, v48 neg_lo:[1,1,0]
	v_dot4_i32_iu8 v48, v26, v60, v51 neg_lo:[1,1,0]
	;; [unrolled: 1-line block ×11, first 2 shown]
	v_add_f32_e32 v100, v100, v5
	v_cvt_f32_i32_e32 v5, v76
	v_cvt_f32_i32_e32 v6, v13
	v_dot4_i32_iu8 v42, v18, v19, v61 neg_lo:[1,1,0]
	v_dot4_i32_iu8 v49, v19, v37, v62 neg_lo:[1,1,0]
	;; [unrolled: 1-line block ×25, first 2 shown]
	v_fma_mix_f32 v5, v189, v5, v189 op_sel:[0,0,1] op_sel_hi:[1,0,1]
	v_fma_mix_f32 v6, v188, v6, v188 op_sel:[0,0,1] op_sel_hi:[1,0,1]
	v_cvt_f32_i32_e32 v4, v28
	v_cvt_f32_i32_e32 v7, v42
	;; [unrolled: 1-line block ×3, first 2 shown]
	v_add_f32_e32 v106, v106, v5
	v_add_f32_e32 v108, v108, v6
	v_cvt_f32_i32_e32 v5, v40
	v_cvt_f32_i32_e32 v6, v14
	v_cvt_f32_i32_e32 v9, v19
	v_cvt_f32_i32_e32 v11, v20
	v_cvt_f32_i32_e32 v12, v32
	v_cvt_f32_i32_e32 v13, v47
	v_cvt_f32_i32_e32 v14, v21
	v_cvt_f32_i32_e32 v15, v22
	v_cvt_f32_i32_e32 v16, v34
	v_cvt_f32_i32_e32 v17, v35
	v_cvt_f32_i32_e32 v19, v23
	v_cvt_f32_i32_e32 v20, v24
	v_cvt_f32_i32_e32 v21, v36
	v_cvt_f32_i32_e32 v22, v41
	v_cvt_f32_i32_e32 v23, v25
	v_cvt_f32_i32_e32 v24, v26
	v_cvt_f32_i32_e32 v1, v1
	v_cvt_f32_i32_e32 v25, v39
	v_cvt_f32_i32_e32 v26, v27
	v_cvt_f32_i32_e32 v10, v10
	v_cvt_f32_i32_e32 v18, v18
	v_cvt_f32_i32_e32 v27, v37
	v_cvt_f32_i32_e32 v28, v29
	v_fma_mix_f32 v4, v186, v4, v186 op_sel:[0,0,1] op_sel_hi:[1,0,1]
	v_fma_mix_f32 v5, v187, v5, v187 op_sel:[0,0,1] op_sel_hi:[1,0,1]
	;; [unrolled: 1-line block ×26, first 2 shown]
	v_dual_add_f32 v104, v104, v4 :: v_dual_add_f32 v95, v95, v5
	v_add_f32_e32 v92, v92, v6
	v_dual_add_f32 v90, v90, v7 :: v_dual_add_f32 v89, v89, v8
	v_add_f32_e32 v88, v88, v9
	v_dual_add_f32 v86, v86, v11 :: v_dual_add_f32 v85, v85, v12
	v_dual_add_f32 v84, v84, v13 :: v_dual_add_f32 v83, v83, v14
	;; [unrolled: 1-line block ×8, first 2 shown]
	v_add_f32_e32 v67, v67, v10
	v_dual_add_f32 v66, v66, v18 :: v_dual_add_f32 v65, v65, v27
	v_add_f32_e32 v64, v64, v28
	s_cbranch_scc1 .LBB123_8
; %bb.9:                                ;   in Loop: Header=BB123_6 Depth=1
	s_and_b32 s12, s5, -4
	s_wait_loadcnt 0x0
	s_wait_alu 0xfffe
	s_cmp_eq_u32 s12, 4
	s_barrier_signal -1
	s_barrier_wait -1
	global_inv scope:SCOPE_SE
	s_cbranch_scc1 .LBB123_5
; %bb.10:                               ;   in Loop: Header=BB123_6 Depth=1
	scratch_load_b32 v0, off, off offset:40 ; 4-byte Folded Reload
	v_add_nc_u32_e32 v20, 4, v160
	s_mov_b32 s12, 12
	v_mov_b32_e32 v161, v142
	s_delay_alu instid0(VALU_DEP_2) | instskip(SKIP_2) | instid1(VALU_DEP_1)
	v_mad_co_u64_u32 v[20:21], null, v20, 36, s[2:3]
	s_wait_loadcnt 0x0
	v_add_nc_u32_e32 v0, s10, v0
	v_add_nc_u32_e32 v1, v0, v128
	;; [unrolled: 1-line block ×6, first 2 shown]
	v_mad_co_i64_i32 v[4:5], null, v1, 36, v[2:3]
	v_add_nc_u32_e32 v1, v0, v132
	v_mad_co_i64_i32 v[14:15], null, v14, 36, v[2:3]
	v_mad_co_i64_i32 v[6:7], null, v6, 36, v[2:3]
	s_delay_alu instid0(VALU_DEP_3) | instskip(SKIP_4) | instid1(VALU_DEP_4)
	v_mad_co_i64_i32 v[12:13], null, v1, 36, v[2:3]
	v_add_nc_u32_e32 v1, v0, v133
	v_add_nc_u32_e32 v0, v0, v134
	v_mad_co_i64_i32 v[8:9], null, v8, 36, v[2:3]
	v_mad_co_i64_i32 v[10:11], null, v10, 36, v[2:3]
	;; [unrolled: 1-line block ×3, first 2 shown]
	s_delay_alu instid0(VALU_DEP_4)
	v_mad_co_i64_i32 v[18:19], null, v0, 36, v[2:3]
	s_clause 0x8
	global_load_b32 v0, v[14:15], off offset:4
	global_load_b32 v1, v[4:5], off offset:4
	global_load_b32 v4, v[6:7], off offset:4
	global_load_b32 v5, v[8:9], off offset:4
	global_load_b32 v6, v[10:11], off offset:4
	global_load_b32 v7, v[12:13], off offset:4
	global_load_b32 v8, v[16:17], off offset:4
	global_load_b32 v9, v[18:19], off offset:4
	global_load_b32 v10, v[20:21], off
	s_clause 0x5
	scratch_load_b32 v160, off, off offset:4
	scratch_load_b32 v162, off, off offset:60
	;; [unrolled: 1-line block ×6, first 2 shown]
	s_wait_loadcnt 0xe
	ds_store_b32 v159, v0
	s_wait_loadcnt 0xd
	ds_store_b32 v152, v1
	;; [unrolled: 2-line block ×8, first 2 shown]
	scratch_load_b32 v0, off, off           ; 4-byte Folded Reload
	s_wait_loadcnt 0x0
	ds_store_b32 v0, v10
	s_wait_dscnt 0x0
	s_barrier_signal -1
	s_barrier_wait -1
	global_inv scope:SCOPE_SE
.LBB123_11:                             ;   Parent Loop BB123_6 Depth=1
                                        ; =>  This Inner Loop Header: Depth=2
	ds_load_2addr_b32 v[4:5], v160 offset1:32
	ds_load_b32 v9, v163
	ds_load_b32 v8, v164
	;; [unrolled: 1-line block ×4, first 2 shown]
	v_add_nc_u32_e32 v17, 0x2090, v162
	v_add_nc_u32_e32 v22, 0x2098, v162
	;; [unrolled: 1-line block ×10, first 2 shown]
	s_wait_alu 0xfffe
	s_add_co_i32 s12, s12, 4
	s_wait_alu 0xfffe
	s_cmp_lt_u32 s12, 28
	s_wait_dscnt 0x3
	v_pk_mul_f16 v191, v4, v9
	s_wait_dscnt 0x2
	v_pk_mul_f16 v187, v4, v8
	;; [unrolled: 2-line block ×4, first 2 shown]
	v_pk_mul_f16 v185, v9, v5
	v_pk_mul_f16 v194, v8, v5
	;; [unrolled: 1-line block ×4, first 2 shown]
	ds_load_2addr_b32 v[4:5], v160 offset0:64 offset1:96
	s_wait_dscnt 0x0
	v_pk_mul_f16 v184, v9, v4
	v_pk_mul_f16 v182, v8, v4
	;; [unrolled: 1-line block ×8, first 2 shown]
	ds_load_2addr_b32 v[4:5], v160 offset0:128 offset1:160
	s_wait_dscnt 0x0
	v_pk_mul_f16 v176, v9, v4
	v_pk_mul_f16 v174, v8, v4
	;; [unrolled: 1-line block ×8, first 2 shown]
	ds_load_2addr_b32 v[4:5], v160 offset0:192 offset1:224
	v_add_nc_u32_e32 v160, 4, v160
	s_wait_dscnt 0x0
	v_pk_mul_f16 v168, v9, v4
	v_pk_mul_f16 v189, v9, v5
	;; [unrolled: 1-line block ×8, first 2 shown]
	ds_load_2addr_b32 v[12:13], v161 offset1:7
	ds_load_2addr_b32 v[10:11], v162 offset1:1
	ds_load_2addr_b32 v[4:5], v162 offset0:2 offset1:3
	ds_load_2addr_b32 v[6:7], v162 offset0:4 offset1:5
	;; [unrolled: 1-line block ×3, first 2 shown]
	s_wait_dscnt 0x4
	v_lshlrev_b32_e32 v212, 8, v13
	s_wait_dscnt 0x3
	v_perm_b32 v0, v12, v11, 0xc0c0703
	s_wait_dscnt 0x2
	v_perm_b32 v1, v5, v4, 0x7030c0c
	v_lshlrev_b32_e32 v214, 16, v13
	s_wait_dscnt 0x0
	v_perm_b32 v15, v9, v8, 0x7030c0c
	s_delay_alu instid0(VALU_DEP_3)
	v_or_b32_e32 v14, v1, v0
	v_add_nc_u32_e32 v0, 0x1c14, v161
	ds_load_2addr_b32 v[26:27], v0 offset1:1
	ds_load_2addr_b32 v[20:21], v161 offset0:3 offset1:4
	ds_load_2addr_b32 v[30:31], v161 offset0:5 offset1:6
	;; [unrolled: 1-line block ×3, first 2 shown]
	s_wait_dscnt 0x2
	v_perm_b32 v0, v10, v21, 0xc0c0703
	v_perm_b32 v16, v13, v20, 0x7030c0c
	s_wait_dscnt 0x0
	v_perm_b32 v1, v30, v32, 0x7030c0c
	v_lshlrev_b32_e32 v75, 8, v32
	v_lshlrev_b32_e32 v76, 8, v30
	;; [unrolled: 1-line block ×4, first 2 shown]
	v_or_b32_e32 v0, v1, v0
	v_perm_b32 v1, v7, v6, 0xc0c0703
	v_lshlrev_b32_e32 v218, 8, v31
	v_perm_b32 v45, v10, v80, 0xc0c0603
	v_lshlrev_b32_e32 v213, 8, v20
	v_dot4_i32_iu8 v0, v0, v14, 0 neg_lo:[1,1,0]
	v_or_b32_e32 v1, v15, v1
	v_perm_b32 v15, v31, v33, 0xc0c0703
	v_lshlrev_b32_e32 v112, 16, v32
	v_perm_b32 v46, v212, v213, 0x7030c0c
	v_lshlrev_b32_e32 v113, 16, v30
	v_lshlrev_b32_e32 v114, 16, v21
	v_or_b32_e32 v15, v16, v15
	v_add_nc_u32_e32 v16, 0x2088, v162
	v_lshlrev_b32_e32 v217, 16, v33
	v_lshlrev_b32_e32 v216, 16, v31
	;; [unrolled: 1-line block ×3, first 2 shown]
	v_dot4_i32_iu8 v199, v15, v1, v0 neg_lo:[1,1,0]
	v_add_nc_u32_e32 v0, 0x2080, v162
	v_add_nc_u32_e32 v1, 0x400, v161
	ds_load_2addr_b32 v[18:19], v0 offset1:1
	ds_load_2addr_b32 v[14:15], v1 offset1:7
	;; [unrolled: 1-line block ×5, first 2 shown]
	v_perm_b32 v80, v21, v80, 0x7030c0c
	s_wait_dscnt 0x4
	v_bfe_i32 v0, v18, 16, 8
	s_wait_dscnt 0x3
	v_bfe_i32 v1, v14, 16, 8
	v_bfe_i32 v22, v14, 0, 8
	v_lshrrev_b16 v23, 8, v14
	s_delay_alu instid0(VALU_DEP_3) | instskip(SKIP_1) | instid1(VALU_DEP_3)
	v_mul_i32_i24_e32 v0, v1, v0
	v_bfe_i32 v1, v18, 0, 8
	v_bfe_i32 v23, v23, 0, 8
	s_delay_alu instid0(VALU_DEP_2) | instskip(SKIP_2) | instid1(VALU_DEP_1)
	v_mad_i32_i24 v0, v22, v1, v0
	v_ashrrev_i32_e32 v1, 24, v18
	v_ashrrev_i32_e32 v22, 24, v14
	v_mul_i32_i24_e32 v1, v22, v1
	v_lshrrev_b16 v22, 8, v18
	s_delay_alu instid0(VALU_DEP_1) | instskip(NEXT) | instid1(VALU_DEP_1)
	v_bfe_i32 v22, v22, 0, 8
	v_mad_i32_i24 v1, v23, v22, v1
	v_add_nc_u32_e32 v22, 0x40c, v161
	ds_load_2addr_b32 v[22:23], v22 offset1:1
	ds_load_2addr_b32 v[38:39], v24 offset1:1
	;; [unrolled: 1-line block ×4, first 2 shown]
	v_bfe_i32 v36, v19, 8, 8
	s_wait_dscnt 0x3
	v_bfe_i32 v37, v23, 8, 8
	v_ashrrev_i32_e32 v40, 24, v23
	s_wait_dscnt 0x2
	v_bfe_i32 v41, v38, 16, 8
	s_wait_dscnt 0x1
	v_bfe_i32 v42, v35, 0, 8
	v_bfe_i32 v43, v22, 0, 8
	v_mul_i32_i24_e32 v36, v37, v36
	v_ashrrev_i32_e32 v37, 24, v19
	v_bfe_i32 v44, v22, 16, 8
	s_delay_alu instid0(VALU_DEP_2) | instskip(SKIP_3) | instid1(VALU_DEP_2)
	v_mad_i32_i24 v200, v40, v37, v36
	v_bfe_i32 v36, v48, 8, 8
	v_bfe_i32 v37, v38, 8, 8
	;; [unrolled: 1-line block ×3, first 2 shown]
	v_mul_i32_i24_e32 v36, v37, v36
	v_bfe_i32 v37, v48, 0, 8
	s_delay_alu instid0(VALU_DEP_1) | instskip(SKIP_2) | instid1(VALU_DEP_1)
	v_mad_i32_i24 v36, v40, v37, v36
	v_ashrrev_i32_e32 v37, 24, v49
	v_ashrrev_i32_e32 v40, 24, v34
	v_mul_i32_i24_e32 v37, v40, v37
	v_bfe_i32 v40, v48, 16, 8
	s_delay_alu instid0(VALU_DEP_1) | instskip(SKIP_3) | instid1(VALU_DEP_2)
	v_mad_i32_i24 v201, v41, v40, v37
	v_bfe_i32 v37, v49, 8, 8
	v_bfe_i32 v40, v34, 8, 8
	;; [unrolled: 1-line block ×3, first 2 shown]
	v_mul_i32_i24_e32 v37, v40, v37
	v_bfe_i32 v40, v49, 0, 8
	s_delay_alu instid0(VALU_DEP_1) | instskip(SKIP_3) | instid1(VALU_DEP_2)
	v_mad_i32_i24 v202, v41, v40, v37
	v_bfe_i32 v37, v28, 8, 8
	v_bfe_i32 v40, v39, 8, 8
	;; [unrolled: 1-line block ×3, first 2 shown]
	v_mul_i32_i24_e32 v37, v40, v37
	v_bfe_i32 v40, v28, 0, 8
	s_delay_alu instid0(VALU_DEP_1) | instskip(SKIP_2) | instid1(VALU_DEP_1)
	v_mad_i32_i24 v37, v41, v40, v37
	v_bfe_i32 v40, v29, 8, 8
	v_bfe_i32 v41, v35, 8, 8
	v_mul_i32_i24_e32 v40, v41, v40
	v_bfe_i32 v41, v29, 0, 8
	s_delay_alu instid0(VALU_DEP_1) | instskip(SKIP_2) | instid1(VALU_DEP_1)
	v_mad_i32_i24 v40, v42, v41, v40
	v_bfe_i32 v41, v16, 8, 8
	v_bfe_i32 v42, v22, 8, 8
	v_mul_i32_i24_e32 v41, v42, v41
	v_bfe_i32 v42, v16, 0, 8
	s_delay_alu instid0(VALU_DEP_1) | instskip(SKIP_2) | instid1(VALU_DEP_1)
	v_mad_i32_i24 v41, v43, v42, v41
	v_ashrrev_i32_e32 v42, 24, v17
	v_ashrrev_i32_e32 v43, 24, v15
	v_mul_i32_i24_e32 v42, v43, v42
	v_bfe_i32 v43, v16, 16, 8
	s_delay_alu instid0(VALU_DEP_1) | instskip(SKIP_3) | instid1(VALU_DEP_2)
	v_mad_i32_i24 v203, v44, v43, v42
	v_bfe_i32 v42, v17, 8, 8
	v_bfe_i32 v43, v15, 8, 8
	v_bfe_i32 v44, v15, 0, 8
	v_mul_i32_i24_e32 v42, v43, v42
	v_bfe_i32 v43, v17, 0, 8
	s_delay_alu instid0(VALU_DEP_1) | instskip(SKIP_3) | instid1(VALU_DEP_2)
	v_mad_i32_i24 v204, v44, v43, v42
	v_perm_b32 v42, v12, v11, 0xc0c0602
	v_perm_b32 v43, v5, v4, 0x6020c0c
	;; [unrolled: 1-line block ×3, first 2 shown]
	v_or_b32_e32 v42, v43, v42
	v_perm_b32 v43, v7, v6, 0xc0c0602
	s_delay_alu instid0(VALU_DEP_1) | instskip(SKIP_1) | instid1(VALU_DEP_1)
	v_or_b32_e32 v43, v44, v43
	v_perm_b32 v44, v76, v75, 0x7030c0c
	v_or_b32_e32 v44, v44, v45
	v_perm_b32 v45, v218, v219, 0xc0c0703
	s_delay_alu instid0(VALU_DEP_2) | instskip(NEXT) | instid1(VALU_DEP_2)
	v_dot4_i32_iu8 v42, v44, v42, 0 neg_lo:[1,1,0]
	v_or_b32_e32 v45, v46, v45
	v_perm_b32 v44, v9, v8, 0x5010c0c
	v_perm_b32 v46, v214, v215, 0x7030c0c
	s_delay_alu instid0(VALU_DEP_3) | instskip(SKIP_3) | instid1(VALU_DEP_2)
	v_dot4_i32_iu8 v205, v45, v43, v42 neg_lo:[1,1,0]
	v_perm_b32 v42, v12, v11, 0xc0c0501
	v_perm_b32 v43, v5, v4, 0x5010c0c
	;; [unrolled: 1-line block ×3, first 2 shown]
	v_or_b32_e32 v42, v43, v42
	v_perm_b32 v43, v7, v6, 0xc0c0501
	s_delay_alu instid0(VALU_DEP_1) | instskip(SKIP_1) | instid1(VALU_DEP_1)
	v_or_b32_e32 v43, v44, v43
	v_perm_b32 v44, v113, v112, 0x7030c0c
	v_or_b32_e32 v44, v44, v45
	v_perm_b32 v45, v216, v217, 0xc0c0703
	s_delay_alu instid0(VALU_DEP_2) | instskip(NEXT) | instid1(VALU_DEP_2)
	v_dot4_i32_iu8 v42, v44, v42, 0 neg_lo:[1,1,0]
	v_or_b32_e32 v45, v46, v45
	v_add_nc_u32_e32 v44, 0x1014, v161
	s_delay_alu instid0(VALU_DEP_2) | instskip(SKIP_3) | instid1(VALU_DEP_2)
	v_dot4_i32_iu8 v206, v45, v43, v42 neg_lo:[1,1,0]
	v_bfe_i32 v42, v23, 0, 8
	v_bfe_i32 v43, v19, 0, 8
	v_add_nc_u32_e32 v45, 0x1414, v161
	v_mul_i32_i24_e32 v42, v42, v43
	v_add_nc_u32_e32 v43, 0xc14, v161
	s_delay_alu instid0(VALU_DEP_2) | instskip(SKIP_3) | instid1(VALU_DEP_2)
	v_add3_u32 v207, v0, v1, v42
	v_bfe_i32 v0, v23, 16, 8
	v_bfe_i32 v1, v19, 16, 8
	v_ashrrev_i32_e32 v42, 24, v48
	v_mul_i32_i24_e32 v0, v0, v1
	v_ashrrev_i32_e32 v1, 24, v38
	s_delay_alu instid0(VALU_DEP_1) | instskip(SKIP_1) | instid1(VALU_DEP_2)
	v_mul_i32_i24_e32 v1, v1, v42
	v_add_nc_u32_e32 v42, 0x1004, v161
	v_add3_u32 v208, v0, v1, v36
	v_bfe_i32 v0, v34, 16, 8
	v_bfe_i32 v1, v49, 16, 8
	v_ashrrev_i32_e32 v36, 24, v28
	s_delay_alu instid0(VALU_DEP_2) | instskip(SKIP_1) | instid1(VALU_DEP_1)
	v_mul_i32_i24_e32 v0, v0, v1
	v_ashrrev_i32_e32 v1, 24, v39
	v_mul_i32_i24_e32 v1, v1, v36
	v_ashrrev_i32_e32 v36, 24, v29
	s_delay_alu instid0(VALU_DEP_2) | instskip(SKIP_4) | instid1(VALU_DEP_2)
	v_add3_u32 v209, v0, v1, v37
	v_bfe_i32 v0, v39, 16, 8
	v_bfe_i32 v1, v28, 16, 8
	s_wait_dscnt 0x0
	v_lshlrev_b32_e32 v37, 8, v25
	v_mul_i32_i24_e32 v0, v0, v1
	v_ashrrev_i32_e32 v1, 24, v35
	s_delay_alu instid0(VALU_DEP_1) | instskip(SKIP_1) | instid1(VALU_DEP_2)
	v_mul_i32_i24_e32 v1, v1, v36
	v_ashrrev_i32_e32 v36, 24, v16
	v_add3_u32 v210, v0, v1, v40
	v_bfe_i32 v0, v35, 16, 8
	v_bfe_i32 v1, v29, 16, 8
	v_add_nc_u32_e32 v40, 0x814, v161
	s_delay_alu instid0(VALU_DEP_2) | instskip(SKIP_1) | instid1(VALU_DEP_1)
	v_mul_i32_i24_e32 v0, v0, v1
	v_ashrrev_i32_e32 v1, 24, v22
	v_mul_i32_i24_e32 v1, v1, v36
	v_lshlrev_b32_e32 v36, 8, v38
	s_delay_alu instid0(VALU_DEP_2) | instskip(SKIP_3) | instid1(VALU_DEP_2)
	v_add3_u32 v211, v0, v1, v41
	v_lshlrev_b32_e32 v0, 16, v23
	v_lshlrev_b32_e32 v1, 8, v23
	v_perm_b32 v23, v23, v23, 0xc0c0003
	v_perm_b32 v0, v1, v0, 0x7030c0c
	v_lshlrev_b32_e32 v1, 16, v38
	s_delay_alu instid0(VALU_DEP_2) | instskip(NEXT) | instid1(VALU_DEP_2)
	v_or_b32_e32 v0, v0, v23
	v_perm_b32 v1, v36, v1, 0x7030c0c
	v_lshlrev_b32_e32 v36, 16, v25
	v_perm_b32 v23, v38, v38, 0xc0c0003
	s_delay_alu instid0(VALU_DEP_2)
	v_perm_b32 v136, v37, v36, 0x7030c0c
	v_add_nc_u32_e32 v36, 0x804, v161
	v_add_nc_u32_e32 v37, 0xc04, v161
	ds_load_2addr_b32 v[62:63], v36 offset1:1
	ds_load_2addr_b32 v[60:61], v37 offset1:1
	;; [unrolled: 1-line block ×3, first 2 shown]
	v_or_b32_e32 v1, v1, v23
	v_perm_b32 v23, v25, v25, 0xc0c0003
	s_delay_alu instid0(VALU_DEP_1) | instskip(SKIP_4) | instid1(VALU_DEP_2)
	v_or_b32_e32 v23, v136, v23
	s_wait_dscnt 0x2
	v_lshlrev_b32_e32 v36, 16, v62
	v_lshlrev_b32_e32 v37, 8, v62
	v_perm_b32 v25, v62, v62, 0xc0c0003
	v_perm_b32 v137, v37, v36, 0x7030c0c
	v_add_nc_u32_e32 v36, 0xc0c, v161
	s_delay_alu instid0(VALU_DEP_2)
	v_or_b32_e32 v25, v137, v25
	ds_load_2addr_b32 v[36:37], v36 offset1:1
	s_wait_dscnt 0x0
	v_lshlrev_b32_e32 v40, 16, v37
	v_lshlrev_b32_e32 v41, 8, v37
	v_perm_b32 v37, v37, v37, 0xc0c0003
	s_delay_alu instid0(VALU_DEP_2) | instskip(SKIP_2) | instid1(VALU_DEP_3)
	v_perm_b32 v138, v41, v40, 0x7030c0c
	v_lshlrev_b32_e32 v40, 16, v60
	v_lshlrev_b32_e32 v41, 8, v60
	v_or_b32_e32 v62, v138, v37
	v_perm_b32 v37, v60, v60, 0xc0c0003
	s_delay_alu instid0(VALU_DEP_3)
	v_perm_b32 v139, v41, v40, 0x7030c0c
	v_add_nc_u32_e32 v40, 0x100c, v161
	ds_load_2addr_b32 v[40:41], v40 offset1:1
	ds_load_2addr_b32 v[220:221], v42 offset1:1
	;; [unrolled: 1-line block ×4, first 2 shown]
	v_add_nc_u32_e32 v44, 0x1404, v161
	v_or_b32_e32 v60, v139, v37
	s_wait_dscnt 0x3
	v_lshlrev_b32_e32 v42, 16, v41
	v_lshlrev_b32_e32 v43, 8, v41
	v_perm_b32 v37, v41, v41, 0xc0c0003
	s_delay_alu instid0(VALU_DEP_2) | instskip(SKIP_3) | instid1(VALU_DEP_3)
	v_perm_b32 v141, v43, v42, 0x7030c0c
	s_wait_dscnt 0x2
	v_lshlrev_b32_e32 v42, 16, v220
	v_lshlrev_b32_e32 v43, 8, v220
	v_or_b32_e32 v41, v141, v37
	v_perm_b32 v37, v220, v220, 0xc0c0003
	s_delay_alu instid0(VALU_DEP_3)
	v_perm_b32 v143, v43, v42, 0x7030c0c
	v_add_nc_u32_e32 v42, 0x140c, v161
	ds_load_2addr_b32 v[42:43], v42 offset1:1
	ds_load_2addr_b32 v[222:223], v44 offset1:1
	;; [unrolled: 1-line block ×3, first 2 shown]
	v_or_b32_e32 v136, v143, v37
	v_add_nc_u32_e32 v141, 0x6180, v162
	v_add_nc_u32_e32 v143, 0x4108, v162
	;; [unrolled: 1-line block ×3, first 2 shown]
	s_wait_dscnt 0x2
	v_lshlrev_b32_e32 v44, 16, v43
	v_lshlrev_b32_e32 v45, 8, v43
	v_perm_b32 v37, v43, v43, 0xc0c0003
	s_delay_alu instid0(VALU_DEP_2) | instskip(SKIP_3) | instid1(VALU_DEP_3)
	v_perm_b32 v144, v45, v44, 0x7030c0c
	s_wait_dscnt 0x1
	v_lshlrev_b32_e32 v44, 16, v222
	v_lshlrev_b32_e32 v45, 8, v222
	v_or_b32_e32 v43, v144, v37
	v_perm_b32 v37, v222, v222, 0xc0c0003
	s_delay_alu instid0(VALU_DEP_3) | instskip(SKIP_2) | instid1(VALU_DEP_3)
	v_perm_b32 v145, v45, v44, 0x7030c0c
	v_add_nc_u32_e32 v44, 0x180c, v161
	v_add_nc_u32_e32 v144, 0x6188, v162
	v_or_b32_e32 v137, v145, v37
	ds_load_2addr_b32 v[44:45], v44 offset1:1
	v_add_nc_u32_e32 v145, 0x4110, v162
	s_wait_dscnt 0x0
	v_lshlrev_b32_e32 v46, 16, v45
	v_lshlrev_b32_e32 v47, 8, v45
	v_perm_b32 v37, v45, v45, 0xc0c0003
	s_delay_alu instid0(VALU_DEP_2)
	v_perm_b32 v146, v47, v46, 0x7030c0c
	v_add_nc_u32_e32 v46, 0x1804, v161
	v_add_nc_u32_e32 v47, 0x1c04, v161
	ds_load_2addr_b32 v[224:225], v46 offset1:1
	ds_load_2addr_b32 v[226:227], v47 offset1:1
	ds_load_2addr_b32 v[58:59], v58 offset1:1
	v_or_b32_e32 v45, v146, v37
	v_add_nc_u32_e32 v146, 0x6190, v162
	s_wait_dscnt 0x2
	v_lshlrev_b32_e32 v46, 16, v224
	v_lshlrev_b32_e32 v47, 8, v224
	v_perm_b32 v37, v224, v224, 0xc0c0003
	s_wait_dscnt 0x1
	v_lshlrev_b32_e32 v230, 8, v226
	s_delay_alu instid0(VALU_DEP_3) | instskip(SKIP_1) | instid1(VALU_DEP_2)
	v_perm_b32 v147, v47, v46, 0x7030c0c
	v_add_nc_u32_e32 v46, 0x1c0c, v161
	v_or_b32_e32 v138, v147, v37
	ds_load_2addr_b32 v[46:47], v46 offset1:1
	v_add_nc_u32_e32 v147, 0x4118, v162
	s_wait_dscnt 0x0
	v_lshlrev_b32_e32 v228, 16, v47
	v_lshlrev_b32_e32 v229, 8, v47
	v_perm_b32 v37, v47, v47, 0xc0c0003
	s_delay_alu instid0(VALU_DEP_2) | instskip(SKIP_1) | instid1(VALU_DEP_2)
	v_perm_b32 v228, v229, v228, 0x7030c0c
	v_lshlrev_b32_e32 v229, 16, v226
	v_or_b32_e32 v47, v228, v37
	s_delay_alu instid0(VALU_DEP_2) | instskip(SKIP_1) | instid1(VALU_DEP_1)
	v_perm_b32 v229, v230, v229, 0x7030c0c
	v_perm_b32 v37, v226, v226, 0xc0c0003
	v_or_b32_e32 v139, v229, v37
	v_add_nc_u32_e32 v37, 0x4100, v162
	ds_load_2addr_b32 v[37:38], v37 offset1:1
	ds_load_2addr_b32 v[228:229], v141 offset1:1
	;; [unrolled: 1-line block ×8, first 2 shown]
	v_perm_b32 v141, v11, v11, 0x2010003
	v_perm_b32 v147, v19, v19, 0x2010003
	;; [unrolled: 1-line block ×3, first 2 shown]
	v_add_nc_u32_e32 v162, 32, v162
	s_delay_alu instid0(VALU_DEP_4)
	v_dot4_i32_iu8 v145, v0, v141, 0 neg_lo:[1,1,0]
	v_dot4_i32_iu8 v220, v23, v141, 0 neg_lo:[1,1,0]
	;; [unrolled: 1-line block ×7, first 2 shown]
	s_wait_dscnt 0x7
	v_perm_b32 v143, v38, v38, 0x2010003
	s_wait_dscnt 0x6
	v_perm_b32 v144, v229, v229, 0x2010003
	v_dot4_i32_iu8 v247, v43, v141, 0 neg_lo:[1,1,0]
	v_dot4_i32_iu8 v248, v43, v147, 0 neg_lo:[1,1,0]
	;; [unrolled: 1-line block ×20, first 2 shown]
	v_perm_b32 v144, v4, v4, 0x2010003
	s_wait_dscnt 0x5
	v_perm_b32 v253, v230, v230, 0x2010003
	s_wait_dscnt 0x2
	v_perm_b32 v254, v236, v236, 0x2010003
	v_perm_b32 v4, v5, v4, 0x4000c0c
	v_dot4_i32_iu8 v145, v1, v144, v145 neg_lo:[1,1,0]
	v_dot4_i32_iu8 v146, v1, v253, v146 neg_lo:[1,1,0]
	s_delay_alu instid0(VALU_DEP_4)
	v_dot4_i32_iu8 v0, v1, v254, v0 neg_lo:[1,1,0]
	v_dot4_i32_iu8 v1, v25, v144, v220 neg_lo:[1,1,0]
	v_perm_b32 v220, v48, v48, 0x2010003
	v_dot4_i32_iu8 v224, v25, v253, v224 neg_lo:[1,1,0]
	v_dot4_i32_iu8 v23, v25, v254, v23 neg_lo:[1,1,0]
	;; [unrolled: 1-line block ×23, first 2 shown]
	v_lshlrev_b32_e32 v139, 24, v21
	v_lshlrev_b32_e32 v144, 8, v56
	;; [unrolled: 1-line block ×4, first 2 shown]
	v_or_b32_e32 v4, v4, v11
	v_perm_b32 v21, v114, v139, 0xc0c0703
	v_dot4_i32_iu8 v114, v18, v12, 0 neg_lo:[1,1,0]
	s_delay_alu instid0(VALU_DEP_2)
	v_or_b32_e32 v21, v80, v21
	v_lshlrev_b32_e32 v80, 24, v32
	v_perm_b32 v32, v32, v75, 0x7030c0c
	v_lshlrev_b32_e32 v75, 24, v30
	v_perm_b32 v30, v30, v76, 0x7030c0c
	v_dot4_i32_iu8 v76, v12, v37, 0 neg_lo:[1,1,0]
	v_perm_b32 v112, v112, v80, 0xc0c0703
	v_dot4_i32_iu8 v19, v21, v19, v114 neg_lo:[1,1,0]
	v_lshlrev_b32_e32 v114, 8, v52
	s_delay_alu instid0(VALU_DEP_4) | instskip(NEXT) | instid1(VALU_DEP_4)
	v_dot4_i32_iu8 v38, v21, v38, v76 neg_lo:[1,1,0]
	v_or_b32_e32 v32, v32, v112
	v_perm_b32 v112, v113, v75, 0xc0c0703
	v_perm_b32 v76, v231, v231, 0x2010003
	;; [unrolled: 1-line block ×3, first 2 shown]
	s_delay_alu instid0(VALU_DEP_4) | instskip(NEXT) | instid1(VALU_DEP_4)
	v_dot4_i32_iu8 v38, v32, v230, v38 neg_lo:[1,1,0]
	v_or_b32_e32 v30, v30, v112
	v_dot4_i32_iu8 v112, v12, v228, 0 neg_lo:[1,1,0]
	v_dot4_i32_iu8 v19, v32, v48, v19 neg_lo:[1,1,0]
	v_lshlrev_b32_e32 v48, 8, v50
	v_lshlrev_b32_e32 v230, 16, v227
	v_dot4_i32_iu8 v38, v30, v231, v38 neg_lo:[1,1,0]
	v_dot4_i32_iu8 v112, v21, v229, v112 neg_lo:[1,1,0]
	;; [unrolled: 1-line block ×3, first 2 shown]
	v_perm_b32 v21, v49, v49, 0x2010003
	v_lshlrev_b32_e32 v49, 8, v54
	v_lshlrev_b32_e32 v229, 8, v225
	v_dot4_i32_iu8 v112, v32, v236, v112 neg_lo:[1,1,0]
	v_lshlrev_b32_e32 v32, 8, v34
	v_lshlrev_b32_e32 v231, 8, v227
	v_perm_b32 v227, v227, v227, 0xc0c0003
	v_perm_b32 v12, v10, v139, 0xc0c0403
	v_dot4_i32_iu8 v112, v30, v237, v112 neg_lo:[1,1,0]
	v_lshlrev_b32_e32 v30, 16, v34
	v_perm_b32 v34, v34, v34, 0xc0c0003
	s_delay_alu instid0(VALU_DEP_2) | instskip(SKIP_1) | instid1(VALU_DEP_2)
	v_perm_b32 v30, v32, v30, 0x7030c0c
	v_lshlrev_b32_e32 v32, 16, v50
	v_or_b32_e32 v30, v30, v34
	s_delay_alu instid0(VALU_DEP_2) | instskip(SKIP_4) | instid1(VALU_DEP_4)
	v_perm_b32 v32, v48, v32, 0x7030c0c
	v_lshlrev_b32_e32 v48, 16, v54
	v_perm_b32 v34, v50, v50, 0xc0c0003
	v_perm_b32 v50, v58, v58, 0xc0c0003
	v_dot4_i32_iu8 v0, v30, v113, v0 neg_lo:[1,1,0]
	v_perm_b32 v48, v49, v48, 0x7030c0c
	v_lshlrev_b32_e32 v49, 16, v52
	v_or_b32_e32 v32, v32, v34
	v_perm_b32 v34, v54, v54, 0xc0c0003
	s_delay_alu instid0(VALU_DEP_3) | instskip(SKIP_1) | instid1(VALU_DEP_3)
	v_perm_b32 v49, v114, v49, 0x7030c0c
	v_lshlrev_b32_e32 v114, 16, v56
	v_or_b32_e32 v34, v48, v34
	v_perm_b32 v48, v52, v52, 0xc0c0003
	v_perm_b32 v52, v5, v5, 0x2010003
	v_dot4_i32_iu8 v23, v32, v113, v23 neg_lo:[1,1,0]
	v_perm_b32 v114, v144, v114, 0x7030c0c
	v_lshlrev_b32_e32 v144, 16, v58
	v_or_b32_e32 v48, v49, v48
	v_perm_b32 v49, v56, v56, 0xc0c0003
	v_dot4_i32_iu8 v54, v30, v52, v145 neg_lo:[1,1,0]
	v_dot4_i32_iu8 v56, v30, v76, v146 neg_lo:[1,1,0]
	v_perm_b32 v144, v147, v144, 0x7030c0c
	v_lshlrev_b32_e32 v147, 16, v26
	v_perm_b32 v26, v26, v26, 0xc0c0003
	v_or_b32_e32 v49, v114, v49
	v_dot4_i32_iu8 v1, v32, v52, v1 neg_lo:[1,1,0]
	v_or_b32_e32 v50, v144, v50
	v_perm_b32 v147, v220, v147, 0x7030c0c
	v_dot4_i32_iu8 v30, v32, v21, v222 neg_lo:[1,1,0]
	v_dot4_i32_iu8 v58, v32, v76, v224 neg_lo:[1,1,0]
	;; [unrolled: 1-line block ×4, first 2 shown]
	v_or_b32_e32 v26, v147, v26
	v_dot4_i32_iu8 v114, v34, v76, v242 neg_lo:[1,1,0]
	v_dot4_i32_iu8 v34, v34, v113, v60 neg_lo:[1,1,0]
	;; [unrolled: 1-line block ×18, first 2 shown]
	v_lshlrev_b32_e32 v47, 16, v39
	v_lshlrev_b32_e32 v76, 8, v39
	;; [unrolled: 1-line block ×11, first 2 shown]
	v_perm_b32 v39, v39, v39, 0xc0c0003
	v_perm_b32 v63, v63, v63, 0xc0c0003
	;; [unrolled: 1-line block ×13, first 2 shown]
	v_or_b32_e32 v39, v47, v39
	v_or_b32_e32 v47, v76, v63
	;; [unrolled: 1-line block ×7, first 2 shown]
	v_perm_b32 v141, v6, v6, 0x2010003
	v_perm_b32 v143, v232, v232, 0x2010003
	s_wait_dscnt 0x1
	v_perm_b32 v147, v238, v238, 0x2010003
	v_lshlrev_b32_e32 v220, 16, v59
	v_lshlrev_b32_e32 v221, 8, v59
	v_dot4_i32_iu8 v54, v39, v141, v54 neg_lo:[1,1,0]
	v_dot4_i32_iu8 v56, v39, v143, v56 neg_lo:[1,1,0]
	v_dot4_i32_iu8 v0, v39, v147, v0 neg_lo:[1,1,0]
	v_perm_b32 v39, v28, v28, 0x2010003
	v_dot4_i32_iu8 v1, v47, v141, v1 neg_lo:[1,1,0]
	v_dot4_i32_iu8 v58, v47, v143, v58 neg_lo:[1,1,0]
	v_dot4_i32_iu8 v23, v47, v147, v23 neg_lo:[1,1,0]
	v_dot4_i32_iu8 v25, v61, v141, v25 neg_lo:[1,1,0]
	v_dot4_i32_iu8 v30, v47, v39, v30 neg_lo:[1,1,0]
	v_dot4_i32_iu8 v32, v61, v39, v32 neg_lo:[1,1,0]
	v_dot4_i32_iu8 v47, v61, v143, v114 neg_lo:[1,1,0]
	v_dot4_i32_iu8 v34, v61, v147, v34 neg_lo:[1,1,0]
	v_dot4_i32_iu8 v60, v63, v141, v60 neg_lo:[1,1,0]
	v_dot4_i32_iu8 v61, v63, v39, v62 neg_lo:[1,1,0]
	v_dot4_i32_iu8 v62, v63, v143, v144 neg_lo:[1,1,0]
	v_dot4_i32_iu8 v41, v63, v147, v41 neg_lo:[1,1,0]
	v_dot4_i32_iu8 v48, v76, v141, v48 neg_lo:[1,1,0]
	v_dot4_i32_iu8 v63, v76, v39, v136 neg_lo:[1,1,0]
	v_dot4_i32_iu8 v114, v76, v143, v145 neg_lo:[1,1,0]
	v_dot4_i32_iu8 v43, v76, v147, v43 neg_lo:[1,1,0]
	v_dot4_i32_iu8 v76, v113, v39, v137 neg_lo:[1,1,0]
	v_dot4_i32_iu8 v21, v138, v39, v21 neg_lo:[1,1,0]
	v_dot4_i32_iu8 v39, v138, v143, v52 neg_lo:[1,1,0]
	v_perm_b32 v52, v33, v219, 0x7030c0c
	v_lshlrev_b32_e32 v33, 24, v33
	v_dot4_i32_iu8 v49, v113, v141, v49 neg_lo:[1,1,0]
	v_dot4_i32_iu8 v136, v113, v143, v146 neg_lo:[1,1,0]
	;; [unrolled: 1-line block ×3, first 2 shown]
	v_perm_b32 v113, v31, v218, 0x7030c0c
	v_lshlrev_b32_e32 v31, 24, v31
	v_perm_b32 v217, v217, v33, 0xc0c0703
	v_dot4_i32_iu8 v50, v138, v141, v50 neg_lo:[1,1,0]
	v_dot4_i32_iu8 v26, v138, v147, v26 neg_lo:[1,1,0]
	v_lshlrev_b32_e32 v137, 16, v35
	v_perm_b32 v216, v216, v31, 0xc0c0703
	v_or_b32_e32 v52, v52, v217
	v_lshlrev_b32_e32 v138, 8, v35
	v_lshlrev_b32_e32 v141, 16, v51
	;; [unrolled: 1-line block ×11, first 2 shown]
	v_or_b32_e32 v113, v113, v216
	v_dot4_i32_iu8 v38, v52, v232, v38 neg_lo:[1,1,0]
	v_dot4_i32_iu8 v112, v52, v238, v112 neg_lo:[1,1,0]
	;; [unrolled: 1-line block ×3, first 2 shown]
	v_perm_b32 v35, v35, v35, 0xc0c0003
	v_perm_b32 v51, v51, v51, 0xc0c0003
	;; [unrolled: 1-line block ×7, first 2 shown]
	v_dot4_i32_iu8 v38, v113, v233, v38 neg_lo:[1,1,0]
	v_dot4_i32_iu8 v112, v113, v239, v112 neg_lo:[1,1,0]
	;; [unrolled: 1-line block ×3, first 2 shown]
	v_perm_b32 v19, v29, v29, 0x2010003
	v_perm_b32 v28, v138, v137, 0x7030c0c
	;; [unrolled: 1-line block ×10, first 2 shown]
	v_or_b32_e32 v28, v28, v35
	v_or_b32_e32 v29, v29, v51
	;; [unrolled: 1-line block ×7, first 2 shown]
	v_perm_b32 v57, v7, v7, 0x2010003
	v_dot4_i32_iu8 v56, v28, v216, v56 neg_lo:[1,1,0]
	v_dot4_i32_iu8 v0, v28, v217, v0 neg_lo:[1,1,0]
	;; [unrolled: 1-line block ×27, first 2 shown]
	v_lshlrev_b32_e32 v27, 16, v22
	v_lshlrev_b32_e32 v39, 8, v22
	;; [unrolled: 1-line block ×10, first 2 shown]
	v_perm_b32 v22, v22, v22, 0xc0c0003
	v_perm_b32 v36, v36, v36, 0xc0c0003
	;; [unrolled: 1-line block ×3, first 2 shown]
	v_lshlrev_b32_e32 v113, 16, v42
	v_lshlrev_b32_e32 v114, 8, v42
	v_perm_b32 v44, v44, v44, 0xc0c0003
	v_lshlrev_b32_e32 v138, 16, v46
	v_lshlrev_b32_e32 v141, 8, v46
	v_perm_b32 v27, v39, v27, 0x7030c0c
	v_perm_b32 v39, v57, v55, 0x7030c0c
	;; [unrolled: 1-line block ×10, first 2 shown]
	v_or_b32_e32 v22, v27, v22
	v_or_b32_e32 v27, v55, v36
	v_or_b32_e32 v36, v57, v40
	v_or_b32_e32 v40, v62, v44
	v_perm_b32 v44, v8, v8, 0x2010003
	v_or_b32_e32 v24, v39, v24
	v_or_b32_e32 v39, v61, v42
	;; [unrolled: 1-line block ×3, first 2 shown]
	s_wait_dscnt 0x0
	v_perm_b32 v113, v241, v241, 0x2010003
	v_dot4_i32_iu8 v46, v22, v44, v54 neg_lo:[1,1,0]
	v_perm_b32 v54, v234, v234, 0x2010003
	v_dot4_i32_iu8 v1, v24, v44, v1 neg_lo:[1,1,0]
	v_dot4_i32_iu8 v63, v27, v44, v25 neg_lo:[1,1,0]
	;; [unrolled: 1-line block ×3, first 2 shown]
	v_perm_b32 v5, v7, v6, 0xc0c0400
	v_dot4_i32_iu8 v55, v22, v54, v56 neg_lo:[1,1,0]
	v_perm_b32 v56, v240, v240, 0x2010003
	v_dot4_i32_iu8 v61, v24, v54, v30 neg_lo:[1,1,0]
	v_dot4_i32_iu8 v32, v27, v54, v32 neg_lo:[1,1,0]
	;; [unrolled: 1-line block ×3, first 2 shown]
	v_perm_b32 v6, v9, v8, 0x4000c0c
	v_dot4_i32_iu8 v0, v22, v56, v0 neg_lo:[1,1,0]
	v_perm_b32 v22, v16, v16, 0x2010003
	v_dot4_i32_iu8 v62, v24, v56, v23 neg_lo:[1,1,0]
	v_dot4_i32_iu8 v34, v27, v56, v34 neg_lo:[1,1,0]
	v_perm_b32 v7, v75, v80, 0x7030c0c
	v_or_b32_e32 v5, v6, v5
	v_dot4_i32_iu8 v47, v36, v22, v47 neg_lo:[1,1,0]
	v_dot4_i32_iu8 v36, v36, v56, v41 neg_lo:[1,1,0]
	;; [unrolled: 1-line block ×11, first 2 shown]
	v_lshlrev_b32_e32 v54, 24, v20
	v_dot4_i32_iu8 v40, v40, v56, v45 neg_lo:[1,1,0]
	v_dot4_i32_iu8 v45, v42, v22, v19 neg_lo:[1,1,0]
	v_perm_b32 v19, v20, v213, 0x7030c0c
	v_lshlrev_b32_e32 v59, 24, v13
	v_perm_b32 v20, v215, v54, 0xc0c0703
	v_dot4_i32_iu8 v42, v42, v56, v26 neg_lo:[1,1,0]
	v_perm_b32 v13, v13, v212, 0x7030c0c
	v_dot4_i32_iu8 v57, v24, v22, v28 neg_lo:[1,1,0]
	v_dot4_i32_iu8 v76, v27, v22, v29 neg_lo:[1,1,0]
	v_or_b32_e32 v56, v19, v20
	v_perm_b32 v19, v214, v59, 0xc0c0703
	v_lshlrev_b32_e32 v20, 8, v15
	v_perm_b32 v60, v235, v235, 0x2010003
	v_perm_b32 v6, v31, v33, 0xc0c0703
	;; [unrolled: 1-line block ×3, first 2 shown]
	v_or_b32_e32 v13, v13, v19
	v_dot4_i32_iu8 v19, v56, v234, v38 neg_lo:[1,1,0]
	v_or_b32_e32 v7, v7, v12
	s_delay_alu instid0(VALU_DEP_4) | instskip(SKIP_1) | instid1(VALU_DEP_4)
	v_or_b32_e32 v6, v8, v6
	v_add_nc_u32_e32 v8, v206, v199
	v_dot4_i32_iu8 v38, v13, v235, v19 neg_lo:[1,1,0]
	v_dot4_i32_iu8 v19, v56, v240, v112 neg_lo:[1,1,0]
	;; [unrolled: 1-line block ×3, first 2 shown]
	s_delay_alu instid0(VALU_DEP_2) | instskip(SKIP_1) | instid1(VALU_DEP_3)
	v_dot4_i32_iu8 v112, v13, v241, v19 neg_lo:[1,1,0]
	v_lshlrev_b32_e32 v19, 16, v15
	v_dot4_i32_iu8 v4, v6, v5, v4 neg_lo:[1,1,0]
	v_add3_u32 v5, v207, v200, v208
	v_add3_u32 v6, v201, v202, v209
	s_delay_alu instid0(VALU_DEP_4) | instskip(SKIP_4) | instid1(VALU_DEP_1)
	v_perm_b32 v114, v20, v19, 0x7030c0c
	v_add_nc_u32_e32 v19, 0x800, v161
	v_add3_u32 v4, v4, v205, v8
	ds_load_2addr_b32 v[19:20], v19 offset1:7
	v_cvt_f32_i32_e32 v4, v4
	v_fma_mix_f32 v4, v191, v4, v191 op_sel:[0,0,1] op_sel_hi:[1,0,1]
	s_delay_alu instid0(VALU_DEP_1) | instskip(SKIP_1) | instid1(VALU_DEP_1)
	v_add_f32_e32 v87, v87, v4
	v_cvt_f32_i32_e32 v4, v38
	v_fma_mix_f32 v4, v190, v4, v190 op_sel:[0,0,1] op_sel_hi:[1,0,1]
	s_wait_dscnt 0x0
	v_lshlrev_b32_e32 v21, 16, v20
	v_lshlrev_b32_e32 v22, 8, v20
	v_perm_b32 v20, v20, v20, 0xc0c0003
	v_add_f32_e32 v107, v107, v4
	s_delay_alu instid0(VALU_DEP_3) | instskip(SKIP_1) | instid1(VALU_DEP_2)
	v_perm_b32 v136, v22, v21, 0x7030c0c
	v_add_nc_u32_e32 v21, 0xc00, v161
	v_or_b32_e32 v20, v136, v20
	ds_load_2addr_b32 v[21:22], v21 offset1:7
	v_perm_b32 v136, v9, v9, 0x2010003
	v_dot4_i32_iu8 v61, v20, v60, v61 neg_lo:[1,1,0]
	s_delay_alu instid0(VALU_DEP_2) | instskip(NEXT) | instid1(VALU_DEP_1)
	v_dot4_i32_iu8 v1, v20, v136, v1 neg_lo:[1,1,0]
	v_dot4_i32_iu8 v1, v10, v19, v1 neg_lo:[1,1,0]
	s_delay_alu instid0(VALU_DEP_1)
	v_cvt_f32_i32_e32 v1, v1
	s_wait_dscnt 0x0
	v_lshlrev_b32_e32 v23, 16, v22
	v_lshlrev_b32_e32 v24, 8, v22
	v_perm_b32 v22, v22, v22, 0xc0c0003
	v_fma_mix_f32 v1, v184, v1, v184 op_sel:[0,0,1] op_sel_hi:[1,0,1]
	s_delay_alu instid0(VALU_DEP_3) | instskip(SKIP_1) | instid1(VALU_DEP_3)
	v_perm_b32 v137, v24, v23, 0x7030c0c
	v_add_nc_u32_e32 v23, 0x1000, v161
	v_add_f32_e32 v91, v91, v1
	s_delay_alu instid0(VALU_DEP_3) | instskip(SKIP_2) | instid1(VALU_DEP_1)
	v_or_b32_e32 v22, v137, v22
	ds_load_2addr_b32 v[23:24], v23 offset1:7
	v_dot4_i32_iu8 v32, v22, v60, v32 neg_lo:[1,1,0]
	v_dot4_i32_iu8 v32, v21, v37, v32 neg_lo:[1,1,0]
	s_delay_alu instid0(VALU_DEP_1) | instskip(NEXT) | instid1(VALU_DEP_1)
	v_cvt_f32_i32_e32 v12, v32
	v_fma_mix_f32 v12, v177, v12, v177 op_sel:[0,0,1] op_sel_hi:[1,0,1]
	s_wait_dscnt 0x0
	v_lshlrev_b32_e32 v25, 16, v24
	v_lshlrev_b32_e32 v26, 8, v24
	v_perm_b32 v24, v24, v24, 0xc0c0003
	v_add_f32_e32 v84, v84, v12
	s_delay_alu instid0(VALU_DEP_3) | instskip(SKIP_1) | instid1(VALU_DEP_2)
	v_perm_b32 v138, v26, v25, 0x7030c0c
	v_add_nc_u32_e32 v25, 0x1400, v161
	v_or_b32_e32 v24, v138, v24
	ds_load_2addr_b32 v[25:26], v25 offset1:7
	s_wait_dscnt 0x0
	v_lshlrev_b32_e32 v27, 16, v26
	v_lshlrev_b32_e32 v28, 8, v26
	v_perm_b32 v26, v26, v26, 0xc0c0003
	s_delay_alu instid0(VALU_DEP_2) | instskip(SKIP_1) | instid1(VALU_DEP_2)
	v_perm_b32 v141, v28, v27, 0x7030c0c
	v_add_nc_u32_e32 v27, 0x1800, v161
	v_or_b32_e32 v26, v141, v26
	ds_load_2addr_b32 v[27:28], v27 offset1:7
	s_wait_dscnt 0x0
	v_lshlrev_b32_e32 v29, 16, v28
	v_lshlrev_b32_e32 v30, 8, v28
	v_perm_b32 v28, v28, v28, 0xc0c0003
	s_delay_alu instid0(VALU_DEP_2) | instskip(SKIP_2) | instid1(VALU_DEP_3)
	v_perm_b32 v143, v30, v29, 0x7030c0c
	v_add_nc_u32_e32 v29, 0x1c00, v161
	v_add_nc_u32_e32 v161, 32, v161
	v_or_b32_e32 v28, v143, v28
	ds_load_2addr_b32 v[29:30], v29 offset1:7
	s_wait_dscnt 0x0
	v_lshlrev_b32_e32 v144, 16, v30
	v_lshlrev_b32_e32 v145, 8, v30
	v_perm_b32 v30, v30, v30, 0xc0c0003
	s_delay_alu instid0(VALU_DEP_2) | instskip(SKIP_2) | instid1(VALU_DEP_3)
	v_perm_b32 v144, v145, v144, 0x7030c0c
	v_perm_b32 v145, v15, v15, 0xc0c0003
	v_bfe_i32 v15, v15, 16, 8
	v_or_b32_e32 v30, v144, v30
	s_delay_alu instid0(VALU_DEP_3) | instskip(NEXT) | instid1(VALU_DEP_1)
	v_or_b32_e32 v114, v114, v145
	v_dot4_i32_iu8 v46, v114, v136, v46 neg_lo:[1,1,0]
	v_dot4_i32_iu8 v55, v114, v60, v55 neg_lo:[1,1,0]
	;; [unrolled: 1-line block ×3, first 2 shown]
	v_perm_b32 v114, v17, v17, 0x2010003
	s_delay_alu instid0(VALU_DEP_2) | instskip(NEXT) | instid1(VALU_DEP_2)
	v_dot4_i32_iu8 v0, v14, v228, v0 neg_lo:[1,1,0]
	v_dot4_i32_iu8 v57, v20, v114, v57 neg_lo:[1,1,0]
	;; [unrolled: 1-line block ×47, first 2 shown]
	v_cvt_f32_i32_e32 v4, v28
	v_dot4_i32_iu8 v13, v13, v17, v14 neg_lo:[1,1,0]
	v_bfe_i32 v14, v17, 16, 8
	v_cvt_f32_i32_e32 v0, v0
	v_cvt_f32_i32_e32 v8, v19
	;; [unrolled: 1-line block ×4, first 2 shown]
	v_mul_i32_i24_e32 v14, v15, v14
	v_cvt_f32_i32_e32 v15, v34
	v_cvt_f32_i32_e32 v16, v35
	v_cvt_f32_i32_e32 v17, v23
	v_cvt_f32_i32_e32 v19, v24
	v_add3_u32 v14, v203, v204, v14
	v_cvt_f32_i32_e32 v20, v36
	v_cvt_f32_i32_e32 v23, v26
	v_cvt_f32_i32_e32 v24, v39
	v_cvt_f32_i32_e32 v26, v27
	v_add3_u32 v7, v210, v211, v14
	;; [unrolled: 5-line block ×3, first 2 shown]
	v_cvt_f32_i32_e32 v6, v13
	v_cvt_f32_i32_e32 v7, v50
	;; [unrolled: 1-line block ×5, first 2 shown]
	v_fma_mix_f32 v6, v187, v6, v187 op_sel:[0,0,1] op_sel_hi:[1,0,1]
	v_cvt_f32_i32_e32 v18, v18
	v_cvt_f32_i32_e32 v27, v37
	;; [unrolled: 1-line block ×3, first 2 shown]
	v_fma_mix_f32 v5, v194, v5, v194 op_sel:[0,0,1] op_sel_hi:[1,0,1]
	v_add_f32_e32 v108, v108, v6
	v_cvt_f32_i32_e32 v6, v42
	v_fma_mix_f32 v4, v185, v4, v185 op_sel:[0,0,1] op_sel_hi:[1,0,1]
	v_fma_mix_f32 v0, v183, v0, v183 op_sel:[0,0,1] op_sel_hi:[1,0,1]
	v_add_f32_e32 v100, v100, v5
	v_cvt_f32_i32_e32 v5, v112
	v_fma_mix_f32 v6, v182, v6, v182 op_sel:[0,0,1] op_sel_hi:[1,0,1]
	v_fma_mix_f32 v7, v181, v7, v181 op_sel:[0,0,1] op_sel_hi:[1,0,1]
	v_fma_mix_f32 v8, v180, v8, v180 op_sel:[0,0,1] op_sel_hi:[1,0,1]
	v_fma_mix_f32 v9, v179, v9, v179 op_sel:[0,0,1] op_sel_hi:[1,0,1]
	v_fma_mix_f32 v5, v188, v5, v188 op_sel:[0,0,1] op_sel_hi:[1,0,1]
	v_fma_mix_f32 v11, v178, v11, v178 op_sel:[0,0,1] op_sel_hi:[1,0,1]
	v_fma_mix_f32 v13, v175, v13, v175 op_sel:[0,0,1] op_sel_hi:[1,0,1]
	v_fma_mix_f32 v14, v176, v14, v176 op_sel:[0,0,1] op_sel_hi:[1,0,1]
	v_fma_mix_f32 v15, v174, v15, v174 op_sel:[0,0,1] op_sel_hi:[1,0,1]
	v_add_f32_e32 v106, v106, v5
	v_cvt_f32_i32_e32 v5, v40
	v_fma_mix_f32 v16, v173, v16, v173 op_sel:[0,0,1] op_sel_hi:[1,0,1]
	v_fma_mix_f32 v17, v172, v17, v172 op_sel:[0,0,1] op_sel_hi:[1,0,1]
	;; [unrolled: 1-line block ×15, first 2 shown]
	v_dual_add_f32 v104, v104, v4 :: v_dual_add_f32 v95, v95, v5
	v_add_f32_e32 v92, v92, v0
	v_dual_add_f32 v90, v90, v6 :: v_dual_add_f32 v89, v89, v7
	v_add_f32_e32 v88, v88, v8
	v_dual_add_f32 v86, v86, v9 :: v_dual_add_f32 v85, v85, v11
	v_dual_add_f32 v83, v83, v13 :: v_dual_add_f32 v82, v82, v14
	v_add_f32_e32 v81, v81, v15
	v_dual_add_f32 v79, v79, v16 :: v_dual_add_f32 v78, v78, v17
	v_dual_add_f32 v77, v77, v19 :: v_dual_add_f32 v74, v74, v20
	;; [unrolled: 1-line block ×5, first 2 shown]
	v_add_f32_e32 v67, v67, v10
	v_dual_add_f32 v66, v66, v18 :: v_dual_add_f32 v65, v65, v27
	v_add_f32_e32 v64, v64, v28
	s_cbranch_scc1 .LBB123_11
; %bb.12:                               ;   in Loop: Header=BB123_6 Depth=1
	s_wait_loadcnt 0x0
	s_barrier_signal -1
	s_barrier_wait -1
	global_inv scope:SCOPE_SE
	s_branch .LBB123_5
.LBB123_13:
	s_clause 0x2
	scratch_load_b32 v1, off, off offset:64 th:TH_LOAD_LU
	scratch_load_b32 v2, off, off offset:68 th:TH_LOAD_LU
	scratch_load_b32 v3, off, off offset:72
.LBB123_14:
	s_mov_b32 s0, exec_lo
	s_wait_loadcnt 0x0
	v_cmpx_gt_u32_e64 s4, v3
	s_cbranch_execz .LBB123_65
; %bb.15:
	v_add_nc_u32_e32 v0, s14, v2
	v_mul_lo_u32 v5, v3, s6
	s_delay_alu instid0(VALU_DEP_2)
	v_cmp_gt_u32_e32 vcc_lo, s6, v0
	s_and_saveexec_b32 s1, vcc_lo
	s_cbranch_execz .LBB123_17
; %bb.16:
	s_delay_alu instid0(VALU_DEP_2) | instskip(NEXT) | instid1(VALU_DEP_1)
	v_dual_mov_b32 v3, 0 :: v_dual_add_nc_u32 v2, v0, v5
	v_lshlrev_b64_e32 v[2:3], 2, v[2:3]
	s_wait_kmcnt 0x0
	s_delay_alu instid0(VALU_DEP_1) | instskip(NEXT) | instid1(VALU_DEP_1)
	v_add_co_u32 v2, s0, s8, v2
	v_add_co_ci_u32_e64 v3, null, s9, v3, s0
	global_store_b32 v[2:3], v87, off
.LBB123_17:
	s_or_b32 exec_lo, exec_lo, s1
	v_add_nc_u32_e32 v2, 32, v0
	s_delay_alu instid0(VALU_DEP_1)
	v_cmp_gt_u32_e64 s0, s6, v2
	s_and_saveexec_b32 s2, s0
	s_cbranch_execz .LBB123_19
; %bb.18:
	v_dual_mov_b32 v4, 0 :: v_dual_add_nc_u32 v3, v2, v5
	s_delay_alu instid0(VALU_DEP_1) | instskip(SKIP_1) | instid1(VALU_DEP_1)
	v_lshlrev_b64_e32 v[3:4], 2, v[3:4]
	s_wait_kmcnt 0x0
	v_add_co_u32 v3, s1, s8, v3
	s_wait_alu 0xf1ff
	s_delay_alu instid0(VALU_DEP_2)
	v_add_co_ci_u32_e64 v4, null, s9, v4, s1
	global_store_b32 v[3:4], v108, off
.LBB123_19:
	s_wait_alu 0xfffe
	s_or_b32 exec_lo, exec_lo, s2
	v_add_nc_u32_e32 v3, 64, v0
	s_delay_alu instid0(VALU_DEP_1)
	v_cmp_gt_u32_e64 s1, s6, v3
	s_and_saveexec_b32 s3, s1
	s_cbranch_execz .LBB123_21
; %bb.20:
	v_dual_mov_b32 v7, 0 :: v_dual_add_nc_u32 v6, v3, v5
	s_delay_alu instid0(VALU_DEP_1) | instskip(SKIP_1) | instid1(VALU_DEP_1)
	v_lshlrev_b64_e32 v[6:7], 2, v[6:7]
	s_wait_kmcnt 0x0
	v_add_co_u32 v6, s2, s8, v6
	s_wait_alu 0xf1ff
	s_delay_alu instid0(VALU_DEP_2)
	v_add_co_ci_u32_e64 v7, null, s9, v7, s2
	global_store_b32 v[6:7], v107, off
.LBB123_21:
	s_wait_alu 0xfffe
	;; [unrolled: 18-line block ×3, first 2 shown]
	s_or_b32 exec_lo, exec_lo, s5
	v_add3_u32 v5, v1, s7, 8
	s_delay_alu instid0(VALU_DEP_1)
	v_cmp_gt_u32_e64 s3, s4, v5
	s_and_b32 exec_lo, exec_lo, s3
	s_cbranch_execz .LBB123_65
; %bb.24:
	v_mul_lo_u32 v5, v5, s6
	s_and_saveexec_b32 s5, vcc_lo
	s_cbranch_execnz .LBB123_66
; %bb.25:
	s_wait_alu 0xfffe
	s_or_b32 exec_lo, exec_lo, s5
	s_and_saveexec_b32 s5, s0
	s_cbranch_execnz .LBB123_67
.LBB123_26:
	s_wait_alu 0xfffe
	s_or_b32 exec_lo, exec_lo, s5
	s_and_saveexec_b32 s5, s1
	s_cbranch_execnz .LBB123_68
.LBB123_27:
	s_wait_alu 0xfffe
	s_or_b32 exec_lo, exec_lo, s5
	s_and_saveexec_b32 s5, s2
	s_cbranch_execz .LBB123_29
.LBB123_28:
	v_dual_mov_b32 v6, 0 :: v_dual_add_nc_u32 v5, v5, v4
	s_delay_alu instid0(VALU_DEP_1) | instskip(SKIP_1) | instid1(VALU_DEP_1)
	v_lshlrev_b64_e32 v[5:6], 2, v[5:6]
	s_wait_kmcnt 0x0
	v_add_co_u32 v5, s3, s8, v5
	s_wait_alu 0xf1ff
	s_delay_alu instid0(VALU_DEP_2)
	v_add_co_ci_u32_e64 v6, null, s9, v6, s3
	global_store_b32 v[5:6], v92, off
.LBB123_29:
	s_wait_alu 0xfffe
	s_or_b32 exec_lo, exec_lo, s5
	v_add3_u32 v5, v1, s7, 16
	s_delay_alu instid0(VALU_DEP_1)
	v_cmp_gt_u32_e64 s3, s4, v5
	s_and_b32 exec_lo, exec_lo, s3
	s_cbranch_execz .LBB123_65
; %bb.30:
	v_mul_lo_u32 v5, v5, s6
	s_and_saveexec_b32 s5, vcc_lo
	s_cbranch_execnz .LBB123_69
; %bb.31:
	s_wait_alu 0xfffe
	s_or_b32 exec_lo, exec_lo, s5
	s_and_saveexec_b32 s5, s0
	s_cbranch_execnz .LBB123_70
.LBB123_32:
	s_wait_alu 0xfffe
	s_or_b32 exec_lo, exec_lo, s5
	s_and_saveexec_b32 s5, s1
	s_cbranch_execnz .LBB123_71
.LBB123_33:
	s_wait_alu 0xfffe
	s_or_b32 exec_lo, exec_lo, s5
	s_and_saveexec_b32 s5, s2
	s_cbranch_execz .LBB123_35
.LBB123_34:
	v_dual_mov_b32 v6, 0 :: v_dual_add_nc_u32 v5, v5, v4
	s_delay_alu instid0(VALU_DEP_1) | instskip(SKIP_1) | instid1(VALU_DEP_1)
	v_lshlrev_b64_e32 v[5:6], 2, v[5:6]
	s_wait_kmcnt 0x0
	v_add_co_u32 v5, s3, s8, v5
	s_wait_alu 0xf1ff
	s_delay_alu instid0(VALU_DEP_2)
	v_add_co_ci_u32_e64 v6, null, s9, v6, s3
	global_store_b32 v[5:6], v88, off
.LBB123_35:
	s_wait_alu 0xfffe
	s_or_b32 exec_lo, exec_lo, s5
	v_add3_u32 v5, v1, s7, 24
	s_delay_alu instid0(VALU_DEP_1)
	v_cmp_gt_u32_e64 s3, s4, v5
	s_and_b32 exec_lo, exec_lo, s3
	s_cbranch_execz .LBB123_65
; %bb.36:
	v_mul_lo_u32 v5, v5, s6
	s_and_saveexec_b32 s5, vcc_lo
	s_cbranch_execnz .LBB123_72
; %bb.37:
	s_wait_alu 0xfffe
	s_or_b32 exec_lo, exec_lo, s5
	s_and_saveexec_b32 s5, s0
	s_cbranch_execnz .LBB123_73
.LBB123_38:
	s_wait_alu 0xfffe
	s_or_b32 exec_lo, exec_lo, s5
	s_and_saveexec_b32 s5, s1
	s_cbranch_execnz .LBB123_74
.LBB123_39:
	s_wait_alu 0xfffe
	s_or_b32 exec_lo, exec_lo, s5
	s_and_saveexec_b32 s5, s2
	s_cbranch_execz .LBB123_41
.LBB123_40:
	v_dual_mov_b32 v6, 0 :: v_dual_add_nc_u32 v5, v5, v4
	s_delay_alu instid0(VALU_DEP_1) | instskip(SKIP_1) | instid1(VALU_DEP_1)
	v_lshlrev_b64_e32 v[5:6], 2, v[5:6]
	s_wait_kmcnt 0x0
	v_add_co_u32 v5, s3, s8, v5
	s_wait_alu 0xf1ff
	s_delay_alu instid0(VALU_DEP_2)
	v_add_co_ci_u32_e64 v6, null, s9, v6, s3
	global_store_b32 v[5:6], v83, off
.LBB123_41:
	s_wait_alu 0xfffe
	s_or_b32 exec_lo, exec_lo, s5
	v_add3_u32 v5, v1, s7, 32
	s_delay_alu instid0(VALU_DEP_1)
	v_cmp_gt_u32_e64 s3, s4, v5
	s_and_b32 exec_lo, exec_lo, s3
	s_cbranch_execz .LBB123_65
; %bb.42:
	v_mul_lo_u32 v5, v5, s6
	s_and_saveexec_b32 s5, vcc_lo
	s_cbranch_execnz .LBB123_75
; %bb.43:
	s_wait_alu 0xfffe
	s_or_b32 exec_lo, exec_lo, s5
	s_and_saveexec_b32 s5, s0
	s_cbranch_execnz .LBB123_76
.LBB123_44:
	s_wait_alu 0xfffe
	s_or_b32 exec_lo, exec_lo, s5
	s_and_saveexec_b32 s5, s1
	s_cbranch_execnz .LBB123_77
.LBB123_45:
	s_wait_alu 0xfffe
	s_or_b32 exec_lo, exec_lo, s5
	s_and_saveexec_b32 s5, s2
	s_cbranch_execz .LBB123_47
.LBB123_46:
	v_dual_mov_b32 v6, 0 :: v_dual_add_nc_u32 v5, v5, v4
	s_delay_alu instid0(VALU_DEP_1) | instskip(SKIP_1) | instid1(VALU_DEP_1)
	v_lshlrev_b64_e32 v[5:6], 2, v[5:6]
	s_wait_kmcnt 0x0
	v_add_co_u32 v5, s3, s8, v5
	s_wait_alu 0xf1ff
	s_delay_alu instid0(VALU_DEP_2)
	v_add_co_ci_u32_e64 v6, null, s9, v6, s3
	global_store_b32 v[5:6], v78, off
.LBB123_47:
	s_wait_alu 0xfffe
	s_or_b32 exec_lo, exec_lo, s5
	v_add3_u32 v5, v1, s7, 40
	s_delay_alu instid0(VALU_DEP_1)
	v_cmp_gt_u32_e64 s3, s4, v5
	s_and_b32 exec_lo, exec_lo, s3
	s_cbranch_execz .LBB123_65
; %bb.48:
	v_mul_lo_u32 v5, v5, s6
	s_and_saveexec_b32 s5, vcc_lo
	s_cbranch_execnz .LBB123_78
; %bb.49:
	s_wait_alu 0xfffe
	s_or_b32 exec_lo, exec_lo, s5
	s_and_saveexec_b32 s5, s0
	s_cbranch_execnz .LBB123_79
.LBB123_50:
	s_wait_alu 0xfffe
	s_or_b32 exec_lo, exec_lo, s5
	s_and_saveexec_b32 s5, s1
	s_cbranch_execnz .LBB123_80
.LBB123_51:
	s_wait_alu 0xfffe
	s_or_b32 exec_lo, exec_lo, s5
	s_and_saveexec_b32 s5, s2
	s_cbranch_execz .LBB123_53
.LBB123_52:
	v_dual_mov_b32 v6, 0 :: v_dual_add_nc_u32 v5, v5, v4
	s_delay_alu instid0(VALU_DEP_1) | instskip(SKIP_1) | instid1(VALU_DEP_1)
	v_lshlrev_b64_e32 v[5:6], 2, v[5:6]
	s_wait_kmcnt 0x0
	v_add_co_u32 v5, s3, s8, v5
	s_wait_alu 0xf1ff
	s_delay_alu instid0(VALU_DEP_2)
	v_add_co_ci_u32_e64 v6, null, s9, v6, s3
	global_store_b32 v[5:6], v72, off
.LBB123_53:
	s_wait_alu 0xfffe
	s_or_b32 exec_lo, exec_lo, s5
	v_add3_u32 v5, v1, s7, 48
	s_delay_alu instid0(VALU_DEP_1)
	v_cmp_gt_u32_e64 s3, s4, v5
	s_and_b32 exec_lo, exec_lo, s3
	s_cbranch_execz .LBB123_65
; %bb.54:
	v_mul_lo_u32 v5, v5, s6
	s_and_saveexec_b32 s5, vcc_lo
	s_cbranch_execnz .LBB123_81
; %bb.55:
	s_wait_alu 0xfffe
	s_or_b32 exec_lo, exec_lo, s5
	s_and_saveexec_b32 s5, s0
	s_cbranch_execnz .LBB123_82
.LBB123_56:
	s_wait_alu 0xfffe
	s_or_b32 exec_lo, exec_lo, s5
	s_and_saveexec_b32 s5, s1
	s_cbranch_execnz .LBB123_83
.LBB123_57:
	s_wait_alu 0xfffe
	s_or_b32 exec_lo, exec_lo, s5
	s_and_saveexec_b32 s5, s2
	s_cbranch_execz .LBB123_59
.LBB123_58:
	v_dual_mov_b32 v6, 0 :: v_dual_add_nc_u32 v5, v5, v4
	s_delay_alu instid0(VALU_DEP_1) | instskip(SKIP_1) | instid1(VALU_DEP_1)
	v_lshlrev_b64_e32 v[5:6], 2, v[5:6]
	s_wait_kmcnt 0x0
	v_add_co_u32 v5, s3, s8, v5
	s_wait_alu 0xf1ff
	s_delay_alu instid0(VALU_DEP_2)
	v_add_co_ci_u32_e64 v6, null, s9, v6, s3
	global_store_b32 v[5:6], v68, off
.LBB123_59:
	s_wait_alu 0xfffe
	s_or_b32 exec_lo, exec_lo, s5
	v_add3_u32 v1, v1, s7, 56
	s_delay_alu instid0(VALU_DEP_1)
	v_cmp_gt_u32_e64 s3, s4, v1
	s_and_b32 exec_lo, exec_lo, s3
	s_cbranch_execz .LBB123_65
; %bb.60:
	v_mul_lo_u32 v1, v1, s6
	s_and_saveexec_b32 s3, vcc_lo
	s_cbranch_execnz .LBB123_84
; %bb.61:
	s_wait_alu 0xfffe
	s_or_b32 exec_lo, exec_lo, s3
	s_and_saveexec_b32 s3, s0
	s_cbranch_execnz .LBB123_85
.LBB123_62:
	s_wait_alu 0xfffe
	s_or_b32 exec_lo, exec_lo, s3
	s_and_saveexec_b32 s0, s1
	s_cbranch_execnz .LBB123_86
.LBB123_63:
	s_wait_alu 0xfffe
	s_or_b32 exec_lo, exec_lo, s0
	s_delay_alu instid0(SALU_CYCLE_1)
	s_and_b32 exec_lo, exec_lo, s2
	s_cbranch_execz .LBB123_65
.LBB123_64:
	v_dual_mov_b32 v1, 0 :: v_dual_add_nc_u32 v0, v1, v4
	s_delay_alu instid0(VALU_DEP_1) | instskip(SKIP_1) | instid1(VALU_DEP_1)
	v_lshlrev_b64_e32 v[0:1], 2, v[0:1]
	s_wait_kmcnt 0x0
	v_add_co_u32 v0, vcc_lo, s8, v0
	s_wait_alu 0xfffd
	s_delay_alu instid0(VALU_DEP_2)
	v_add_co_ci_u32_e64 v1, null, s9, v1, vcc_lo
	global_store_b32 v[0:1], v64, off
.LBB123_65:
	s_nop 0
	s_sendmsg sendmsg(MSG_DEALLOC_VGPRS)
	s_endpgm
.LBB123_66:
	s_delay_alu instid0(VALU_DEP_1) | instskip(NEXT) | instid1(VALU_DEP_1)
	v_dual_mov_b32 v7, 0 :: v_dual_add_nc_u32 v6, v5, v0
	v_lshlrev_b64_e32 v[6:7], 2, v[6:7]
	s_wait_kmcnt 0x0
	s_delay_alu instid0(VALU_DEP_1) | instskip(SKIP_1) | instid1(VALU_DEP_2)
	v_add_co_u32 v6, s3, s8, v6
	s_wait_alu 0xf1ff
	v_add_co_ci_u32_e64 v7, null, s9, v7, s3
	global_store_b32 v[6:7], v104, off
	s_wait_alu 0xfffe
	s_or_b32 exec_lo, exec_lo, s5
	s_and_saveexec_b32 s5, s0
	s_cbranch_execz .LBB123_26
.LBB123_67:
	s_delay_alu instid0(VALU_DEP_1) | instskip(NEXT) | instid1(VALU_DEP_1)
	v_dual_mov_b32 v7, 0 :: v_dual_add_nc_u32 v6, v5, v2
	v_lshlrev_b64_e32 v[6:7], 2, v[6:7]
	s_wait_kmcnt 0x0
	s_delay_alu instid0(VALU_DEP_1) | instskip(SKIP_1) | instid1(VALU_DEP_2)
	v_add_co_u32 v6, s3, s8, v6
	s_wait_alu 0xf1ff
	v_add_co_ci_u32_e64 v7, null, s9, v7, s3
	global_store_b32 v[6:7], v100, off
	s_wait_alu 0xfffe
	s_or_b32 exec_lo, exec_lo, s5
	s_and_saveexec_b32 s5, s1
	s_cbranch_execz .LBB123_27
.LBB123_68:
	v_dual_mov_b32 v7, 0 :: v_dual_add_nc_u32 v6, v5, v3
	s_delay_alu instid0(VALU_DEP_1) | instskip(SKIP_1) | instid1(VALU_DEP_1)
	v_lshlrev_b64_e32 v[6:7], 2, v[6:7]
	s_wait_kmcnt 0x0
	v_add_co_u32 v6, s3, s8, v6
	s_wait_alu 0xf1ff
	s_delay_alu instid0(VALU_DEP_2)
	v_add_co_ci_u32_e64 v7, null, s9, v7, s3
	global_store_b32 v[6:7], v95, off
	s_wait_alu 0xfffe
	s_or_b32 exec_lo, exec_lo, s5
	s_and_saveexec_b32 s5, s2
	s_cbranch_execnz .LBB123_28
	s_branch .LBB123_29
.LBB123_69:
	s_delay_alu instid0(VALU_DEP_1) | instskip(NEXT) | instid1(VALU_DEP_1)
	v_dual_mov_b32 v7, 0 :: v_dual_add_nc_u32 v6, v5, v0
	v_lshlrev_b64_e32 v[6:7], 2, v[6:7]
	s_wait_kmcnt 0x0
	s_delay_alu instid0(VALU_DEP_1) | instskip(SKIP_1) | instid1(VALU_DEP_2)
	v_add_co_u32 v6, s3, s8, v6
	s_wait_alu 0xf1ff
	v_add_co_ci_u32_e64 v7, null, s9, v7, s3
	global_store_b32 v[6:7], v91, off
	s_wait_alu 0xfffe
	s_or_b32 exec_lo, exec_lo, s5
	s_and_saveexec_b32 s5, s0
	s_cbranch_execz .LBB123_32
.LBB123_70:
	s_delay_alu instid0(VALU_DEP_1) | instskip(NEXT) | instid1(VALU_DEP_1)
	v_dual_mov_b32 v7, 0 :: v_dual_add_nc_u32 v6, v5, v2
	v_lshlrev_b64_e32 v[6:7], 2, v[6:7]
	s_wait_kmcnt 0x0
	s_delay_alu instid0(VALU_DEP_1) | instskip(SKIP_1) | instid1(VALU_DEP_2)
	v_add_co_u32 v6, s3, s8, v6
	s_wait_alu 0xf1ff
	v_add_co_ci_u32_e64 v7, null, s9, v7, s3
	global_store_b32 v[6:7], v90, off
	s_wait_alu 0xfffe
	s_or_b32 exec_lo, exec_lo, s5
	s_and_saveexec_b32 s5, s1
	s_cbranch_execz .LBB123_33
.LBB123_71:
	v_dual_mov_b32 v7, 0 :: v_dual_add_nc_u32 v6, v5, v3
	s_delay_alu instid0(VALU_DEP_1) | instskip(SKIP_1) | instid1(VALU_DEP_1)
	v_lshlrev_b64_e32 v[6:7], 2, v[6:7]
	s_wait_kmcnt 0x0
	v_add_co_u32 v6, s3, s8, v6
	s_wait_alu 0xf1ff
	s_delay_alu instid0(VALU_DEP_2)
	v_add_co_ci_u32_e64 v7, null, s9, v7, s3
	global_store_b32 v[6:7], v89, off
	s_wait_alu 0xfffe
	s_or_b32 exec_lo, exec_lo, s5
	s_and_saveexec_b32 s5, s2
	s_cbranch_execnz .LBB123_34
	s_branch .LBB123_35
.LBB123_72:
	s_delay_alu instid0(VALU_DEP_1) | instskip(NEXT) | instid1(VALU_DEP_1)
	v_dual_mov_b32 v7, 0 :: v_dual_add_nc_u32 v6, v5, v0
	v_lshlrev_b64_e32 v[6:7], 2, v[6:7]
	s_wait_kmcnt 0x0
	s_delay_alu instid0(VALU_DEP_1) | instskip(SKIP_1) | instid1(VALU_DEP_2)
	v_add_co_u32 v6, s3, s8, v6
	s_wait_alu 0xf1ff
	v_add_co_ci_u32_e64 v7, null, s9, v7, s3
	global_store_b32 v[6:7], v86, off
	s_wait_alu 0xfffe
	s_or_b32 exec_lo, exec_lo, s5
	s_and_saveexec_b32 s5, s0
	s_cbranch_execz .LBB123_38
.LBB123_73:
	s_delay_alu instid0(VALU_DEP_1) | instskip(NEXT) | instid1(VALU_DEP_1)
	v_dual_mov_b32 v7, 0 :: v_dual_add_nc_u32 v6, v5, v2
	v_lshlrev_b64_e32 v[6:7], 2, v[6:7]
	s_wait_kmcnt 0x0
	s_delay_alu instid0(VALU_DEP_1) | instskip(SKIP_1) | instid1(VALU_DEP_2)
	v_add_co_u32 v6, s3, s8, v6
	s_wait_alu 0xf1ff
	v_add_co_ci_u32_e64 v7, null, s9, v7, s3
	global_store_b32 v[6:7], v85, off
	s_wait_alu 0xfffe
	s_or_b32 exec_lo, exec_lo, s5
	s_and_saveexec_b32 s5, s1
	s_cbranch_execz .LBB123_39
.LBB123_74:
	v_dual_mov_b32 v7, 0 :: v_dual_add_nc_u32 v6, v5, v3
	s_delay_alu instid0(VALU_DEP_1) | instskip(SKIP_1) | instid1(VALU_DEP_1)
	v_lshlrev_b64_e32 v[6:7], 2, v[6:7]
	s_wait_kmcnt 0x0
	v_add_co_u32 v6, s3, s8, v6
	s_wait_alu 0xf1ff
	s_delay_alu instid0(VALU_DEP_2)
	v_add_co_ci_u32_e64 v7, null, s9, v7, s3
	global_store_b32 v[6:7], v84, off
	s_wait_alu 0xfffe
	s_or_b32 exec_lo, exec_lo, s5
	s_and_saveexec_b32 s5, s2
	s_cbranch_execnz .LBB123_40
	s_branch .LBB123_41
.LBB123_75:
	s_delay_alu instid0(VALU_DEP_1) | instskip(NEXT) | instid1(VALU_DEP_1)
	v_dual_mov_b32 v7, 0 :: v_dual_add_nc_u32 v6, v5, v0
	v_lshlrev_b64_e32 v[6:7], 2, v[6:7]
	s_wait_kmcnt 0x0
	s_delay_alu instid0(VALU_DEP_1) | instskip(SKIP_1) | instid1(VALU_DEP_2)
	v_add_co_u32 v6, s3, s8, v6
	s_wait_alu 0xf1ff
	v_add_co_ci_u32_e64 v7, null, s9, v7, s3
	global_store_b32 v[6:7], v82, off
	s_wait_alu 0xfffe
	s_or_b32 exec_lo, exec_lo, s5
	s_and_saveexec_b32 s5, s0
	s_cbranch_execz .LBB123_44
.LBB123_76:
	s_delay_alu instid0(VALU_DEP_1) | instskip(NEXT) | instid1(VALU_DEP_1)
	v_dual_mov_b32 v7, 0 :: v_dual_add_nc_u32 v6, v5, v2
	v_lshlrev_b64_e32 v[6:7], 2, v[6:7]
	s_wait_kmcnt 0x0
	s_delay_alu instid0(VALU_DEP_1) | instskip(SKIP_1) | instid1(VALU_DEP_2)
	v_add_co_u32 v6, s3, s8, v6
	s_wait_alu 0xf1ff
	v_add_co_ci_u32_e64 v7, null, s9, v7, s3
	global_store_b32 v[6:7], v81, off
	s_wait_alu 0xfffe
	s_or_b32 exec_lo, exec_lo, s5
	s_and_saveexec_b32 s5, s1
	s_cbranch_execz .LBB123_45
.LBB123_77:
	v_dual_mov_b32 v7, 0 :: v_dual_add_nc_u32 v6, v5, v3
	s_delay_alu instid0(VALU_DEP_1) | instskip(SKIP_1) | instid1(VALU_DEP_1)
	v_lshlrev_b64_e32 v[6:7], 2, v[6:7]
	s_wait_kmcnt 0x0
	v_add_co_u32 v6, s3, s8, v6
	s_wait_alu 0xf1ff
	s_delay_alu instid0(VALU_DEP_2)
	v_add_co_ci_u32_e64 v7, null, s9, v7, s3
	global_store_b32 v[6:7], v79, off
	s_wait_alu 0xfffe
	s_or_b32 exec_lo, exec_lo, s5
	s_and_saveexec_b32 s5, s2
	s_cbranch_execnz .LBB123_46
	s_branch .LBB123_47
.LBB123_78:
	s_delay_alu instid0(VALU_DEP_1) | instskip(NEXT) | instid1(VALU_DEP_1)
	v_dual_mov_b32 v7, 0 :: v_dual_add_nc_u32 v6, v5, v0
	v_lshlrev_b64_e32 v[6:7], 2, v[6:7]
	s_wait_kmcnt 0x0
	s_delay_alu instid0(VALU_DEP_1) | instskip(SKIP_1) | instid1(VALU_DEP_2)
	v_add_co_u32 v6, s3, s8, v6
	s_wait_alu 0xf1ff
	v_add_co_ci_u32_e64 v7, null, s9, v7, s3
	global_store_b32 v[6:7], v77, off
	s_wait_alu 0xfffe
	s_or_b32 exec_lo, exec_lo, s5
	s_and_saveexec_b32 s5, s0
	s_cbranch_execz .LBB123_50
.LBB123_79:
	s_delay_alu instid0(VALU_DEP_1) | instskip(NEXT) | instid1(VALU_DEP_1)
	v_dual_mov_b32 v7, 0 :: v_dual_add_nc_u32 v6, v5, v2
	v_lshlrev_b64_e32 v[6:7], 2, v[6:7]
	s_wait_kmcnt 0x0
	s_delay_alu instid0(VALU_DEP_1) | instskip(SKIP_1) | instid1(VALU_DEP_2)
	v_add_co_u32 v6, s3, s8, v6
	s_wait_alu 0xf1ff
	v_add_co_ci_u32_e64 v7, null, s9, v7, s3
	global_store_b32 v[6:7], v74, off
	s_wait_alu 0xfffe
	s_or_b32 exec_lo, exec_lo, s5
	s_and_saveexec_b32 s5, s1
	s_cbranch_execz .LBB123_51
.LBB123_80:
	v_dual_mov_b32 v7, 0 :: v_dual_add_nc_u32 v6, v5, v3
	s_delay_alu instid0(VALU_DEP_1) | instskip(SKIP_1) | instid1(VALU_DEP_1)
	v_lshlrev_b64_e32 v[6:7], 2, v[6:7]
	s_wait_kmcnt 0x0
	v_add_co_u32 v6, s3, s8, v6
	s_wait_alu 0xf1ff
	s_delay_alu instid0(VALU_DEP_2)
	v_add_co_ci_u32_e64 v7, null, s9, v7, s3
	global_store_b32 v[6:7], v73, off
	s_wait_alu 0xfffe
	s_or_b32 exec_lo, exec_lo, s5
	s_and_saveexec_b32 s5, s2
	s_cbranch_execnz .LBB123_52
	s_branch .LBB123_53
.LBB123_81:
	s_delay_alu instid0(VALU_DEP_1) | instskip(NEXT) | instid1(VALU_DEP_1)
	v_dual_mov_b32 v7, 0 :: v_dual_add_nc_u32 v6, v5, v0
	v_lshlrev_b64_e32 v[6:7], 2, v[6:7]
	s_wait_kmcnt 0x0
	s_delay_alu instid0(VALU_DEP_1) | instskip(SKIP_1) | instid1(VALU_DEP_2)
	v_add_co_u32 v6, s3, s8, v6
	s_wait_alu 0xf1ff
	v_add_co_ci_u32_e64 v7, null, s9, v7, s3
	global_store_b32 v[6:7], v71, off
	s_wait_alu 0xfffe
	s_or_b32 exec_lo, exec_lo, s5
	s_and_saveexec_b32 s5, s0
	s_cbranch_execz .LBB123_56
.LBB123_82:
	s_delay_alu instid0(VALU_DEP_1) | instskip(NEXT) | instid1(VALU_DEP_1)
	v_dual_mov_b32 v7, 0 :: v_dual_add_nc_u32 v6, v5, v2
	v_lshlrev_b64_e32 v[6:7], 2, v[6:7]
	s_wait_kmcnt 0x0
	s_delay_alu instid0(VALU_DEP_1) | instskip(SKIP_1) | instid1(VALU_DEP_2)
	v_add_co_u32 v6, s3, s8, v6
	s_wait_alu 0xf1ff
	v_add_co_ci_u32_e64 v7, null, s9, v7, s3
	global_store_b32 v[6:7], v70, off
	s_wait_alu 0xfffe
	s_or_b32 exec_lo, exec_lo, s5
	s_and_saveexec_b32 s5, s1
	s_cbranch_execz .LBB123_57
.LBB123_83:
	v_dual_mov_b32 v7, 0 :: v_dual_add_nc_u32 v6, v5, v3
	s_delay_alu instid0(VALU_DEP_1) | instskip(SKIP_1) | instid1(VALU_DEP_1)
	v_lshlrev_b64_e32 v[6:7], 2, v[6:7]
	s_wait_kmcnt 0x0
	v_add_co_u32 v6, s3, s8, v6
	s_wait_alu 0xf1ff
	s_delay_alu instid0(VALU_DEP_2)
	v_add_co_ci_u32_e64 v7, null, s9, v7, s3
	global_store_b32 v[6:7], v69, off
	s_wait_alu 0xfffe
	s_or_b32 exec_lo, exec_lo, s5
	s_and_saveexec_b32 s5, s2
	s_cbranch_execnz .LBB123_58
	s_branch .LBB123_59
.LBB123_84:
	s_delay_alu instid0(VALU_DEP_1) | instskip(NEXT) | instid1(VALU_DEP_1)
	v_dual_mov_b32 v6, 0 :: v_dual_add_nc_u32 v5, v1, v0
	v_lshlrev_b64_e32 v[5:6], 2, v[5:6]
	s_wait_kmcnt 0x0
	s_delay_alu instid0(VALU_DEP_1) | instskip(SKIP_1) | instid1(VALU_DEP_2)
	v_add_co_u32 v5, vcc_lo, s8, v5
	s_wait_alu 0xfffd
	v_add_co_ci_u32_e64 v6, null, s9, v6, vcc_lo
	global_store_b32 v[5:6], v67, off
	s_wait_alu 0xfffe
	s_or_b32 exec_lo, exec_lo, s3
	s_and_saveexec_b32 s3, s0
	s_cbranch_execz .LBB123_62
.LBB123_85:
	s_delay_alu instid0(VALU_DEP_1) | instskip(NEXT) | instid1(VALU_DEP_1)
	v_dual_mov_b32 v6, 0 :: v_dual_add_nc_u32 v5, v1, v2
	v_lshlrev_b64_e32 v[5:6], 2, v[5:6]
	s_wait_kmcnt 0x0
	s_delay_alu instid0(VALU_DEP_1) | instskip(SKIP_1) | instid1(VALU_DEP_2)
	v_add_co_u32 v5, vcc_lo, s8, v5
	s_wait_alu 0xfffd
	v_add_co_ci_u32_e64 v6, null, s9, v6, vcc_lo
	global_store_b32 v[5:6], v66, off
	s_wait_alu 0xfffe
	s_or_b32 exec_lo, exec_lo, s3
	s_and_saveexec_b32 s0, s1
	s_cbranch_execz .LBB123_63
.LBB123_86:
	v_dual_mov_b32 v3, 0 :: v_dual_add_nc_u32 v2, v1, v3
	s_delay_alu instid0(VALU_DEP_1) | instskip(SKIP_1) | instid1(VALU_DEP_1)
	v_lshlrev_b64_e32 v[2:3], 2, v[2:3]
	s_wait_kmcnt 0x0
	v_add_co_u32 v2, vcc_lo, s8, v2
	s_wait_alu 0xfffd
	s_delay_alu instid0(VALU_DEP_2) | instskip(SKIP_3) | instid1(SALU_CYCLE_1)
	v_add_co_ci_u32_e64 v3, null, s9, v3, vcc_lo
	global_store_b32 v[2:3], v65, off
	s_wait_alu 0xfffe
	s_or_b32 exec_lo, exec_lo, s0
	s_and_b32 exec_lo, exec_lo, s2
	s_cbranch_execnz .LBB123_64
	s_branch .LBB123_65
	.section	.rodata,"a",@progbits
	.p2align	6, 0x0
	.amdhsa_kernel _ZL12mul_mat_q5_1IfLb0EEvPKvS1_PT_iiiii
		.amdhsa_group_segment_fixed_size 46720
		.amdhsa_private_segment_fixed_size 80
		.amdhsa_kernarg_size 44
		.amdhsa_user_sgpr_count 2
		.amdhsa_user_sgpr_dispatch_ptr 0
		.amdhsa_user_sgpr_queue_ptr 0
		.amdhsa_user_sgpr_kernarg_segment_ptr 1
		.amdhsa_user_sgpr_dispatch_id 0
		.amdhsa_user_sgpr_private_segment_size 0
		.amdhsa_wavefront_size32 1
		.amdhsa_uses_dynamic_stack 0
		.amdhsa_enable_private_segment 1
		.amdhsa_system_sgpr_workgroup_id_x 1
		.amdhsa_system_sgpr_workgroup_id_y 1
		.amdhsa_system_sgpr_workgroup_id_z 0
		.amdhsa_system_sgpr_workgroup_info 0
		.amdhsa_system_vgpr_workitem_id 1
		.amdhsa_next_free_vgpr 256
		.amdhsa_next_free_sgpr 17
		.amdhsa_reserve_vcc 1
		.amdhsa_float_round_mode_32 0
		.amdhsa_float_round_mode_16_64 0
		.amdhsa_float_denorm_mode_32 3
		.amdhsa_float_denorm_mode_16_64 3
		.amdhsa_fp16_overflow 0
		.amdhsa_workgroup_processor_mode 1
		.amdhsa_memory_ordered 1
		.amdhsa_forward_progress 1
		.amdhsa_inst_pref_size 191
		.amdhsa_round_robin_scheduling 0
		.amdhsa_exception_fp_ieee_invalid_op 0
		.amdhsa_exception_fp_denorm_src 0
		.amdhsa_exception_fp_ieee_div_zero 0
		.amdhsa_exception_fp_ieee_overflow 0
		.amdhsa_exception_fp_ieee_underflow 0
		.amdhsa_exception_fp_ieee_inexact 0
		.amdhsa_exception_int_div_zero 0
	.end_amdhsa_kernel
	.section	.text._ZL12mul_mat_q5_1IfLb0EEvPKvS1_PT_iiiii,"axG",@progbits,_ZL12mul_mat_q5_1IfLb0EEvPKvS1_PT_iiiii,comdat
.Lfunc_end123:
	.size	_ZL12mul_mat_q5_1IfLb0EEvPKvS1_PT_iiiii, .Lfunc_end123-_ZL12mul_mat_q5_1IfLb0EEvPKvS1_PT_iiiii
                                        ; -- End function
	.set _ZL12mul_mat_q5_1IfLb0EEvPKvS1_PT_iiiii.num_vgpr, 256
	.set _ZL12mul_mat_q5_1IfLb0EEvPKvS1_PT_iiiii.num_agpr, 0
	.set _ZL12mul_mat_q5_1IfLb0EEvPKvS1_PT_iiiii.numbered_sgpr, 17
	.set _ZL12mul_mat_q5_1IfLb0EEvPKvS1_PT_iiiii.num_named_barrier, 0
	.set _ZL12mul_mat_q5_1IfLb0EEvPKvS1_PT_iiiii.private_seg_size, 80
	.set _ZL12mul_mat_q5_1IfLb0EEvPKvS1_PT_iiiii.uses_vcc, 1
	.set _ZL12mul_mat_q5_1IfLb0EEvPKvS1_PT_iiiii.uses_flat_scratch, 1
	.set _ZL12mul_mat_q5_1IfLb0EEvPKvS1_PT_iiiii.has_dyn_sized_stack, 0
	.set _ZL12mul_mat_q5_1IfLb0EEvPKvS1_PT_iiiii.has_recursion, 0
	.set _ZL12mul_mat_q5_1IfLb0EEvPKvS1_PT_iiiii.has_indirect_call, 0
	.section	.AMDGPU.csdata,"",@progbits
; Kernel info:
; codeLenInByte = 24396
; TotalNumSgprs: 19
; NumVgprs: 256
; ScratchSize: 80
; MemoryBound: 0
; FloatMode: 240
; IeeeMode: 1
; LDSByteSize: 46720 bytes/workgroup (compile time only)
; SGPRBlocks: 0
; VGPRBlocks: 31
; NumSGPRsForWavesPerEU: 19
; NumVGPRsForWavesPerEU: 256
; Occupancy: 4
; WaveLimiterHint : 0
; COMPUTE_PGM_RSRC2:SCRATCH_EN: 1
; COMPUTE_PGM_RSRC2:USER_SGPR: 2
; COMPUTE_PGM_RSRC2:TRAP_HANDLER: 0
; COMPUTE_PGM_RSRC2:TGID_X_EN: 1
; COMPUTE_PGM_RSRC2:TGID_Y_EN: 1
; COMPUTE_PGM_RSRC2:TGID_Z_EN: 0
; COMPUTE_PGM_RSRC2:TIDIG_COMP_CNT: 1
	.section	.text._ZL12mul_mat_q5_1IfLb1EEvPKvS1_PT_iiiii,"axG",@progbits,_ZL12mul_mat_q5_1IfLb1EEvPKvS1_PT_iiiii,comdat
	.globl	_ZL12mul_mat_q5_1IfLb1EEvPKvS1_PT_iiiii ; -- Begin function _ZL12mul_mat_q5_1IfLb1EEvPKvS1_PT_iiiii
	.p2align	8
	.type	_ZL12mul_mat_q5_1IfLb1EEvPKvS1_PT_iiiii,@function
_ZL12mul_mat_q5_1IfLb1EEvPKvS1_PT_iiiii: ; @_ZL12mul_mat_q5_1IfLb1EEvPKvS1_PT_iiiii
; %bb.0:
	s_clause 0x1
	s_load_b128 s[4:7], s[0:1], 0x18
	s_load_b32 s12, s[0:1], 0x28
	v_bfe_u32 v48, v0, 10, 10
	v_and_b32_e32 v1, 0x3ff, v0
	s_lshl_b32 s13, ttmp7, 6
	scratch_store_b32 off, v1, off offset:56 ; 4-byte Folded Spill
	s_wait_kmcnt 0x0
	s_cmp_gt_i32 s4, 31
	s_cbranch_scc1 .LBB124_2
; %bb.1:
	v_bfe_u32 v1, v0, 10, 10
	v_and_b32_e32 v2, 0x3ff, v0
	s_mov_b32 s2, 0
	s_delay_alu instid0(VALU_DEP_2)
	v_add_nc_u32_e32 v3, s13, v1
	s_branch .LBB124_3
.LBB124_2:
	s_mov_b32 s2, -1
                                        ; implicit-def: $vgpr1
                                        ; implicit-def: $vgpr2
                                        ; implicit-def: $vgpr3
.LBB124_3:
	s_load_b64 s[8:9], s[0:1], 0x10
	v_dual_mov_b32 v80, 0 :: v_dual_mov_b32 v95, 0
	v_dual_mov_b32 v84, 0 :: v_dual_mov_b32 v99, 0
	;; [unrolled: 1-line block ×15, first 2 shown]
	v_mov_b32_e32 v107, 0
	v_mov_b32_e32 v117, 0
	s_and_not1_b32 vcc_lo, exec_lo, s2
	s_lshl_b32 s14, ttmp9, 7
	s_cbranch_vccnz .LBB124_14
; %bb.4:
	v_dual_mov_b32 v122, 0 :: v_dual_and_b32 v49, 0x3ff, v0
	s_not_b32 s16, s14
	v_dual_mov_b32 v94, 0 :: v_dual_add_nc_u32 v37, 8, v48
	s_ashr_i32 s10, s4, 31
	v_dual_mov_b32 v91, 0 :: v_dual_add_nc_u32 v38, 16, v48
	s_add_co_i32 s5, s5, s16
	v_dual_mov_b32 v132, 0 :: v_dual_add_nc_u32 v39, 24, v48
	s_lshr_b32 s10, s10, 27
	v_dual_mov_b32 v87, 0 :: v_dual_add_nc_u32 v40, 32, v48
	v_dual_mov_b32 v117, 0 :: v_dual_and_b32 v18, 3, v0
	v_min_i32_e32 v1, s5, v48
	v_dual_mov_b32 v98, 0 :: v_dual_lshlrev_b32 v17, 3, v49
	v_dual_mov_b32 v116, 0 :: v_dual_add_nc_u32 v41, 40, v48
	s_add_co_i32 s4, s4, s10
	v_min_i32_e32 v3, s5, v37
	v_dual_mov_b32 v83, 0 :: v_dual_add_nc_u32 v42, 48, v48
	v_min_i32_e32 v4, s5, v38
	v_dual_mov_b32 v90, 0 :: v_dual_add_nc_u32 v43, 56, v48
	s_wait_alu 0xfffe
	s_ashr_i32 s15, s4, 5
	v_min_i32_e32 v5, s5, v39
	v_min_i32_e32 v6, s5, v40
	v_mul_lo_u32 v105, v1, s15
	v_mad_co_u64_u32 v[1:2], null, 0x104, v1, v[17:18]
	v_min_i32_e32 v7, s5, v41
	v_mul_lo_u32 v106, v3, s15
	v_mad_co_u64_u32 v[2:3], null, 0x104, v3, v[17:18]
	;; [unrolled: 3-line block ×4, first 2 shown]
	v_dual_mov_b32 v82, 0 :: v_dual_add_nc_u32 v29, s13, v48
	v_mul_lo_u32 v110, v6, s15
	v_mad_co_u64_u32 v[5:6], null, 0x104, v6, v[17:18]
	v_mul_lo_u32 v112, v7, s15
	v_mad_co_u64_u32 v[6:7], null, 0x104, v7, v[17:18]
	;; [unrolled: 2-line block ×4, first 2 shown]
	v_dual_mov_b32 v128, 0 :: v_dual_add_nc_u32 v9, 8, v29
	v_dual_mov_b32 v103, 0 :: v_dual_add_nc_u32 v12, 16, v29
	;; [unrolled: 1-line block ×3, first 2 shown]
	s_ashr_i32 s11, s7, 31
	s_delay_alu instid0(VALU_DEP_3) | instskip(NEXT) | instid1(VALU_DEP_3)
	v_cvt_f64_u32_e32 v[21:22], v9
	v_cvt_f64_u32_e32 v[23:24], v12
	v_dual_mov_b32 v96, 0 :: v_dual_add_nc_u32 v9, 32, v29
	v_cvt_f64_u32_e32 v[25:26], v13
	v_dual_mov_b32 v97, 0 :: v_dual_add_nc_u32 v12, 40, v29
	v_dual_mov_b32 v118, 0 :: v_dual_add_nc_u32 v13, 48, v29
	;; [unrolled: 1-line block ×3, first 2 shown]
	s_lshr_b32 s4, s11, 27
	v_cvt_f64_u32_e32 v[15:16], v29
	s_wait_alu 0xfffe
	s_add_co_i32 s4, s7, s4
	s_add_co_i32 s7, s6, -1
	v_cvt_f64_u32_e32 v[27:28], v9
	v_cvt_f64_i32_e32 v[19:20], s7
	v_cvt_f64_u32_e32 v[31:32], v13
	v_cvt_f64_u32_e32 v[33:34], v33
	v_bfe_u32 v45, v0, 3, 7
	scratch_store_b32 off, v29, off offset:116 ; 4-byte Folded Spill
	v_cvt_f64_u32_e32 v[29:30], v12
	v_dual_mov_b32 v121, 0 :: v_dual_add_nc_u32 v10, 64, v48
	v_dual_mov_b32 v86, 0 :: v_dual_add_nc_u32 v11, 0x48, v48
	;; [unrolled: 1-line block ×5, first 2 shown]
	v_min_i32_e32 v10, s5, v10
	v_min_i32_e32 v11, s5, v11
	v_min_i32_e32 v13, s5, v14
	v_min_i32_e32 v14, s5, v12
	v_dual_mov_b32 v89, 0 :: v_dual_add_nc_u32 v36, 0x68, v48
	v_min_i32_e32 v35, s5, v35
	v_mul_lo_u32 v120, v10, s15
	v_mad_co_u64_u32 v[9:10], null, 0x104, v10, v[17:18]
	v_mul_lo_u32 v124, v11, s15
	v_mad_co_u64_u32 v[10:11], null, 0x104, v11, v[17:18]
	v_mad_co_u64_u32 v[11:12], null, 0x104, v13, v[17:18]
	v_mul_lo_u32 v125, v13, s15
	v_mad_co_u64_u32 v[12:13], null, 0x104, v14, v[17:18]
	v_mul_lo_u32 v126, v14, s15
	v_min_i32_e32 v44, s5, v36
	v_mul_lo_u32 v129, v35, s15
	v_mad_co_u64_u32 v[13:14], null, 0x104, v35, v[17:18]
	v_min_num_f64_e32 v[35:36], v[15:16], v[19:20]
	v_min_num_f64_e32 v[21:22], v[21:22], v[19:20]
	;; [unrolled: 1-line block ×8, first 2 shown]
	scratch_store_b32 off, v45, off offset:60 ; 4-byte Folded Spill
	v_lshl_add_u32 v45, v48, 2, v45
	v_mad_co_u64_u32 v[14:15], null, 0x104, v44, v[17:18]
	v_mul_lo_u32 v130, v44, s15
	v_dual_mov_b32 v81, 0 :: v_dual_add_nc_u32 v44, 0x78, v48
	s_delay_alu instid0(VALU_DEP_4) | instskip(SKIP_1) | instid1(VALU_DEP_3)
	v_min_i32_e32 v47, s5, v45
	v_dual_mov_b32 v85, 0 :: v_dual_add_nc_u32 v46, 0x70, v48
	v_min_i32_e32 v33, s5, v44
	v_dual_mov_b32 v80, 0 :: v_dual_and_b32 v133, 7, v0
	s_delay_alu instid0(VALU_DEP_4) | instskip(SKIP_2) | instid1(VALU_DEP_4)
	v_ashrrev_i32_e32 v15, 31, v47
	v_dual_mov_b32 v111, 0 :: v_dual_add_nc_u32 v44, 32, v45
	v_min_i32_e32 v16, s5, v46
	v_dual_mov_b32 v95, 0 :: v_dual_lshlrev_b32 v46, 2, v133
	s_delay_alu instid0(VALU_DEP_4) | instskip(NEXT) | instid1(VALU_DEP_4)
	v_lshrrev_b32_e32 v15, 30, v15
	v_min_i32_e32 v44, s5, v44
	v_mov_b32_e32 v123, 0
	v_mul_lo_u32 v131, v16, s15
	v_mul_lo_u32 v134, v33, s15
	v_add_nc_u32_e32 v34, v47, v15
	v_mad_co_u64_u32 v[15:16], null, 0x104, v16, v[17:18]
	v_mad_co_u64_u32 v[16:17], null, 0x104, v33, v[17:18]
	s_delay_alu instid0(VALU_DEP_3) | instskip(SKIP_3) | instid1(VALU_DEP_4)
	v_dual_mov_b32 v99, 0 :: v_dual_and_b32 v34, -4, v34
	v_add_nc_u32_e32 v17, 64, v45
	v_cvt_i32_f64_e32 v21, v[21:22]
	v_bfe_u32 v101, v0, 2, 8
	v_add3_u32 v33, v34, v46, 0xa200
	v_ashrrev_i32_e32 v34, 31, v44
	v_min_i32_e32 v17, s5, v17
	v_cvt_i32_f64_e32 v19, v[19:20]
	v_cvt_i32_f64_e32 v35, v[35:36]
	;; [unrolled: 1-line block ×3, first 2 shown]
	v_lshrrev_b32_e32 v34, 30, v34
	v_ashrrev_i32_e32 v36, 31, v17
	v_cvt_i32_f64_e32 v27, v[27:28]
	v_cvt_i32_f64_e32 v28, v[29:30]
	;; [unrolled: 1-line block ×3, first 2 shown]
	v_add_nc_u32_e32 v22, v44, v34
	v_lshrrev_b32_e32 v26, 30, v36
	v_mul_lo_u32 v137, v17, s15
	v_lshlrev_b32_e32 v31, 5, v17
	v_cvt_i32_f64_e32 v23, v[23:24]
	v_and_b32_e32 v22, -4, v22
	v_add_nc_u32_e32 v26, v17, v26
	v_dual_mov_b32 v107, 0 :: v_dual_lshlrev_b32 v104, 2, v18
	s_wait_alu 0xfffe
	s_ashr_i32 s4, s4, 5
	v_add3_u32 v20, v22, v46, 0xa200
	v_lshl_add_u32 v22, v48, 3, v101
	v_and_b32_e32 v34, 31, v0
	s_load_b128 s[0:3], s[0:1], 0x0
	v_add_nc_u32_e32 v45, 0x60, v45
	v_lshlrev_b32_e32 v32, 2, v49
	v_and_b32_e32 v22, 63, v22
	v_lshl_or_b32 v34, v34, 2, 0x8200
	v_and_b32_e32 v26, -4, v26
	v_min_i32_e32 v45, s5, v45
	v_and_b32_e32 v32, 28, v32
	v_or_b32_e32 v17, s13, v22
	v_lshl_or_b32 v22, v22, 4, v104
	v_mul_lo_u32 v135, v47, s15
	v_ashrrev_i32_e32 v24, 31, v45
	v_lshlrev_b32_e32 v47, 5, v47
	v_min_i32_e32 v17, s7, v17
	v_lshlrev_b32_e32 v30, 5, v44
	v_add3_u32 v26, v26, v46, 0xa200
	v_lshrrev_b32_e32 v24, 30, v24
	v_lshlrev_b32_e32 v36, 5, v45
	v_mad_co_u64_u32 v[17:18], null, v17, s4, v[18:19]
	s_mul_i32 s10, s15, s14
	v_add_nc_u32_e32 v24, v45, v24
	v_mul_lo_u32 v136, v44, s15
	v_mul_lo_u32 v138, v45, s15
	s_ashr_i32 s11, s10, 31
	v_add_nc_u32_e32 v159, v33, v47
	scratch_store_b64 off, v[17:18], off offset:64 ; 8-byte Folded Spill
	v_add_nc_u32_e32 v17, 0xb280, v22
	v_add_nc_u32_e32 v18, 0x60, v49
	v_lshlrev_b32_e32 v22, 7, v48
	v_and_b32_e32 v24, -4, v24
	v_add_nc_u32_e32 v160, v20, v30
	scratch_store_b32 off, v17, off         ; 4-byte Folded Spill
	v_mul_lo_u32 v17, s4, v35
	v_add_nc_u32_e32 v35, 32, v49
	v_and_b32_e32 v18, 0x1fc, v18
	v_add3_u32 v24, v24, v46, 0xa200
	v_add_nc_u32_e32 v153, 0x8200, v22
	v_add_nc_u32_e32 v161, v26, v31
	s_mul_u64 s[10:11], s[10:11], 24
	s_mov_b32 s5, 0
	scratch_store_b32 off, v17, off offset:4 ; 4-byte Folded Spill
	v_mul_lo_u32 v17, s4, v21
	v_lshlrev_b32_e32 v21, 7, v37
	v_lshlrev_b32_e32 v37, 7, v43
	v_add_nc_u32_e32 v162, v24, v36
	s_wait_kmcnt 0x0
	s_add_nc_u64 s[0:1], s[0:1], s[10:11]
	s_add_co_i32 s7, s15, 3
	v_add_nc_u32_e32 v170, v34, v37
	scratch_store_b32 off, v17, off offset:8 ; 4-byte Folded Spill
	v_mul_lo_u32 v17, s4, v23
	v_lshlrev_b32_e32 v23, 7, v38
	v_lshlrev_b32_e32 v38, 5, v49
	scratch_store_b32 off, v17, off offset:12 ; 4-byte Folded Spill
	v_mul_lo_u32 v17, s4, v25
	v_lshlrev_b32_e32 v25, 7, v39
	v_and_b32_e32 v39, 0x1fc, v35
	s_delay_alu instid0(VALU_DEP_1)
	v_add_nc_u32_e32 v39, v38, v39
	scratch_store_b32 off, v17, off offset:16 ; 4-byte Folded Spill
	v_mul_lo_u32 v17, s4, v27
	v_lshlrev_b32_e32 v27, 7, v40
	v_and_b32_e32 v40, 0xfc, v0
	v_lshrrev_b32_e32 v0, 3, v35
	v_add_nc_u32_e32 v35, v38, v18
	s_delay_alu instid0(VALU_DEP_4)
	v_add_nc_u32_e32 v167, v34, v27
	scratch_store_b32 off, v0, off offset:88 ; 4-byte Folded Spill
	v_add_nc_u32_e32 v0, 0xae00, v35
	scratch_store_b32 off, v17, off offset:20 ; 4-byte Folded Spill
	v_mul_lo_u32 v17, s4, v28
	v_lshlrev_b32_e32 v28, 7, v41
	scratch_store_b32 off, v0, off offset:72 ; 4-byte Folded Spill
	v_add_nc_u32_e32 v168, v34, v28
	scratch_store_b32 off, v17, off offset:24 ; 4-byte Folded Spill
	v_mul_lo_u32 v17, s4, v29
	v_lshlrev_b32_e32 v29, 7, v42
	s_delay_alu instid0(VALU_DEP_1) | instskip(SKIP_4) | instid1(VALU_DEP_2)
	v_add_nc_u32_e32 v169, v34, v29
	scratch_store_b32 off, v17, off offset:28 ; 4-byte Folded Spill
	v_mul_lo_u32 v17, s4, v19
	v_add_nc_u32_e32 v19, 64, v49
	v_add_co_u32 v18, s4, s2, v32
	v_and_b32_e32 v19, 0x1fc, v19
	s_delay_alu instid0(VALU_DEP_1)
	v_add_nc_u32_e32 v41, v38, v19
	v_add_nc_u32_e32 v38, v38, v40
	s_wait_alu 0xf1ff
	v_add_co_ci_u32_e64 v19, null, s3, 0, s4
	s_movk_i32 s4, 0x80
	v_add_nc_u32_e32 v0, 0xaa00, v41
	s_clause 0x1
	scratch_store_b32 off, v17, off offset:32
	scratch_store_b32 off, v0, off offset:76
	v_add_nc_u32_e32 v0, 0xa600, v39
	scratch_store_b32 off, v0, off offset:80 ; 4-byte Folded Spill
	v_add_nc_u32_e32 v0, 0xa200, v38
	s_clause 0x1
	scratch_store_b32 off, v0, off offset:84
	scratch_store_b32 off, v48, off offset:112
	v_lshl_add_u32 v0, v48, 4, 0xb280
	scratch_store_b32 off, v0, off offset:36 ; 4-byte Folded Spill
	v_add_nc_u32_e32 v0, 0xae10, v35
	scratch_store_b32 off, v0, off offset:92 ; 4-byte Folded Spill
	v_add_nc_u32_e32 v0, 0xaa10, v41
	;; [unrolled: 2-line block ×4, first 2 shown]
	scratch_store_b32 off, v0, off offset:104 ; 4-byte Folded Spill
	s_wait_alu 0xfffe
	v_mad_u32_u24 v0, 0x104, v49, s4
	s_mov_b32 s4, s5
	scratch_store_b32 off, v0, off offset:108 ; 4-byte Folded Spill
	v_add_nc_u32_e32 v0, v34, v22
	scratch_store_b32 off, v0, off offset:40 ; 4-byte Folded Spill
	v_add_nc_u32_e32 v0, v34, v21
	;; [unrolled: 2-line block ×4, first 2 shown]
	scratch_store_b32 off, v0, off offset:52 ; 4-byte Folded Spill
	s_branch .LBB124_6
.LBB124_5:                              ;   in Loop: Header=BB124_6 Depth=1
	s_add_co_i32 s4, s4, 8
	s_add_co_i32 s7, s7, -8
	s_wait_alu 0xfffe
	s_cmp_ge_i32 s4, s15
	s_cbranch_scc1 .LBB124_13
.LBB124_6:                              ; =>This Loop Header: Depth=1
                                        ;     Child Loop BB124_8 Depth 2
                                        ;     Child Loop BB124_11 Depth 2
	s_wait_alu 0xfffe
	s_mul_u64 s[10:11], s[4:5], 24
	s_cmp_gt_u32 s7, 3
	s_wait_alu 0xfffe
	s_add_nc_u64 s[10:11], s[0:1], s[10:11]
	s_wait_alu 0xfffe
	v_mad_co_u64_u32 v[20:21], null, v101, 24, s[10:11]
	s_delay_alu instid0(VALU_DEP_1) | instskip(SKIP_3) | instid1(VALU_DEP_4)
	v_mad_co_i64_i32 v[22:23], null, v105, 24, v[20:21]
	v_mad_co_i64_i32 v[24:25], null, v106, 24, v[20:21]
	;; [unrolled: 1-line block ×4, first 2 shown]
	v_add_co_u32 v30, vcc_lo, v22, v104
	v_mad_co_i64_i32 v[36:37], null, v110, 24, v[20:21]
	s_wait_alu 0xfffd
	v_add_co_ci_u32_e64 v31, null, 0, v23, vcc_lo
	v_add_co_u32 v32, vcc_lo, v24, v104
	v_mad_co_i64_i32 v[40:41], null, v112, 24, v[20:21]
	s_wait_alu 0xfffd
	v_add_co_ci_u32_e64 v33, null, 0, v25, vcc_lo
	;; [unrolled: 4-line block ×4, first 2 shown]
	v_add_co_u32 v42, vcc_lo, v36, v104
	s_clause 0x7
	global_load_b32 v54, v[30:31], off offset:8
	global_load_b32 v55, v[32:33], off offset:8
	;; [unrolled: 1-line block ×8, first 2 shown]
	v_mad_co_i64_i32 v[24:25], null, v120, 24, v[20:21]
	s_wait_alu 0xfffd
	v_add_co_ci_u32_e64 v43, null, 0, v37, vcc_lo
	v_add_co_u32 v48, vcc_lo, v40, v104
	v_mad_co_i64_i32 v[27:28], null, v125, 24, v[20:21]
	s_wait_alu 0xfffd
	v_add_co_ci_u32_e64 v49, null, 0, v41, vcc_lo
	v_add_co_u32 v50, vcc_lo, v44, v104
	;; [unrolled: 4-line block ×3, first 2 shown]
	v_mad_co_i64_i32 v[22:23], null, v124, 24, v[20:21]
	s_wait_alu 0xfffd
	v_add_co_ci_u32_e64 v53, null, 0, v47, vcc_lo
	s_clause 0x7
	global_load_b32 v62, v[42:43], off offset:8
	global_load_b32 v48, v[48:49], off offset:8
	;; [unrolled: 1-line block ×8, first 2 shown]
	v_add_co_u32 v31, vcc_lo, v24, v104
	s_wait_alu 0xfffd
	v_add_co_ci_u32_e64 v32, null, 0, v25, vcc_lo
	v_add_co_u32 v24, vcc_lo, v27, v104
	s_wait_alu 0xfffd
	v_add_co_ci_u32_e64 v25, null, 0, v28, vcc_lo
	;; [unrolled: 3-line block ×4, first 2 shown]
	s_clause 0x7
	global_load_b32 v50, v[50:51], off offset:8
	global_load_b32 v51, v[52:53], off offset:8
	;; [unrolled: 1-line block ×8, first 2 shown]
	v_mad_co_i64_i32 v[27:28], null, v129, 24, v[20:21]
	v_mad_co_i64_i32 v[36:37], null, v131, 24, v[20:21]
	;; [unrolled: 1-line block ×4, first 2 shown]
	s_delay_alu instid0(VALU_DEP_4)
	v_add_co_u32 v38, vcc_lo, v27, v104
	global_load_b32 v53, v[27:28], off offset:4
	s_wait_alu 0xfffd
	v_add_co_ci_u32_e64 v39, null, 0, v28, vcc_lo
	v_add_co_u32 v27, vcc_lo, v36, v104
	s_wait_alu 0xfffd
	v_add_co_ci_u32_e64 v28, null, 0, v37, vcc_lo
	v_add_co_u32 v29, vcc_lo, v20, v104
	;; [unrolled: 3-line block ×3, first 2 shown]
	s_wait_alu 0xfffd
	v_add_co_ci_u32_e64 v32, null, 0, v35, vcc_lo
	s_clause 0x3
	global_load_b32 v29, v[29:30], off offset:8
	global_load_b32 v30, v[27:28], off offset:8
	;; [unrolled: 1-line block ×4, first 2 shown]
	v_mad_co_u64_u32 v[40:41], null, v133, 24, s[10:11]
	s_delay_alu instid0(VALU_DEP_1)
	v_mad_co_i64_i32 v[27:28], null, v135, 24, v[40:41]
	v_mad_co_i64_i32 v[38:39], null, v136, 24, v[40:41]
	;; [unrolled: 1-line block ×4, first 2 shown]
	s_clause 0x6
	global_load_b32 v31, v[20:21], off offset:4
	global_load_b32 v33, v[36:37], off offset:4
	;; [unrolled: 1-line block ×3, first 2 shown]
	global_load_b32 v27, v[27:28], off
	global_load_b32 v28, v[38:39], off
	;; [unrolled: 1-line block ×4, first 2 shown]
	s_wait_loadcnt 0x23
	v_lshrrev_b32_e32 v39, 4, v54
	s_wait_loadcnt 0x22
	v_and_b32_e32 v41, 0xf0f0f0f, v55
	v_lshrrev_b32_e32 v42, 4, v55
	v_and_b32_e32 v38, 0xf0f0f0f, v54
	s_wait_loadcnt 0x1f
	v_ashrrev_i32_e32 v55, v104, v58
	s_wait_loadcnt 0x1e
	v_ashrrev_i32_e32 v43, v104, v59
	;; [unrolled: 2-line block ×4, first 2 shown]
	v_lshrrev_b32_e32 v54, 4, v56
	v_lshlrev_b32_e32 v187, 4, v55
	v_lshlrev_b32_e32 v180, 4, v43
	;; [unrolled: 1-line block ×5, first 2 shown]
	v_lshrrev_b32_e32 v79, 12, v37
	v_lshrrev_b32_e32 v171, 5, v37
	v_lshlrev_b32_e32 v174, 11, v40
	v_lshrrev_b32_e32 v177, 12, v40
	v_lshrrev_b32_e32 v178, 5, v40
	v_lshlrev_b32_e32 v181, 11, v43
	;; [unrolled: 3-line block ×3, first 2 shown]
	v_lshrrev_b32_e32 v191, 12, v55
	v_lshrrev_b32_e32 v192, 5, v55
	s_wait_loadcnt 0x19
	v_ashrrev_i32_e32 v46, v104, v46
	s_wait_loadcnt 0x18
	v_ashrrev_i32_e32 v44, v104, v44
	;; [unrolled: 2-line block ×5, first 2 shown]
	v_and_b32_e32 v49, 0xf0f0f0f, v56
	v_and_b32_e32 v56, 0xf0f0f0f, v57
	v_lshrrev_b32_e32 v57, 4, v57
	v_lshrrev_b32_e32 v59, 4, v62
	v_lshlrev_b32_e32 v194, 4, v47
	v_lshlrev_b32_e32 v195, 11, v47
	v_lshrrev_b32_e32 v198, 12, v47
	v_lshrrev_b32_e32 v199, 5, v47
	v_and_b32_e32 v58, 0xf0f0f0f, v62
	v_and_b32_e32 v60, 0xf0f0f0f, v48
	v_lshrrev_b32_e32 v48, 4, v48
	s_wait_loadcnt 0x13
	v_and_b32_e32 v61, 0xf0f0f0f, v50
	v_lshrrev_b32_e32 v50, 4, v50
	s_wait_loadcnt 0x12
	v_and_b32_e32 v62, 0xf0f0f0f, v51
	v_lshrrev_b32_e32 v51, 4, v51
	v_lshlrev_b32_e32 v77, 18, v37
	v_lshlrev_b32_e32 v78, 25, v37
	v_and_b32_e32 v39, 0xf0f0f0f, v39
	v_lshlrev_b32_e32 v172, 2, v37
	v_lshlrev_b32_e32 v37, 9, v37
	;; [unrolled: 1-line block ×4, first 2 shown]
	v_lshrrev_b32_e32 v205, 12, v45
	v_lshrrev_b32_e32 v206, 5, v45
	v_lshlrev_b32_e32 v208, 4, v44
	v_lshlrev_b32_e32 v209, 11, v44
	v_lshrrev_b32_e32 v212, 12, v44
	v_lshrrev_b32_e32 v213, 5, v44
	v_lshlrev_b32_e32 v215, 4, v46
	v_lshlrev_b32_e32 v216, 11, v46
	v_lshrrev_b32_e32 v219, 12, v46
	v_lshrrev_b32_e32 v220, 5, v46
	v_and_b32_e32 v75, 16, v75
	v_and_b32_e32 v76, 0x1000, v76
	v_and_b32_e32 v79, 16, v79
	v_and_b32_e32 v171, 0x1000, v171
	v_lshlrev_b32_e32 v175, 18, v40
	v_lshlrev_b32_e32 v176, 25, v40
	v_and_b32_e32 v42, 0xf0f0f0f, v42
	v_lshlrev_b32_e32 v179, 2, v40
	v_lshlrev_b32_e32 v40, 9, v40
	v_and_b32_e32 v173, 16, v173
	v_and_b32_e32 v174, 0x1000, v174
	v_and_b32_e32 v177, 16, v177
	v_and_b32_e32 v178, 0x1000, v178
	v_lshlrev_b32_e32 v182, 18, v43
	v_lshlrev_b32_e32 v183, 25, v43
	v_and_b32_e32 v54, 0xf0f0f0f, v54
	v_lshlrev_b32_e32 v186, 2, v43
	v_lshlrev_b32_e32 v43, 9, v43
	;; [unrolled: 9-line block ×4, first 2 shown]
	v_and_b32_e32 v194, 16, v194
	v_and_b32_e32 v195, 0x1000, v195
	;; [unrolled: 1-line block ×4, first 2 shown]
	v_ashrrev_i32_e32 v35, v104, v63
	v_lshlrev_b32_e32 v203, 18, v45
	v_lshlrev_b32_e32 v204, 25, v45
	v_and_b32_e32 v48, 0xf0f0f0f, v48
	v_lshlrev_b32_e32 v207, 2, v45
	v_lshlrev_b32_e32 v45, 9, v45
	v_lshlrev_b32_e32 v210, 18, v44
	v_lshlrev_b32_e32 v211, 25, v44
	v_and_b32_e32 v50, 0xf0f0f0f, v50
	v_lshlrev_b32_e32 v214, 2, v44
	v_lshlrev_b32_e32 v44, 9, v44
	;; [unrolled: 5-line block ×3, first 2 shown]
	v_and_b32_e32 v77, 0x100000, v77
	v_and_b32_e32 v78, 0x10000000, v78
	;; [unrolled: 1-line block ×16, first 2 shown]
	v_or3_b32 v38, v75, v38, v76
	v_or3_b32 v39, v79, v39, v171
	v_and_b32_e32 v175, 0x100000, v175
	v_and_b32_e32 v176, 0x10000000, v176
	v_and_b32_e32 v179, 0x100000, v179
	v_and_b32_e32 v40, 0x10000000, v40
	v_or3_b32 v41, v173, v41, v174
	v_or3_b32 v42, v177, v42, v178
	v_and_b32_e32 v182, 0x100000, v182
	v_and_b32_e32 v183, 0x10000000, v183
	v_and_b32_e32 v186, 0x100000, v186
	v_and_b32_e32 v43, 0x10000000, v43
	;; [unrolled: 6-line block ×4, first 2 shown]
	v_or3_b32 v58, v194, v58, v195
	v_or3_b32 v59, v198, v59, v199
	s_wait_loadcnt 0xe
	v_and_b32_e32 v63, 0xf0f0f0f, v52
	v_lshrrev_b32_e32 v52, 4, v52
	v_lshlrev_b32_e32 v66, 4, v35
	v_lshlrev_b32_e32 v67, 11, v35
	v_lshrrev_b32_e32 v70, 12, v35
	v_lshrrev_b32_e32 v71, 5, v35
	v_and_b32_e32 v203, 0x100000, v203
	v_and_b32_e32 v204, 0x10000000, v204
	v_and_b32_e32 v207, 0x100000, v207
	v_and_b32_e32 v45, 0x10000000, v45
	v_and_b32_e32 v210, 0x100000, v210
	v_and_b32_e32 v211, 0x10000000, v211
	v_and_b32_e32 v214, 0x100000, v214
	v_and_b32_e32 v44, 0x10000000, v44
	v_and_b32_e32 v217, 0x100000, v217
	v_and_b32_e32 v218, 0x10000000, v218
	v_and_b32_e32 v221, 0x100000, v221
	v_and_b32_e32 v46, 0x10000000, v46
	v_or3_b32 v60, v201, v60, v202
	v_or3_b32 v48, v205, v48, v206
	;; [unrolled: 1-line block ×16, first 2 shown]
	v_and_b32_e32 v65, 0xf0f0f0f, v26
	v_lshlrev_b32_e32 v68, 18, v35
	v_lshlrev_b32_e32 v69, 25, v35
	;; [unrolled: 1-line block ×6, first 2 shown]
	v_and_b32_e32 v52, 0xf0f0f0f, v52
	v_and_b32_e32 v66, 16, v66
	;; [unrolled: 1-line block ×5, first 2 shown]
	v_or3_b32 v55, v60, v203, v204
	v_or3_b32 v45, v48, v207, v45
	;; [unrolled: 1-line block ×6, first 2 shown]
	ds_store_2addr_b32 v1, v38, v37 offset1:1
	ds_store_2addr_b32 v2, v39, v40 offset1:1
	;; [unrolled: 1-line block ×8, first 2 shown]
	v_lshrrev_b32_e32 v26, 4, v26
	v_lshrrev_b32_e32 v40, 12, v36
	;; [unrolled: 1-line block ×3, first 2 shown]
	v_and_b32_e32 v68, 0x100000, v68
	v_and_b32_e32 v69, 0x10000000, v69
	;; [unrolled: 1-line block ×6, first 2 shown]
	v_or3_b32 v63, v66, v63, v67
	v_or3_b32 v52, v70, v52, v71
	v_lshlrev_b32_e32 v38, 18, v36
	v_lshlrev_b32_e32 v42, 25, v36
	v_and_b32_e32 v26, 0xf0f0f0f, v26
	v_and_b32_e32 v40, 16, v40
	;; [unrolled: 1-line block ×3, first 2 shown]
	s_wait_loadcnt 0xd
	v_ashrrev_i32_e32 v25, v104, v25
	v_or3_b32 v37, v63, v68, v69
	v_or3_b32 v35, v52, v72, v35
	v_or3_b32 v39, v73, v65, v74
	v_and_b32_e32 v38, 0x100000, v38
	v_and_b32_e32 v42, 0x10000000, v42
	v_lshlrev_b32_e32 v43, 2, v36
	v_lshlrev_b32_e32 v36, 9, v36
	v_or3_b32 v26, v40, v26, v41
	v_lshlrev_b32_e32 v40, 4, v25
	v_lshlrev_b32_e32 v41, 11, v25
	v_and_b32_e32 v43, 0x100000, v43
	v_and_b32_e32 v36, 0x10000000, v36
	;; [unrolled: 1-line block ×5, first 2 shown]
	ds_store_2addr_b32 v9, v37, v35 offset1:1
	v_or3_b32 v35, v39, v38, v42
	v_lshrrev_b32_e32 v24, 4, v24
	v_lshrrev_b32_e32 v38, 12, v25
	;; [unrolled: 1-line block ×3, first 2 shown]
	v_or3_b32 v26, v26, v43, v36
	v_lshlrev_b32_e32 v36, 18, v25
	v_or3_b32 v37, v40, v44, v41
	v_lshlrev_b32_e32 v40, 25, v25
	v_and_b32_e32 v24, 0xf0f0f0f, v24
	v_and_b32_e32 v38, 16, v38
	;; [unrolled: 1-line block ×3, first 2 shown]
	s_wait_loadcnt 0xc
	v_ashrrev_i32_e32 v23, v104, v23
	v_and_b32_e32 v36, 0x100000, v36
	v_and_b32_e32 v40, 0x10000000, v40
	v_lshlrev_b32_e32 v41, 2, v25
	v_or3_b32 v24, v38, v24, v39
	v_lshlrev_b32_e32 v38, 4, v23
	v_lshlrev_b32_e32 v39, 11, v23
	;; [unrolled: 1-line block ×3, first 2 shown]
	v_and_b32_e32 v42, 0xf0f0f0f, v22
	ds_store_2addr_b32 v10, v35, v26 offset1:1
	v_and_b32_e32 v38, 16, v38
	v_and_b32_e32 v39, 0x1000, v39
	v_or3_b32 v26, v37, v36, v40
	v_lshrrev_b32_e32 v22, 4, v22
	v_lshrrev_b32_e32 v36, 12, v23
	;; [unrolled: 1-line block ×3, first 2 shown]
	v_and_b32_e32 v41, 0x100000, v41
	v_and_b32_e32 v25, 0x10000000, v25
	v_or3_b32 v35, v38, v42, v39
	v_and_b32_e32 v22, 0xf0f0f0f, v22
	v_and_b32_e32 v36, 16, v36
	;; [unrolled: 1-line block ×3, first 2 shown]
	s_wait_loadcnt 0xb
	v_ashrrev_i32_e32 v39, v104, v53
	v_or3_b32 v24, v24, v41, v25
	v_lshlrev_b32_e32 v25, 18, v23
	v_lshlrev_b32_e32 v38, 25, v23
	v_or3_b32 v22, v36, v22, v37
	v_lshlrev_b32_e32 v36, 4, v39
	v_lshlrev_b32_e32 v37, 11, v39
	v_and_b32_e32 v25, 0x100000, v25
	v_and_b32_e32 v38, 0x10000000, v38
	s_wait_loadcnt 0x7
	v_and_b32_e32 v41, 0xf0f0f0f, v64
	v_and_b32_e32 v36, 16, v36
	;; [unrolled: 1-line block ×3, first 2 shown]
	v_lshlrev_b32_e32 v40, 2, v23
	v_lshlrev_b32_e32 v23, 9, v23
	ds_store_2addr_b32 v11, v26, v24 offset1:1
	v_or3_b32 v24, v35, v25, v38
	v_or3_b32 v25, v36, v41, v37
	v_lshrrev_b32_e32 v26, 4, v64
	v_lshrrev_b32_e32 v35, 12, v39
	v_lshrrev_b32_e32 v36, 5, v39
	v_and_b32_e32 v40, 0x100000, v40
	v_and_b32_e32 v23, 0x10000000, v23
	v_and_b32_e32 v26, 0xf0f0f0f, v26
	v_and_b32_e32 v35, 16, v35
	v_and_b32_e32 v36, 0x1000, v36
	s_wait_loadcnt 0x4
	v_ashrrev_i32_e32 v34, v104, v34
	v_or3_b32 v22, v22, v40, v23
	v_lshlrev_b32_e32 v23, 18, v39
	v_lshlrev_b32_e32 v37, 25, v39
	;; [unrolled: 1-line block ×4, first 2 shown]
	v_or3_b32 v26, v35, v26, v36
	v_lshlrev_b32_e32 v35, 4, v34
	v_lshlrev_b32_e32 v36, 11, v34
	v_and_b32_e32 v23, 0x100000, v23
	v_and_b32_e32 v37, 0x10000000, v37
	;; [unrolled: 1-line block ×7, first 2 shown]
	v_lshlrev_b32_e32 v41, 18, v34
	v_lshlrev_b32_e32 v42, 25, v34
	v_or3_b32 v23, v25, v23, v37
	v_or3_b32 v25, v26, v38, v39
	;; [unrolled: 1-line block ×3, first 2 shown]
	v_and_b32_e32 v35, 0x100000, v41
	v_and_b32_e32 v36, 0x10000000, v42
	v_lshrrev_b32_e32 v37, 12, v34
	v_lshrrev_b32_e32 v38, 5, v34
	v_ashrrev_i32_e32 v33, v104, v33
	v_lshrrev_b32_e32 v32, 4, v32
	v_or3_b32 v26, v26, v35, v36
	v_and_b32_e32 v35, 16, v37
	v_and_b32_e32 v36, 0x1000, v38
	v_lshlrev_b32_e32 v37, 4, v33
	v_lshlrev_b32_e32 v38, 11, v33
	v_and_b32_e32 v32, 0xf0f0f0f, v32
	v_lshlrev_b32_e32 v39, 2, v34
	v_and_b32_e32 v40, 0xf0f0f0f, v30
	v_and_b32_e32 v37, 16, v37
	;; [unrolled: 1-line block ×3, first 2 shown]
	v_lshlrev_b32_e32 v41, 18, v33
	v_ashrrev_i32_e32 v31, v104, v31
	v_or3_b32 v32, v35, v32, v36
	v_and_b32_e32 v35, 0x100000, v39
	v_or3_b32 v36, v37, v40, v38
	v_and_b32_e32 v37, 0x100000, v41
	v_lshrrev_b32_e32 v30, 4, v30
	v_lshrrev_b32_e32 v38, 12, v33
	;; [unrolled: 1-line block ×3, first 2 shown]
	v_lshlrev_b32_e32 v41, 4, v31
	v_lshlrev_b32_e32 v42, 11, v31
	v_and_b32_e32 v30, 0xf0f0f0f, v30
	v_and_b32_e32 v38, 16, v38
	;; [unrolled: 1-line block ×6, first 2 shown]
	v_lshlrev_b32_e32 v43, 2, v33
	v_or3_b32 v30, v38, v30, v39
	v_lshrrev_b32_e32 v29, 4, v29
	v_lshlrev_b32_e32 v34, 9, v34
	v_or3_b32 v39, v41, v44, v42
	v_lshrrev_b32_e32 v41, 12, v31
	v_lshrrev_b32_e32 v42, 5, v31
	v_lshlrev_b32_e32 v40, 25, v33
	v_lshlrev_b32_e32 v33, 9, v33
	v_and_b32_e32 v38, 0x100000, v43
	v_lshlrev_b32_e32 v43, 18, v31
	v_lshlrev_b32_e32 v44, 25, v31
	v_and_b32_e32 v29, 0xf0f0f0f, v29
	v_and_b32_e32 v41, 16, v41
	;; [unrolled: 1-line block ×3, first 2 shown]
	v_lshlrev_b32_e32 v45, 2, v31
	v_lshlrev_b32_e32 v31, 9, v31
	v_and_b32_e32 v34, 0x10000000, v34
	v_and_b32_e32 v40, 0x10000000, v40
	;; [unrolled: 1-line block ×5, first 2 shown]
	v_or3_b32 v29, v41, v29, v42
	v_and_b32_e32 v41, 0x100000, v45
	v_and_b32_e32 v31, 0x10000000, v31
	v_or3_b32 v32, v32, v35, v34
	v_or3_b32 v34, v36, v37, v40
	;; [unrolled: 1-line block ×5, first 2 shown]
	ds_store_2addr_b32 v12, v24, v22 offset1:1
	ds_store_2addr_b32 v13, v23, v25 offset1:1
	;; [unrolled: 1-line block ×5, first 2 shown]
	s_wait_loadcnt 0x3
	ds_store_b32 v159, v27
	s_wait_loadcnt 0x2
	ds_store_b32 v160, v28
	;; [unrolled: 2-line block ×4, first 2 shown]
	s_cbranch_scc0 .LBB124_5
; %bb.7:                                ;   in Loop: Header=BB124_6 Depth=1
	s_clause 0x1
	scratch_load_b32 v0, off, off offset:60
	scratch_load_b64 v[20:21], off, off offset:64
	s_mov_b32 s10, -4
	v_mov_b32_e32 v172, v153
	s_wait_loadcnt 0x1
	v_add_nc_u32_e32 v28, s4, v0
	scratch_load_b32 v0, off, off offset:4  ; 4-byte Folded Reload
	s_wait_loadcnt 0x1
	v_add_nc_u32_e32 v171, s4, v20
	s_delay_alu instid0(VALU_DEP_1)
	v_mad_co_u64_u32 v[36:37], null, v171, 36, s[2:3]
	s_wait_loadcnt 0x0
	v_add_nc_u32_e32 v20, v28, v0
	scratch_load_b32 v0, off, off offset:8  ; 4-byte Folded Reload
	v_mad_co_i64_i32 v[20:21], null, v20, 36, v[18:19]
	s_wait_loadcnt 0x0
	v_add_nc_u32_e32 v22, v28, v0
	scratch_load_b32 v0, off, off offset:12 ; 4-byte Folded Reload
	v_mad_co_i64_i32 v[22:23], null, v22, 36, v[18:19]
	s_wait_loadcnt 0x0
	v_add_nc_u32_e32 v24, v28, v0
	scratch_load_b32 v0, off, off offset:16 ; 4-byte Folded Reload
	;; [unrolled: 4-line block ×4, first 2 shown]
	s_wait_loadcnt 0x0
	v_add_nc_u32_e32 v30, v28, v0
	scratch_load_b32 v0, off, off offset:24 ; 4-byte Folded Reload
	v_mad_co_i64_i32 v[30:31], null, v30, 36, v[18:19]
	s_wait_loadcnt 0x0
	v_add_nc_u32_e32 v32, v28, v0
	scratch_load_b32 v0, off, off offset:28 ; 4-byte Folded Reload
	v_mad_co_i64_i32 v[32:33], null, v32, 36, v[18:19]
	s_wait_loadcnt 0x0
	v_add_nc_u32_e32 v34, v28, v0
	v_mad_co_i64_i32 v[28:29], null, v29, 36, v[18:19]
	s_delay_alu instid0(VALU_DEP_2)
	v_mad_co_i64_i32 v[34:35], null, v34, 36, v[18:19]
	s_clause 0x8
	global_load_b32 v28, v[28:29], off offset:4
	global_load_b32 v20, v[20:21], off offset:4
	;; [unrolled: 1-line block ×8, first 2 shown]
	global_load_b32 v27, v[36:37], off
	s_clause 0x5
	scratch_load_b32 v0, off, off offset:56
	scratch_load_b32 v173, off, off offset:36
	;; [unrolled: 1-line block ×6, first 2 shown]
	s_wait_loadcnt 0x5
	v_mul_u32_u24_e32 v178, 0x104, v0
	scratch_load_b32 v0, off, off offset:40 ; 4-byte Folded Reload
	ds_store_b32 v170, v28
	s_wait_loadcnt 0x0
	ds_store_b32 v0, v20
	scratch_load_b32 v0, off, off offset:44 ; 4-byte Folded Reload
	s_wait_loadcnt 0x0
	ds_store_b32 v0, v21
	scratch_load_b32 v0, off, off offset:48 ; 4-byte Folded Reload
	;; [unrolled: 3-line block ×3, first 2 shown]
	s_wait_loadcnt 0x0
	ds_store_b32 v0, v23
	ds_store_b32 v167, v24
	;; [unrolled: 1-line block ×4, first 2 shown]
	scratch_load_b32 v0, off, off           ; 4-byte Folded Reload
	s_wait_loadcnt 0x0
	ds_store_b32 v0, v27
	s_wait_storecnt_dscnt 0x0
	s_barrier_signal -1
	s_barrier_wait -1
	global_inv scope:SCOPE_SE
.LBB124_8:                              ;   Parent Loop BB124_6 Depth=1
                                        ; =>  This Inner Loop Header: Depth=2
	ds_load_2addr_b32 v[20:21], v173 offset1:32
	ds_load_b32 v25, v174
	ds_load_b32 v24, v175
	;; [unrolled: 1-line block ×4, first 2 shown]
	v_add_nc_u32_e32 v38, 0x2098, v178
	v_add_nc_u32_e32 v41, 0x414, v172
	;; [unrolled: 1-line block ×8, first 2 shown]
	s_wait_alu 0xfffe
	s_add_co_i32 s10, s10, 4
	s_wait_alu 0xfffe
	s_cmp_lt_u32 s10, 12
	s_wait_dscnt 0x3
	v_pk_mul_f16 v203, v20, v25
	s_wait_dscnt 0x2
	v_pk_mul_f16 v199, v20, v24
	;; [unrolled: 2-line block ×4, first 2 shown]
	v_pk_mul_f16 v197, v25, v21
	v_pk_mul_f16 v206, v24, v21
	;; [unrolled: 1-line block ×4, first 2 shown]
	ds_load_2addr_b32 v[20:21], v173 offset0:64 offset1:96
	s_wait_dscnt 0x0
	v_pk_mul_f16 v196, v25, v20
	v_pk_mul_f16 v194, v24, v20
	;; [unrolled: 1-line block ×8, first 2 shown]
	ds_load_2addr_b32 v[20:21], v173 offset0:128 offset1:160
	s_wait_dscnt 0x0
	v_pk_mul_f16 v188, v25, v20
	v_pk_mul_f16 v186, v24, v20
	;; [unrolled: 1-line block ×8, first 2 shown]
	ds_load_2addr_b32 v[20:21], v173 offset0:192 offset1:224
	v_add_nc_u32_e32 v173, 4, v173
	s_wait_dscnt 0x0
	v_pk_mul_f16 v180, v25, v20
	v_pk_mul_f16 v201, v25, v21
	;; [unrolled: 1-line block ×8, first 2 shown]
	ds_load_2addr_b32 v[28:29], v172 offset1:7
	ds_load_2addr_b32 v[26:27], v178 offset1:1
	ds_load_2addr_b32 v[20:21], v178 offset0:2 offset1:3
	ds_load_2addr_b32 v[22:23], v178 offset0:4 offset1:5
	;; [unrolled: 1-line block ×3, first 2 shown]
	s_wait_dscnt 0x4
	v_lshlrev_b32_e32 v224, 8, v29
	s_wait_dscnt 0x3
	v_perm_b32 v30, v28, v27, 0xc0c0703
	s_wait_dscnt 0x2
	v_perm_b32 v31, v21, v20, 0x7030c0c
	v_lshlrev_b32_e32 v226, 16, v29
	s_wait_dscnt 0x0
	v_perm_b32 v33, v25, v24, 0x7030c0c
	s_delay_alu instid0(VALU_DEP_3)
	v_or_b32_e32 v30, v31, v30
	v_add_nc_u32_e32 v31, 0x1c14, v172
	ds_load_2addr_b32 v[42:43], v31 offset1:1
	ds_load_2addr_b32 v[36:37], v172 offset0:3 offset1:4
	ds_load_2addr_b32 v[46:47], v172 offset0:5 offset1:6
	;; [unrolled: 1-line block ×3, first 2 shown]
	s_wait_dscnt 0x2
	v_perm_b32 v31, v26, v37, 0xc0c0703
	v_perm_b32 v34, v29, v36, 0x7030c0c
	s_wait_dscnt 0x0
	v_perm_b32 v32, v46, v48, 0x7030c0c
	v_lshlrev_b32_e32 v254, 8, v48
	v_lshlrev_b32_e32 v255, 8, v46
	;; [unrolled: 1-line block ×4, first 2 shown]
	v_or_b32_e32 v31, v32, v31
	v_perm_b32 v32, v23, v22, 0xc0c0703
	v_lshlrev_b32_e32 v230, 8, v47
	v_perm_b32 v63, v26, v0, 0xc0c0603
	v_lshlrev_b32_e32 v225, 8, v36
	v_dot4_i32_iu8 v30, v31, v30, 0 neg_lo:[1,1,0]
	v_or_b32_e32 v32, v33, v32
	v_perm_b32 v33, v47, v49, 0xc0c0703
	v_add_nc_u32_e32 v31, 0x400, v172
	v_perm_b32 v66, v224, v225, 0x7030c0c
	v_lshlrev_b32_e32 v154, 16, v48
	v_lshlrev_b32_e32 v155, 16, v46
	v_or_b32_e32 v33, v34, v33
	v_lshlrev_b32_e32 v156, 16, v37
	v_lshlrev_b32_e32 v229, 16, v49
	;; [unrolled: 1-line block ×4, first 2 shown]
	v_dot4_i32_iu8 v211, v33, v32, v30 neg_lo:[1,1,0]
	v_add_nc_u32_e32 v30, 0x2080, v178
	v_add_nc_u32_e32 v32, 0x2088, v178
	;; [unrolled: 1-line block ×3, first 2 shown]
	ds_load_2addr_b32 v[34:35], v30 offset1:1
	ds_load_2addr_b32 v[30:31], v31 offset1:7
	;; [unrolled: 1-line block ×5, first 2 shown]
	v_perm_b32 v0, v37, v0, 0x7030c0c
	s_wait_dscnt 0x4
	v_bfe_i32 v38, v34, 16, 8
	s_wait_dscnt 0x3
	v_bfe_i32 v39, v30, 16, 8
	v_bfe_i32 v40, v30, 0, 8
	v_perm_b32 v150, v35, v35, 0x2010003
	s_delay_alu instid0(VALU_DEP_3) | instskip(SKIP_1) | instid1(VALU_DEP_1)
	v_mul_i32_i24_e32 v38, v39, v38
	v_bfe_i32 v39, v34, 0, 8
	v_mad_i32_i24 v52, v40, v39, v38
	v_ashrrev_i32_e32 v38, 24, v34
	v_ashrrev_i32_e32 v39, 24, v30
	v_lshrrev_b16 v40, 8, v30
	s_delay_alu instid0(VALU_DEP_2) | instskip(SKIP_1) | instid1(VALU_DEP_3)
	v_mul_i32_i24_e32 v38, v39, v38
	v_lshrrev_b16 v39, 8, v34
	v_bfe_i32 v40, v40, 0, 8
	s_delay_alu instid0(VALU_DEP_2) | instskip(NEXT) | instid1(VALU_DEP_1)
	v_bfe_i32 v39, v39, 0, 8
	v_mad_i32_i24 v53, v40, v39, v38
	v_add_nc_u32_e32 v38, 0x40c, v172
	v_add_nc_u32_e32 v40, 0x404, v172
	ds_load_2addr_b32 v[38:39], v38 offset1:1
	ds_load_2addr_b32 v[54:55], v40 offset1:1
	;; [unrolled: 1-line block ×4, first 2 shown]
	v_bfe_i32 v56, v35, 8, 8
	s_wait_dscnt 0x3
	v_bfe_i32 v57, v39, 8, 8
	v_ashrrev_i32_e32 v58, 24, v39
	s_wait_dscnt 0x2
	v_bfe_i32 v59, v54, 16, 8
	s_wait_dscnt 0x1
	v_bfe_i32 v60, v51, 0, 8
	v_bfe_i32 v61, v38, 0, 8
	v_mul_i32_i24_e32 v56, v57, v56
	v_ashrrev_i32_e32 v57, 24, v35
	v_bfe_i32 v62, v38, 16, 8
	s_delay_alu instid0(VALU_DEP_2) | instskip(SKIP_3) | instid1(VALU_DEP_2)
	v_mad_i32_i24 v212, v58, v57, v56
	v_bfe_i32 v56, v64, 8, 8
	v_bfe_i32 v57, v54, 8, 8
	v_bfe_i32 v58, v54, 0, 8
	v_mul_i32_i24_e32 v56, v57, v56
	v_bfe_i32 v57, v64, 0, 8
	s_delay_alu instid0(VALU_DEP_1) | instskip(SKIP_2) | instid1(VALU_DEP_1)
	v_mad_i32_i24 v56, v58, v57, v56
	v_ashrrev_i32_e32 v57, 24, v65
	v_ashrrev_i32_e32 v58, 24, v50
	v_mul_i32_i24_e32 v57, v58, v57
	v_bfe_i32 v58, v64, 16, 8
	s_delay_alu instid0(VALU_DEP_1) | instskip(SKIP_3) | instid1(VALU_DEP_2)
	v_mad_i32_i24 v213, v59, v58, v57
	v_bfe_i32 v57, v65, 8, 8
	v_bfe_i32 v58, v50, 8, 8
	;; [unrolled: 1-line block ×3, first 2 shown]
	v_mul_i32_i24_e32 v57, v58, v57
	v_bfe_i32 v58, v65, 0, 8
	s_delay_alu instid0(VALU_DEP_1) | instskip(SKIP_3) | instid1(VALU_DEP_2)
	v_mad_i32_i24 v214, v59, v58, v57
	v_bfe_i32 v57, v44, 8, 8
	v_bfe_i32 v58, v55, 8, 8
	;; [unrolled: 1-line block ×3, first 2 shown]
	v_mul_i32_i24_e32 v57, v58, v57
	v_bfe_i32 v58, v44, 0, 8
	s_delay_alu instid0(VALU_DEP_1) | instskip(SKIP_2) | instid1(VALU_DEP_1)
	v_mad_i32_i24 v57, v59, v58, v57
	v_bfe_i32 v58, v45, 8, 8
	v_bfe_i32 v59, v51, 8, 8
	v_mul_i32_i24_e32 v58, v59, v58
	v_bfe_i32 v59, v45, 0, 8
	s_delay_alu instid0(VALU_DEP_1) | instskip(SKIP_2) | instid1(VALU_DEP_1)
	v_mad_i32_i24 v58, v60, v59, v58
	v_bfe_i32 v59, v32, 8, 8
	v_bfe_i32 v60, v38, 8, 8
	v_mul_i32_i24_e32 v59, v60, v59
	v_bfe_i32 v60, v32, 0, 8
	s_delay_alu instid0(VALU_DEP_1) | instskip(SKIP_2) | instid1(VALU_DEP_1)
	v_mad_i32_i24 v59, v61, v60, v59
	v_ashrrev_i32_e32 v60, 24, v33
	v_ashrrev_i32_e32 v61, 24, v31
	v_mul_i32_i24_e32 v60, v61, v60
	v_bfe_i32 v61, v32, 16, 8
	s_delay_alu instid0(VALU_DEP_1) | instskip(SKIP_3) | instid1(VALU_DEP_2)
	v_mad_i32_i24 v215, v62, v61, v60
	v_bfe_i32 v60, v33, 8, 8
	v_bfe_i32 v61, v31, 8, 8
	;; [unrolled: 1-line block ×3, first 2 shown]
	v_mul_i32_i24_e32 v60, v61, v60
	v_bfe_i32 v61, v33, 0, 8
	s_delay_alu instid0(VALU_DEP_1) | instskip(SKIP_3) | instid1(VALU_DEP_2)
	v_mad_i32_i24 v216, v62, v61, v60
	v_perm_b32 v60, v28, v27, 0xc0c0602
	v_perm_b32 v61, v21, v20, 0x6020c0c
	v_perm_b32 v62, v25, v24, 0x6020c0c
	v_or_b32_e32 v60, v61, v60
	v_perm_b32 v61, v23, v22, 0xc0c0602
	s_delay_alu instid0(VALU_DEP_1) | instskip(SKIP_1) | instid1(VALU_DEP_1)
	v_or_b32_e32 v61, v62, v61
	v_perm_b32 v62, v255, v254, 0x7030c0c
	v_or_b32_e32 v62, v62, v63
	v_perm_b32 v63, v230, v231, 0xc0c0703
	s_delay_alu instid0(VALU_DEP_2) | instskip(NEXT) | instid1(VALU_DEP_2)
	v_dot4_i32_iu8 v60, v62, v60, 0 neg_lo:[1,1,0]
	v_or_b32_e32 v63, v66, v63
	v_perm_b32 v62, v25, v24, 0x5010c0c
	v_perm_b32 v66, v226, v227, 0x7030c0c
	s_delay_alu instid0(VALU_DEP_3) | instskip(SKIP_3) | instid1(VALU_DEP_2)
	v_dot4_i32_iu8 v217, v63, v61, v60 neg_lo:[1,1,0]
	v_perm_b32 v60, v28, v27, 0xc0c0501
	v_perm_b32 v61, v21, v20, 0x5010c0c
	;; [unrolled: 1-line block ×3, first 2 shown]
	v_or_b32_e32 v60, v61, v60
	v_perm_b32 v61, v23, v22, 0xc0c0501
	s_delay_alu instid0(VALU_DEP_1) | instskip(SKIP_1) | instid1(VALU_DEP_1)
	v_or_b32_e32 v61, v62, v61
	v_perm_b32 v62, v155, v154, 0x7030c0c
	v_or_b32_e32 v62, v62, v63
	v_perm_b32 v63, v228, v229, 0xc0c0703
	s_delay_alu instid0(VALU_DEP_2) | instskip(NEXT) | instid1(VALU_DEP_2)
	v_dot4_i32_iu8 v60, v62, v60, 0 neg_lo:[1,1,0]
	v_or_b32_e32 v63, v66, v63
	s_delay_alu instid0(VALU_DEP_1) | instskip(SKIP_2) | instid1(VALU_DEP_1)
	v_dot4_i32_iu8 v218, v63, v61, v60 neg_lo:[1,1,0]
	v_bfe_i32 v60, v39, 0, 8
	v_bfe_i32 v61, v35, 0, 8
	v_mul_i32_i24_e32 v60, v60, v61
	v_add_nc_u32_e32 v61, 0x1414, v172
	s_delay_alu instid0(VALU_DEP_2) | instskip(SKIP_3) | instid1(VALU_DEP_2)
	v_add3_u32 v219, v52, v53, v60
	v_bfe_i32 v52, v39, 16, 8
	v_bfe_i32 v53, v35, 16, 8
	v_ashrrev_i32_e32 v60, 24, v64
	v_mul_i32_i24_e32 v52, v52, v53
	v_ashrrev_i32_e32 v53, 24, v54
	s_delay_alu instid0(VALU_DEP_1) | instskip(SKIP_1) | instid1(VALU_DEP_2)
	v_mul_i32_i24_e32 v53, v53, v60
	v_add_nc_u32_e32 v60, 0x1014, v172
	v_add3_u32 v220, v52, v53, v56
	v_bfe_i32 v52, v50, 16, 8
	v_bfe_i32 v53, v65, 16, 8
	v_ashrrev_i32_e32 v56, 24, v44
	s_delay_alu instid0(VALU_DEP_2) | instskip(SKIP_1) | instid1(VALU_DEP_1)
	v_mul_i32_i24_e32 v52, v52, v53
	v_ashrrev_i32_e32 v53, 24, v55
	v_mul_i32_i24_e32 v53, v53, v56
	v_ashrrev_i32_e32 v56, 24, v45
	s_delay_alu instid0(VALU_DEP_2) | instskip(SKIP_2) | instid1(VALU_DEP_1)
	v_add3_u32 v221, v52, v53, v57
	v_bfe_i32 v52, v55, 16, 8
	v_bfe_i32 v53, v44, 16, 8
	v_mul_i32_i24_e32 v52, v52, v53
	v_ashrrev_i32_e32 v53, 24, v51
	s_delay_alu instid0(VALU_DEP_1) | instskip(SKIP_1) | instid1(VALU_DEP_2)
	v_mul_i32_i24_e32 v53, v53, v56
	v_ashrrev_i32_e32 v56, 24, v32
	v_add3_u32 v222, v52, v53, v58
	v_bfe_i32 v52, v51, 16, 8
	v_bfe_i32 v53, v45, 16, 8
	v_add_nc_u32_e32 v58, 0x1004, v172
	s_delay_alu instid0(VALU_DEP_2) | instskip(SKIP_1) | instid1(VALU_DEP_1)
	v_mul_i32_i24_e32 v52, v52, v53
	v_ashrrev_i32_e32 v53, 24, v38
	v_mul_i32_i24_e32 v53, v53, v56
	v_add_nc_u32_e32 v56, 0x814, v172
	s_delay_alu instid0(VALU_DEP_2) | instskip(SKIP_4) | instid1(VALU_DEP_3)
	v_add3_u32 v223, v52, v53, v59
	v_lshlrev_b32_e32 v52, 16, v39
	v_lshlrev_b32_e32 v53, 8, v39
	v_add_nc_u32_e32 v59, 0xc14, v172
	v_perm_b32 v39, v39, v39, 0xc0c0003
	v_perm_b32 v240, v53, v52, 0x7030c0c
	v_lshlrev_b32_e32 v52, 16, v54
	v_lshlrev_b32_e32 v53, 8, v54
	v_perm_b32 v54, v54, v54, 0xc0c0003
	s_delay_alu instid0(VALU_DEP_4) | instskip(NEXT) | instid1(VALU_DEP_3)
	v_or_b32_e32 v39, v240, v39
	v_perm_b32 v241, v53, v52, 0x7030c0c
	s_wait_dscnt 0x0
	v_lshlrev_b32_e32 v52, 16, v41
	v_lshlrev_b32_e32 v53, 8, v41
	v_perm_b32 v41, v41, v41, 0xc0c0003
	v_or_b32_e32 v158, v241, v54
	s_delay_alu instid0(VALU_DEP_3)
	v_perm_b32 v242, v53, v52, 0x7030c0c
	v_add_nc_u32_e32 v52, 0x804, v172
	v_add_nc_u32_e32 v53, 0xc04, v172
	ds_load_2addr_b32 v[78:79], v52 offset1:1
	ds_load_2addr_b32 v[76:77], v53 offset1:1
	;; [unrolled: 1-line block ×3, first 2 shown]
	v_or_b32_e32 v41, v242, v41
	v_add_nc_u32_e32 v242, 0x4108, v178
	s_delay_alu instid0(VALU_DEP_2) | instskip(SKIP_4) | instid1(VALU_DEP_2)
	v_dot4_i32_iu8 v127, v41, v150, 0 neg_lo:[1,1,0]
	s_wait_dscnt 0x2
	v_lshlrev_b32_e32 v52, 16, v78
	v_lshlrev_b32_e32 v53, 8, v78
	v_perm_b32 v54, v78, v78, 0xc0c0003
	v_perm_b32 v243, v53, v52, 0x7030c0c
	v_add_nc_u32_e32 v52, 0xc0c, v172
	s_delay_alu instid0(VALU_DEP_2)
	v_or_b32_e32 v78, v243, v54
	ds_load_2addr_b32 v[52:53], v52 offset1:1
	s_wait_dscnt 0x0
	v_lshlrev_b32_e32 v56, 16, v53
	v_lshlrev_b32_e32 v57, 8, v53
	v_perm_b32 v53, v53, v53, 0xc0c0003
	s_delay_alu instid0(VALU_DEP_2) | instskip(SKIP_2) | instid1(VALU_DEP_3)
	v_perm_b32 v244, v57, v56, 0x7030c0c
	v_lshlrev_b32_e32 v56, 16, v76
	v_lshlrev_b32_e32 v57, 8, v76
	v_or_b32_e32 v102, v244, v53
	v_perm_b32 v53, v76, v76, 0xc0c0003
	s_delay_alu instid0(VALU_DEP_3)
	v_perm_b32 v245, v57, v56, 0x7030c0c
	v_add_nc_u32_e32 v56, 0x100c, v172
	ds_load_2addr_b32 v[56:57], v56 offset1:1
	ds_load_2addr_b32 v[232:233], v58 offset1:1
	;; [unrolled: 1-line block ×4, first 2 shown]
	v_add_nc_u32_e32 v60, 0x1404, v172
	v_or_b32_e32 v76, v245, v53
	v_add_nc_u32_e32 v244, 0x4110, v178
	v_dot4_i32_iu8 v139, v102, v150, 0 neg_lo:[1,1,0]
	s_wait_dscnt 0x3
	v_lshlrev_b32_e32 v58, 16, v57
	v_lshlrev_b32_e32 v59, 8, v57
	v_perm_b32 v53, v57, v57, 0xc0c0003
	s_delay_alu instid0(VALU_DEP_2) | instskip(SKIP_3) | instid1(VALU_DEP_3)
	v_perm_b32 v246, v59, v58, 0x7030c0c
	s_wait_dscnt 0x2
	v_lshlrev_b32_e32 v58, 16, v232
	v_lshlrev_b32_e32 v59, 8, v232
	v_or_b32_e32 v57, v246, v53
	v_perm_b32 v53, v232, v232, 0xc0c0003
	s_delay_alu instid0(VALU_DEP_3)
	v_perm_b32 v247, v59, v58, 0x7030c0c
	v_add_nc_u32_e32 v58, 0x140c, v172
	ds_load_2addr_b32 v[58:59], v58 offset1:1
	ds_load_2addr_b32 v[234:235], v60 offset1:1
	;; [unrolled: 1-line block ×3, first 2 shown]
	v_or_b32_e32 v232, v247, v53
	v_add_nc_u32_e32 v246, 0x4118, v178
	v_dot4_i32_iu8 v142, v57, v150, 0 neg_lo:[1,1,0]
	s_wait_dscnt 0x2
	v_lshlrev_b32_e32 v60, 16, v59
	v_lshlrev_b32_e32 v61, 8, v59
	v_perm_b32 v53, v59, v59, 0xc0c0003
	s_delay_alu instid0(VALU_DEP_2) | instskip(SKIP_3) | instid1(VALU_DEP_3)
	v_perm_b32 v248, v61, v60, 0x7030c0c
	s_wait_dscnt 0x1
	v_lshlrev_b32_e32 v60, 16, v234
	v_lshlrev_b32_e32 v61, 8, v234
	v_or_b32_e32 v59, v248, v53
	v_perm_b32 v53, v234, v234, 0xc0c0003
	s_delay_alu instid0(VALU_DEP_3) | instskip(SKIP_3) | instid1(VALU_DEP_4)
	v_perm_b32 v249, v61, v60, 0x7030c0c
	v_add_nc_u32_e32 v60, 0x180c, v172
	v_add_nc_u32_e32 v248, 0x6188, v178
	v_dot4_i32_iu8 v145, v59, v150, 0 neg_lo:[1,1,0]
	v_or_b32_e32 v234, v249, v53
	ds_load_2addr_b32 v[60:61], v60 offset1:1
	s_wait_dscnt 0x0
	v_lshlrev_b32_e32 v62, 16, v61
	v_lshlrev_b32_e32 v63, 8, v61
	v_perm_b32 v53, v61, v61, 0xc0c0003
	s_delay_alu instid0(VALU_DEP_2)
	v_perm_b32 v250, v63, v62, 0x7030c0c
	v_add_nc_u32_e32 v62, 0x1804, v172
	v_add_nc_u32_e32 v63, 0x1c04, v172
	ds_load_2addr_b32 v[236:237], v62 offset1:1
	ds_load_2addr_b32 v[238:239], v63 offset1:1
	ds_load_2addr_b32 v[74:75], v74 offset1:1
	v_or_b32_e32 v61, v250, v53
	v_add_nc_u32_e32 v250, 0x6190, v178
	s_delay_alu instid0(VALU_DEP_2)
	v_dot4_i32_iu8 v163, v61, v150, 0 neg_lo:[1,1,0]
	s_wait_dscnt 0x2
	v_lshlrev_b32_e32 v62, 16, v236
	v_lshlrev_b32_e32 v63, 8, v236
	v_perm_b32 v53, v236, v236, 0xc0c0003
	s_wait_dscnt 0x1
	v_lshlrev_b32_e32 v157, 8, v238
	s_delay_alu instid0(VALU_DEP_3) | instskip(SKIP_1) | instid1(VALU_DEP_2)
	v_perm_b32 v251, v63, v62, 0x7030c0c
	v_add_nc_u32_e32 v62, 0x1c0c, v172
	v_or_b32_e32 v236, v251, v53
	ds_load_2addr_b32 v[62:63], v62 offset1:1
	s_wait_dscnt 0x0
	v_lshlrev_b32_e32 v252, 16, v63
	v_lshlrev_b32_e32 v253, 8, v63
	v_perm_b32 v53, v63, v63, 0xc0c0003
	s_delay_alu instid0(VALU_DEP_2) | instskip(SKIP_1) | instid1(VALU_DEP_2)
	v_perm_b32 v252, v253, v252, 0x7030c0c
	v_lshlrev_b32_e32 v253, 16, v238
	v_or_b32_e32 v63, v252, v53
	s_delay_alu instid0(VALU_DEP_2) | instskip(SKIP_4) | instid1(VALU_DEP_4)
	v_perm_b32 v157, v157, v253, 0x7030c0c
	v_perm_b32 v53, v238, v238, 0xc0c0003
	v_add_nc_u32_e32 v238, 0x6180, v178
	v_add_nc_u32_e32 v252, 0x6198, v178
	v_dot4_i32_iu8 v150, v63, v150, 0 neg_lo:[1,1,0]
	v_or_b32_e32 v157, v157, v53
	v_add_nc_u32_e32 v53, 0x4100, v178
	ds_load_2addr_b32 v[53:54], v53 offset1:1
	ds_load_2addr_b32 v[240:241], v238 offset1:1
	;; [unrolled: 1-line block ×8, first 2 shown]
	v_perm_b32 v238, v27, v27, 0x2010003
	v_perm_b32 v27, v28, v27, 0xc0c0400
	v_add_nc_u32_e32 v178, 32, v178
	s_delay_alu instid0(VALU_DEP_3)
	v_dot4_i32_iu8 v148, v39, v238, 0 neg_lo:[1,1,0]
	v_dot4_i32_iu8 v151, v41, v238, 0 neg_lo:[1,1,0]
	;; [unrolled: 1-line block ×7, first 2 shown]
	s_wait_dscnt 0x7
	v_perm_b32 v152, v54, v54, 0x2010003
	s_wait_dscnt 0x6
	v_perm_b32 v17, v241, v241, 0x2010003
	;; [unrolled: 2-line block ×3, first 2 shown]
	v_dot4_i32_iu8 v149, v39, v152, 0 neg_lo:[1,1,0]
	s_delay_alu instid0(VALU_DEP_3)
	v_dot4_i32_iu8 v39, v39, v17, 0 neg_lo:[1,1,0]
	v_dot4_i32_iu8 v92, v41, v152, 0 neg_lo:[1,1,0]
	;; [unrolled: 1-line block ×13, first 2 shown]
	v_perm_b32 v63, v20, v20, 0x2010003
	s_wait_dscnt 0x2
	v_perm_b32 v166, v248, v248, 0x2010003
	v_dot4_i32_iu8 v149, v158, v165, v149 neg_lo:[1,1,0]
	v_dot4_i32_iu8 v92, v78, v165, v92 neg_lo:[1,1,0]
	;; [unrolled: 1-line block ×5, first 2 shown]
	v_perm_b32 v158, v64, v64, 0x2010003
	v_dot4_i32_iu8 v151, v78, v63, v151 neg_lo:[1,1,0]
	v_dot4_i32_iu8 v41, v78, v166, v41 neg_lo:[1,1,0]
	;; [unrolled: 1-line block ×17, first 2 shown]
	v_lshlrev_b32_e32 v157, 24, v37
	v_dot4_i32_iu8 v144, v234, v165, v146 neg_lo:[1,1,0]
	v_dot4_i32_iu8 v146, v236, v158, v163 neg_lo:[1,1,0]
	;; [unrolled: 1-line block ×4, first 2 shown]
	v_perm_b32 v37, v156, v157, 0xc0c0703
	v_lshlrev_b32_e32 v156, 24, v48
	v_perm_b32 v48, v48, v254, 0x7030c0c
	v_lshlrev_b32_e32 v164, 8, v72
	v_lshlrev_b32_e32 v165, 8, v74
	v_or_b32_e32 v0, v0, v37
	v_perm_b32 v37, v154, v156, 0xc0c0703
	v_dot4_i32_iu8 v59, v234, v166, v59 neg_lo:[1,1,0]
	v_dot4_i32_iu8 v61, v236, v166, v61 neg_lo:[1,1,0]
	v_lshlrev_b32_e32 v166, 8, v42
	v_perm_b32 v158, v249, v249, 0x2010003
	v_or_b32_e32 v37, v48, v37
	v_lshlrev_b32_e32 v48, 24, v46
	v_perm_b32 v46, v46, v255, 0x7030c0c
	v_perm_b32 v20, v21, v20, 0x4000c0c
	s_delay_alu instid0(VALU_DEP_3) | instskip(SKIP_1) | instid1(VALU_DEP_3)
	v_perm_b32 v154, v155, v48, 0xc0c0703
	v_dot4_i32_iu8 v155, v28, v240, 0 neg_lo:[1,1,0]
	v_or_b32_e32 v20, v20, v27
	s_delay_alu instid0(VALU_DEP_3) | instskip(SKIP_1) | instid1(VALU_DEP_4)
	v_or_b32_e32 v46, v46, v154
	v_dot4_i32_iu8 v154, v28, v53, 0 neg_lo:[1,1,0]
	v_dot4_i32_iu8 v155, v0, v241, v155 neg_lo:[1,1,0]
	v_perm_b32 v28, v26, v157, 0xc0c0403
	s_delay_alu instid0(VALU_DEP_3) | instskip(SKIP_1) | instid1(VALU_DEP_4)
	v_dot4_i32_iu8 v54, v0, v54, v154 neg_lo:[1,1,0]
	v_dot4_i32_iu8 v0, v0, v35, v163 neg_lo:[1,1,0]
	;; [unrolled: 1-line block ×3, first 2 shown]
	v_perm_b32 v35, v65, v65, 0x2010003
	v_lshlrev_b32_e32 v163, 8, v68
	v_dot4_i32_iu8 v54, v37, v242, v54 neg_lo:[1,1,0]
	v_dot4_i32_iu8 v0, v37, v64, v0 neg_lo:[1,1,0]
	;; [unrolled: 1-line block ×3, first 2 shown]
	v_lshlrev_b32_e32 v37, 16, v50
	v_lshlrev_b32_e32 v64, 8, v66
	v_dot4_i32_iu8 v54, v46, v243, v54 neg_lo:[1,1,0]
	v_dot4_i32_iu8 v0, v46, v65, v0 neg_lo:[1,1,0]
	v_lshlrev_b32_e32 v46, 8, v50
	v_lshlrev_b32_e32 v65, 8, v70
	v_perm_b32 v50, v50, v50, 0xc0c0003
	v_perm_b32 v154, v243, v243, 0x2010003
	s_delay_alu instid0(VALU_DEP_4) | instskip(SKIP_1) | instid1(VALU_DEP_2)
	v_perm_b32 v37, v46, v37, 0x7030c0c
	v_lshlrev_b32_e32 v46, 16, v66
	v_or_b32_e32 v37, v37, v50
	s_delay_alu instid0(VALU_DEP_2) | instskip(SKIP_3) | instid1(VALU_DEP_3)
	v_perm_b32 v46, v64, v46, 0x7030c0c
	v_lshlrev_b32_e32 v64, 16, v70
	v_perm_b32 v50, v66, v66, 0xc0c0003
	v_perm_b32 v66, v74, v74, 0xc0c0003
	;; [unrolled: 1-line block ×3, first 2 shown]
	v_lshlrev_b32_e32 v65, 16, v68
	s_delay_alu instid0(VALU_DEP_4) | instskip(SKIP_1) | instid1(VALU_DEP_3)
	v_or_b32_e32 v46, v46, v50
	v_perm_b32 v50, v70, v70, 0xc0c0003
	v_perm_b32 v65, v163, v65, 0x7030c0c
	v_lshlrev_b32_e32 v163, 16, v72
	s_delay_alu instid0(VALU_DEP_3)
	v_or_b32_e32 v50, v64, v50
	v_perm_b32 v64, v68, v68, 0xc0c0003
	v_perm_b32 v68, v21, v21, 0x2010003
	v_dot4_i32_iu8 v92, v46, v154, v92 neg_lo:[1,1,0]
	v_perm_b32 v163, v164, v163, 0x7030c0c
	v_lshlrev_b32_e32 v164, 16, v74
	v_or_b32_e32 v64, v65, v64
	v_perm_b32 v65, v72, v72, 0xc0c0003
	v_dot4_i32_iu8 v70, v37, v68, v148 neg_lo:[1,1,0]
	v_dot4_i32_iu8 v72, v37, v154, v149 neg_lo:[1,1,0]
	v_perm_b32 v164, v165, v164, 0x7030c0c
	v_lshlrev_b32_e32 v165, 16, v42
	v_perm_b32 v42, v42, v42, 0xc0c0003
	v_or_b32_e32 v65, v163, v65
	v_dot4_i32_iu8 v37, v37, v158, v39 neg_lo:[1,1,0]
	v_or_b32_e32 v66, v164, v66
	v_perm_b32 v165, v166, v165, 0x7030c0c
	v_dot4_i32_iu8 v39, v46, v68, v151 neg_lo:[1,1,0]
	v_dot4_i32_iu8 v74, v46, v35, v127 neg_lo:[1,1,0]
	;; [unrolled: 1-line block ×4, first 2 shown]
	v_or_b32_e32 v42, v165, v42
	v_dot4_i32_iu8 v78, v50, v35, v93 neg_lo:[1,1,0]
	v_dot4_i32_iu8 v93, v50, v154, v139 neg_lo:[1,1,0]
	;; [unrolled: 1-line block ×19, first 2 shown]
	v_lshlrev_b32_e32 v42, 16, v55
	v_lshlrev_b32_e32 v68, 8, v55
	;; [unrolled: 1-line block ×14, first 2 shown]
	v_perm_b32 v55, v55, v55, 0xc0c0003
	v_perm_b32 v79, v79, v79, 0xc0c0003
	;; [unrolled: 1-line block ×14, first 2 shown]
	v_or_b32_e32 v42, v42, v55
	v_or_b32_e32 v55, v68, v79
	;; [unrolled: 1-line block ×7, first 2 shown]
	v_perm_b32 v145, v22, v22, 0x2010003
	v_perm_b32 v146, v244, v244, 0x2010003
	s_wait_dscnt 0x1
	v_perm_b32 v147, v250, v250, 0x2010003
	v_lshlrev_b32_e32 v148, 16, v73
	v_lshlrev_b32_e32 v149, 8, v73
	v_dot4_i32_iu8 v70, v42, v145, v70 neg_lo:[1,1,0]
	v_dot4_i32_iu8 v72, v42, v146, v72 neg_lo:[1,1,0]
	v_dot4_i32_iu8 v37, v42, v147, v37 neg_lo:[1,1,0]
	v_perm_b32 v42, v44, v44, 0x2010003
	v_dot4_i32_iu8 v39, v55, v145, v39 neg_lo:[1,1,0]
	v_dot4_i32_iu8 v92, v55, v146, v92 neg_lo:[1,1,0]
	v_dot4_i32_iu8 v41, v55, v147, v41 neg_lo:[1,1,0]
	v_dot4_i32_iu8 v46, v68, v145, v46 neg_lo:[1,1,0]
	v_dot4_i32_iu8 v74, v55, v42, v74 neg_lo:[1,1,0]
	v_dot4_i32_iu8 v55, v68, v42, v78 neg_lo:[1,1,0]
	v_dot4_i32_iu8 v78, v68, v146, v93 neg_lo:[1,1,0]
	v_dot4_i32_iu8 v50, v68, v147, v50 neg_lo:[1,1,0]
	v_dot4_i32_iu8 v68, v77, v145, v76 neg_lo:[1,1,0]
	v_dot4_i32_iu8 v76, v77, v42, v102 neg_lo:[1,1,0]
	v_dot4_i32_iu8 v93, v77, v146, v127 neg_lo:[1,1,0]
	v_dot4_i32_iu8 v57, v77, v147, v57 neg_lo:[1,1,0]
	v_dot4_i32_iu8 v64, v79, v145, v64 neg_lo:[1,1,0]
	v_dot4_i32_iu8 v77, v79, v42, v139 neg_lo:[1,1,0]
	v_dot4_i32_iu8 v102, v79, v146, v140 neg_lo:[1,1,0]
	v_dot4_i32_iu8 v59, v79, v147, v59 neg_lo:[1,1,0]
	v_dot4_i32_iu8 v79, v143, v42, v141 neg_lo:[1,1,0]
	v_dot4_i32_iu8 v35, v144, v42, v35 neg_lo:[1,1,0]
	v_dot4_i32_iu8 v42, v144, v146, v66 neg_lo:[1,1,0]
	v_perm_b32 v66, v49, v231, 0x7030c0c
	v_lshlrev_b32_e32 v49, 24, v49
	v_perm_b32 v139, v47, v230, 0x7030c0c
	v_lshlrev_b32_e32 v47, 24, v47
	v_dot4_i32_iu8 v65, v143, v145, v65 neg_lo:[1,1,0]
	v_dot4_i32_iu8 v127, v143, v146, v142 neg_lo:[1,1,0]
	v_perm_b32 v158, v229, v49, 0xc0c0703
	v_dot4_i32_iu8 v61, v143, v147, v61 neg_lo:[1,1,0]
	v_dot4_i32_iu8 v63, v144, v145, v63 neg_lo:[1,1,0]
	;; [unrolled: 1-line block ×3, first 2 shown]
	v_lshlrev_b32_e32 v140, 16, v51
	v_or_b32_e32 v66, v66, v158
	v_perm_b32 v158, v228, v47, 0xc0c0703
	v_lshlrev_b32_e32 v141, 8, v51
	v_lshlrev_b32_e32 v142, 16, v67
	;; [unrolled: 1-line block ×11, first 2 shown]
	v_or_b32_e32 v139, v139, v158
	v_dot4_i32_iu8 v54, v66, v244, v54 neg_lo:[1,1,0]
	v_dot4_i32_iu8 v155, v66, v250, v155 neg_lo:[1,1,0]
	;; [unrolled: 1-line block ×3, first 2 shown]
	v_perm_b32 v51, v51, v51, 0xc0c0003
	v_perm_b32 v67, v67, v67, 0xc0c0003
	;; [unrolled: 1-line block ×7, first 2 shown]
	v_dot4_i32_iu8 v54, v139, v245, v54 neg_lo:[1,1,0]
	v_dot4_i32_iu8 v155, v139, v251, v155 neg_lo:[1,1,0]
	;; [unrolled: 1-line block ×3, first 2 shown]
	v_perm_b32 v44, v45, v45, 0x2010003
	v_perm_b32 v45, v141, v140, 0x7030c0c
	;; [unrolled: 1-line block ×10, first 2 shown]
	v_or_b32_e32 v45, v45, v51
	v_or_b32_e32 v51, v66, v67
	;; [unrolled: 1-line block ×7, first 2 shown]
	v_perm_b32 v73, v23, v23, 0x2010003
	v_dot4_i32_iu8 v72, v45, v158, v72 neg_lo:[1,1,0]
	v_dot4_i32_iu8 v37, v45, v163, v37 neg_lo:[1,1,0]
	;; [unrolled: 1-line block ×27, first 2 shown]
	v_lshlrev_b32_e32 v43, 16, v38
	v_lshlrev_b32_e32 v44, 8, v38
	;; [unrolled: 1-line block ×10, first 2 shown]
	v_perm_b32 v38, v38, v38, 0xc0c0003
	v_perm_b32 v40, v40, v40, 0xc0c0003
	;; [unrolled: 1-line block ×3, first 2 shown]
	v_lshlrev_b32_e32 v102, 16, v58
	v_lshlrev_b32_e32 v127, 8, v58
	v_perm_b32 v60, v60, v60, 0xc0c0003
	v_lshlrev_b32_e32 v141, 16, v62
	v_lshlrev_b32_e32 v142, 8, v62
	v_perm_b32 v43, v44, v43, 0x7030c0c
	v_perm_b32 v44, v73, v71, 0x7030c0c
	;; [unrolled: 1-line block ×10, first 2 shown]
	v_or_b32_e32 v38, v43, v38
	v_or_b32_e32 v40, v44, v40
	;; [unrolled: 1-line block ×4, first 2 shown]
	v_perm_b32 v60, v24, v24, 0x2010003
	v_or_b32_e32 v43, v71, v52
	v_or_b32_e32 v52, v78, v58
	;; [unrolled: 1-line block ×3, first 2 shown]
	v_perm_b32 v21, v23, v22, 0xc0c0400
	v_dot4_i32_iu8 v62, v38, v60, v70 neg_lo:[1,1,0]
	v_perm_b32 v70, v246, v246, 0x2010003
	v_dot4_i32_iu8 v78, v40, v60, v39 neg_lo:[1,1,0]
	v_dot4_i32_iu8 v93, v43, v60, v46 neg_lo:[1,1,0]
	;; [unrolled: 1-line block ×5, first 2 shown]
	s_wait_dscnt 0x0
	v_perm_b32 v72, v252, v252, 0x2010003
	v_dot4_i32_iu8 v76, v52, v70, v76 neg_lo:[1,1,0]
	v_dot4_i32_iu8 v74, v40, v70, v74 neg_lo:[1,1,0]
	;; [unrolled: 1-line block ×5, first 2 shown]
	v_perm_b32 v37, v32, v32, 0x2010003
	v_dot4_i32_iu8 v17, v58, v72, v17 neg_lo:[1,1,0]
	v_dot4_i32_iu8 v92, v40, v72, v41 neg_lo:[1,1,0]
	;; [unrolled: 1-line block ×13, first 2 shown]
	v_lshlrev_b32_e32 v58, 24, v36
	v_perm_b32 v35, v36, v225, 0x7030c0c
	v_lshlrev_b32_e32 v72, 24, v29
	v_perm_b32 v29, v29, v224, 0x7030c0c
	v_dot4_i32_iu8 v79, v40, v37, v45 neg_lo:[1,1,0]
	v_perm_b32 v36, v227, v58, 0xc0c0703
	v_dot4_i32_iu8 v51, v43, v37, v51 neg_lo:[1,1,0]
	v_dot4_i32_iu8 v68, v44, v37, v68 neg_lo:[1,1,0]
	v_perm_b32 v22, v25, v24, 0x4000c0c
	v_perm_b32 v23, v48, v156, 0x7030c0c
	v_or_b32_e32 v70, v35, v36
	v_perm_b32 v35, v226, v72, 0xc0c0703
	v_lshlrev_b32_e32 v36, 8, v31
	v_or_b32_e32 v21, v22, v21
	v_perm_b32 v22, v47, v49, 0xc0c0703
	v_dot4_i32_iu8 v0, v70, v32, v0 neg_lo:[1,1,0]
	v_or_b32_e32 v29, v29, v35
	v_dot4_i32_iu8 v35, v70, v246, v54 neg_lo:[1,1,0]
	v_perm_b32 v24, v72, v58, 0x7030c0c
	v_or_b32_e32 v23, v23, v28
	v_perm_b32 v77, v247, v247, 0x2010003
	v_dot4_i32_iu8 v0, v29, v33, v0 neg_lo:[1,1,0]
	v_dot4_i32_iu8 v54, v29, v247, v35 neg_lo:[1,1,0]
	v_dot4_i32_iu8 v35, v70, v252, v155 neg_lo:[1,1,0]
	v_or_b32_e32 v22, v24, v22
	v_dot4_i32_iu8 v20, v23, v20, 0 neg_lo:[1,1,0]
	v_add_nc_u32_e32 v24, v218, v211
	v_perm_b32 v127, v253, v253, 0x2010003
	v_dot4_i32_iu8 v102, v29, v253, v35 neg_lo:[1,1,0]
	v_lshlrev_b32_e32 v35, 16, v31
	v_bfe_i32 v29, v33, 16, 8
	v_dot4_i32_iu8 v20, v22, v21, v20 neg_lo:[1,1,0]
	v_add3_u32 v21, v219, v212, v220
	v_add3_u32 v22, v213, v214, v221
	v_perm_b32 v139, v36, v35, 0x7030c0c
	v_add_nc_u32_e32 v35, 0x800, v172
	v_add3_u32 v20, v20, v217, v24
	v_cvt_f32_i32_e32 v0, v0
	ds_load_2addr_b32 v[35:36], v35 offset1:7
	v_cvt_f32_i32_e32 v20, v20
	v_fma_mix_f32 v0, v199, v0, v199 op_sel:[0,0,1] op_sel_hi:[1,0,1]
	s_delay_alu instid0(VALU_DEP_2) | instskip(NEXT) | instid1(VALU_DEP_2)
	v_fma_mix_f32 v20, v203, v20, v203 op_sel:[0,0,1] op_sel_hi:[1,0,1]
	v_add_f32_e32 v132, v132, v0
	s_delay_alu instid0(VALU_DEP_2) | instskip(SKIP_1) | instid1(VALU_DEP_1)
	v_add_f32_e32 v94, v94, v20
	v_cvt_f32_i32_e32 v20, v54
	v_fma_mix_f32 v20, v202, v20, v202 op_sel:[0,0,1] op_sel_hi:[1,0,1]
	s_wait_dscnt 0x0
	v_lshlrev_b32_e32 v37, 16, v36
	v_lshlrev_b32_e32 v38, 8, v36
	v_perm_b32 v36, v36, v36, 0xc0c0003
	v_add_f32_e32 v128, v128, v20
	s_delay_alu instid0(VALU_DEP_3) | instskip(SKIP_1) | instid1(VALU_DEP_2)
	v_perm_b32 v140, v38, v37, 0x7030c0c
	v_add_nc_u32_e32 v37, 0xc00, v172
	v_or_b32_e32 v36, v140, v36
	ds_load_2addr_b32 v[37:38], v37 offset1:7
	v_perm_b32 v140, v25, v25, 0x2010003
	v_dot4_i32_iu8 v74, v36, v77, v74 neg_lo:[1,1,0]
	s_delay_alu instid0(VALU_DEP_2) | instskip(SKIP_4) | instid1(VALU_DEP_2)
	v_dot4_i32_iu8 v78, v36, v140, v78 neg_lo:[1,1,0]
	s_wait_dscnt 0x0
	v_lshlrev_b32_e32 v39, 16, v38
	v_lshlrev_b32_e32 v40, 8, v38
	v_perm_b32 v38, v38, v38, 0xc0c0003
	v_perm_b32 v141, v40, v39, 0x7030c0c
	v_add_nc_u32_e32 v39, 0x1000, v172
	s_delay_alu instid0(VALU_DEP_2) | instskip(SKIP_2) | instid1(VALU_DEP_1)
	v_or_b32_e32 v38, v141, v38
	ds_load_2addr_b32 v[39:40], v39 offset1:7
	v_dot4_i32_iu8 v55, v38, v77, v55 neg_lo:[1,1,0]
	v_dot4_i32_iu8 v55, v37, v53, v55 neg_lo:[1,1,0]
	s_wait_dscnt 0x0
	v_lshlrev_b32_e32 v41, 16, v40
	v_lshlrev_b32_e32 v42, 8, v40
	v_perm_b32 v40, v40, v40, 0xc0c0003
	s_delay_alu instid0(VALU_DEP_2) | instskip(SKIP_1) | instid1(VALU_DEP_2)
	v_perm_b32 v142, v42, v41, 0x7030c0c
	v_add_nc_u32_e32 v41, 0x1400, v172
	v_or_b32_e32 v40, v142, v40
	ds_load_2addr_b32 v[41:42], v41 offset1:7
	s_wait_dscnt 0x0
	v_lshlrev_b32_e32 v43, 16, v42
	v_lshlrev_b32_e32 v44, 8, v42
	v_perm_b32 v42, v42, v42, 0xc0c0003
	s_delay_alu instid0(VALU_DEP_2) | instskip(SKIP_1) | instid1(VALU_DEP_2)
	v_perm_b32 v143, v44, v43, 0x7030c0c
	v_add_nc_u32_e32 v43, 0x1800, v172
	v_or_b32_e32 v42, v143, v42
	ds_load_2addr_b32 v[43:44], v43 offset1:7
	s_wait_dscnt 0x0
	v_lshlrev_b32_e32 v45, 16, v44
	v_lshlrev_b32_e32 v46, 8, v44
	v_perm_b32 v44, v44, v44, 0xc0c0003
	s_delay_alu instid0(VALU_DEP_2) | instskip(SKIP_2) | instid1(VALU_DEP_3)
	v_perm_b32 v144, v46, v45, 0x7030c0c
	v_add_nc_u32_e32 v45, 0x1c00, v172
	v_add_nc_u32_e32 v172, 32, v172
	v_or_b32_e32 v44, v144, v44
	ds_load_2addr_b32 v[45:46], v45 offset1:7
	s_wait_dscnt 0x0
	v_lshlrev_b32_e32 v145, 16, v46
	v_lshlrev_b32_e32 v146, 8, v46
	v_perm_b32 v46, v46, v46, 0xc0c0003
	s_delay_alu instid0(VALU_DEP_2) | instskip(SKIP_2) | instid1(VALU_DEP_3)
	v_perm_b32 v145, v146, v145, 0x7030c0c
	v_perm_b32 v146, v31, v31, 0xc0c0003
	v_bfe_i32 v31, v31, 16, 8
	v_or_b32_e32 v46, v145, v46
	s_delay_alu instid0(VALU_DEP_3) | instskip(NEXT) | instid1(VALU_DEP_3)
	v_or_b32_e32 v139, v139, v146
	v_mul_i32_i24_e32 v29, v31, v29
	s_delay_alu instid0(VALU_DEP_3) | instskip(NEXT) | instid1(VALU_DEP_3)
	v_dot4_i32_iu8 v17, v46, v127, v17 neg_lo:[1,1,0]
	v_dot4_i32_iu8 v62, v139, v140, v62 neg_lo:[1,1,0]
	s_delay_alu instid0(VALU_DEP_3)
	v_add3_u32 v29, v215, v216, v29
	v_dot4_i32_iu8 v71, v139, v77, v71 neg_lo:[1,1,0]
	v_dot4_i32_iu8 v73, v139, v127, v73 neg_lo:[1,1,0]
	v_perm_b32 v139, v33, v33, 0x2010003
	v_dot4_i32_iu8 v17, v45, v240, v17 neg_lo:[1,1,0]
	v_add3_u32 v23, v222, v223, v29
	v_cvt_f32_i32_e32 v29, v55
	s_delay_alu instid0(VALU_DEP_4) | instskip(SKIP_1) | instid1(VALU_DEP_4)
	v_dot4_i32_iu8 v79, v36, v139, v79 neg_lo:[1,1,0]
	v_dot4_i32_iu8 v36, v36, v127, v92 neg_lo:[1,1,0]
	v_add3_u32 v21, v21, v22, v23
	v_dot4_i32_iu8 v92, v38, v140, v93 neg_lo:[1,1,0]
	v_dot4_i32_iu8 v51, v38, v139, v51 neg_lo:[1,1,0]
	;; [unrolled: 1-line block ×4, first 2 shown]
	v_cvt_f32_i32_e32 v21, v21
	v_dot4_i32_iu8 v66, v40, v139, v68 neg_lo:[1,1,0]
	v_dot4_i32_iu8 v68, v40, v77, v75 neg_lo:[1,1,0]
	;; [unrolled: 1-line block ×4, first 2 shown]
	v_fma_mix_f32 v21, v206, v21, v206 op_sel:[0,0,1] op_sel_hi:[1,0,1]
	v_dot4_i32_iu8 v64, v42, v139, v67 neg_lo:[1,1,0]
	v_dot4_i32_iu8 v67, v42, v77, v76 neg_lo:[1,1,0]
	;; [unrolled: 1-line block ×10, first 2 shown]
	v_add_f32_e32 v121, v121, v21
	v_cvt_f32_i32_e32 v21, v102
	v_dot4_i32_iu8 v46, v26, v35, v78 neg_lo:[1,1,0]
	v_dot4_i32_iu8 v63, v34, v35, v79 neg_lo:[1,1,0]
	v_dot4_i32_iu8 v69, v35, v53, v74 neg_lo:[1,1,0]
	v_dot4_i32_iu8 v35, v35, v240, v36 neg_lo:[1,1,0]
	v_dot4_i32_iu8 v36, v26, v37, v92 neg_lo:[1,1,0]
	v_dot4_i32_iu8 v51, v34, v37, v51 neg_lo:[1,1,0]
	v_dot4_i32_iu8 v37, v37, v240, v38 neg_lo:[1,1,0]
	v_dot4_i32_iu8 v38, v26, v39, v50 neg_lo:[1,1,0]
	v_dot4_i32_iu8 v50, v34, v39, v66 neg_lo:[1,1,0]
	v_dot4_i32_iu8 v66, v39, v53, v68 neg_lo:[1,1,0]
	v_dot4_i32_iu8 v39, v39, v240, v40 neg_lo:[1,1,0]
	v_dot4_i32_iu8 v40, v26, v41, v57 neg_lo:[1,1,0]
	v_dot4_i32_iu8 v57, v34, v41, v64 neg_lo:[1,1,0]
	v_dot4_i32_iu8 v64, v41, v53, v67 neg_lo:[1,1,0]
	v_dot4_i32_iu8 v41, v41, v240, v42 neg_lo:[1,1,0]
	v_dot4_i32_iu8 v42, v26, v43, v52 neg_lo:[1,1,0]
	v_dot4_i32_iu8 v52, v34, v43, v59 neg_lo:[1,1,0]
	v_dot4_i32_iu8 v59, v43, v53, v65 neg_lo:[1,1,0]
	v_dot4_i32_iu8 v43, v43, v240, v44 neg_lo:[1,1,0]
	v_dot4_i32_iu8 v44, v30, v26, v62 neg_lo:[1,1,0]
	v_dot4_i32_iu8 v26, v26, v45, v56 neg_lo:[1,1,0]
	v_dot4_i32_iu8 v34, v34, v45, v60 neg_lo:[1,1,0]
	v_dot4_i32_iu8 v56, v30, v53, v71 neg_lo:[1,1,0]
	v_dot4_i32_iu8 v53, v45, v53, v61 neg_lo:[1,1,0]
	v_dot4_i32_iu8 v30, v30, v240, v73 neg_lo:[1,1,0]
	v_fma_mix_f32 v21, v200, v21, v200 op_sel:[0,0,1] op_sel_hi:[1,0,1]
	v_cvt_f32_i32_e32 v0, v44
	v_cvt_f32_i32_e32 v20, v56
	;; [unrolled: 1-line block ×4, first 2 shown]
	v_add_f32_e32 v123, v123, v21
	v_cvt_f32_i32_e32 v21, v30
	v_cvt_f32_i32_e32 v24, v69
	;; [unrolled: 1-line block ×22, first 2 shown]
	v_fma_mix_f32 v0, v197, v0, v197 op_sel:[0,0,1] op_sel_hi:[1,0,1]
	v_fma_mix_f32 v20, v198, v20, v198 op_sel:[0,0,1] op_sel_hi:[1,0,1]
	;; [unrolled: 1-line block ×27, first 2 shown]
	v_add_f32_e32 v122, v122, v0
	v_dual_add_f32 v119, v119, v20 :: v_dual_add_f32 v118, v118, v21
	v_dual_add_f32 v117, v117, v22 :: v_dual_add_f32 v116, v116, v23
	v_add_f32_e32 v115, v115, v24
	v_add_f32_e32 v111, v111, v25
	;; [unrolled: 1-line block ×3, first 2 shown]
	v_dual_add_f32 v103, v103, v28 :: v_dual_add_f32 v100, v100, v29
	v_dual_add_f32 v99, v99, v30 :: v_dual_add_f32 v98, v98, v31
	;; [unrolled: 1-line block ×3, first 2 shown]
	v_add_f32_e32 v95, v95, v35
	v_dual_add_f32 v91, v91, v36 :: v_dual_add_f32 v90, v90, v37
	v_dual_add_f32 v89, v89, v38 :: v_dual_add_f32 v88, v88, v39
	;; [unrolled: 1-line block ×4, first 2 shown]
	v_add_f32_e32 v83, v83, v26
	v_dual_add_f32 v82, v82, v34 :: v_dual_add_f32 v81, v81, v44
	v_add_f32_e32 v80, v80, v17
	s_cbranch_scc1 .LBB124_8
; %bb.9:                                ;   in Loop: Header=BB124_6 Depth=1
	s_and_b32 s10, s7, -4
	s_wait_loadcnt 0x0
	s_wait_alu 0xfffe
	s_cmp_eq_u32 s10, 4
	s_barrier_signal -1
	s_barrier_wait -1
	global_inv scope:SCOPE_SE
	s_cbranch_scc1 .LBB124_5
; %bb.10:                               ;   in Loop: Header=BB124_6 Depth=1
	s_clause 0x3
	scratch_load_b32 v0, off, off offset:88
	scratch_load_b32 v17, off, off offset:4
	;; [unrolled: 1-line block ×4, first 2 shown]
	v_add_nc_u32_e32 v36, 4, v171
	s_mov_b32 s10, 12
	scratch_load_b32 v28, off, off offset:32 ; 4-byte Folded Reload
	v_mov_b32_e32 v172, v153
	v_mad_co_u64_u32 v[36:37], null, v36, 36, s[2:3]
	s_wait_loadcnt 0x4
	v_add_nc_u32_e32 v0, s4, v0
	s_wait_loadcnt 0x2
	s_delay_alu instid0(VALU_DEP_1)
	v_add_nc_u32_e32 v22, v0, v20
	scratch_load_b32 v20, off, off offset:12 ; 4-byte Folded Reload
	v_add_nc_u32_e32 v17, v0, v17
	s_wait_loadcnt 0x1
	v_add_nc_u32_e32 v30, v0, v28
	v_mad_co_i64_i32 v[22:23], null, v22, 36, v[18:19]
	s_wait_loadcnt 0x0
	v_add_nc_u32_e32 v24, v0, v20
	scratch_load_b32 v20, off, off offset:16 ; 4-byte Folded Reload
	v_mad_co_i64_i32 v[24:25], null, v24, 36, v[18:19]
	s_wait_loadcnt 0x0
	v_add_nc_u32_e32 v26, v0, v20
	v_mad_co_i64_i32 v[20:21], null, v17, 36, v[18:19]
	scratch_load_b32 v17, off, off offset:20 ; 4-byte Folded Reload
	v_mad_co_i64_i32 v[26:27], null, v26, 36, v[18:19]
	s_wait_loadcnt 0x0
	v_add_nc_u32_e32 v17, v0, v17
	s_delay_alu instid0(VALU_DEP_1)
	v_mad_co_i64_i32 v[28:29], null, v17, 36, v[18:19]
	scratch_load_b32 v17, off, off offset:24 ; 4-byte Folded Reload
	s_wait_loadcnt 0x0
	v_add_nc_u32_e32 v17, v0, v17
	v_add_nc_u32_e32 v0, v0, v31
	v_mad_co_i64_i32 v[30:31], null, v30, 36, v[18:19]
	s_delay_alu instid0(VALU_DEP_3) | instskip(NEXT) | instid1(VALU_DEP_3)
	v_mad_co_i64_i32 v[32:33], null, v17, 36, v[18:19]
	v_mad_co_i64_i32 v[34:35], null, v0, 36, v[18:19]
	s_clause 0x8
	global_load_b32 v0, v[30:31], off offset:4
	global_load_b32 v17, v[20:21], off offset:4
	;; [unrolled: 1-line block ×8, first 2 shown]
	global_load_b32 v26, v[36:37], off
	s_clause 0x5
	scratch_load_b32 v171, off, off offset:36
	scratch_load_b32 v173, off, off offset:108
	;; [unrolled: 1-line block ×6, first 2 shown]
	s_wait_loadcnt 0xe
	ds_store_b32 v170, v0
	scratch_load_b32 v0, off, off offset:40 ; 4-byte Folded Reload
	s_wait_loadcnt 0x0
	ds_store_b32 v0, v17
	scratch_load_b32 v0, off, off offset:44 ; 4-byte Folded Reload
	;; [unrolled: 3-line block ×4, first 2 shown]
	s_wait_loadcnt 0x0
	ds_store_b32 v0, v22
	ds_store_b32 v167, v23
	;; [unrolled: 1-line block ×4, first 2 shown]
	scratch_load_b32 v0, off, off           ; 4-byte Folded Reload
	s_wait_loadcnt 0x0
	ds_store_b32 v0, v26
	s_wait_dscnt 0x0
	s_barrier_signal -1
	s_barrier_wait -1
	global_inv scope:SCOPE_SE
.LBB124_11:                             ;   Parent Loop BB124_6 Depth=1
                                        ; =>  This Inner Loop Header: Depth=2
	ds_load_2addr_b32 v[20:21], v171 offset1:32
	ds_load_b32 v25, v174
	ds_load_b32 v24, v175
	;; [unrolled: 1-line block ×4, first 2 shown]
	v_add_nc_u32_e32 v33, 0x2090, v173
	v_add_nc_u32_e32 v38, 0x2098, v173
	;; [unrolled: 1-line block ×10, first 2 shown]
	s_wait_alu 0xfffe
	s_add_co_i32 s10, s10, 4
	s_wait_alu 0xfffe
	s_cmp_lt_u32 s10, 28
	s_wait_dscnt 0x3
	v_pk_mul_f16 v202, v20, v25
	s_wait_dscnt 0x2
	v_pk_mul_f16 v198, v20, v24
	;; [unrolled: 2-line block ×4, first 2 shown]
	v_pk_mul_f16 v196, v25, v21
	v_pk_mul_f16 v205, v24, v21
	v_pk_mul_f16 v197, v23, v21
	v_pk_mul_f16 v194, v22, v21
	ds_load_2addr_b32 v[20:21], v171 offset0:64 offset1:96
	s_wait_dscnt 0x0
	v_pk_mul_f16 v195, v25, v20
	v_pk_mul_f16 v193, v24, v20
	;; [unrolled: 1-line block ×8, first 2 shown]
	ds_load_2addr_b32 v[20:21], v171 offset0:128 offset1:160
	s_wait_dscnt 0x0
	v_pk_mul_f16 v187, v25, v20
	v_pk_mul_f16 v185, v24, v20
	v_pk_mul_f16 v184, v23, v20
	v_pk_mul_f16 v183, v22, v20
	v_pk_mul_f16 v182, v25, v21
	v_pk_mul_f16 v181, v24, v21
	v_pk_mul_f16 v180, v23, v21
	v_pk_mul_f16 v178, v22, v21
	ds_load_2addr_b32 v[20:21], v171 offset0:192 offset1:224
	v_add_nc_u32_e32 v171, 4, v171
	s_wait_dscnt 0x0
	v_pk_mul_f16 v179, v25, v20
	v_pk_mul_f16 v200, v25, v21
	;; [unrolled: 1-line block ×8, first 2 shown]
	ds_load_2addr_b32 v[28:29], v172 offset1:7
	ds_load_2addr_b32 v[26:27], v173 offset1:1
	ds_load_2addr_b32 v[20:21], v173 offset0:2 offset1:3
	ds_load_2addr_b32 v[22:23], v173 offset0:4 offset1:5
	;; [unrolled: 1-line block ×3, first 2 shown]
	s_wait_dscnt 0x4
	v_lshlrev_b32_e32 v223, 8, v29
	s_wait_dscnt 0x3
	v_perm_b32 v0, v28, v27, 0xc0c0703
	s_wait_dscnt 0x2
	v_perm_b32 v17, v21, v20, 0x7030c0c
	v_lshlrev_b32_e32 v225, 16, v29
	s_wait_dscnt 0x0
	v_perm_b32 v31, v25, v24, 0x7030c0c
	s_delay_alu instid0(VALU_DEP_3)
	v_or_b32_e32 v30, v17, v0
	v_add_nc_u32_e32 v0, 0x1c14, v172
	ds_load_2addr_b32 v[42:43], v0 offset1:1
	ds_load_2addr_b32 v[36:37], v172 offset0:3 offset1:4
	ds_load_2addr_b32 v[46:47], v172 offset0:5 offset1:6
	;; [unrolled: 1-line block ×3, first 2 shown]
	s_wait_dscnt 0x2
	v_perm_b32 v0, v26, v37, 0xc0c0703
	v_perm_b32 v32, v29, v36, 0x7030c0c
	s_wait_dscnt 0x0
	v_perm_b32 v17, v46, v48, 0x7030c0c
	v_lshlrev_b32_e32 v92, 8, v48
	v_lshlrev_b32_e32 v93, 8, v46
	v_lshlrev_b32_e32 v102, 8, v37
	v_lshlrev_b32_e32 v230, 8, v49
	v_or_b32_e32 v0, v17, v0
	v_perm_b32 v17, v23, v22, 0xc0c0703
	v_lshlrev_b32_e32 v229, 8, v47
	v_perm_b32 v61, v26, v102, 0xc0c0603
	v_lshlrev_b32_e32 v224, 8, v36
	v_dot4_i32_iu8 v0, v0, v30, 0 neg_lo:[1,1,0]
	v_or_b32_e32 v17, v31, v17
	v_perm_b32 v31, v47, v49, 0xc0c0703
	v_lshlrev_b32_e32 v127, 16, v48
	v_perm_b32 v62, v223, v224, 0x7030c0c
	v_lshlrev_b32_e32 v139, 16, v46
	v_lshlrev_b32_e32 v140, 16, v37
	v_or_b32_e32 v31, v32, v31
	v_add_nc_u32_e32 v32, 0x2088, v173
	v_lshlrev_b32_e32 v228, 16, v49
	v_lshlrev_b32_e32 v227, 16, v47
	;; [unrolled: 1-line block ×3, first 2 shown]
	v_dot4_i32_iu8 v210, v31, v17, v0 neg_lo:[1,1,0]
	v_add_nc_u32_e32 v0, 0x2080, v173
	v_add_nc_u32_e32 v17, 0x400, v172
	ds_load_2addr_b32 v[34:35], v0 offset1:1
	ds_load_2addr_b32 v[30:31], v17 offset1:7
	;; [unrolled: 1-line block ×5, first 2 shown]
	v_perm_b32 v102, v37, v102, 0x7030c0c
	s_wait_dscnt 0x4
	v_bfe_i32 v0, v34, 16, 8
	s_wait_dscnt 0x3
	v_bfe_i32 v17, v30, 16, 8
	v_bfe_i32 v38, v30, 0, 8
	v_lshrrev_b16 v39, 8, v30
	s_delay_alu instid0(VALU_DEP_3) | instskip(SKIP_1) | instid1(VALU_DEP_3)
	v_mul_i32_i24_e32 v0, v17, v0
	v_bfe_i32 v17, v34, 0, 8
	v_bfe_i32 v39, v39, 0, 8
	s_delay_alu instid0(VALU_DEP_2) | instskip(SKIP_2) | instid1(VALU_DEP_1)
	v_mad_i32_i24 v0, v38, v17, v0
	v_ashrrev_i32_e32 v17, 24, v34
	v_ashrrev_i32_e32 v38, 24, v30
	v_mul_i32_i24_e32 v17, v38, v17
	v_lshrrev_b16 v38, 8, v34
	s_delay_alu instid0(VALU_DEP_1) | instskip(NEXT) | instid1(VALU_DEP_1)
	v_bfe_i32 v38, v38, 0, 8
	v_mad_i32_i24 v17, v39, v38, v17
	v_add_nc_u32_e32 v38, 0x40c, v172
	ds_load_2addr_b32 v[38:39], v38 offset1:1
	ds_load_2addr_b32 v[54:55], v40 offset1:1
	;; [unrolled: 1-line block ×4, first 2 shown]
	v_bfe_i32 v52, v35, 8, 8
	s_wait_dscnt 0x3
	v_bfe_i32 v53, v39, 8, 8
	v_ashrrev_i32_e32 v56, 24, v39
	s_wait_dscnt 0x2
	v_bfe_i32 v57, v54, 16, 8
	s_wait_dscnt 0x1
	v_bfe_i32 v58, v51, 0, 8
	v_bfe_i32 v59, v38, 0, 8
	v_mul_i32_i24_e32 v52, v53, v52
	v_ashrrev_i32_e32 v53, 24, v35
	v_bfe_i32 v60, v38, 16, 8
	s_delay_alu instid0(VALU_DEP_2) | instskip(SKIP_3) | instid1(VALU_DEP_2)
	v_mad_i32_i24 v211, v56, v53, v52
	v_bfe_i32 v52, v64, 8, 8
	v_bfe_i32 v53, v54, 8, 8
	;; [unrolled: 1-line block ×3, first 2 shown]
	v_mul_i32_i24_e32 v52, v53, v52
	v_bfe_i32 v53, v64, 0, 8
	s_delay_alu instid0(VALU_DEP_1) | instskip(SKIP_2) | instid1(VALU_DEP_1)
	v_mad_i32_i24 v52, v56, v53, v52
	v_ashrrev_i32_e32 v53, 24, v65
	v_ashrrev_i32_e32 v56, 24, v50
	v_mul_i32_i24_e32 v53, v56, v53
	v_bfe_i32 v56, v64, 16, 8
	s_delay_alu instid0(VALU_DEP_1) | instskip(SKIP_3) | instid1(VALU_DEP_2)
	v_mad_i32_i24 v212, v57, v56, v53
	v_bfe_i32 v53, v65, 8, 8
	v_bfe_i32 v56, v50, 8, 8
	;; [unrolled: 1-line block ×3, first 2 shown]
	v_mul_i32_i24_e32 v53, v56, v53
	v_bfe_i32 v56, v65, 0, 8
	s_delay_alu instid0(VALU_DEP_1) | instskip(SKIP_3) | instid1(VALU_DEP_2)
	v_mad_i32_i24 v213, v57, v56, v53
	v_bfe_i32 v53, v44, 8, 8
	v_bfe_i32 v56, v55, 8, 8
	;; [unrolled: 1-line block ×3, first 2 shown]
	v_mul_i32_i24_e32 v53, v56, v53
	v_bfe_i32 v56, v44, 0, 8
	s_delay_alu instid0(VALU_DEP_1) | instskip(SKIP_2) | instid1(VALU_DEP_1)
	v_mad_i32_i24 v53, v57, v56, v53
	v_bfe_i32 v56, v45, 8, 8
	v_bfe_i32 v57, v51, 8, 8
	v_mul_i32_i24_e32 v56, v57, v56
	v_bfe_i32 v57, v45, 0, 8
	s_delay_alu instid0(VALU_DEP_1) | instskip(SKIP_2) | instid1(VALU_DEP_1)
	v_mad_i32_i24 v56, v58, v57, v56
	v_bfe_i32 v57, v32, 8, 8
	v_bfe_i32 v58, v38, 8, 8
	v_mul_i32_i24_e32 v57, v58, v57
	v_bfe_i32 v58, v32, 0, 8
	s_delay_alu instid0(VALU_DEP_1) | instskip(SKIP_2) | instid1(VALU_DEP_1)
	v_mad_i32_i24 v57, v59, v58, v57
	v_ashrrev_i32_e32 v58, 24, v33
	v_ashrrev_i32_e32 v59, 24, v31
	v_mul_i32_i24_e32 v58, v59, v58
	v_bfe_i32 v59, v32, 16, 8
	s_delay_alu instid0(VALU_DEP_1) | instskip(SKIP_3) | instid1(VALU_DEP_2)
	v_mad_i32_i24 v214, v60, v59, v58
	v_bfe_i32 v58, v33, 8, 8
	v_bfe_i32 v59, v31, 8, 8
	;; [unrolled: 1-line block ×3, first 2 shown]
	v_mul_i32_i24_e32 v58, v59, v58
	v_bfe_i32 v59, v33, 0, 8
	s_delay_alu instid0(VALU_DEP_1) | instskip(SKIP_3) | instid1(VALU_DEP_2)
	v_mad_i32_i24 v215, v60, v59, v58
	v_perm_b32 v58, v28, v27, 0xc0c0602
	v_perm_b32 v59, v21, v20, 0x6020c0c
	v_perm_b32 v60, v25, v24, 0x6020c0c
	v_or_b32_e32 v58, v59, v58
	v_perm_b32 v59, v23, v22, 0xc0c0602
	s_delay_alu instid0(VALU_DEP_1) | instskip(SKIP_1) | instid1(VALU_DEP_1)
	v_or_b32_e32 v59, v60, v59
	v_perm_b32 v60, v93, v92, 0x7030c0c
	v_or_b32_e32 v60, v60, v61
	v_perm_b32 v61, v229, v230, 0xc0c0703
	s_delay_alu instid0(VALU_DEP_2) | instskip(NEXT) | instid1(VALU_DEP_2)
	v_dot4_i32_iu8 v58, v60, v58, 0 neg_lo:[1,1,0]
	v_or_b32_e32 v61, v62, v61
	v_perm_b32 v60, v25, v24, 0x5010c0c
	v_perm_b32 v62, v225, v226, 0x7030c0c
	s_delay_alu instid0(VALU_DEP_3) | instskip(SKIP_3) | instid1(VALU_DEP_2)
	v_dot4_i32_iu8 v216, v61, v59, v58 neg_lo:[1,1,0]
	v_perm_b32 v58, v28, v27, 0xc0c0501
	v_perm_b32 v59, v21, v20, 0x5010c0c
	;; [unrolled: 1-line block ×3, first 2 shown]
	v_or_b32_e32 v58, v59, v58
	v_perm_b32 v59, v23, v22, 0xc0c0501
	s_delay_alu instid0(VALU_DEP_1) | instskip(SKIP_1) | instid1(VALU_DEP_1)
	v_or_b32_e32 v59, v60, v59
	v_perm_b32 v60, v139, v127, 0x7030c0c
	v_or_b32_e32 v60, v60, v61
	v_perm_b32 v61, v227, v228, 0xc0c0703
	s_delay_alu instid0(VALU_DEP_2) | instskip(NEXT) | instid1(VALU_DEP_2)
	v_dot4_i32_iu8 v58, v60, v58, 0 neg_lo:[1,1,0]
	v_or_b32_e32 v61, v62, v61
	v_add_nc_u32_e32 v60, 0x1014, v172
	s_delay_alu instid0(VALU_DEP_2) | instskip(SKIP_3) | instid1(VALU_DEP_2)
	v_dot4_i32_iu8 v217, v61, v59, v58 neg_lo:[1,1,0]
	v_bfe_i32 v58, v39, 0, 8
	v_bfe_i32 v59, v35, 0, 8
	v_add_nc_u32_e32 v61, 0x1414, v172
	v_mul_i32_i24_e32 v58, v58, v59
	v_add_nc_u32_e32 v59, 0xc14, v172
	s_delay_alu instid0(VALU_DEP_2) | instskip(SKIP_3) | instid1(VALU_DEP_2)
	v_add3_u32 v218, v0, v17, v58
	v_bfe_i32 v0, v39, 16, 8
	v_bfe_i32 v17, v35, 16, 8
	v_ashrrev_i32_e32 v58, 24, v64
	v_mul_i32_i24_e32 v0, v0, v17
	v_ashrrev_i32_e32 v17, 24, v54
	s_delay_alu instid0(VALU_DEP_1) | instskip(SKIP_1) | instid1(VALU_DEP_2)
	v_mul_i32_i24_e32 v17, v17, v58
	v_add_nc_u32_e32 v58, 0x1004, v172
	v_add3_u32 v219, v0, v17, v52
	v_bfe_i32 v0, v50, 16, 8
	v_bfe_i32 v17, v65, 16, 8
	v_ashrrev_i32_e32 v52, 24, v44
	s_delay_alu instid0(VALU_DEP_2) | instskip(SKIP_1) | instid1(VALU_DEP_1)
	v_mul_i32_i24_e32 v0, v0, v17
	v_ashrrev_i32_e32 v17, 24, v55
	v_mul_i32_i24_e32 v17, v17, v52
	v_ashrrev_i32_e32 v52, 24, v45
	s_delay_alu instid0(VALU_DEP_2) | instskip(SKIP_4) | instid1(VALU_DEP_2)
	v_add3_u32 v220, v0, v17, v53
	v_bfe_i32 v0, v55, 16, 8
	v_bfe_i32 v17, v44, 16, 8
	s_wait_dscnt 0x0
	v_lshlrev_b32_e32 v53, 8, v41
	v_mul_i32_i24_e32 v0, v0, v17
	v_ashrrev_i32_e32 v17, 24, v51
	s_delay_alu instid0(VALU_DEP_1) | instskip(SKIP_1) | instid1(VALU_DEP_2)
	v_mul_i32_i24_e32 v17, v17, v52
	v_ashrrev_i32_e32 v52, 24, v32
	v_add3_u32 v221, v0, v17, v56
	v_bfe_i32 v0, v51, 16, 8
	v_bfe_i32 v17, v45, 16, 8
	v_add_nc_u32_e32 v56, 0x814, v172
	s_delay_alu instid0(VALU_DEP_2) | instskip(SKIP_1) | instid1(VALU_DEP_1)
	v_mul_i32_i24_e32 v0, v0, v17
	v_ashrrev_i32_e32 v17, 24, v38
	v_mul_i32_i24_e32 v17, v17, v52
	v_lshlrev_b32_e32 v52, 8, v54
	s_delay_alu instid0(VALU_DEP_2) | instskip(SKIP_3) | instid1(VALU_DEP_2)
	v_add3_u32 v222, v0, v17, v57
	v_lshlrev_b32_e32 v0, 16, v39
	v_lshlrev_b32_e32 v17, 8, v39
	v_perm_b32 v39, v39, v39, 0xc0c0003
	v_perm_b32 v0, v17, v0, 0x7030c0c
	v_lshlrev_b32_e32 v17, 16, v54
	s_delay_alu instid0(VALU_DEP_2) | instskip(NEXT) | instid1(VALU_DEP_2)
	v_or_b32_e32 v0, v0, v39
	v_perm_b32 v17, v52, v17, 0x7030c0c
	v_lshlrev_b32_e32 v52, 16, v41
	v_perm_b32 v39, v54, v54, 0xc0c0003
	s_delay_alu instid0(VALU_DEP_2)
	v_perm_b32 v141, v53, v52, 0x7030c0c
	v_add_nc_u32_e32 v52, 0x804, v172
	v_add_nc_u32_e32 v53, 0xc04, v172
	ds_load_2addr_b32 v[78:79], v52 offset1:1
	ds_load_2addr_b32 v[76:77], v53 offset1:1
	;; [unrolled: 1-line block ×3, first 2 shown]
	v_or_b32_e32 v17, v17, v39
	v_perm_b32 v39, v41, v41, 0xc0c0003
	s_delay_alu instid0(VALU_DEP_1) | instskip(SKIP_4) | instid1(VALU_DEP_2)
	v_or_b32_e32 v39, v141, v39
	s_wait_dscnt 0x2
	v_lshlrev_b32_e32 v52, 16, v78
	v_lshlrev_b32_e32 v53, 8, v78
	v_perm_b32 v41, v78, v78, 0xc0c0003
	v_perm_b32 v142, v53, v52, 0x7030c0c
	v_add_nc_u32_e32 v52, 0xc0c, v172
	s_delay_alu instid0(VALU_DEP_2)
	v_or_b32_e32 v41, v142, v41
	ds_load_2addr_b32 v[52:53], v52 offset1:1
	s_wait_dscnt 0x0
	v_lshlrev_b32_e32 v56, 16, v53
	v_lshlrev_b32_e32 v57, 8, v53
	v_perm_b32 v53, v53, v53, 0xc0c0003
	s_delay_alu instid0(VALU_DEP_2) | instskip(SKIP_2) | instid1(VALU_DEP_3)
	v_perm_b32 v143, v57, v56, 0x7030c0c
	v_lshlrev_b32_e32 v56, 16, v76
	v_lshlrev_b32_e32 v57, 8, v76
	v_or_b32_e32 v78, v143, v53
	v_perm_b32 v53, v76, v76, 0xc0c0003
	s_delay_alu instid0(VALU_DEP_3)
	v_perm_b32 v144, v57, v56, 0x7030c0c
	v_add_nc_u32_e32 v56, 0x100c, v172
	ds_load_2addr_b32 v[56:57], v56 offset1:1
	ds_load_2addr_b32 v[231:232], v58 offset1:1
	;; [unrolled: 1-line block ×4, first 2 shown]
	v_add_nc_u32_e32 v60, 0x1404, v172
	v_or_b32_e32 v76, v144, v53
	s_wait_dscnt 0x3
	v_lshlrev_b32_e32 v58, 16, v57
	v_lshlrev_b32_e32 v59, 8, v57
	v_perm_b32 v53, v57, v57, 0xc0c0003
	s_delay_alu instid0(VALU_DEP_2) | instskip(SKIP_3) | instid1(VALU_DEP_3)
	v_perm_b32 v145, v59, v58, 0x7030c0c
	s_wait_dscnt 0x2
	v_lshlrev_b32_e32 v58, 16, v231
	v_lshlrev_b32_e32 v59, 8, v231
	v_or_b32_e32 v57, v145, v53
	v_perm_b32 v53, v231, v231, 0xc0c0003
	s_delay_alu instid0(VALU_DEP_3)
	v_perm_b32 v146, v59, v58, 0x7030c0c
	v_add_nc_u32_e32 v58, 0x140c, v172
	ds_load_2addr_b32 v[58:59], v58 offset1:1
	ds_load_2addr_b32 v[233:234], v60 offset1:1
	;; [unrolled: 1-line block ×3, first 2 shown]
	v_or_b32_e32 v141, v146, v53
	v_add_nc_u32_e32 v145, 0x6180, v173
	v_add_nc_u32_e32 v146, 0x4108, v173
	s_wait_dscnt 0x2
	v_lshlrev_b32_e32 v60, 16, v59
	v_lshlrev_b32_e32 v61, 8, v59
	v_perm_b32 v53, v59, v59, 0xc0c0003
	s_delay_alu instid0(VALU_DEP_2) | instskip(SKIP_3) | instid1(VALU_DEP_3)
	v_perm_b32 v147, v61, v60, 0x7030c0c
	s_wait_dscnt 0x1
	v_lshlrev_b32_e32 v60, 16, v233
	v_lshlrev_b32_e32 v61, 8, v233
	v_or_b32_e32 v59, v147, v53
	v_perm_b32 v53, v233, v233, 0xc0c0003
	s_delay_alu instid0(VALU_DEP_3) | instskip(SKIP_2) | instid1(VALU_DEP_3)
	v_perm_b32 v148, v61, v60, 0x7030c0c
	v_add_nc_u32_e32 v60, 0x180c, v172
	v_add_nc_u32_e32 v147, 0x6188, v173
	v_or_b32_e32 v142, v148, v53
	ds_load_2addr_b32 v[60:61], v60 offset1:1
	v_add_nc_u32_e32 v148, 0x4110, v173
	s_wait_dscnt 0x0
	v_lshlrev_b32_e32 v62, 16, v61
	v_lshlrev_b32_e32 v63, 8, v61
	v_perm_b32 v53, v61, v61, 0xc0c0003
	s_delay_alu instid0(VALU_DEP_2)
	v_perm_b32 v149, v63, v62, 0x7030c0c
	v_add_nc_u32_e32 v62, 0x1804, v172
	v_add_nc_u32_e32 v63, 0x1c04, v172
	ds_load_2addr_b32 v[235:236], v62 offset1:1
	ds_load_2addr_b32 v[237:238], v63 offset1:1
	;; [unrolled: 1-line block ×3, first 2 shown]
	v_or_b32_e32 v61, v149, v53
	v_add_nc_u32_e32 v149, 0x6190, v173
	s_wait_dscnt 0x2
	v_lshlrev_b32_e32 v62, 16, v235
	v_lshlrev_b32_e32 v63, 8, v235
	v_perm_b32 v53, v235, v235, 0xc0c0003
	s_wait_dscnt 0x1
	v_lshlrev_b32_e32 v154, 8, v237
	s_delay_alu instid0(VALU_DEP_3) | instskip(SKIP_1) | instid1(VALU_DEP_2)
	v_perm_b32 v150, v63, v62, 0x7030c0c
	v_add_nc_u32_e32 v62, 0x1c0c, v172
	v_or_b32_e32 v143, v150, v53
	ds_load_2addr_b32 v[62:63], v62 offset1:1
	v_add_nc_u32_e32 v150, 0x4118, v173
	s_wait_dscnt 0x0
	v_lshlrev_b32_e32 v151, 16, v63
	v_lshlrev_b32_e32 v152, 8, v63
	v_perm_b32 v53, v63, v63, 0xc0c0003
	s_delay_alu instid0(VALU_DEP_2) | instskip(SKIP_1) | instid1(VALU_DEP_2)
	v_perm_b32 v151, v152, v151, 0x7030c0c
	v_lshlrev_b32_e32 v152, 16, v237
	v_or_b32_e32 v63, v151, v53
	s_delay_alu instid0(VALU_DEP_2) | instskip(SKIP_2) | instid1(VALU_DEP_2)
	v_perm_b32 v152, v154, v152, 0x7030c0c
	v_perm_b32 v53, v237, v237, 0xc0c0003
	v_add_nc_u32_e32 v151, 0x6198, v173
	v_or_b32_e32 v144, v152, v53
	v_add_nc_u32_e32 v53, 0x4100, v173
	ds_load_2addr_b32 v[53:54], v53 offset1:1
	ds_load_2addr_b32 v[239:240], v145 offset1:1
	ds_load_2addr_b32 v[241:242], v146 offset1:1
	ds_load_2addr_b32 v[243:244], v148 offset1:1
	ds_load_2addr_b32 v[245:246], v150 offset1:1
	ds_load_2addr_b32 v[247:248], v147 offset1:1
	ds_load_2addr_b32 v[249:250], v149 offset1:1
	ds_load_2addr_b32 v[251:252], v151 offset1:1
	v_perm_b32 v145, v27, v27, 0x2010003
	v_perm_b32 v150, v35, v35, 0x2010003
	;; [unrolled: 1-line block ×3, first 2 shown]
	v_add_nc_u32_e32 v173, 32, v173
	s_delay_alu instid0(VALU_DEP_4)
	v_dot4_i32_iu8 v148, v0, v145, 0 neg_lo:[1,1,0]
	v_dot4_i32_iu8 v151, v39, v145, 0 neg_lo:[1,1,0]
	;; [unrolled: 1-line block ×7, first 2 shown]
	s_wait_dscnt 0x7
	v_perm_b32 v146, v54, v54, 0x2010003
	s_wait_dscnt 0x6
	v_perm_b32 v147, v240, v240, 0x2010003
	v_dot4_i32_iu8 v165, v59, v145, 0 neg_lo:[1,1,0]
	v_dot4_i32_iu8 v166, v59, v150, 0 neg_lo:[1,1,0]
	;; [unrolled: 1-line block ×20, first 2 shown]
	v_perm_b32 v147, v20, v20, 0x2010003
	s_wait_dscnt 0x5
	v_perm_b32 v253, v241, v241, 0x2010003
	s_wait_dscnt 0x2
	v_perm_b32 v254, v247, v247, 0x2010003
	v_perm_b32 v20, v21, v20, 0x4000c0c
	v_dot4_i32_iu8 v148, v17, v147, v148 neg_lo:[1,1,0]
	v_dot4_i32_iu8 v149, v17, v253, v149 neg_lo:[1,1,0]
	s_delay_alu instid0(VALU_DEP_4)
	v_dot4_i32_iu8 v0, v17, v254, v0 neg_lo:[1,1,0]
	v_dot4_i32_iu8 v17, v41, v147, v151 neg_lo:[1,1,0]
	v_perm_b32 v151, v64, v64, 0x2010003
	v_dot4_i32_iu8 v154, v41, v253, v154 neg_lo:[1,1,0]
	v_dot4_i32_iu8 v39, v41, v254, v39 neg_lo:[1,1,0]
	;; [unrolled: 1-line block ×23, first 2 shown]
	v_lshlrev_b32_e32 v144, 24, v37
	v_lshlrev_b32_e32 v147, 8, v72
	;; [unrolled: 1-line block ×4, first 2 shown]
	v_or_b32_e32 v20, v20, v27
	v_perm_b32 v37, v140, v144, 0xc0c0703
	v_dot4_i32_iu8 v140, v34, v28, 0 neg_lo:[1,1,0]
	s_delay_alu instid0(VALU_DEP_2)
	v_or_b32_e32 v37, v102, v37
	v_lshlrev_b32_e32 v102, 24, v48
	v_perm_b32 v48, v48, v92, 0x7030c0c
	v_lshlrev_b32_e32 v92, 24, v46
	v_perm_b32 v46, v46, v93, 0x7030c0c
	v_dot4_i32_iu8 v93, v28, v53, 0 neg_lo:[1,1,0]
	v_perm_b32 v127, v127, v102, 0xc0c0703
	v_dot4_i32_iu8 v35, v37, v35, v140 neg_lo:[1,1,0]
	v_lshlrev_b32_e32 v140, 8, v68
	s_delay_alu instid0(VALU_DEP_4) | instskip(NEXT) | instid1(VALU_DEP_4)
	v_dot4_i32_iu8 v54, v37, v54, v93 neg_lo:[1,1,0]
	v_or_b32_e32 v48, v48, v127
	v_perm_b32 v127, v139, v92, 0xc0c0703
	v_perm_b32 v93, v242, v242, 0x2010003
	;; [unrolled: 1-line block ×3, first 2 shown]
	s_delay_alu instid0(VALU_DEP_4) | instskip(NEXT) | instid1(VALU_DEP_4)
	v_dot4_i32_iu8 v54, v48, v241, v54 neg_lo:[1,1,0]
	v_or_b32_e32 v46, v46, v127
	v_dot4_i32_iu8 v127, v28, v239, 0 neg_lo:[1,1,0]
	v_dot4_i32_iu8 v35, v48, v64, v35 neg_lo:[1,1,0]
	v_lshlrev_b32_e32 v64, 8, v66
	v_perm_b32 v28, v26, v144, 0xc0c0403
	v_dot4_i32_iu8 v54, v46, v242, v54 neg_lo:[1,1,0]
	v_dot4_i32_iu8 v127, v37, v240, v127 neg_lo:[1,1,0]
	;; [unrolled: 1-line block ×3, first 2 shown]
	v_perm_b32 v37, v65, v65, 0x2010003
	v_lshlrev_b32_e32 v65, 8, v70
	s_delay_alu instid0(VALU_DEP_4) | instskip(SKIP_1) | instid1(VALU_DEP_2)
	v_dot4_i32_iu8 v127, v48, v247, v127 neg_lo:[1,1,0]
	v_lshlrev_b32_e32 v48, 8, v50
	v_dot4_i32_iu8 v127, v46, v248, v127 neg_lo:[1,1,0]
	v_lshlrev_b32_e32 v46, 16, v50
	v_perm_b32 v50, v50, v50, 0xc0c0003
	s_delay_alu instid0(VALU_DEP_2) | instskip(SKIP_1) | instid1(VALU_DEP_2)
	v_perm_b32 v46, v48, v46, 0x7030c0c
	v_lshlrev_b32_e32 v48, 16, v66
	v_or_b32_e32 v46, v46, v50
	s_delay_alu instid0(VALU_DEP_2) | instskip(SKIP_4) | instid1(VALU_DEP_4)
	v_perm_b32 v48, v64, v48, 0x7030c0c
	v_lshlrev_b32_e32 v64, 16, v70
	v_perm_b32 v50, v66, v66, 0xc0c0003
	v_perm_b32 v66, v74, v74, 0xc0c0003
	v_dot4_i32_iu8 v0, v46, v139, v0 neg_lo:[1,1,0]
	v_perm_b32 v64, v65, v64, 0x7030c0c
	v_lshlrev_b32_e32 v65, 16, v68
	v_or_b32_e32 v48, v48, v50
	v_perm_b32 v50, v70, v70, 0xc0c0003
	s_delay_alu instid0(VALU_DEP_3) | instskip(SKIP_1) | instid1(VALU_DEP_3)
	v_perm_b32 v65, v140, v65, 0x7030c0c
	v_lshlrev_b32_e32 v140, 16, v72
	v_or_b32_e32 v50, v64, v50
	v_perm_b32 v64, v68, v68, 0xc0c0003
	v_perm_b32 v68, v21, v21, 0x2010003
	v_dot4_i32_iu8 v39, v48, v139, v39 neg_lo:[1,1,0]
	v_perm_b32 v140, v147, v140, 0x7030c0c
	v_lshlrev_b32_e32 v147, 16, v74
	v_or_b32_e32 v64, v65, v64
	v_perm_b32 v65, v72, v72, 0xc0c0003
	v_dot4_i32_iu8 v70, v46, v68, v148 neg_lo:[1,1,0]
	v_dot4_i32_iu8 v72, v46, v93, v149 neg_lo:[1,1,0]
	v_perm_b32 v147, v150, v147, 0x7030c0c
	v_lshlrev_b32_e32 v150, 16, v42
	v_perm_b32 v42, v42, v42, 0xc0c0003
	v_or_b32_e32 v65, v140, v65
	v_dot4_i32_iu8 v17, v48, v68, v17 neg_lo:[1,1,0]
	v_or_b32_e32 v66, v147, v66
	v_perm_b32 v150, v151, v150, 0x7030c0c
	v_dot4_i32_iu8 v46, v48, v37, v152 neg_lo:[1,1,0]
	v_dot4_i32_iu8 v74, v48, v93, v154 neg_lo:[1,1,0]
	;; [unrolled: 1-line block ×4, first 2 shown]
	v_or_b32_e32 v42, v150, v42
	v_dot4_i32_iu8 v140, v50, v93, v156 neg_lo:[1,1,0]
	v_dot4_i32_iu8 v50, v50, v139, v76 neg_lo:[1,1,0]
	v_dot4_i32_iu8 v76, v64, v68, v78 neg_lo:[1,1,0]
	v_dot4_i32_iu8 v78, v64, v37, v157 neg_lo:[1,1,0]
	v_dot4_i32_iu8 v147, v64, v93, v158 neg_lo:[1,1,0]
	v_dot4_i32_iu8 v57, v64, v139, v57 neg_lo:[1,1,0]
	v_dot4_i32_iu8 v64, v65, v68, v141 neg_lo:[1,1,0]
	v_dot4_i32_iu8 v141, v65, v37, v163 neg_lo:[1,1,0]
	v_dot4_i32_iu8 v148, v65, v93, v164 neg_lo:[1,1,0]
	v_dot4_i32_iu8 v59, v65, v139, v59 neg_lo:[1,1,0]
	v_dot4_i32_iu8 v65, v66, v68, v142 neg_lo:[1,1,0]
	v_dot4_i32_iu8 v142, v66, v37, v165 neg_lo:[1,1,0]
	v_dot4_i32_iu8 v149, v66, v93, v166 neg_lo:[1,1,0]
	v_dot4_i32_iu8 v61, v66, v139, v61 neg_lo:[1,1,0]
	v_dot4_i32_iu8 v66, v42, v68, v143 neg_lo:[1,1,0]
	v_dot4_i32_iu8 v37, v42, v37, v145 neg_lo:[1,1,0]
	v_dot4_i32_iu8 v68, v42, v93, v146 neg_lo:[1,1,0]
	v_dot4_i32_iu8 v42, v42, v139, v63 neg_lo:[1,1,0]
	v_lshlrev_b32_e32 v63, 16, v55
	v_lshlrev_b32_e32 v93, 8, v55
	;; [unrolled: 1-line block ×14, first 2 shown]
	v_perm_b32 v55, v55, v55, 0xc0c0003
	v_perm_b32 v79, v79, v79, 0xc0c0003
	;; [unrolled: 1-line block ×14, first 2 shown]
	v_or_b32_e32 v55, v63, v55
	v_or_b32_e32 v63, v93, v79
	;; [unrolled: 1-line block ×7, first 2 shown]
	v_perm_b32 v145, v22, v22, 0x2010003
	v_perm_b32 v146, v243, v243, 0x2010003
	s_wait_dscnt 0x1
	v_perm_b32 v150, v249, v249, 0x2010003
	v_lshlrev_b32_e32 v151, 16, v73
	v_lshlrev_b32_e32 v152, 8, v73
	v_dot4_i32_iu8 v70, v55, v145, v70 neg_lo:[1,1,0]
	v_dot4_i32_iu8 v72, v55, v146, v72 neg_lo:[1,1,0]
	;; [unrolled: 1-line block ×3, first 2 shown]
	v_perm_b32 v55, v44, v44, 0x2010003
	v_dot4_i32_iu8 v17, v63, v145, v17 neg_lo:[1,1,0]
	v_dot4_i32_iu8 v74, v63, v146, v74 neg_lo:[1,1,0]
	;; [unrolled: 1-line block ×19, first 2 shown]
	v_perm_b32 v68, v49, v230, 0x7030c0c
	v_lshlrev_b32_e32 v49, 24, v49
	v_dot4_i32_iu8 v65, v139, v145, v65 neg_lo:[1,1,0]
	v_dot4_i32_iu8 v141, v139, v146, v149 neg_lo:[1,1,0]
	v_dot4_i32_iu8 v61, v139, v150, v61 neg_lo:[1,1,0]
	v_perm_b32 v139, v47, v229, 0x7030c0c
	v_lshlrev_b32_e32 v47, 24, v47
	v_perm_b32 v158, v228, v49, 0xc0c0703
	v_dot4_i32_iu8 v66, v143, v145, v66 neg_lo:[1,1,0]
	v_dot4_i32_iu8 v42, v143, v150, v42 neg_lo:[1,1,0]
	v_lshlrev_b32_e32 v142, 16, v51
	v_lshlrev_b32_e32 v143, 8, v51
	v_or_b32_e32 v68, v68, v158
	v_perm_b32 v158, v227, v47, 0xc0c0703
	v_lshlrev_b32_e32 v145, 16, v67
	v_lshlrev_b32_e32 v146, 8, v67
	;; [unrolled: 1-line block ×10, first 2 shown]
	v_or_b32_e32 v139, v139, v158
	v_dot4_i32_iu8 v54, v68, v243, v54 neg_lo:[1,1,0]
	v_dot4_i32_iu8 v127, v68, v249, v127 neg_lo:[1,1,0]
	;; [unrolled: 1-line block ×3, first 2 shown]
	v_perm_b32 v51, v51, v51, 0xc0c0003
	v_perm_b32 v67, v67, v67, 0xc0c0003
	;; [unrolled: 1-line block ×7, first 2 shown]
	v_dot4_i32_iu8 v54, v139, v244, v54 neg_lo:[1,1,0]
	v_dot4_i32_iu8 v127, v139, v250, v127 neg_lo:[1,1,0]
	;; [unrolled: 1-line block ×3, first 2 shown]
	v_perm_b32 v35, v45, v45, 0x2010003
	v_perm_b32 v44, v143, v142, 0x7030c0c
	;; [unrolled: 1-line block ×10, first 2 shown]
	v_or_b32_e32 v44, v44, v51
	v_or_b32_e32 v45, v45, v67
	;; [unrolled: 1-line block ×7, first 2 shown]
	v_perm_b32 v73, v23, v23, 0x2010003
	v_dot4_i32_iu8 v72, v44, v158, v72 neg_lo:[1,1,0]
	v_dot4_i32_iu8 v0, v44, v163, v0 neg_lo:[1,1,0]
	;; [unrolled: 1-line block ×27, first 2 shown]
	v_lshlrev_b32_e32 v43, 16, v38
	v_lshlrev_b32_e32 v55, 8, v38
	;; [unrolled: 1-line block ×10, first 2 shown]
	v_perm_b32 v38, v38, v38, 0xc0c0003
	v_perm_b32 v52, v52, v52, 0xc0c0003
	;; [unrolled: 1-line block ×3, first 2 shown]
	v_lshlrev_b32_e32 v139, 16, v58
	v_lshlrev_b32_e32 v140, 8, v58
	v_perm_b32 v60, v60, v60, 0xc0c0003
	v_lshlrev_b32_e32 v143, 16, v62
	v_lshlrev_b32_e32 v145, 8, v62
	v_perm_b32 v43, v55, v43, 0x7030c0c
	v_perm_b32 v55, v73, v71, 0x7030c0c
	;; [unrolled: 1-line block ×10, first 2 shown]
	v_or_b32_e32 v38, v43, v38
	v_or_b32_e32 v43, v71, v52
	;; [unrolled: 1-line block ×4, first 2 shown]
	v_perm_b32 v60, v24, v24, 0x2010003
	v_or_b32_e32 v40, v55, v40
	v_or_b32_e32 v55, v77, v58
	;; [unrolled: 1-line block ×3, first 2 shown]
	s_wait_dscnt 0x0
	v_perm_b32 v139, v252, v252, 0x2010003
	v_dot4_i32_iu8 v62, v38, v60, v70 neg_lo:[1,1,0]
	v_perm_b32 v70, v245, v245, 0x2010003
	v_dot4_i32_iu8 v17, v40, v60, v17 neg_lo:[1,1,0]
	v_dot4_i32_iu8 v79, v43, v60, v41 neg_lo:[1,1,0]
	;; [unrolled: 1-line block ×3, first 2 shown]
	v_perm_b32 v21, v23, v22, 0xc0c0400
	v_dot4_i32_iu8 v71, v38, v70, v72 neg_lo:[1,1,0]
	v_perm_b32 v72, v251, v251, 0x2010003
	v_dot4_i32_iu8 v77, v40, v70, v46 neg_lo:[1,1,0]
	v_dot4_i32_iu8 v48, v43, v70, v48 neg_lo:[1,1,0]
	;; [unrolled: 1-line block ×3, first 2 shown]
	v_perm_b32 v22, v25, v24, 0x4000c0c
	v_dot4_i32_iu8 v0, v38, v72, v0 neg_lo:[1,1,0]
	v_perm_b32 v38, v32, v32, 0x2010003
	v_dot4_i32_iu8 v78, v40, v72, v39 neg_lo:[1,1,0]
	v_dot4_i32_iu8 v50, v43, v72, v50 neg_lo:[1,1,0]
	v_perm_b32 v23, v92, v102, 0x7030c0c
	v_or_b32_e32 v21, v22, v21
	v_dot4_i32_iu8 v63, v52, v38, v63 neg_lo:[1,1,0]
	v_dot4_i32_iu8 v52, v52, v72, v57 neg_lo:[1,1,0]
	;; [unrolled: 1-line block ×11, first 2 shown]
	v_lshlrev_b32_e32 v70, 24, v36
	v_dot4_i32_iu8 v56, v56, v72, v61 neg_lo:[1,1,0]
	v_dot4_i32_iu8 v61, v58, v38, v35 neg_lo:[1,1,0]
	v_perm_b32 v35, v36, v224, 0x7030c0c
	v_lshlrev_b32_e32 v75, 24, v29
	v_perm_b32 v36, v226, v70, 0xc0c0703
	v_dot4_i32_iu8 v58, v58, v72, v42 neg_lo:[1,1,0]
	v_perm_b32 v29, v29, v223, 0x7030c0c
	v_dot4_i32_iu8 v73, v40, v38, v44 neg_lo:[1,1,0]
	v_dot4_i32_iu8 v93, v43, v38, v45 neg_lo:[1,1,0]
	v_or_b32_e32 v72, v35, v36
	v_perm_b32 v35, v225, v75, 0xc0c0703
	v_lshlrev_b32_e32 v36, 8, v31
	v_perm_b32 v76, v246, v246, 0x2010003
	v_perm_b32 v22, v47, v49, 0xc0c0703
	;; [unrolled: 1-line block ×3, first 2 shown]
	v_or_b32_e32 v29, v29, v35
	v_dot4_i32_iu8 v35, v72, v245, v54 neg_lo:[1,1,0]
	v_or_b32_e32 v23, v23, v28
	s_delay_alu instid0(VALU_DEP_4) | instskip(SKIP_1) | instid1(VALU_DEP_4)
	v_or_b32_e32 v22, v24, v22
	v_add_nc_u32_e32 v24, v217, v210
	v_dot4_i32_iu8 v54, v29, v246, v35 neg_lo:[1,1,0]
	v_dot4_i32_iu8 v35, v72, v251, v127 neg_lo:[1,1,0]
	;; [unrolled: 1-line block ×3, first 2 shown]
	s_delay_alu instid0(VALU_DEP_2) | instskip(SKIP_1) | instid1(VALU_DEP_3)
	v_dot4_i32_iu8 v127, v29, v252, v35 neg_lo:[1,1,0]
	v_lshlrev_b32_e32 v35, 16, v31
	v_dot4_i32_iu8 v20, v22, v21, v20 neg_lo:[1,1,0]
	v_add3_u32 v21, v218, v211, v219
	v_add3_u32 v22, v212, v213, v220
	s_delay_alu instid0(VALU_DEP_4) | instskip(SKIP_4) | instid1(VALU_DEP_1)
	v_perm_b32 v140, v36, v35, 0x7030c0c
	v_add_nc_u32_e32 v35, 0x800, v172
	v_add3_u32 v20, v20, v216, v24
	ds_load_2addr_b32 v[35:36], v35 offset1:7
	v_cvt_f32_i32_e32 v20, v20
	v_fma_mix_f32 v20, v202, v20, v202 op_sel:[0,0,1] op_sel_hi:[1,0,1]
	s_delay_alu instid0(VALU_DEP_1) | instskip(SKIP_1) | instid1(VALU_DEP_1)
	v_add_f32_e32 v94, v94, v20
	v_cvt_f32_i32_e32 v20, v54
	v_fma_mix_f32 v20, v201, v20, v201 op_sel:[0,0,1] op_sel_hi:[1,0,1]
	s_wait_dscnt 0x0
	v_lshlrev_b32_e32 v37, 16, v36
	v_lshlrev_b32_e32 v38, 8, v36
	v_perm_b32 v36, v36, v36, 0xc0c0003
	v_add_f32_e32 v128, v128, v20
	s_delay_alu instid0(VALU_DEP_3) | instskip(SKIP_1) | instid1(VALU_DEP_2)
	v_perm_b32 v141, v38, v37, 0x7030c0c
	v_add_nc_u32_e32 v37, 0xc00, v172
	v_or_b32_e32 v36, v141, v36
	ds_load_2addr_b32 v[37:38], v37 offset1:7
	v_perm_b32 v141, v25, v25, 0x2010003
	v_dot4_i32_iu8 v77, v36, v76, v77 neg_lo:[1,1,0]
	s_delay_alu instid0(VALU_DEP_2) | instskip(NEXT) | instid1(VALU_DEP_1)
	v_dot4_i32_iu8 v17, v36, v141, v17 neg_lo:[1,1,0]
	v_dot4_i32_iu8 v17, v26, v35, v17 neg_lo:[1,1,0]
	s_delay_alu instid0(VALU_DEP_1)
	v_cvt_f32_i32_e32 v17, v17
	s_wait_dscnt 0x0
	v_lshlrev_b32_e32 v39, 16, v38
	v_lshlrev_b32_e32 v40, 8, v38
	v_perm_b32 v38, v38, v38, 0xc0c0003
	v_fma_mix_f32 v17, v195, v17, v195 op_sel:[0,0,1] op_sel_hi:[1,0,1]
	s_delay_alu instid0(VALU_DEP_3) | instskip(SKIP_1) | instid1(VALU_DEP_3)
	v_perm_b32 v142, v40, v39, 0x7030c0c
	v_add_nc_u32_e32 v39, 0x1000, v172
	v_add_f32_e32 v117, v117, v17
	s_delay_alu instid0(VALU_DEP_3) | instskip(SKIP_2) | instid1(VALU_DEP_1)
	v_or_b32_e32 v38, v142, v38
	ds_load_2addr_b32 v[39:40], v39 offset1:7
	v_dot4_i32_iu8 v48, v38, v76, v48 neg_lo:[1,1,0]
	v_dot4_i32_iu8 v48, v37, v53, v48 neg_lo:[1,1,0]
	s_delay_alu instid0(VALU_DEP_1) | instskip(NEXT) | instid1(VALU_DEP_1)
	v_cvt_f32_i32_e32 v28, v48
	v_fma_mix_f32 v28, v188, v28, v188 op_sel:[0,0,1] op_sel_hi:[1,0,1]
	s_wait_dscnt 0x0
	v_lshlrev_b32_e32 v41, 16, v40
	v_lshlrev_b32_e32 v42, 8, v40
	v_perm_b32 v40, v40, v40, 0xc0c0003
	v_add_f32_e32 v100, v100, v28
	s_delay_alu instid0(VALU_DEP_3) | instskip(SKIP_1) | instid1(VALU_DEP_2)
	v_perm_b32 v143, v42, v41, 0x7030c0c
	v_add_nc_u32_e32 v41, 0x1400, v172
	v_or_b32_e32 v40, v143, v40
	ds_load_2addr_b32 v[41:42], v41 offset1:7
	s_wait_dscnt 0x0
	v_lshlrev_b32_e32 v43, 16, v42
	v_lshlrev_b32_e32 v44, 8, v42
	v_perm_b32 v42, v42, v42, 0xc0c0003
	s_delay_alu instid0(VALU_DEP_2) | instskip(SKIP_1) | instid1(VALU_DEP_2)
	v_perm_b32 v145, v44, v43, 0x7030c0c
	v_add_nc_u32_e32 v43, 0x1800, v172
	v_or_b32_e32 v42, v145, v42
	ds_load_2addr_b32 v[43:44], v43 offset1:7
	s_wait_dscnt 0x0
	v_lshlrev_b32_e32 v45, 16, v44
	v_lshlrev_b32_e32 v46, 8, v44
	v_perm_b32 v44, v44, v44, 0xc0c0003
	s_delay_alu instid0(VALU_DEP_2) | instskip(SKIP_2) | instid1(VALU_DEP_3)
	v_perm_b32 v146, v46, v45, 0x7030c0c
	v_add_nc_u32_e32 v45, 0x1c00, v172
	v_add_nc_u32_e32 v172, 32, v172
	v_or_b32_e32 v44, v146, v44
	ds_load_2addr_b32 v[45:46], v45 offset1:7
	s_wait_dscnt 0x0
	v_lshlrev_b32_e32 v147, 16, v46
	v_lshlrev_b32_e32 v148, 8, v46
	v_perm_b32 v46, v46, v46, 0xc0c0003
	s_delay_alu instid0(VALU_DEP_2) | instskip(SKIP_2) | instid1(VALU_DEP_3)
	v_perm_b32 v147, v148, v147, 0x7030c0c
	v_perm_b32 v148, v31, v31, 0xc0c0003
	v_bfe_i32 v31, v31, 16, 8
	v_or_b32_e32 v46, v147, v46
	s_delay_alu instid0(VALU_DEP_3) | instskip(NEXT) | instid1(VALU_DEP_1)
	v_or_b32_e32 v140, v140, v148
	v_dot4_i32_iu8 v62, v140, v141, v62 neg_lo:[1,1,0]
	v_dot4_i32_iu8 v71, v140, v76, v71 neg_lo:[1,1,0]
	;; [unrolled: 1-line block ×3, first 2 shown]
	v_perm_b32 v140, v33, v33, 0x2010003
	s_delay_alu instid0(VALU_DEP_2) | instskip(NEXT) | instid1(VALU_DEP_2)
	v_dot4_i32_iu8 v0, v30, v239, v0 neg_lo:[1,1,0]
	v_dot4_i32_iu8 v73, v36, v140, v73 neg_lo:[1,1,0]
	;; [unrolled: 1-line block ×47, first 2 shown]
	v_cvt_f32_i32_e32 v20, v44
	v_dot4_i32_iu8 v29, v29, v33, v30 neg_lo:[1,1,0]
	v_bfe_i32 v30, v33, 16, 8
	v_cvt_f32_i32_e32 v0, v0
	v_cvt_f32_i32_e32 v24, v35
	;; [unrolled: 1-line block ×4, first 2 shown]
	v_mul_i32_i24_e32 v30, v31, v30
	v_cvt_f32_i32_e32 v31, v50
	v_cvt_f32_i32_e32 v32, v51
	v_cvt_f32_i32_e32 v33, v39
	v_cvt_f32_i32_e32 v35, v40
	v_add3_u32 v30, v214, v215, v30
	v_cvt_f32_i32_e32 v36, v52
	v_cvt_f32_i32_e32 v39, v42
	v_cvt_f32_i32_e32 v40, v55
	v_cvt_f32_i32_e32 v42, v43
	v_add3_u32 v23, v221, v222, v30
	;; [unrolled: 5-line block ×3, first 2 shown]
	v_cvt_f32_i32_e32 v22, v29
	v_cvt_f32_i32_e32 v23, v66
	;; [unrolled: 1-line block ×5, first 2 shown]
	v_fma_mix_f32 v22, v198, v22, v198 op_sel:[0,0,1] op_sel_hi:[1,0,1]
	v_cvt_f32_i32_e32 v34, v34
	v_cvt_f32_i32_e32 v43, v53
	;; [unrolled: 1-line block ×3, first 2 shown]
	v_fma_mix_f32 v21, v205, v21, v205 op_sel:[0,0,1] op_sel_hi:[1,0,1]
	v_add_f32_e32 v132, v132, v22
	v_cvt_f32_i32_e32 v22, v58
	v_fma_mix_f32 v20, v196, v20, v196 op_sel:[0,0,1] op_sel_hi:[1,0,1]
	v_fma_mix_f32 v0, v194, v0, v194 op_sel:[0,0,1] op_sel_hi:[1,0,1]
	v_add_f32_e32 v121, v121, v21
	v_cvt_f32_i32_e32 v21, v127
	v_fma_mix_f32 v22, v193, v22, v193 op_sel:[0,0,1] op_sel_hi:[1,0,1]
	v_fma_mix_f32 v23, v192, v23, v192 op_sel:[0,0,1] op_sel_hi:[1,0,1]
	;; [unrolled: 1-line block ×9, first 2 shown]
	v_add_f32_e32 v123, v123, v21
	v_cvt_f32_i32_e32 v21, v56
	v_fma_mix_f32 v32, v184, v32, v184 op_sel:[0,0,1] op_sel_hi:[1,0,1]
	v_fma_mix_f32 v33, v183, v33, v183 op_sel:[0,0,1] op_sel_hi:[1,0,1]
	;; [unrolled: 1-line block ×15, first 2 shown]
	v_dual_add_f32 v122, v122, v20 :: v_dual_add_f32 v119, v119, v21
	v_add_f32_e32 v118, v118, v0
	v_dual_add_f32 v116, v116, v22 :: v_dual_add_f32 v115, v115, v23
	v_add_f32_e32 v111, v111, v24
	v_add_f32_e32 v107, v107, v25
	;; [unrolled: 1-line block ×3, first 2 shown]
	v_dual_add_f32 v99, v99, v29 :: v_dual_add_f32 v98, v98, v30
	v_dual_add_f32 v97, v97, v31 :: v_dual_add_f32 v96, v96, v32
	v_add_f32_e32 v95, v95, v33
	v_dual_add_f32 v91, v91, v35 :: v_dual_add_f32 v90, v90, v36
	v_dual_add_f32 v89, v89, v37 :: v_dual_add_f32 v88, v88, v38
	;; [unrolled: 1-line block ×4, first 2 shown]
	v_add_f32_e32 v83, v83, v26
	v_dual_add_f32 v82, v82, v34 :: v_dual_add_f32 v81, v81, v43
	v_add_f32_e32 v80, v80, v44
	s_cbranch_scc1 .LBB124_11
; %bb.12:                               ;   in Loop: Header=BB124_6 Depth=1
	s_wait_loadcnt 0x0
	s_barrier_signal -1
	s_barrier_wait -1
	global_inv scope:SCOPE_SE
	s_branch .LBB124_5
.LBB124_13:
	s_clause 0x2
	scratch_load_b32 v1, off, off offset:112 th:TH_LOAD_LU
	scratch_load_b32 v2, off, off offset:56 th:TH_LOAD_LU
	scratch_load_b32 v3, off, off offset:116
.LBB124_14:
	s_mov_b32 s0, exec_lo
	s_wait_loadcnt 0x0
	v_cmpx_gt_u32_e64 s6, v3
	s_cbranch_execz .LBB124_65
; %bb.15:
	v_add_nc_u32_e32 v0, s14, v2
	v_mul_lo_u32 v5, v3, s12
	s_delay_alu instid0(VALU_DEP_2)
	v_cmp_gt_u32_e32 vcc_lo, s12, v0
	s_and_saveexec_b32 s1, vcc_lo
	s_cbranch_execz .LBB124_17
; %bb.16:
	s_delay_alu instid0(VALU_DEP_2) | instskip(NEXT) | instid1(VALU_DEP_1)
	v_dual_mov_b32 v3, 0 :: v_dual_add_nc_u32 v2, v0, v5
	v_lshlrev_b64_e32 v[2:3], 2, v[2:3]
	s_wait_kmcnt 0x0
	s_delay_alu instid0(VALU_DEP_1) | instskip(NEXT) | instid1(VALU_DEP_1)
	v_add_co_u32 v2, s0, s8, v2
	v_add_co_ci_u32_e64 v3, null, s9, v3, s0
	global_store_b32 v[2:3], v94, off
.LBB124_17:
	s_or_b32 exec_lo, exec_lo, s1
	v_add_nc_u32_e32 v2, 32, v0
	s_delay_alu instid0(VALU_DEP_1)
	v_cmp_gt_u32_e64 s0, s12, v2
	s_and_saveexec_b32 s2, s0
	s_cbranch_execz .LBB124_19
; %bb.18:
	v_dual_mov_b32 v4, 0 :: v_dual_add_nc_u32 v3, v2, v5
	s_delay_alu instid0(VALU_DEP_1) | instskip(SKIP_1) | instid1(VALU_DEP_1)
	v_lshlrev_b64_e32 v[3:4], 2, v[3:4]
	s_wait_kmcnt 0x0
	v_add_co_u32 v3, s1, s8, v3
	s_wait_alu 0xf1ff
	s_delay_alu instid0(VALU_DEP_2)
	v_add_co_ci_u32_e64 v4, null, s9, v4, s1
	global_store_b32 v[3:4], v132, off
.LBB124_19:
	s_wait_alu 0xfffe
	s_or_b32 exec_lo, exec_lo, s2
	v_add_nc_u32_e32 v3, 64, v0
	s_delay_alu instid0(VALU_DEP_1)
	v_cmp_gt_u32_e64 s1, s12, v3
	s_and_saveexec_b32 s3, s1
	s_cbranch_execz .LBB124_21
; %bb.20:
	v_dual_mov_b32 v7, 0 :: v_dual_add_nc_u32 v6, v3, v5
	s_delay_alu instid0(VALU_DEP_1) | instskip(SKIP_1) | instid1(VALU_DEP_1)
	v_lshlrev_b64_e32 v[6:7], 2, v[6:7]
	s_wait_kmcnt 0x0
	v_add_co_u32 v6, s2, s8, v6
	s_wait_alu 0xf1ff
	s_delay_alu instid0(VALU_DEP_2)
	v_add_co_ci_u32_e64 v7, null, s9, v7, s2
	global_store_b32 v[6:7], v128, off
.LBB124_21:
	s_wait_alu 0xfffe
	;; [unrolled: 18-line block ×3, first 2 shown]
	s_or_b32 exec_lo, exec_lo, s4
	v_add3_u32 v5, v1, s13, 8
	s_delay_alu instid0(VALU_DEP_1)
	v_cmp_gt_u32_e64 s3, s6, v5
	s_and_b32 exec_lo, exec_lo, s3
	s_cbranch_execz .LBB124_65
; %bb.24:
	v_mul_lo_u32 v5, v5, s12
	s_and_saveexec_b32 s4, vcc_lo
	s_cbranch_execnz .LBB124_66
; %bb.25:
	s_wait_alu 0xfffe
	s_or_b32 exec_lo, exec_lo, s4
	s_and_saveexec_b32 s4, s0
	s_cbranch_execnz .LBB124_67
.LBB124_26:
	s_wait_alu 0xfffe
	s_or_b32 exec_lo, exec_lo, s4
	s_and_saveexec_b32 s4, s1
	s_cbranch_execnz .LBB124_68
.LBB124_27:
	s_wait_alu 0xfffe
	s_or_b32 exec_lo, exec_lo, s4
	s_and_saveexec_b32 s4, s2
	s_cbranch_execz .LBB124_29
.LBB124_28:
	v_dual_mov_b32 v6, 0 :: v_dual_add_nc_u32 v5, v5, v4
	s_delay_alu instid0(VALU_DEP_1) | instskip(SKIP_1) | instid1(VALU_DEP_1)
	v_lshlrev_b64_e32 v[5:6], 2, v[5:6]
	s_wait_kmcnt 0x0
	v_add_co_u32 v5, s3, s8, v5
	s_wait_alu 0xf1ff
	s_delay_alu instid0(VALU_DEP_2)
	v_add_co_ci_u32_e64 v6, null, s9, v6, s3
	global_store_b32 v[5:6], v118, off
.LBB124_29:
	s_wait_alu 0xfffe
	s_or_b32 exec_lo, exec_lo, s4
	v_add3_u32 v5, v1, s13, 16
	s_delay_alu instid0(VALU_DEP_1)
	v_cmp_gt_u32_e64 s3, s6, v5
	s_and_b32 exec_lo, exec_lo, s3
	s_cbranch_execz .LBB124_65
; %bb.30:
	v_mul_lo_u32 v5, v5, s12
	s_and_saveexec_b32 s4, vcc_lo
	s_cbranch_execnz .LBB124_69
; %bb.31:
	s_wait_alu 0xfffe
	s_or_b32 exec_lo, exec_lo, s4
	s_and_saveexec_b32 s4, s0
	s_cbranch_execnz .LBB124_70
.LBB124_32:
	s_wait_alu 0xfffe
	s_or_b32 exec_lo, exec_lo, s4
	s_and_saveexec_b32 s4, s1
	s_cbranch_execnz .LBB124_71
.LBB124_33:
	s_wait_alu 0xfffe
	s_or_b32 exec_lo, exec_lo, s4
	s_and_saveexec_b32 s4, s2
	s_cbranch_execz .LBB124_35
.LBB124_34:
	v_dual_mov_b32 v6, 0 :: v_dual_add_nc_u32 v5, v5, v4
	s_delay_alu instid0(VALU_DEP_1) | instskip(SKIP_1) | instid1(VALU_DEP_1)
	v_lshlrev_b64_e32 v[5:6], 2, v[5:6]
	s_wait_kmcnt 0x0
	v_add_co_u32 v5, s3, s8, v5
	s_wait_alu 0xf1ff
	s_delay_alu instid0(VALU_DEP_2)
	v_add_co_ci_u32_e64 v6, null, s9, v6, s3
	global_store_b32 v[5:6], v111, off
.LBB124_35:
	s_wait_alu 0xfffe
	s_or_b32 exec_lo, exec_lo, s4
	v_add3_u32 v5, v1, s13, 24
	s_delay_alu instid0(VALU_DEP_1)
	v_cmp_gt_u32_e64 s3, s6, v5
	s_and_b32 exec_lo, exec_lo, s3
	s_cbranch_execz .LBB124_65
; %bb.36:
	v_mul_lo_u32 v5, v5, s12
	s_and_saveexec_b32 s4, vcc_lo
	s_cbranch_execnz .LBB124_72
; %bb.37:
	s_wait_alu 0xfffe
	s_or_b32 exec_lo, exec_lo, s4
	s_and_saveexec_b32 s4, s0
	s_cbranch_execnz .LBB124_73
.LBB124_38:
	s_wait_alu 0xfffe
	s_or_b32 exec_lo, exec_lo, s4
	s_and_saveexec_b32 s4, s1
	s_cbranch_execnz .LBB124_74
.LBB124_39:
	s_wait_alu 0xfffe
	s_or_b32 exec_lo, exec_lo, s4
	s_and_saveexec_b32 s4, s2
	s_cbranch_execz .LBB124_41
.LBB124_40:
	v_dual_mov_b32 v6, 0 :: v_dual_add_nc_u32 v5, v5, v4
	s_delay_alu instid0(VALU_DEP_1) | instskip(SKIP_1) | instid1(VALU_DEP_1)
	v_lshlrev_b64_e32 v[5:6], 2, v[5:6]
	s_wait_kmcnt 0x0
	v_add_co_u32 v5, s3, s8, v5
	s_wait_alu 0xf1ff
	s_delay_alu instid0(VALU_DEP_2)
	v_add_co_ci_u32_e64 v6, null, s9, v6, s3
	global_store_b32 v[5:6], v99, off
.LBB124_41:
	s_wait_alu 0xfffe
	s_or_b32 exec_lo, exec_lo, s4
	v_add3_u32 v5, v1, s13, 32
	s_delay_alu instid0(VALU_DEP_1)
	v_cmp_gt_u32_e64 s3, s6, v5
	s_and_b32 exec_lo, exec_lo, s3
	s_cbranch_execz .LBB124_65
; %bb.42:
	v_mul_lo_u32 v5, v5, s12
	s_and_saveexec_b32 s4, vcc_lo
	s_cbranch_execnz .LBB124_75
; %bb.43:
	s_wait_alu 0xfffe
	s_or_b32 exec_lo, exec_lo, s4
	s_and_saveexec_b32 s4, s0
	s_cbranch_execnz .LBB124_76
.LBB124_44:
	s_wait_alu 0xfffe
	s_or_b32 exec_lo, exec_lo, s4
	s_and_saveexec_b32 s4, s1
	s_cbranch_execnz .LBB124_77
.LBB124_45:
	s_wait_alu 0xfffe
	s_or_b32 exec_lo, exec_lo, s4
	s_and_saveexec_b32 s4, s2
	s_cbranch_execz .LBB124_47
.LBB124_46:
	v_dual_mov_b32 v6, 0 :: v_dual_add_nc_u32 v5, v5, v4
	s_delay_alu instid0(VALU_DEP_1) | instskip(SKIP_1) | instid1(VALU_DEP_1)
	v_lshlrev_b64_e32 v[5:6], 2, v[5:6]
	s_wait_kmcnt 0x0
	v_add_co_u32 v5, s3, s8, v5
	s_wait_alu 0xf1ff
	s_delay_alu instid0(VALU_DEP_2)
	v_add_co_ci_u32_e64 v6, null, s9, v6, s3
	global_store_b32 v[5:6], v95, off
.LBB124_47:
	s_wait_alu 0xfffe
	s_or_b32 exec_lo, exec_lo, s4
	v_add3_u32 v5, v1, s13, 40
	s_delay_alu instid0(VALU_DEP_1)
	v_cmp_gt_u32_e64 s3, s6, v5
	s_and_b32 exec_lo, exec_lo, s3
	s_cbranch_execz .LBB124_65
; %bb.48:
	v_mul_lo_u32 v5, v5, s12
	s_and_saveexec_b32 s4, vcc_lo
	s_cbranch_execnz .LBB124_78
; %bb.49:
	s_wait_alu 0xfffe
	s_or_b32 exec_lo, exec_lo, s4
	s_and_saveexec_b32 s4, s0
	s_cbranch_execnz .LBB124_79
.LBB124_50:
	s_wait_alu 0xfffe
	s_or_b32 exec_lo, exec_lo, s4
	s_and_saveexec_b32 s4, s1
	s_cbranch_execnz .LBB124_80
.LBB124_51:
	s_wait_alu 0xfffe
	s_or_b32 exec_lo, exec_lo, s4
	s_and_saveexec_b32 s4, s2
	s_cbranch_execz .LBB124_53
.LBB124_52:
	v_dual_mov_b32 v6, 0 :: v_dual_add_nc_u32 v5, v5, v4
	s_delay_alu instid0(VALU_DEP_1) | instskip(SKIP_1) | instid1(VALU_DEP_1)
	v_lshlrev_b64_e32 v[5:6], 2, v[5:6]
	s_wait_kmcnt 0x0
	v_add_co_u32 v5, s3, s8, v5
	s_wait_alu 0xf1ff
	s_delay_alu instid0(VALU_DEP_2)
	v_add_co_ci_u32_e64 v6, null, s9, v6, s3
	global_store_b32 v[5:6], v88, off
.LBB124_53:
	s_wait_alu 0xfffe
	s_or_b32 exec_lo, exec_lo, s4
	v_add3_u32 v5, v1, s13, 48
	s_delay_alu instid0(VALU_DEP_1)
	v_cmp_gt_u32_e64 s3, s6, v5
	s_and_b32 exec_lo, exec_lo, s3
	s_cbranch_execz .LBB124_65
; %bb.54:
	v_mul_lo_u32 v5, v5, s12
	s_and_saveexec_b32 s4, vcc_lo
	s_cbranch_execnz .LBB124_81
; %bb.55:
	s_wait_alu 0xfffe
	s_or_b32 exec_lo, exec_lo, s4
	s_and_saveexec_b32 s4, s0
	s_cbranch_execnz .LBB124_82
.LBB124_56:
	s_wait_alu 0xfffe
	s_or_b32 exec_lo, exec_lo, s4
	s_and_saveexec_b32 s4, s1
	s_cbranch_execnz .LBB124_83
.LBB124_57:
	s_wait_alu 0xfffe
	s_or_b32 exec_lo, exec_lo, s4
	s_and_saveexec_b32 s4, s2
	s_cbranch_execz .LBB124_59
.LBB124_58:
	v_dual_mov_b32 v6, 0 :: v_dual_add_nc_u32 v5, v5, v4
	s_delay_alu instid0(VALU_DEP_1) | instskip(SKIP_1) | instid1(VALU_DEP_1)
	v_lshlrev_b64_e32 v[5:6], 2, v[5:6]
	s_wait_kmcnt 0x0
	v_add_co_u32 v5, s3, s8, v5
	s_wait_alu 0xf1ff
	s_delay_alu instid0(VALU_DEP_2)
	v_add_co_ci_u32_e64 v6, null, s9, v6, s3
	global_store_b32 v[5:6], v84, off
.LBB124_59:
	s_wait_alu 0xfffe
	s_or_b32 exec_lo, exec_lo, s4
	v_add3_u32 v1, v1, s13, 56
	s_delay_alu instid0(VALU_DEP_1)
	v_cmp_gt_u32_e64 s3, s6, v1
	s_and_b32 exec_lo, exec_lo, s3
	s_cbranch_execz .LBB124_65
; %bb.60:
	v_mul_lo_u32 v1, v1, s12
	s_and_saveexec_b32 s3, vcc_lo
	s_cbranch_execnz .LBB124_84
; %bb.61:
	s_wait_alu 0xfffe
	s_or_b32 exec_lo, exec_lo, s3
	s_and_saveexec_b32 s3, s0
	s_cbranch_execnz .LBB124_85
.LBB124_62:
	s_wait_alu 0xfffe
	s_or_b32 exec_lo, exec_lo, s3
	s_and_saveexec_b32 s0, s1
	s_cbranch_execnz .LBB124_86
.LBB124_63:
	s_wait_alu 0xfffe
	s_or_b32 exec_lo, exec_lo, s0
	s_delay_alu instid0(SALU_CYCLE_1)
	s_and_b32 exec_lo, exec_lo, s2
	s_cbranch_execz .LBB124_65
.LBB124_64:
	v_dual_mov_b32 v1, 0 :: v_dual_add_nc_u32 v0, v1, v4
	s_delay_alu instid0(VALU_DEP_1) | instskip(SKIP_1) | instid1(VALU_DEP_1)
	v_lshlrev_b64_e32 v[0:1], 2, v[0:1]
	s_wait_kmcnt 0x0
	v_add_co_u32 v0, vcc_lo, s8, v0
	s_wait_alu 0xfffd
	s_delay_alu instid0(VALU_DEP_2)
	v_add_co_ci_u32_e64 v1, null, s9, v1, vcc_lo
	global_store_b32 v[0:1], v80, off
.LBB124_65:
	s_nop 0
	s_sendmsg sendmsg(MSG_DEALLOC_VGPRS)
	s_endpgm
.LBB124_66:
	s_delay_alu instid0(VALU_DEP_1) | instskip(NEXT) | instid1(VALU_DEP_1)
	v_dual_mov_b32 v7, 0 :: v_dual_add_nc_u32 v6, v5, v0
	v_lshlrev_b64_e32 v[6:7], 2, v[6:7]
	s_wait_kmcnt 0x0
	s_delay_alu instid0(VALU_DEP_1) | instskip(SKIP_1) | instid1(VALU_DEP_2)
	v_add_co_u32 v6, s3, s8, v6
	s_wait_alu 0xf1ff
	v_add_co_ci_u32_e64 v7, null, s9, v7, s3
	global_store_b32 v[6:7], v122, off
	s_wait_alu 0xfffe
	s_or_b32 exec_lo, exec_lo, s4
	s_and_saveexec_b32 s4, s0
	s_cbranch_execz .LBB124_26
.LBB124_67:
	s_delay_alu instid0(VALU_DEP_1) | instskip(NEXT) | instid1(VALU_DEP_1)
	v_dual_mov_b32 v7, 0 :: v_dual_add_nc_u32 v6, v5, v2
	v_lshlrev_b64_e32 v[6:7], 2, v[6:7]
	s_wait_kmcnt 0x0
	s_delay_alu instid0(VALU_DEP_1) | instskip(SKIP_1) | instid1(VALU_DEP_2)
	v_add_co_u32 v6, s3, s8, v6
	s_wait_alu 0xf1ff
	v_add_co_ci_u32_e64 v7, null, s9, v7, s3
	global_store_b32 v[6:7], v121, off
	s_wait_alu 0xfffe
	s_or_b32 exec_lo, exec_lo, s4
	s_and_saveexec_b32 s4, s1
	s_cbranch_execz .LBB124_27
.LBB124_68:
	v_dual_mov_b32 v7, 0 :: v_dual_add_nc_u32 v6, v5, v3
	s_delay_alu instid0(VALU_DEP_1) | instskip(SKIP_1) | instid1(VALU_DEP_1)
	v_lshlrev_b64_e32 v[6:7], 2, v[6:7]
	s_wait_kmcnt 0x0
	v_add_co_u32 v6, s3, s8, v6
	s_wait_alu 0xf1ff
	s_delay_alu instid0(VALU_DEP_2)
	v_add_co_ci_u32_e64 v7, null, s9, v7, s3
	global_store_b32 v[6:7], v119, off
	s_wait_alu 0xfffe
	s_or_b32 exec_lo, exec_lo, s4
	s_and_saveexec_b32 s4, s2
	s_cbranch_execnz .LBB124_28
	s_branch .LBB124_29
.LBB124_69:
	s_delay_alu instid0(VALU_DEP_1) | instskip(NEXT) | instid1(VALU_DEP_1)
	v_dual_mov_b32 v7, 0 :: v_dual_add_nc_u32 v6, v5, v0
	v_lshlrev_b64_e32 v[6:7], 2, v[6:7]
	s_wait_kmcnt 0x0
	s_delay_alu instid0(VALU_DEP_1) | instskip(SKIP_1) | instid1(VALU_DEP_2)
	v_add_co_u32 v6, s3, s8, v6
	s_wait_alu 0xf1ff
	v_add_co_ci_u32_e64 v7, null, s9, v7, s3
	global_store_b32 v[6:7], v117, off
	s_wait_alu 0xfffe
	s_or_b32 exec_lo, exec_lo, s4
	s_and_saveexec_b32 s4, s0
	s_cbranch_execz .LBB124_32
.LBB124_70:
	s_delay_alu instid0(VALU_DEP_1) | instskip(NEXT) | instid1(VALU_DEP_1)
	v_dual_mov_b32 v7, 0 :: v_dual_add_nc_u32 v6, v5, v2
	v_lshlrev_b64_e32 v[6:7], 2, v[6:7]
	s_wait_kmcnt 0x0
	s_delay_alu instid0(VALU_DEP_1) | instskip(SKIP_1) | instid1(VALU_DEP_2)
	v_add_co_u32 v6, s3, s8, v6
	s_wait_alu 0xf1ff
	v_add_co_ci_u32_e64 v7, null, s9, v7, s3
	global_store_b32 v[6:7], v116, off
	s_wait_alu 0xfffe
	s_or_b32 exec_lo, exec_lo, s4
	s_and_saveexec_b32 s4, s1
	s_cbranch_execz .LBB124_33
.LBB124_71:
	v_dual_mov_b32 v7, 0 :: v_dual_add_nc_u32 v6, v5, v3
	s_delay_alu instid0(VALU_DEP_1) | instskip(SKIP_1) | instid1(VALU_DEP_1)
	v_lshlrev_b64_e32 v[6:7], 2, v[6:7]
	s_wait_kmcnt 0x0
	v_add_co_u32 v6, s3, s8, v6
	s_wait_alu 0xf1ff
	s_delay_alu instid0(VALU_DEP_2)
	v_add_co_ci_u32_e64 v7, null, s9, v7, s3
	global_store_b32 v[6:7], v115, off
	s_wait_alu 0xfffe
	s_or_b32 exec_lo, exec_lo, s4
	s_and_saveexec_b32 s4, s2
	s_cbranch_execnz .LBB124_34
	s_branch .LBB124_35
.LBB124_72:
	s_delay_alu instid0(VALU_DEP_1) | instskip(NEXT) | instid1(VALU_DEP_1)
	v_dual_mov_b32 v7, 0 :: v_dual_add_nc_u32 v6, v5, v0
	v_lshlrev_b64_e32 v[6:7], 2, v[6:7]
	s_wait_kmcnt 0x0
	s_delay_alu instid0(VALU_DEP_1) | instskip(SKIP_1) | instid1(VALU_DEP_2)
	v_add_co_u32 v6, s3, s8, v6
	s_wait_alu 0xf1ff
	v_add_co_ci_u32_e64 v7, null, s9, v7, s3
	global_store_b32 v[6:7], v107, off
	s_wait_alu 0xfffe
	s_or_b32 exec_lo, exec_lo, s4
	s_and_saveexec_b32 s4, s0
	s_cbranch_execz .LBB124_38
.LBB124_73:
	s_delay_alu instid0(VALU_DEP_1) | instskip(NEXT) | instid1(VALU_DEP_1)
	v_dual_mov_b32 v7, 0 :: v_dual_add_nc_u32 v6, v5, v2
	v_lshlrev_b64_e32 v[6:7], 2, v[6:7]
	s_wait_kmcnt 0x0
	s_delay_alu instid0(VALU_DEP_1) | instskip(SKIP_1) | instid1(VALU_DEP_2)
	v_add_co_u32 v6, s3, s8, v6
	s_wait_alu 0xf1ff
	v_add_co_ci_u32_e64 v7, null, s9, v7, s3
	global_store_b32 v[6:7], v103, off
	s_wait_alu 0xfffe
	s_or_b32 exec_lo, exec_lo, s4
	s_and_saveexec_b32 s4, s1
	s_cbranch_execz .LBB124_39
.LBB124_74:
	v_dual_mov_b32 v7, 0 :: v_dual_add_nc_u32 v6, v5, v3
	s_delay_alu instid0(VALU_DEP_1) | instskip(SKIP_1) | instid1(VALU_DEP_1)
	v_lshlrev_b64_e32 v[6:7], 2, v[6:7]
	s_wait_kmcnt 0x0
	v_add_co_u32 v6, s3, s8, v6
	s_wait_alu 0xf1ff
	s_delay_alu instid0(VALU_DEP_2)
	v_add_co_ci_u32_e64 v7, null, s9, v7, s3
	global_store_b32 v[6:7], v100, off
	s_wait_alu 0xfffe
	s_or_b32 exec_lo, exec_lo, s4
	s_and_saveexec_b32 s4, s2
	s_cbranch_execnz .LBB124_40
	s_branch .LBB124_41
.LBB124_75:
	s_delay_alu instid0(VALU_DEP_1) | instskip(NEXT) | instid1(VALU_DEP_1)
	v_dual_mov_b32 v7, 0 :: v_dual_add_nc_u32 v6, v5, v0
	v_lshlrev_b64_e32 v[6:7], 2, v[6:7]
	s_wait_kmcnt 0x0
	s_delay_alu instid0(VALU_DEP_1) | instskip(SKIP_1) | instid1(VALU_DEP_2)
	v_add_co_u32 v6, s3, s8, v6
	s_wait_alu 0xf1ff
	v_add_co_ci_u32_e64 v7, null, s9, v7, s3
	global_store_b32 v[6:7], v98, off
	s_wait_alu 0xfffe
	s_or_b32 exec_lo, exec_lo, s4
	s_and_saveexec_b32 s4, s0
	s_cbranch_execz .LBB124_44
.LBB124_76:
	s_delay_alu instid0(VALU_DEP_1) | instskip(NEXT) | instid1(VALU_DEP_1)
	v_dual_mov_b32 v7, 0 :: v_dual_add_nc_u32 v6, v5, v2
	v_lshlrev_b64_e32 v[6:7], 2, v[6:7]
	s_wait_kmcnt 0x0
	s_delay_alu instid0(VALU_DEP_1) | instskip(SKIP_1) | instid1(VALU_DEP_2)
	v_add_co_u32 v6, s3, s8, v6
	s_wait_alu 0xf1ff
	v_add_co_ci_u32_e64 v7, null, s9, v7, s3
	global_store_b32 v[6:7], v97, off
	s_wait_alu 0xfffe
	s_or_b32 exec_lo, exec_lo, s4
	s_and_saveexec_b32 s4, s1
	s_cbranch_execz .LBB124_45
.LBB124_77:
	v_dual_mov_b32 v7, 0 :: v_dual_add_nc_u32 v6, v5, v3
	s_delay_alu instid0(VALU_DEP_1) | instskip(SKIP_1) | instid1(VALU_DEP_1)
	v_lshlrev_b64_e32 v[6:7], 2, v[6:7]
	s_wait_kmcnt 0x0
	v_add_co_u32 v6, s3, s8, v6
	s_wait_alu 0xf1ff
	s_delay_alu instid0(VALU_DEP_2)
	v_add_co_ci_u32_e64 v7, null, s9, v7, s3
	global_store_b32 v[6:7], v96, off
	s_wait_alu 0xfffe
	s_or_b32 exec_lo, exec_lo, s4
	s_and_saveexec_b32 s4, s2
	s_cbranch_execnz .LBB124_46
	s_branch .LBB124_47
.LBB124_78:
	s_delay_alu instid0(VALU_DEP_1) | instskip(NEXT) | instid1(VALU_DEP_1)
	v_dual_mov_b32 v7, 0 :: v_dual_add_nc_u32 v6, v5, v0
	v_lshlrev_b64_e32 v[6:7], 2, v[6:7]
	s_wait_kmcnt 0x0
	s_delay_alu instid0(VALU_DEP_1) | instskip(SKIP_1) | instid1(VALU_DEP_2)
	v_add_co_u32 v6, s3, s8, v6
	s_wait_alu 0xf1ff
	v_add_co_ci_u32_e64 v7, null, s9, v7, s3
	global_store_b32 v[6:7], v91, off
	s_wait_alu 0xfffe
	s_or_b32 exec_lo, exec_lo, s4
	s_and_saveexec_b32 s4, s0
	s_cbranch_execz .LBB124_50
.LBB124_79:
	s_delay_alu instid0(VALU_DEP_1) | instskip(NEXT) | instid1(VALU_DEP_1)
	v_dual_mov_b32 v7, 0 :: v_dual_add_nc_u32 v6, v5, v2
	v_lshlrev_b64_e32 v[6:7], 2, v[6:7]
	s_wait_kmcnt 0x0
	s_delay_alu instid0(VALU_DEP_1) | instskip(SKIP_1) | instid1(VALU_DEP_2)
	v_add_co_u32 v6, s3, s8, v6
	s_wait_alu 0xf1ff
	v_add_co_ci_u32_e64 v7, null, s9, v7, s3
	global_store_b32 v[6:7], v90, off
	s_wait_alu 0xfffe
	s_or_b32 exec_lo, exec_lo, s4
	s_and_saveexec_b32 s4, s1
	s_cbranch_execz .LBB124_51
.LBB124_80:
	v_dual_mov_b32 v7, 0 :: v_dual_add_nc_u32 v6, v5, v3
	s_delay_alu instid0(VALU_DEP_1) | instskip(SKIP_1) | instid1(VALU_DEP_1)
	v_lshlrev_b64_e32 v[6:7], 2, v[6:7]
	s_wait_kmcnt 0x0
	v_add_co_u32 v6, s3, s8, v6
	s_wait_alu 0xf1ff
	s_delay_alu instid0(VALU_DEP_2)
	v_add_co_ci_u32_e64 v7, null, s9, v7, s3
	global_store_b32 v[6:7], v89, off
	s_wait_alu 0xfffe
	s_or_b32 exec_lo, exec_lo, s4
	s_and_saveexec_b32 s4, s2
	s_cbranch_execnz .LBB124_52
	s_branch .LBB124_53
.LBB124_81:
	s_delay_alu instid0(VALU_DEP_1) | instskip(NEXT) | instid1(VALU_DEP_1)
	v_dual_mov_b32 v7, 0 :: v_dual_add_nc_u32 v6, v5, v0
	v_lshlrev_b64_e32 v[6:7], 2, v[6:7]
	s_wait_kmcnt 0x0
	s_delay_alu instid0(VALU_DEP_1) | instskip(SKIP_1) | instid1(VALU_DEP_2)
	v_add_co_u32 v6, s3, s8, v6
	s_wait_alu 0xf1ff
	v_add_co_ci_u32_e64 v7, null, s9, v7, s3
	global_store_b32 v[6:7], v87, off
	s_wait_alu 0xfffe
	s_or_b32 exec_lo, exec_lo, s4
	s_and_saveexec_b32 s4, s0
	s_cbranch_execz .LBB124_56
.LBB124_82:
	s_delay_alu instid0(VALU_DEP_1) | instskip(NEXT) | instid1(VALU_DEP_1)
	v_dual_mov_b32 v7, 0 :: v_dual_add_nc_u32 v6, v5, v2
	v_lshlrev_b64_e32 v[6:7], 2, v[6:7]
	s_wait_kmcnt 0x0
	s_delay_alu instid0(VALU_DEP_1) | instskip(SKIP_1) | instid1(VALU_DEP_2)
	v_add_co_u32 v6, s3, s8, v6
	s_wait_alu 0xf1ff
	v_add_co_ci_u32_e64 v7, null, s9, v7, s3
	global_store_b32 v[6:7], v86, off
	s_wait_alu 0xfffe
	s_or_b32 exec_lo, exec_lo, s4
	s_and_saveexec_b32 s4, s1
	s_cbranch_execz .LBB124_57
.LBB124_83:
	v_dual_mov_b32 v7, 0 :: v_dual_add_nc_u32 v6, v5, v3
	s_delay_alu instid0(VALU_DEP_1) | instskip(SKIP_1) | instid1(VALU_DEP_1)
	v_lshlrev_b64_e32 v[6:7], 2, v[6:7]
	s_wait_kmcnt 0x0
	v_add_co_u32 v6, s3, s8, v6
	s_wait_alu 0xf1ff
	s_delay_alu instid0(VALU_DEP_2)
	v_add_co_ci_u32_e64 v7, null, s9, v7, s3
	global_store_b32 v[6:7], v85, off
	s_wait_alu 0xfffe
	s_or_b32 exec_lo, exec_lo, s4
	s_and_saveexec_b32 s4, s2
	s_cbranch_execnz .LBB124_58
	s_branch .LBB124_59
.LBB124_84:
	s_delay_alu instid0(VALU_DEP_1) | instskip(NEXT) | instid1(VALU_DEP_1)
	v_dual_mov_b32 v6, 0 :: v_dual_add_nc_u32 v5, v1, v0
	v_lshlrev_b64_e32 v[5:6], 2, v[5:6]
	s_wait_kmcnt 0x0
	s_delay_alu instid0(VALU_DEP_1) | instskip(SKIP_1) | instid1(VALU_DEP_2)
	v_add_co_u32 v5, vcc_lo, s8, v5
	s_wait_alu 0xfffd
	v_add_co_ci_u32_e64 v6, null, s9, v6, vcc_lo
	global_store_b32 v[5:6], v83, off
	s_wait_alu 0xfffe
	s_or_b32 exec_lo, exec_lo, s3
	s_and_saveexec_b32 s3, s0
	s_cbranch_execz .LBB124_62
.LBB124_85:
	s_delay_alu instid0(VALU_DEP_1) | instskip(NEXT) | instid1(VALU_DEP_1)
	v_dual_mov_b32 v6, 0 :: v_dual_add_nc_u32 v5, v1, v2
	v_lshlrev_b64_e32 v[5:6], 2, v[5:6]
	s_wait_kmcnt 0x0
	s_delay_alu instid0(VALU_DEP_1) | instskip(SKIP_1) | instid1(VALU_DEP_2)
	v_add_co_u32 v5, vcc_lo, s8, v5
	s_wait_alu 0xfffd
	v_add_co_ci_u32_e64 v6, null, s9, v6, vcc_lo
	global_store_b32 v[5:6], v82, off
	s_wait_alu 0xfffe
	s_or_b32 exec_lo, exec_lo, s3
	s_and_saveexec_b32 s0, s1
	s_cbranch_execz .LBB124_63
.LBB124_86:
	v_dual_mov_b32 v3, 0 :: v_dual_add_nc_u32 v2, v1, v3
	s_delay_alu instid0(VALU_DEP_1) | instskip(SKIP_1) | instid1(VALU_DEP_1)
	v_lshlrev_b64_e32 v[2:3], 2, v[2:3]
	s_wait_kmcnt 0x0
	v_add_co_u32 v2, vcc_lo, s8, v2
	s_wait_alu 0xfffd
	s_delay_alu instid0(VALU_DEP_2) | instskip(SKIP_3) | instid1(SALU_CYCLE_1)
	v_add_co_ci_u32_e64 v3, null, s9, v3, vcc_lo
	global_store_b32 v[2:3], v81, off
	s_wait_alu 0xfffe
	s_or_b32 exec_lo, exec_lo, s0
	s_and_b32 exec_lo, exec_lo, s2
	s_cbranch_execnz .LBB124_64
	s_branch .LBB124_65
	.section	.rodata,"a",@progbits
	.p2align	6, 0x0
	.amdhsa_kernel _ZL12mul_mat_q5_1IfLb1EEvPKvS1_PT_iiiii
		.amdhsa_group_segment_fixed_size 46720
		.amdhsa_private_segment_fixed_size 124
		.amdhsa_kernarg_size 44
		.amdhsa_user_sgpr_count 2
		.amdhsa_user_sgpr_dispatch_ptr 0
		.amdhsa_user_sgpr_queue_ptr 0
		.amdhsa_user_sgpr_kernarg_segment_ptr 1
		.amdhsa_user_sgpr_dispatch_id 0
		.amdhsa_user_sgpr_private_segment_size 0
		.amdhsa_wavefront_size32 1
		.amdhsa_uses_dynamic_stack 0
		.amdhsa_enable_private_segment 1
		.amdhsa_system_sgpr_workgroup_id_x 1
		.amdhsa_system_sgpr_workgroup_id_y 1
		.amdhsa_system_sgpr_workgroup_id_z 0
		.amdhsa_system_sgpr_workgroup_info 0
		.amdhsa_system_vgpr_workitem_id 1
		.amdhsa_next_free_vgpr 256
		.amdhsa_next_free_sgpr 17
		.amdhsa_reserve_vcc 1
		.amdhsa_float_round_mode_32 0
		.amdhsa_float_round_mode_16_64 0
		.amdhsa_float_denorm_mode_32 3
		.amdhsa_float_denorm_mode_16_64 3
		.amdhsa_fp16_overflow 0
		.amdhsa_workgroup_processor_mode 1
		.amdhsa_memory_ordered 1
		.amdhsa_forward_progress 1
		.amdhsa_inst_pref_size 197
		.amdhsa_round_robin_scheduling 0
		.amdhsa_exception_fp_ieee_invalid_op 0
		.amdhsa_exception_fp_denorm_src 0
		.amdhsa_exception_fp_ieee_div_zero 0
		.amdhsa_exception_fp_ieee_overflow 0
		.amdhsa_exception_fp_ieee_underflow 0
		.amdhsa_exception_fp_ieee_inexact 0
		.amdhsa_exception_int_div_zero 0
	.end_amdhsa_kernel
	.section	.text._ZL12mul_mat_q5_1IfLb1EEvPKvS1_PT_iiiii,"axG",@progbits,_ZL12mul_mat_q5_1IfLb1EEvPKvS1_PT_iiiii,comdat
.Lfunc_end124:
	.size	_ZL12mul_mat_q5_1IfLb1EEvPKvS1_PT_iiiii, .Lfunc_end124-_ZL12mul_mat_q5_1IfLb1EEvPKvS1_PT_iiiii
                                        ; -- End function
	.set _ZL12mul_mat_q5_1IfLb1EEvPKvS1_PT_iiiii.num_vgpr, 256
	.set _ZL12mul_mat_q5_1IfLb1EEvPKvS1_PT_iiiii.num_agpr, 0
	.set _ZL12mul_mat_q5_1IfLb1EEvPKvS1_PT_iiiii.numbered_sgpr, 17
	.set _ZL12mul_mat_q5_1IfLb1EEvPKvS1_PT_iiiii.num_named_barrier, 0
	.set _ZL12mul_mat_q5_1IfLb1EEvPKvS1_PT_iiiii.private_seg_size, 124
	.set _ZL12mul_mat_q5_1IfLb1EEvPKvS1_PT_iiiii.uses_vcc, 1
	.set _ZL12mul_mat_q5_1IfLb1EEvPKvS1_PT_iiiii.uses_flat_scratch, 1
	.set _ZL12mul_mat_q5_1IfLb1EEvPKvS1_PT_iiiii.has_dyn_sized_stack, 0
	.set _ZL12mul_mat_q5_1IfLb1EEvPKvS1_PT_iiiii.has_recursion, 0
	.set _ZL12mul_mat_q5_1IfLb1EEvPKvS1_PT_iiiii.has_indirect_call, 0
	.section	.AMDGPU.csdata,"",@progbits
; Kernel info:
; codeLenInByte = 25192
; TotalNumSgprs: 19
; NumVgprs: 256
; ScratchSize: 124
; MemoryBound: 0
; FloatMode: 240
; IeeeMode: 1
; LDSByteSize: 46720 bytes/workgroup (compile time only)
; SGPRBlocks: 0
; VGPRBlocks: 31
; NumSGPRsForWavesPerEU: 19
; NumVGPRsForWavesPerEU: 256
; Occupancy: 4
; WaveLimiterHint : 0
; COMPUTE_PGM_RSRC2:SCRATCH_EN: 1
; COMPUTE_PGM_RSRC2:USER_SGPR: 2
; COMPUTE_PGM_RSRC2:TRAP_HANDLER: 0
; COMPUTE_PGM_RSRC2:TGID_X_EN: 1
; COMPUTE_PGM_RSRC2:TGID_Y_EN: 1
; COMPUTE_PGM_RSRC2:TGID_Z_EN: 0
; COMPUTE_PGM_RSRC2:TIDIG_COMP_CNT: 1
	.section	.text._ZL12mul_mat_q8_0IfLb0EEvPKvS1_PT_iiiii,"axG",@progbits,_ZL12mul_mat_q8_0IfLb0EEvPKvS1_PT_iiiii,comdat
	.globl	_ZL12mul_mat_q8_0IfLb0EEvPKvS1_PT_iiiii ; -- Begin function _ZL12mul_mat_q8_0IfLb0EEvPKvS1_PT_iiiii
	.p2align	8
	.type	_ZL12mul_mat_q8_0IfLb0EEvPKvS1_PT_iiiii,@function
_ZL12mul_mat_q8_0IfLb0EEvPKvS1_PT_iiiii: ; @_ZL12mul_mat_q8_0IfLb0EEvPKvS1_PT_iiiii
; %bb.0:
	s_clause 0x1
	s_load_b32 s10, s[0:1], 0x18
	s_load_b96 s[4:6], s[0:1], 0x20
	v_bfe_u32 v53, v0, 10, 10
	v_and_b32_e32 v54, 0x3ff, v0
	s_lshl_b32 s7, ttmp7, 6
	s_wait_kmcnt 0x0
	s_cmp_gt_i32 s10, 31
	s_cbranch_scc1 .LBB125_2
; %bb.1:
	v_bfe_u32 v1, v0, 10, 10
	v_and_b32_e32 v2, 0x3ff, v0
	s_mov_b32 s2, 0
	s_delay_alu instid0(VALU_DEP_2)
	v_add_nc_u32_e32 v58, s7, v1
	s_branch .LBB125_3
.LBB125_2:
	s_mov_b32 s2, -1
                                        ; implicit-def: $vgpr1
                                        ; implicit-def: $vgpr2
                                        ; implicit-def: $vgpr58
.LBB125_3:
	s_load_b64 s[8:9], s[0:1], 0x10
	v_dual_mov_b32 v37, 0 :: v_dual_mov_b32 v60, 0
	v_dual_mov_b32 v41, 0 :: v_dual_mov_b32 v38, 0
	;; [unrolled: 1-line block ×15, first 2 shown]
	v_mov_b32_e32 v59, 0
	v_mov_b32_e32 v63, 0
	s_and_not1_b32 vcc_lo, exec_lo, s2
	s_lshl_b32 s14, ttmp9, 7
	s_cbranch_vccnz .LBB125_9
; %bb.4:
	v_dual_mov_b32 v63, 0 :: v_dual_add_nc_u32 v58, s7, v53
	s_add_co_i32 s16, s4, -1
	s_ashr_i32 s11, s10, 31
	v_cvt_f64_i32_e32 v[2:3], s16
	s_delay_alu instid0(VALU_DEP_2)
	v_dual_mov_b32 v64, 0 :: v_dual_add_nc_u32 v1, 8, v58
	v_cvt_f64_u32_e32 v[4:5], v58
	v_dual_mov_b32 v59, 0 :: v_dual_add_nc_u32 v8, 16, v58
	v_dual_mov_b32 v67, 0 :: v_dual_add_nc_u32 v10, 24, v58
	;; [unrolled: 1-line block ×3, first 2 shown]
	v_cvt_f64_u32_e32 v[6:7], v1
	v_dual_mov_b32 v51, 0 :: v_dual_add_nc_u32 v14, 40, v58
	v_dual_mov_b32 v68, 0 :: v_dual_add_nc_u32 v1, 48, v58
	;; [unrolled: 1-line block ×3, first 2 shown]
	v_cvt_f64_u32_e32 v[8:9], v8
	v_cvt_f64_u32_e32 v[10:11], v10
	;; [unrolled: 1-line block ×6, first 2 shown]
	s_lshr_b32 s11, s11, 27
	v_mov_b32_e32 v62, 0
	s_add_co_i32 s10, s10, s11
	v_mov_b32_e32 v66, 0
	s_ashr_i32 s15, s10, 5
	v_mov_b32_e32 v45, 0
	v_mul_lo_u32 v72, s15, v53
	s_lshl_b32 s20, s15, 3
	v_mov_b32_e32 v56, 0
	v_dual_mov_b32 v69, 0 :: v_dual_lshlrev_b32 v28, 3, v53
	v_bfe_u32 v29, v0, 2, 8
	v_dual_mov_b32 v74, 0 :: v_dual_and_b32 v1, 3, v0
	v_add_nc_u32_e32 v73, s20, v72
	s_load_b128 s[0:3], s[0:1], 0x0
	s_ashr_i32 s12, s5, 31
	v_dual_mov_b32 v43, 0 :: v_dual_lshlrev_b32 v20, 2, v54
	v_min_num_f64_e32 v[4:5], v[4:5], v[2:3]
	v_add_nc_u32_e32 v75, s20, v73
	s_lshr_b32 s10, s12, 27
	v_dual_mov_b32 v52, 0 :: v_dual_add_nc_u32 v21, 8, v53
	s_add_co_i32 s5, s5, s10
	v_min_num_f64_e32 v[6:7], v[6:7], v[2:3]
	v_dual_mov_b32 v41, 0 :: v_dual_add_nc_u32 v78, s20, v75
	v_mov_b32_e32 v37, 0
	s_ashr_i32 s5, s5, 5
	v_dual_mov_b32 v39, 0 :: v_dual_add_nc_u32 v22, 16, v53
	v_min_num_f64_e32 v[8:9], v[8:9], v[2:3]
	v_min_num_f64_e32 v[10:11], v[10:11], v[2:3]
	;; [unrolled: 1-line block ×6, first 2 shown]
	v_add_nc_u32_e32 v79, s20, v78
	v_add_nc_u32_e32 v18, v29, v28
	v_add_nc_u16 v19, v29, v28
	v_lshlrev_b32_e32 v28, 2, v1
	v_dual_mov_b32 v48, 0 :: v_dual_add_nc_u32 v23, 24, v53
	v_add_nc_u32_e32 v82, s20, v79
	v_dual_mov_b32 v71, 0 :: v_dual_add_nc_u32 v24, 32, v53
	v_dual_mov_b32 v44, 0 :: v_dual_add_nc_u32 v25, 40, v53
	s_delay_alu instid0(VALU_DEP_3) | instskip(SKIP_2) | instid1(VALU_DEP_3)
	v_add_nc_u32_e32 v86, s20, v82
	v_dual_mov_b32 v61, 0 :: v_dual_add_nc_u32 v26, 48, v53
	v_dual_mov_b32 v40, 0 :: v_dual_add_nc_u32 v27, 56, v53
	v_add_nc_u32_e32 v91, s20, v86
	v_dual_mov_b32 v65, 0 :: v_dual_and_b32 v30, 31, v0
	v_cvt_i32_f64_e32 v4, v[4:5]
	v_mul_lo_u32 v103, s15, v18
	s_delay_alu instid0(VALU_DEP_4) | instskip(SKIP_3) | instid1(VALU_DEP_4)
	v_add_nc_u32_e32 v96, s20, v91
	v_dual_mov_b32 v49, 0 :: v_dual_and_b32 v76, 28, v20
	v_bfe_u32 v70, v0, 3, 7
	v_cvt_i32_f64_e32 v5, v[6:7]
	v_add_nc_u32_e32 v98, s20, v96
	v_dual_mov_b32 v55, 0 :: v_dual_lshlrev_b32 v0, 7, v53
	v_mad_u32_u24 v77, 0x84, v53, v20
	v_lshl_or_b32 v29, v30, 2, 0x4200
	s_delay_alu instid0(VALU_DEP_4)
	v_add_nc_u32_e32 v101, s20, v98
	v_cvt_i32_f64_e32 v6, v[8:9]
	v_cvt_i32_f64_e32 v7, v[10:11]
	;; [unrolled: 1-line block ×6, first 2 shown]
	v_lshrrev_b16 v2, 1, v19
	v_add_nc_u32_e32 v3, 64, v18
	v_and_b32_e32 v13, 63, v18
	v_add_nc_u32_e32 v104, s20, v101
	v_lshlrev_b32_e32 v80, 7, v21
	v_and_b32_e32 v2, 0x7fc, v2
	v_lshrrev_b32_e32 v14, 1, v3
	v_lshlrev_b32_e32 v15, 4, v3
	v_or_b32_e32 v3, s7, v13
	v_add_nc_u32_e32 v105, s20, v104
	v_add3_u32 v16, v2, v28, 0x6200
	v_lshl_or_b32 v13, v13, 4, v28
	v_and_b32_e32 v14, 0xffc, v14
	v_min_i32_e32 v2, s16, v3
	v_add_nc_u32_e32 v106, s20, v105
	v_dual_mov_b32 v50, 0 :: v_dual_lshlrev_b32 v81, 7, v22
	v_lshlrev_b32_e32 v12, 4, v18
	s_delay_alu instid0(VALU_DEP_4)
	v_mad_co_u64_u32 v[2:3], null, v2, s5, v[1:2]
	v_mul_lo_u32 v111, s5, v4
	v_add_nc_u32_e32 v3, 32, v54
	v_add_nc_u32_e32 v4, 64, v54
	;; [unrolled: 1-line block ×4, first 2 shown]
	v_mul_lo_u32 v112, s5, v5
	v_add_nc_u32_e32 v5, 0x60, v54
	v_add3_u32 v13, v14, v28, 0x6200
	v_lshlrev_b32_e32 v115, 7, v23
	v_lshlrev_b32_e32 v117, 7, v24
	;; [unrolled: 1-line block ×4, first 2 shown]
	v_mul_lo_u32 v113, s5, v6
	v_mul_lo_u32 v114, s5, v7
	v_mul_lo_u32 v116, s5, v8
	v_lshlrev_b32_e32 v123, 7, v27
	v_lshrrev_b32_e32 v6, 3, v3
	v_lshrrev_b32_e32 v7, 3, v4
	;; [unrolled: 1-line block ×3, first 2 shown]
	s_mul_i32 s10, s15, s14
	v_mul_lo_u32 v118, s5, v9
	v_mul_lo_u32 v120, s5, v10
	;; [unrolled: 1-line block ×3, first 2 shown]
	s_movk_i32 s17, 0x1080
	s_movk_i32 s18, 0x2100
	;; [unrolled: 1-line block ×3, first 2 shown]
	v_lshlrev_b32_e32 v134, 4, v3
	s_wait_kmcnt 0x0
	v_add_co_u32 v3, s5, s2, v76
	s_ashr_i32 s11, s10, 31
	v_dual_mov_b32 v46, 0 :: v_dual_add_nc_u32 v83, 0x420, v77
	v_add_nc_u32_e32 v84, 0x840, v77
	v_dual_mov_b32 v42, 0 :: v_dual_add_nc_u32 v85, 0xc60, v77
	v_dual_mov_b32 v38, 0 :: v_dual_add_nc_u32 v87, 0x1080, v77
	v_add_nc_u32_e32 v88, 0x14a0, v77
	v_dual_mov_b32 v60, 0 :: v_dual_add_nc_u32 v89, 0x18c0, v77
	v_add_nc_u32_e32 v90, 0x1ce0, v77
	v_add_nc_u32_e32 v92, 0x2100, v77
	;; [unrolled: 1-line block ×9, first 2 shown]
	v_lshl_add_u32 v107, s15, 6, v103
	v_add_nc_u32_e32 v110, s20, v108
	v_lshlrev_b32_e32 v124, 4, v53
	v_lshlrev_b32_e32 v125, 4, v21
	;; [unrolled: 1-line block ×8, first 2 shown]
	v_mul_u32_u24_e32 v132, 0x84, v54
	s_wait_alu 0xfffe
	v_mad_u32_u24 v133, 0x84, v54, s17
	v_mad_u32_u24 v135, 0x84, v54, s18
	v_lshlrev_b32_e32 v136, 4, v4
	v_mad_u32_u24 v137, 0x84, v54, s19
	v_lshlrev_b32_e32 v138, 4, v5
	s_wait_alu 0xf1ff
	v_add_co_ci_u32_e64 v4, null, s3, 0, s5
	v_add_nc_u32_e32 v139, v16, v12
	v_add_nc_u32_e32 v140, v13, v15
	;; [unrolled: 1-line block ×10, first 2 shown]
	v_lshlrev_b32_e32 v149, 2, v70
	v_lshlrev_b32_e32 v150, 2, v20
	;; [unrolled: 1-line block ×5, first 2 shown]
	s_mul_u64 s[12:13], s[10:11], 34
	s_mov_b32 s11, 0
	s_add_nc_u64 s[0:1], s[0:1], s[12:13]
	s_mov_b32 s10, s11
.LBB125_5:                              ; =>This Loop Header: Depth=1
                                        ;     Child Loop BB125_6 Depth 2
	s_delay_alu instid0(SALU_CYCLE_1)
	s_mul_u64 s[12:13], s[10:11], 34
	v_add_nc_u32_e32 v35, s10, v70
	s_wait_alu 0xfffe
	s_add_nc_u64 s[12:13], s[0:1], s[12:13]
	v_add_nc_u32_e32 v25, s10, v2
	s_wait_alu 0xfffe
	v_mad_co_u64_u32 v[5:6], null, v70, 34, s[12:13]
	s_mov_b32 s5, 0
	v_mad_co_u64_u32 v[25:26], null, v25, 36, s[2:3]
	v_mad_co_u64_u32 v[7:8], null, v72, 34, v[5:6]
	v_mad_co_u64_u32 v[9:10], null, v73, 34, v[5:6]
	v_mad_co_u64_u32 v[11:12], null, v75, 34, v[5:6]
	v_mad_co_u64_u32 v[13:14], null, v78, 34, v[5:6]
	s_delay_alu instid0(VALU_DEP_4)
	v_add_co_u32 v7, vcc_lo, v7, v76
	v_mad_co_u64_u32 v[15:16], null, v79, 34, v[5:6]
	s_wait_alu 0xfffd
	v_add_co_ci_u32_e64 v8, null, 0, v8, vcc_lo
	v_add_co_u32 v9, vcc_lo, v9, v76
	v_mad_co_u64_u32 v[17:18], null, v82, 34, v[5:6]
	s_wait_alu 0xfffd
	v_add_co_ci_u32_e64 v10, null, 0, v10, vcc_lo
	;; [unrolled: 4-line block ×4, first 2 shown]
	v_add_co_u32 v15, vcc_lo, v15, v76
	s_wait_alu 0xfffd
	v_add_co_ci_u32_e64 v16, null, 0, v16, vcc_lo
	v_add_co_u32 v17, vcc_lo, v17, v76
	s_wait_alu 0xfffd
	v_add_co_ci_u32_e64 v18, null, 0, v18, vcc_lo
	;; [unrolled: 3-line block ×3, first 2 shown]
	v_add_co_u32 v21, vcc_lo, v21, v76
	v_mad_co_u64_u32 v[23:24], null, v96, 34, v[5:6]
	s_wait_alu 0xfffd
	v_add_co_ci_u32_e64 v22, null, 0, v22, vcc_lo
	s_clause 0x7
	global_load_b32 v27, v[7:8], off offset:2
	global_load_b32 v28, v[9:10], off offset:2
	;; [unrolled: 1-line block ×8, first 2 shown]
	v_mad_co_u64_u32 v[7:8], null, v98, 34, v[5:6]
	v_mad_co_u64_u32 v[11:12], null, v101, 34, v[5:6]
	;; [unrolled: 1-line block ×3, first 2 shown]
	v_add_co_u32 v9, vcc_lo, v23, v76
	v_mad_co_u64_u32 v[15:16], null, v105, 34, v[5:6]
	s_wait_alu 0xfffd
	v_add_co_ci_u32_e64 v10, null, 0, v24, vcc_lo
	v_add_co_u32 v7, vcc_lo, v7, v76
	v_mad_co_u64_u32 v[17:18], null, v106, 34, v[5:6]
	s_wait_alu 0xfffd
	v_add_co_ci_u32_e64 v8, null, 0, v8, vcc_lo
	;; [unrolled: 4-line block ×4, first 2 shown]
	v_add_co_u32 v15, vcc_lo, v15, v76
	s_wait_alu 0xfffd
	v_add_co_ci_u32_e64 v16, null, 0, v16, vcc_lo
	v_add_co_u32 v17, vcc_lo, v17, v76
	s_wait_alu 0xfffd
	v_add_co_ci_u32_e64 v18, null, 0, v18, vcc_lo
	v_add_co_u32 v19, vcc_lo, v19, v76
	v_mad_co_u64_u32 v[21:22], null, v1, 34, s[12:13]
	s_wait_alu 0xfffd
	v_add_co_ci_u32_e64 v20, null, 0, v20, vcc_lo
	v_add_co_u32 v5, vcc_lo, v5, v76
	s_wait_alu 0xfffd
	v_add_co_ci_u32_e64 v6, null, 0, v6, vcc_lo
	s_clause 0x7
	global_load_b32 v36, v[9:10], off offset:2
	global_load_b32 v154, v[7:8], off offset:2
	;; [unrolled: 1-line block ×8, first 2 shown]
	v_add_nc_u32_e32 v7, v35, v112
	v_add_nc_u32_e32 v11, v35, v114
	;; [unrolled: 1-line block ×5, first 2 shown]
	v_mad_co_u64_u32 v[23:24], null, v103, 34, v[21:22]
	v_add_nc_u32_e32 v9, v35, v113
	v_mad_co_i64_i32 v[7:8], null, v7, 36, v[3:4]
	v_mad_co_u64_u32 v[21:22], null, v107, 34, v[21:22]
	v_mad_co_i64_i32 v[11:12], null, v11, 36, v[3:4]
	v_add_nc_u32_e32 v17, v35, v116
	v_mad_co_i64_i32 v[13:14], null, v13, 36, v[3:4]
	v_add_nc_u32_e32 v19, v35, v120
	v_mad_co_i64_i32 v[15:16], null, v15, 36, v[3:4]
	v_mad_co_i64_i32 v[5:6], null, v5, 36, v[3:4]
	v_mad_co_i64_i32 v[9:10], null, v9, 36, v[3:4]
	v_mad_co_i64_i32 v[17:18], null, v17, 36, v[3:4]
	v_mad_co_i64_i32 v[19:20], null, v19, 36, v[3:4]
	s_clause 0x1
	global_load_u16 v23, v[23:24], off
	global_load_u16 v21, v[21:22], off
	s_clause 0x8
	global_load_b32 v22, v[25:26], off
	global_load_b32 v7, v[7:8], off offset:4
	global_load_b32 v8, v[11:12], off offset:4
	;; [unrolled: 1-line block ×8, first 2 shown]
	s_wait_loadcnt 0xa
	v_cvt_f32_f16_e32 v14, v23
	s_wait_loadcnt 0x9
	v_cvt_f32_f16_e32 v15, v21
	;; [unrolled: 2-line block ×3, first 2 shown]
	ds_store_b32 v77, v27
	ds_store_b32 v83, v28
	;; [unrolled: 1-line block ×18, first 2 shown]
	s_wait_loadcnt 0x7
	ds_store_b32 v142, v7
	s_wait_loadcnt 0x6
	ds_store_b32 v144, v8
	;; [unrolled: 2-line block ×8, first 2 shown]
	ds_store_b32 v109, v13
	s_wait_dscnt 0x0
	s_barrier_signal -1
	s_barrier_wait -1
	global_inv scope:SCOPE_SE
.LBB125_6:                              ;   Parent Loop BB125_5 Depth=1
                                        ; =>  This Inner Loop Header: Depth=2
	s_wait_alu 0xfffe
	s_lshr_b32 s17, s5, 1
	s_lshl_b32 s16, s5, 2
	s_wait_alu 0xfffe
	s_add_co_i32 s13, s17, 0x6a40
	s_addk_co_i32 s17, 0x6200
	s_wait_alu 0xfffe
	v_add_nc_u32_e32 v6, s13, v124
	s_add_co_i32 s12, s16, 0x4200
	v_add3_u32 v7, s17, v149, v150
	s_wait_alu 0xfffe
	v_add_nc_u32_e32 v36, s12, v80
	ds_load_b32 v29, v6
	v_add_nc_u32_e32 v5, s12, v0
	v_add_nc_u32_e32 v6, s16, v132
	ds_load_b32 v155, v7
	ds_load_b128 v[31:34], v5
	ds_load_b128 v[158:161], v5 offset:16
	ds_load_2addr_b32 v[11:12], v6 offset1:1
	ds_load_2addr_b32 v[9:10], v6 offset0:2 offset1:3
	ds_load_2addr_b32 v[7:8], v6 offset0:4 offset1:5
	;; [unrolled: 1-line block ×3, first 2 shown]
	s_wait_dscnt 0x5
	v_perm_b32 v15, v34, v33, 0x5010c0c
	v_perm_b32 v16, v34, v33, 0x7030c0c
	s_wait_dscnt 0x3
	v_perm_b32 v13, v11, v12, 0xc0c0501
	s_wait_dscnt 0x2
	v_perm_b32 v14, v10, v9, 0x5010c0c
	v_perm_b32 v17, v34, v33, 0x4000c0c
	;; [unrolled: 1-line block ×4, first 2 shown]
	s_delay_alu instid0(VALU_DEP_4) | instskip(SKIP_1) | instid1(VALU_DEP_1)
	v_or_b32_e32 v13, v14, v13
	v_perm_b32 v14, v31, v32, 0xc0c0501
	v_or_b32_e32 v14, v15, v14
	v_perm_b32 v15, v10, v9, 0x7030c0c
	s_delay_alu instid0(VALU_DEP_2) | instskip(SKIP_1) | instid1(VALU_DEP_1)
	v_dot4_i32_iu8 v13, v13, v14, 0 neg_lo:[1,1,0]
	v_perm_b32 v14, v11, v12, 0xc0c0703
	v_or_b32_e32 v14, v15, v14
	v_perm_b32 v15, v31, v32, 0xc0c0703
	s_delay_alu instid0(VALU_DEP_1) | instskip(SKIP_1) | instid1(VALU_DEP_2)
	v_or_b32_e32 v15, v16, v15
	v_perm_b32 v16, v10, v9, 0x4000c0c
	v_dot4_i32_iu8 v14, v14, v15, 0 neg_lo:[1,1,0]
	v_perm_b32 v15, v11, v12, 0xc0c0400
	s_delay_alu instid0(VALU_DEP_1) | instskip(SKIP_1) | instid1(VALU_DEP_1)
	v_or_b32_e32 v15, v16, v15
	v_perm_b32 v16, v31, v32, 0xc0c0400
	v_or_b32_e32 v16, v17, v16
	v_perm_b32 v17, v10, v9, 0x6020c0c
	s_delay_alu instid0(VALU_DEP_2) | instskip(SKIP_1) | instid1(VALU_DEP_1)
	v_dot4_i32_iu8 v15, v15, v16, 0 neg_lo:[1,1,0]
	v_perm_b32 v16, v11, v12, 0xc0c0602
	v_or_b32_e32 v16, v17, v16
	v_perm_b32 v17, v31, v32, 0xc0c0602
	s_delay_alu instid0(VALU_DEP_1) | instskip(SKIP_2) | instid1(VALU_DEP_2)
	v_or_b32_e32 v17, v18, v17
	s_wait_dscnt 0x0
	v_perm_b32 v18, v6, v5, 0x6020c0c
	v_dot4_i32_iu8 v16, v16, v17, 0 neg_lo:[1,1,0]
	v_perm_b32 v17, v8, v7, 0xc0c0602
	s_delay_alu instid0(VALU_DEP_1) | instskip(SKIP_1) | instid1(VALU_DEP_1)
	v_or_b32_e32 v17, v18, v17
	v_perm_b32 v18, v159, v158, 0xc0c0602
	v_or_b32_e32 v18, v19, v18
	v_perm_b32 v19, v161, v160, 0x4000c0c
	s_delay_alu instid0(VALU_DEP_2) | instskip(SKIP_2) | instid1(VALU_DEP_1)
	v_dot4_i32_iu8 v16, v17, v18, v16 neg_lo:[1,1,0]
	v_perm_b32 v17, v8, v7, 0xc0c0400
	v_perm_b32 v18, v6, v5, 0x4000c0c
	v_or_b32_e32 v17, v18, v17
	v_perm_b32 v18, v159, v158, 0xc0c0400
	s_delay_alu instid0(VALU_DEP_1) | instskip(SKIP_1) | instid1(VALU_DEP_2)
	v_or_b32_e32 v18, v19, v18
	v_perm_b32 v19, v161, v160, 0x7030c0c
	v_dot4_i32_iu8 v15, v17, v18, v15 neg_lo:[1,1,0]
	v_perm_b32 v17, v8, v7, 0xc0c0703
	v_perm_b32 v18, v6, v5, 0x7030c0c
	s_delay_alu instid0(VALU_DEP_1) | instskip(SKIP_1) | instid1(VALU_DEP_1)
	v_or_b32_e32 v17, v18, v17
	v_perm_b32 v18, v159, v158, 0xc0c0703
	v_or_b32_e32 v18, v19, v18
	v_perm_b32 v19, v161, v160, 0x5010c0c
	s_delay_alu instid0(VALU_DEP_2) | instskip(SKIP_2) | instid1(VALU_DEP_1)
	v_dot4_i32_iu8 v14, v17, v18, v14 neg_lo:[1,1,0]
	v_perm_b32 v17, v8, v7, 0xc0c0501
	v_perm_b32 v18, v6, v5, 0x5010c0c
	v_or_b32_e32 v17, v18, v17
	v_perm_b32 v18, v159, v158, 0xc0c0501
	s_delay_alu instid0(VALU_DEP_1) | instskip(NEXT) | instid1(VALU_DEP_1)
	v_or_b32_e32 v18, v19, v18
	v_dot4_i32_iu8 v13, v17, v18, v13 neg_lo:[1,1,0]
	s_delay_alu instid0(VALU_DEP_1) | instskip(SKIP_1) | instid1(VALU_DEP_2)
	v_add_nc_u32_e32 v13, v13, v14
	v_mul_f32_e32 v14, v29, v155
	v_add3_u32 v13, v15, v16, v13
	s_delay_alu instid0(VALU_DEP_1) | instskip(NEXT) | instid1(VALU_DEP_1)
	v_cvt_f32_i32_e32 v13, v13
	v_fmac_f32_e32 v64, v14, v13
	v_add3_u32 v13, s17, v151, v134
	v_add3_u32 v14, s17, v152, v136
	ds_load_b32 v157, v13
	v_add_nc_u32_e32 v13, s16, v135
	ds_load_b32 v156, v14
	ds_load_2addr_b32 v[17:18], v13 offset1:1
	ds_load_2addr_b32 v[19:20], v13 offset0:2 offset1:3
	ds_load_2addr_b32 v[15:16], v13 offset0:4 offset1:5
	;; [unrolled: 1-line block ×3, first 2 shown]
	v_add_nc_u32_e32 v35, s16, v133
	s_wait_dscnt 0x5
	v_mul_f32_e32 v170, v29, v157
	s_wait_dscnt 0x4
	v_mul_f32_e32 v22, v29, v156
	s_wait_dscnt 0x3
	v_dot4_i32_iu8 v21, v31, v17, 0 neg_lo:[1,1,0]
	s_delay_alu instid0(VALU_DEP_1) | instskip(SKIP_1) | instid1(VALU_DEP_1)
	v_dot4_i32_iu8 v21, v32, v18, v21 neg_lo:[1,1,0]
	s_wait_dscnt 0x2
	v_dot4_i32_iu8 v21, v33, v19, v21 neg_lo:[1,1,0]
	s_delay_alu instid0(VALU_DEP_1) | instskip(SKIP_1) | instid1(VALU_DEP_1)
	v_dot4_i32_iu8 v21, v34, v20, v21 neg_lo:[1,1,0]
	;; [unrolled: 4-line block ×3, first 2 shown]
	s_wait_dscnt 0x0
	v_dot4_i32_iu8 v21, v160, v13, v21 neg_lo:[1,1,0]
	s_delay_alu instid0(VALU_DEP_1) | instskip(NEXT) | instid1(VALU_DEP_1)
	v_dot4_i32_iu8 v21, v161, v14, v21 neg_lo:[1,1,0]
	v_cvt_f32_i32_e32 v21, v21
	s_delay_alu instid0(VALU_DEP_1)
	v_fmac_f32_e32 v71, v22, v21
	v_add3_u32 v22, s17, v153, v138
	v_add_nc_u32_e32 v21, s16, v137
	ds_load_b32 v154, v22
	ds_load_2addr_b32 v[25:26], v21 offset1:1
	ds_load_2addr_b32 v[27:28], v21 offset0:2 offset1:3
	ds_load_2addr_b32 v[23:24], v21 offset0:4 offset1:5
	;; [unrolled: 1-line block ×3, first 2 shown]
	s_wait_dscnt 0x4
	v_mul_f32_e32 v29, v29, v154
	s_wait_dscnt 0x3
	v_dot4_i32_iu8 v30, v31, v25, 0 neg_lo:[1,1,0]
	s_delay_alu instid0(VALU_DEP_1) | instskip(SKIP_1) | instid1(VALU_DEP_1)
	v_dot4_i32_iu8 v30, v32, v26, v30 neg_lo:[1,1,0]
	s_wait_dscnt 0x2
	v_dot4_i32_iu8 v30, v33, v27, v30 neg_lo:[1,1,0]
	s_delay_alu instid0(VALU_DEP_1) | instskip(SKIP_1) | instid1(VALU_DEP_1)
	v_dot4_i32_iu8 v30, v34, v28, v30 neg_lo:[1,1,0]
	s_wait_dscnt 0x1
	v_dot4_i32_iu8 v30, v158, v23, v30 neg_lo:[1,1,0]
	s_delay_alu instid0(VALU_DEP_1) | instskip(SKIP_1) | instid1(VALU_DEP_1)
	v_dot4_i32_iu8 v30, v159, v24, v30 neg_lo:[1,1,0]
	s_wait_dscnt 0x0
	v_dot4_i32_iu8 v30, v160, v21, v30 neg_lo:[1,1,0]
	s_delay_alu instid0(VALU_DEP_1) | instskip(NEXT) | instid1(VALU_DEP_1)
	v_dot4_i32_iu8 v30, v161, v22, v30 neg_lo:[1,1,0]
	v_cvt_f32_i32_e32 v30, v30
	s_delay_alu instid0(VALU_DEP_1)
	v_fmac_f32_e32 v69, v29, v30
	v_add_nc_u32_e32 v29, s13, v125
	ds_load_b32 v171, v29
	ds_load_2addr_b32 v[29:30], v35 offset1:1
	ds_load_b128 v[162:165], v36
	ds_load_b128 v[166:169], v36 offset:16
	s_wait_dscnt 0x3
	v_mul_f32_e32 v172, v155, v171
	s_wait_dscnt 0x2
	v_dot4_i32_iu8 v31, v29, v31, 0 neg_lo:[1,1,0]
	s_wait_dscnt 0x1
	v_dot4_i32_iu8 v36, v162, v11, 0 neg_lo:[1,1,0]
	s_delay_alu instid0(VALU_DEP_2) | instskip(SKIP_2) | instid1(VALU_DEP_1)
	v_dot4_i32_iu8 v173, v30, v32, v31 neg_lo:[1,1,0]
	ds_load_2addr_b32 v[31:32], v35 offset0:2 offset1:3
	v_dot4_i32_iu8 v36, v163, v12, v36 neg_lo:[1,1,0]
	v_dot4_i32_iu8 v36, v164, v9, v36 neg_lo:[1,1,0]
	s_delay_alu instid0(VALU_DEP_1) | instskip(SKIP_1) | instid1(VALU_DEP_1)
	v_dot4_i32_iu8 v36, v165, v10, v36 neg_lo:[1,1,0]
	s_wait_dscnt 0x1
	v_dot4_i32_iu8 v36, v166, v7, v36 neg_lo:[1,1,0]
	s_wait_dscnt 0x0
	v_dot4_i32_iu8 v33, v31, v33, v173 neg_lo:[1,1,0]
	s_delay_alu instid0(VALU_DEP_1) | instskip(SKIP_4) | instid1(VALU_DEP_2)
	v_dot4_i32_iu8 v173, v32, v34, v33 neg_lo:[1,1,0]
	ds_load_2addr_b32 v[33:34], v35 offset0:4 offset1:5
	s_wait_dscnt 0x0
	v_dot4_i32_iu8 v158, v33, v158, v173 neg_lo:[1,1,0]
	v_perm_b32 v173, v169, v168, 0x6020c0c
	v_dot4_i32_iu8 v158, v34, v159, v158 neg_lo:[1,1,0]
	v_dot4_i32_iu8 v159, v167, v8, v36 neg_lo:[1,1,0]
	ds_load_2addr_b32 v[35:36], v35 offset0:6 offset1:7
	v_dot4_i32_iu8 v159, v168, v5, v159 neg_lo:[1,1,0]
	s_wait_dscnt 0x0
	v_dot4_i32_iu8 v158, v35, v160, v158 neg_lo:[1,1,0]
	v_perm_b32 v160, v165, v164, 0x5010c0c
	s_delay_alu instid0(VALU_DEP_2) | instskip(SKIP_1) | instid1(VALU_DEP_2)
	v_dot4_i32_iu8 v158, v36, v161, v158 neg_lo:[1,1,0]
	v_perm_b32 v161, v165, v164, 0x7030c0c
	v_cvt_f32_i32_e32 v158, v158
	s_delay_alu instid0(VALU_DEP_1) | instskip(SKIP_3) | instid1(VALU_DEP_3)
	v_fmac_f32_e32 v74, v170, v158
	v_dot4_i32_iu8 v158, v169, v6, v159 neg_lo:[1,1,0]
	v_perm_b32 v159, v32, v31, 0x5010c0c
	v_perm_b32 v170, v165, v164, 0x4000c0c
	v_cvt_f32_i32_e32 v158, v158
	s_delay_alu instid0(VALU_DEP_1) | instskip(SKIP_2) | instid1(VALU_DEP_2)
	v_fmac_f32_e32 v68, v172, v158
	v_perm_b32 v158, v29, v30, 0xc0c0501
	v_perm_b32 v172, v165, v164, 0x6020c0c
	v_or_b32_e32 v158, v159, v158
	v_perm_b32 v159, v162, v163, 0xc0c0501
	s_delay_alu instid0(VALU_DEP_1) | instskip(SKIP_1) | instid1(VALU_DEP_2)
	v_or_b32_e32 v159, v160, v159
	v_perm_b32 v160, v32, v31, 0x7030c0c
	v_dot4_i32_iu8 v158, v159, v158, 0 neg_lo:[1,1,0]
	v_perm_b32 v159, v29, v30, 0xc0c0703
	s_delay_alu instid0(VALU_DEP_1) | instskip(SKIP_1) | instid1(VALU_DEP_1)
	v_or_b32_e32 v159, v160, v159
	v_perm_b32 v160, v162, v163, 0xc0c0703
	v_or_b32_e32 v160, v161, v160
	v_perm_b32 v161, v32, v31, 0x4000c0c
	s_delay_alu instid0(VALU_DEP_2) | instskip(SKIP_1) | instid1(VALU_DEP_1)
	v_dot4_i32_iu8 v159, v160, v159, 0 neg_lo:[1,1,0]
	v_perm_b32 v160, v29, v30, 0xc0c0400
	v_or_b32_e32 v160, v161, v160
	v_perm_b32 v161, v162, v163, 0xc0c0400
	s_delay_alu instid0(VALU_DEP_1) | instskip(SKIP_1) | instid1(VALU_DEP_2)
	v_or_b32_e32 v161, v170, v161
	v_perm_b32 v170, v32, v31, 0x6020c0c
	v_dot4_i32_iu8 v160, v161, v160, 0 neg_lo:[1,1,0]
	v_perm_b32 v161, v29, v30, 0xc0c0602
	s_delay_alu instid0(VALU_DEP_1) | instskip(SKIP_1) | instid1(VALU_DEP_1)
	v_or_b32_e32 v161, v170, v161
	v_perm_b32 v170, v162, v163, 0xc0c0602
	v_or_b32_e32 v170, v172, v170
	v_perm_b32 v172, v36, v35, 0x6020c0c
	s_delay_alu instid0(VALU_DEP_2) | instskip(SKIP_1) | instid1(VALU_DEP_1)
	v_dot4_i32_iu8 v161, v170, v161, 0 neg_lo:[1,1,0]
	v_perm_b32 v170, v34, v33, 0xc0c0602
	v_or_b32_e32 v170, v172, v170
	v_perm_b32 v172, v167, v166, 0xc0c0602
	s_delay_alu instid0(VALU_DEP_1) | instskip(SKIP_1) | instid1(VALU_DEP_2)
	v_or_b32_e32 v172, v173, v172
	v_perm_b32 v173, v169, v168, 0x4000c0c
	v_dot4_i32_iu8 v161, v172, v170, v161 neg_lo:[1,1,0]
	v_perm_b32 v170, v34, v33, 0xc0c0400
	v_perm_b32 v172, v36, v35, 0x4000c0c
	s_delay_alu instid0(VALU_DEP_1) | instskip(SKIP_1) | instid1(VALU_DEP_1)
	v_or_b32_e32 v170, v172, v170
	v_perm_b32 v172, v167, v166, 0xc0c0400
	v_or_b32_e32 v172, v173, v172
	v_perm_b32 v173, v169, v168, 0x7030c0c
	s_delay_alu instid0(VALU_DEP_2) | instskip(SKIP_2) | instid1(VALU_DEP_1)
	v_dot4_i32_iu8 v160, v172, v170, v160 neg_lo:[1,1,0]
	v_perm_b32 v170, v34, v33, 0xc0c0703
	v_perm_b32 v172, v36, v35, 0x7030c0c
	v_or_b32_e32 v170, v172, v170
	v_perm_b32 v172, v167, v166, 0xc0c0703
	s_delay_alu instid0(VALU_DEP_1) | instskip(SKIP_1) | instid1(VALU_DEP_2)
	v_or_b32_e32 v172, v173, v172
	v_perm_b32 v173, v169, v168, 0x5010c0c
	v_dot4_i32_iu8 v159, v172, v170, v159 neg_lo:[1,1,0]
	v_perm_b32 v170, v34, v33, 0xc0c0501
	v_perm_b32 v172, v36, v35, 0x5010c0c
	s_delay_alu instid0(VALU_DEP_1) | instskip(SKIP_1) | instid1(VALU_DEP_1)
	v_or_b32_e32 v170, v172, v170
	v_perm_b32 v172, v167, v166, 0xc0c0501
	v_or_b32_e32 v172, v173, v172
	s_delay_alu instid0(VALU_DEP_1) | instskip(NEXT) | instid1(VALU_DEP_1)
	v_dot4_i32_iu8 v158, v172, v170, v158 neg_lo:[1,1,0]
	v_add_nc_u32_e32 v158, v158, v159
	v_mul_f32_e32 v159, v157, v171
	s_delay_alu instid0(VALU_DEP_2) | instskip(NEXT) | instid1(VALU_DEP_1)
	v_add3_u32 v158, v160, v161, v158
	v_cvt_f32_i32_e32 v158, v158
	s_delay_alu instid0(VALU_DEP_1) | instskip(SKIP_2) | instid1(VALU_DEP_2)
	v_fmac_f32_e32 v67, v159, v158
	v_dot4_i32_iu8 v158, v162, v17, 0 neg_lo:[1,1,0]
	v_mul_f32_e32 v159, v156, v171
	v_dot4_i32_iu8 v158, v163, v18, v158 neg_lo:[1,1,0]
	s_delay_alu instid0(VALU_DEP_1) | instskip(NEXT) | instid1(VALU_DEP_1)
	v_dot4_i32_iu8 v158, v164, v19, v158 neg_lo:[1,1,0]
	v_dot4_i32_iu8 v158, v165, v20, v158 neg_lo:[1,1,0]
	s_delay_alu instid0(VALU_DEP_1) | instskip(NEXT) | instid1(VALU_DEP_1)
	v_dot4_i32_iu8 v158, v166, v15, v158 neg_lo:[1,1,0]
	;; [unrolled: 3-line block ×3, first 2 shown]
	v_dot4_i32_iu8 v158, v169, v14, v158 neg_lo:[1,1,0]
	s_delay_alu instid0(VALU_DEP_1) | instskip(NEXT) | instid1(VALU_DEP_1)
	v_cvt_f32_i32_e32 v158, v158
	v_dual_fmac_f32 v66, v159, v158 :: v_dual_mul_f32 v159, v154, v171
	v_dot4_i32_iu8 v158, v162, v25, 0 neg_lo:[1,1,0]
	v_add_nc_u32_e32 v162, s12, v81
	s_delay_alu instid0(VALU_DEP_2) | instskip(NEXT) | instid1(VALU_DEP_1)
	v_dot4_i32_iu8 v158, v163, v26, v158 neg_lo:[1,1,0]
	v_dot4_i32_iu8 v158, v164, v27, v158 neg_lo:[1,1,0]
	s_delay_alu instid0(VALU_DEP_1) | instskip(NEXT) | instid1(VALU_DEP_1)
	v_dot4_i32_iu8 v158, v165, v28, v158 neg_lo:[1,1,0]
	v_dot4_i32_iu8 v158, v166, v23, v158 neg_lo:[1,1,0]
	s_delay_alu instid0(VALU_DEP_1) | instskip(NEXT) | instid1(VALU_DEP_1)
	;; [unrolled: 3-line block ×3, first 2 shown]
	v_dot4_i32_iu8 v158, v169, v22, v158 neg_lo:[1,1,0]
	v_cvt_f32_i32_e32 v158, v158
	s_delay_alu instid0(VALU_DEP_1)
	v_fmac_f32_e32 v65, v159, v158
	v_add_nc_u32_e32 v158, s13, v126
	ds_load_b32 v166, v158
	ds_load_b128 v[158:161], v162
	ds_load_b128 v[162:165], v162 offset:16
	s_wait_dscnt 0x2
	v_mul_f32_e32 v168, v155, v166
	s_wait_dscnt 0x1
	v_dot4_i32_iu8 v167, v11, v158, 0 neg_lo:[1,1,0]
	s_delay_alu instid0(VALU_DEP_1) | instskip(NEXT) | instid1(VALU_DEP_1)
	v_dot4_i32_iu8 v167, v12, v159, v167 neg_lo:[1,1,0]
	v_dot4_i32_iu8 v167, v9, v160, v167 neg_lo:[1,1,0]
	s_delay_alu instid0(VALU_DEP_1) | instskip(SKIP_1) | instid1(VALU_DEP_1)
	v_dot4_i32_iu8 v167, v10, v161, v167 neg_lo:[1,1,0]
	s_wait_dscnt 0x0
	v_dot4_i32_iu8 v167, v7, v162, v167 neg_lo:[1,1,0]
	s_delay_alu instid0(VALU_DEP_1) | instskip(NEXT) | instid1(VALU_DEP_1)
	v_dot4_i32_iu8 v167, v8, v163, v167 neg_lo:[1,1,0]
	v_dot4_i32_iu8 v167, v5, v164, v167 neg_lo:[1,1,0]
	s_delay_alu instid0(VALU_DEP_1) | instskip(NEXT) | instid1(VALU_DEP_1)
	v_dot4_i32_iu8 v167, v6, v165, v167 neg_lo:[1,1,0]
	v_cvt_f32_i32_e32 v167, v167
	s_delay_alu instid0(VALU_DEP_1) | instskip(SKIP_1) | instid1(VALU_DEP_1)
	v_dual_fmac_f32 v63, v168, v167 :: v_dual_mul_f32 v168, v157, v166
	v_dot4_i32_iu8 v167, v29, v158, 0 neg_lo:[1,1,0]
	v_dot4_i32_iu8 v167, v30, v159, v167 neg_lo:[1,1,0]
	s_delay_alu instid0(VALU_DEP_1) | instskip(NEXT) | instid1(VALU_DEP_1)
	v_dot4_i32_iu8 v167, v31, v160, v167 neg_lo:[1,1,0]
	v_dot4_i32_iu8 v167, v32, v161, v167 neg_lo:[1,1,0]
	s_delay_alu instid0(VALU_DEP_1) | instskip(NEXT) | instid1(VALU_DEP_1)
	;; [unrolled: 3-line block ×4, first 2 shown]
	v_cvt_f32_i32_e32 v167, v167
	v_fmac_f32_e32 v62, v168, v167
	v_dot4_i32_iu8 v167, v158, v17, 0 neg_lo:[1,1,0]
	v_dot4_i32_iu8 v158, v158, v25, 0 neg_lo:[1,1,0]
	v_mul_f32_e32 v168, v156, v166
	s_delay_alu instid0(VALU_DEP_3) | instskip(NEXT) | instid1(VALU_DEP_3)
	v_dot4_i32_iu8 v167, v159, v18, v167 neg_lo:[1,1,0]
	v_dot4_i32_iu8 v158, v159, v26, v158 neg_lo:[1,1,0]
	v_mul_f32_e32 v159, v154, v166
	s_delay_alu instid0(VALU_DEP_3) | instskip(NEXT) | instid1(VALU_DEP_3)
	v_dot4_i32_iu8 v167, v160, v19, v167 neg_lo:[1,1,0]
	v_dot4_i32_iu8 v158, v160, v27, v158 neg_lo:[1,1,0]
	s_delay_alu instid0(VALU_DEP_2) | instskip(NEXT) | instid1(VALU_DEP_2)
	v_dot4_i32_iu8 v167, v161, v20, v167 neg_lo:[1,1,0]
	v_dot4_i32_iu8 v158, v161, v28, v158 neg_lo:[1,1,0]
	s_delay_alu instid0(VALU_DEP_2) | instskip(NEXT) | instid1(VALU_DEP_2)
	v_dot4_i32_iu8 v167, v162, v15, v167 neg_lo:[1,1,0]
	v_dot4_i32_iu8 v158, v162, v23, v158 neg_lo:[1,1,0]
	v_add_nc_u32_e32 v162, s12, v115
	s_delay_alu instid0(VALU_DEP_3) | instskip(NEXT) | instid1(VALU_DEP_3)
	v_dot4_i32_iu8 v167, v163, v16, v167 neg_lo:[1,1,0]
	v_dot4_i32_iu8 v158, v163, v24, v158 neg_lo:[1,1,0]
	s_delay_alu instid0(VALU_DEP_2) | instskip(NEXT) | instid1(VALU_DEP_2)
	v_dot4_i32_iu8 v167, v164, v13, v167 neg_lo:[1,1,0]
	v_dot4_i32_iu8 v158, v164, v21, v158 neg_lo:[1,1,0]
	s_delay_alu instid0(VALU_DEP_2) | instskip(NEXT) | instid1(VALU_DEP_2)
	;; [unrolled: 3-line block ×3, first 2 shown]
	v_cvt_f32_i32_e32 v167, v167
	v_cvt_f32_i32_e32 v158, v158
	s_delay_alu instid0(VALU_DEP_1)
	v_dual_fmac_f32 v61, v168, v167 :: v_dual_fmac_f32 v60, v159, v158
	v_add_nc_u32_e32 v158, s13, v127
	ds_load_b32 v166, v158
	ds_load_b128 v[158:161], v162
	ds_load_b128 v[162:165], v162 offset:16
	s_wait_dscnt 0x2
	v_mul_f32_e32 v168, v155, v166
	s_wait_dscnt 0x1
	v_dot4_i32_iu8 v167, v11, v158, 0 neg_lo:[1,1,0]
	s_delay_alu instid0(VALU_DEP_1) | instskip(NEXT) | instid1(VALU_DEP_1)
	v_dot4_i32_iu8 v167, v12, v159, v167 neg_lo:[1,1,0]
	v_dot4_i32_iu8 v167, v9, v160, v167 neg_lo:[1,1,0]
	s_delay_alu instid0(VALU_DEP_1) | instskip(SKIP_1) | instid1(VALU_DEP_1)
	v_dot4_i32_iu8 v167, v10, v161, v167 neg_lo:[1,1,0]
	s_wait_dscnt 0x0
	v_dot4_i32_iu8 v167, v7, v162, v167 neg_lo:[1,1,0]
	s_delay_alu instid0(VALU_DEP_1) | instskip(NEXT) | instid1(VALU_DEP_1)
	v_dot4_i32_iu8 v167, v8, v163, v167 neg_lo:[1,1,0]
	v_dot4_i32_iu8 v167, v5, v164, v167 neg_lo:[1,1,0]
	s_delay_alu instid0(VALU_DEP_1) | instskip(NEXT) | instid1(VALU_DEP_1)
	v_dot4_i32_iu8 v167, v6, v165, v167 neg_lo:[1,1,0]
	v_cvt_f32_i32_e32 v167, v167
	s_delay_alu instid0(VALU_DEP_1) | instskip(SKIP_1) | instid1(VALU_DEP_1)
	v_dual_fmac_f32 v59, v168, v167 :: v_dual_mul_f32 v168, v157, v166
	v_dot4_i32_iu8 v167, v29, v158, 0 neg_lo:[1,1,0]
	v_dot4_i32_iu8 v167, v30, v159, v167 neg_lo:[1,1,0]
	s_delay_alu instid0(VALU_DEP_1) | instskip(NEXT) | instid1(VALU_DEP_1)
	v_dot4_i32_iu8 v167, v31, v160, v167 neg_lo:[1,1,0]
	v_dot4_i32_iu8 v167, v32, v161, v167 neg_lo:[1,1,0]
	s_delay_alu instid0(VALU_DEP_1) | instskip(NEXT) | instid1(VALU_DEP_1)
	;; [unrolled: 3-line block ×4, first 2 shown]
	v_cvt_f32_i32_e32 v167, v167
	v_fmac_f32_e32 v57, v168, v167
	v_dot4_i32_iu8 v167, v158, v17, 0 neg_lo:[1,1,0]
	v_dot4_i32_iu8 v158, v158, v25, 0 neg_lo:[1,1,0]
	v_mul_f32_e32 v168, v156, v166
	s_delay_alu instid0(VALU_DEP_3) | instskip(NEXT) | instid1(VALU_DEP_3)
	v_dot4_i32_iu8 v167, v159, v18, v167 neg_lo:[1,1,0]
	v_dot4_i32_iu8 v158, v159, v26, v158 neg_lo:[1,1,0]
	v_mul_f32_e32 v159, v154, v166
	s_delay_alu instid0(VALU_DEP_3) | instskip(NEXT) | instid1(VALU_DEP_3)
	v_dot4_i32_iu8 v167, v160, v19, v167 neg_lo:[1,1,0]
	v_dot4_i32_iu8 v158, v160, v27, v158 neg_lo:[1,1,0]
	s_delay_alu instid0(VALU_DEP_2) | instskip(NEXT) | instid1(VALU_DEP_2)
	v_dot4_i32_iu8 v167, v161, v20, v167 neg_lo:[1,1,0]
	v_dot4_i32_iu8 v158, v161, v28, v158 neg_lo:[1,1,0]
	s_delay_alu instid0(VALU_DEP_2) | instskip(NEXT) | instid1(VALU_DEP_2)
	v_dot4_i32_iu8 v167, v162, v15, v167 neg_lo:[1,1,0]
	v_dot4_i32_iu8 v158, v162, v23, v158 neg_lo:[1,1,0]
	v_add_nc_u32_e32 v162, s12, v117
	s_delay_alu instid0(VALU_DEP_3) | instskip(NEXT) | instid1(VALU_DEP_3)
	v_dot4_i32_iu8 v167, v163, v16, v167 neg_lo:[1,1,0]
	v_dot4_i32_iu8 v158, v163, v24, v158 neg_lo:[1,1,0]
	s_delay_alu instid0(VALU_DEP_2) | instskip(NEXT) | instid1(VALU_DEP_2)
	v_dot4_i32_iu8 v167, v164, v13, v167 neg_lo:[1,1,0]
	v_dot4_i32_iu8 v158, v164, v21, v158 neg_lo:[1,1,0]
	s_delay_alu instid0(VALU_DEP_2) | instskip(NEXT) | instid1(VALU_DEP_2)
	;; [unrolled: 3-line block ×3, first 2 shown]
	v_cvt_f32_i32_e32 v167, v167
	v_cvt_f32_i32_e32 v158, v158
	s_delay_alu instid0(VALU_DEP_1)
	v_dual_fmac_f32 v56, v168, v167 :: v_dual_fmac_f32 v55, v159, v158
	v_add_nc_u32_e32 v158, s13, v128
	ds_load_b32 v166, v158
	ds_load_b128 v[158:161], v162
	ds_load_b128 v[162:165], v162 offset:16
	s_wait_dscnt 0x2
	v_mul_f32_e32 v168, v155, v166
	s_wait_dscnt 0x1
	v_dot4_i32_iu8 v167, v11, v158, 0 neg_lo:[1,1,0]
	s_delay_alu instid0(VALU_DEP_1) | instskip(NEXT) | instid1(VALU_DEP_1)
	v_dot4_i32_iu8 v167, v12, v159, v167 neg_lo:[1,1,0]
	v_dot4_i32_iu8 v167, v9, v160, v167 neg_lo:[1,1,0]
	s_delay_alu instid0(VALU_DEP_1) | instskip(SKIP_1) | instid1(VALU_DEP_1)
	v_dot4_i32_iu8 v167, v10, v161, v167 neg_lo:[1,1,0]
	s_wait_dscnt 0x0
	v_dot4_i32_iu8 v167, v7, v162, v167 neg_lo:[1,1,0]
	s_delay_alu instid0(VALU_DEP_1) | instskip(NEXT) | instid1(VALU_DEP_1)
	v_dot4_i32_iu8 v167, v8, v163, v167 neg_lo:[1,1,0]
	v_dot4_i32_iu8 v167, v5, v164, v167 neg_lo:[1,1,0]
	s_delay_alu instid0(VALU_DEP_1) | instskip(NEXT) | instid1(VALU_DEP_1)
	v_dot4_i32_iu8 v167, v6, v165, v167 neg_lo:[1,1,0]
	v_cvt_f32_i32_e32 v167, v167
	s_delay_alu instid0(VALU_DEP_1) | instskip(SKIP_2) | instid1(VALU_DEP_2)
	v_fmac_f32_e32 v52, v168, v167
	v_dot4_i32_iu8 v167, v29, v158, 0 neg_lo:[1,1,0]
	v_mul_f32_e32 v168, v157, v166
	v_dot4_i32_iu8 v167, v30, v159, v167 neg_lo:[1,1,0]
	s_delay_alu instid0(VALU_DEP_1) | instskip(NEXT) | instid1(VALU_DEP_1)
	v_dot4_i32_iu8 v167, v31, v160, v167 neg_lo:[1,1,0]
	v_dot4_i32_iu8 v167, v32, v161, v167 neg_lo:[1,1,0]
	s_delay_alu instid0(VALU_DEP_1) | instskip(NEXT) | instid1(VALU_DEP_1)
	v_dot4_i32_iu8 v167, v33, v162, v167 neg_lo:[1,1,0]
	;; [unrolled: 3-line block ×3, first 2 shown]
	v_dot4_i32_iu8 v167, v36, v165, v167 neg_lo:[1,1,0]
	s_delay_alu instid0(VALU_DEP_1) | instskip(NEXT) | instid1(VALU_DEP_1)
	v_cvt_f32_i32_e32 v167, v167
	v_fmac_f32_e32 v51, v168, v167
	v_dot4_i32_iu8 v167, v158, v17, 0 neg_lo:[1,1,0]
	v_dot4_i32_iu8 v158, v158, v25, 0 neg_lo:[1,1,0]
	v_mul_f32_e32 v168, v156, v166
	s_delay_alu instid0(VALU_DEP_3) | instskip(NEXT) | instid1(VALU_DEP_3)
	v_dot4_i32_iu8 v167, v159, v18, v167 neg_lo:[1,1,0]
	v_dot4_i32_iu8 v158, v159, v26, v158 neg_lo:[1,1,0]
	v_mul_f32_e32 v159, v154, v166
	s_delay_alu instid0(VALU_DEP_3) | instskip(NEXT) | instid1(VALU_DEP_3)
	v_dot4_i32_iu8 v167, v160, v19, v167 neg_lo:[1,1,0]
	v_dot4_i32_iu8 v158, v160, v27, v158 neg_lo:[1,1,0]
	s_delay_alu instid0(VALU_DEP_2) | instskip(NEXT) | instid1(VALU_DEP_2)
	v_dot4_i32_iu8 v167, v161, v20, v167 neg_lo:[1,1,0]
	v_dot4_i32_iu8 v158, v161, v28, v158 neg_lo:[1,1,0]
	s_delay_alu instid0(VALU_DEP_2) | instskip(NEXT) | instid1(VALU_DEP_2)
	v_dot4_i32_iu8 v167, v162, v15, v167 neg_lo:[1,1,0]
	v_dot4_i32_iu8 v158, v162, v23, v158 neg_lo:[1,1,0]
	v_add_nc_u32_e32 v162, s12, v119
	s_delay_alu instid0(VALU_DEP_3) | instskip(NEXT) | instid1(VALU_DEP_3)
	v_dot4_i32_iu8 v167, v163, v16, v167 neg_lo:[1,1,0]
	v_dot4_i32_iu8 v158, v163, v24, v158 neg_lo:[1,1,0]
	s_delay_alu instid0(VALU_DEP_2) | instskip(NEXT) | instid1(VALU_DEP_2)
	v_dot4_i32_iu8 v167, v164, v13, v167 neg_lo:[1,1,0]
	v_dot4_i32_iu8 v158, v164, v21, v158 neg_lo:[1,1,0]
	s_delay_alu instid0(VALU_DEP_2) | instskip(NEXT) | instid1(VALU_DEP_2)
	;; [unrolled: 3-line block ×3, first 2 shown]
	v_cvt_f32_i32_e32 v167, v167
	v_cvt_f32_i32_e32 v158, v158
	s_delay_alu instid0(VALU_DEP_1)
	v_dual_fmac_f32 v50, v168, v167 :: v_dual_fmac_f32 v49, v159, v158
	v_add_nc_u32_e32 v158, s13, v129
	ds_load_b32 v166, v158
	ds_load_b128 v[158:161], v162
	ds_load_b128 v[162:165], v162 offset:16
	s_wait_dscnt 0x2
	v_mul_f32_e32 v168, v155, v166
	s_wait_dscnt 0x1
	v_dot4_i32_iu8 v167, v11, v158, 0 neg_lo:[1,1,0]
	s_delay_alu instid0(VALU_DEP_1) | instskip(NEXT) | instid1(VALU_DEP_1)
	v_dot4_i32_iu8 v167, v12, v159, v167 neg_lo:[1,1,0]
	v_dot4_i32_iu8 v167, v9, v160, v167 neg_lo:[1,1,0]
	s_delay_alu instid0(VALU_DEP_1) | instskip(SKIP_1) | instid1(VALU_DEP_1)
	v_dot4_i32_iu8 v167, v10, v161, v167 neg_lo:[1,1,0]
	s_wait_dscnt 0x0
	v_dot4_i32_iu8 v167, v7, v162, v167 neg_lo:[1,1,0]
	s_delay_alu instid0(VALU_DEP_1) | instskip(NEXT) | instid1(VALU_DEP_1)
	v_dot4_i32_iu8 v167, v8, v163, v167 neg_lo:[1,1,0]
	v_dot4_i32_iu8 v167, v5, v164, v167 neg_lo:[1,1,0]
	s_delay_alu instid0(VALU_DEP_1) | instskip(NEXT) | instid1(VALU_DEP_1)
	v_dot4_i32_iu8 v167, v6, v165, v167 neg_lo:[1,1,0]
	v_cvt_f32_i32_e32 v167, v167
	s_delay_alu instid0(VALU_DEP_1) | instskip(SKIP_2) | instid1(VALU_DEP_2)
	v_fmac_f32_e32 v48, v168, v167
	v_dot4_i32_iu8 v167, v29, v158, 0 neg_lo:[1,1,0]
	v_mul_f32_e32 v168, v157, v166
	v_dot4_i32_iu8 v167, v30, v159, v167 neg_lo:[1,1,0]
	s_delay_alu instid0(VALU_DEP_1) | instskip(NEXT) | instid1(VALU_DEP_1)
	v_dot4_i32_iu8 v167, v31, v160, v167 neg_lo:[1,1,0]
	v_dot4_i32_iu8 v167, v32, v161, v167 neg_lo:[1,1,0]
	s_delay_alu instid0(VALU_DEP_1) | instskip(NEXT) | instid1(VALU_DEP_1)
	v_dot4_i32_iu8 v167, v33, v162, v167 neg_lo:[1,1,0]
	;; [unrolled: 3-line block ×3, first 2 shown]
	v_dot4_i32_iu8 v167, v36, v165, v167 neg_lo:[1,1,0]
	s_delay_alu instid0(VALU_DEP_1) | instskip(NEXT) | instid1(VALU_DEP_1)
	v_cvt_f32_i32_e32 v167, v167
	v_fmac_f32_e32 v47, v168, v167
	v_dot4_i32_iu8 v167, v158, v17, 0 neg_lo:[1,1,0]
	v_dot4_i32_iu8 v158, v158, v25, 0 neg_lo:[1,1,0]
	v_mul_f32_e32 v168, v156, v166
	s_delay_alu instid0(VALU_DEP_3) | instskip(NEXT) | instid1(VALU_DEP_3)
	v_dot4_i32_iu8 v167, v159, v18, v167 neg_lo:[1,1,0]
	v_dot4_i32_iu8 v158, v159, v26, v158 neg_lo:[1,1,0]
	v_mul_f32_e32 v159, v154, v166
	s_delay_alu instid0(VALU_DEP_3) | instskip(NEXT) | instid1(VALU_DEP_3)
	v_dot4_i32_iu8 v167, v160, v19, v167 neg_lo:[1,1,0]
	v_dot4_i32_iu8 v158, v160, v27, v158 neg_lo:[1,1,0]
	s_delay_alu instid0(VALU_DEP_2) | instskip(NEXT) | instid1(VALU_DEP_2)
	v_dot4_i32_iu8 v167, v161, v20, v167 neg_lo:[1,1,0]
	v_dot4_i32_iu8 v158, v161, v28, v158 neg_lo:[1,1,0]
	s_delay_alu instid0(VALU_DEP_2) | instskip(NEXT) | instid1(VALU_DEP_2)
	v_dot4_i32_iu8 v167, v162, v15, v167 neg_lo:[1,1,0]
	v_dot4_i32_iu8 v158, v162, v23, v158 neg_lo:[1,1,0]
	v_add_nc_u32_e32 v162, s12, v121
	s_delay_alu instid0(VALU_DEP_3) | instskip(NEXT) | instid1(VALU_DEP_3)
	v_dot4_i32_iu8 v167, v163, v16, v167 neg_lo:[1,1,0]
	v_dot4_i32_iu8 v158, v163, v24, v158 neg_lo:[1,1,0]
	s_delay_alu instid0(VALU_DEP_2) | instskip(NEXT) | instid1(VALU_DEP_2)
	v_dot4_i32_iu8 v167, v164, v13, v167 neg_lo:[1,1,0]
	v_dot4_i32_iu8 v158, v164, v21, v158 neg_lo:[1,1,0]
	s_delay_alu instid0(VALU_DEP_2) | instskip(NEXT) | instid1(VALU_DEP_2)
	;; [unrolled: 3-line block ×3, first 2 shown]
	v_cvt_f32_i32_e32 v167, v167
	v_cvt_f32_i32_e32 v158, v158
	s_delay_alu instid0(VALU_DEP_1)
	v_fmac_f32_e32 v45, v159, v158
	v_add_nc_u32_e32 v158, s13, v130
	ds_load_b32 v166, v158
	ds_load_b128 v[158:161], v162
	ds_load_b128 v[162:165], v162 offset:16
	v_fmac_f32_e32 v46, v168, v167
	s_wait_dscnt 0x2
	v_mul_f32_e32 v168, v155, v166
	s_wait_dscnt 0x1
	v_dot4_i32_iu8 v167, v11, v158, 0 neg_lo:[1,1,0]
	s_delay_alu instid0(VALU_DEP_1) | instskip(NEXT) | instid1(VALU_DEP_1)
	v_dot4_i32_iu8 v167, v12, v159, v167 neg_lo:[1,1,0]
	v_dot4_i32_iu8 v167, v9, v160, v167 neg_lo:[1,1,0]
	s_delay_alu instid0(VALU_DEP_1) | instskip(SKIP_1) | instid1(VALU_DEP_1)
	v_dot4_i32_iu8 v167, v10, v161, v167 neg_lo:[1,1,0]
	s_wait_dscnt 0x0
	v_dot4_i32_iu8 v167, v7, v162, v167 neg_lo:[1,1,0]
	s_delay_alu instid0(VALU_DEP_1) | instskip(NEXT) | instid1(VALU_DEP_1)
	v_dot4_i32_iu8 v167, v8, v163, v167 neg_lo:[1,1,0]
	v_dot4_i32_iu8 v167, v5, v164, v167 neg_lo:[1,1,0]
	s_delay_alu instid0(VALU_DEP_1) | instskip(NEXT) | instid1(VALU_DEP_1)
	v_dot4_i32_iu8 v167, v6, v165, v167 neg_lo:[1,1,0]
	v_cvt_f32_i32_e32 v167, v167
	s_delay_alu instid0(VALU_DEP_1) | instskip(SKIP_2) | instid1(VALU_DEP_2)
	v_fmac_f32_e32 v44, v168, v167
	v_dot4_i32_iu8 v167, v29, v158, 0 neg_lo:[1,1,0]
	v_mul_f32_e32 v168, v157, v166
	v_dot4_i32_iu8 v167, v30, v159, v167 neg_lo:[1,1,0]
	s_delay_alu instid0(VALU_DEP_1) | instskip(NEXT) | instid1(VALU_DEP_1)
	v_dot4_i32_iu8 v167, v31, v160, v167 neg_lo:[1,1,0]
	v_dot4_i32_iu8 v167, v32, v161, v167 neg_lo:[1,1,0]
	s_delay_alu instid0(VALU_DEP_1) | instskip(NEXT) | instid1(VALU_DEP_1)
	v_dot4_i32_iu8 v167, v33, v162, v167 neg_lo:[1,1,0]
	;; [unrolled: 3-line block ×3, first 2 shown]
	v_dot4_i32_iu8 v167, v36, v165, v167 neg_lo:[1,1,0]
	s_delay_alu instid0(VALU_DEP_1) | instskip(NEXT) | instid1(VALU_DEP_1)
	v_cvt_f32_i32_e32 v167, v167
	v_fmac_f32_e32 v43, v168, v167
	v_dot4_i32_iu8 v167, v158, v17, 0 neg_lo:[1,1,0]
	v_dot4_i32_iu8 v158, v158, v25, 0 neg_lo:[1,1,0]
	v_mul_f32_e32 v168, v156, v166
	s_delay_alu instid0(VALU_DEP_3) | instskip(NEXT) | instid1(VALU_DEP_3)
	v_dot4_i32_iu8 v167, v159, v18, v167 neg_lo:[1,1,0]
	v_dot4_i32_iu8 v158, v159, v26, v158 neg_lo:[1,1,0]
	v_mul_f32_e32 v159, v154, v166
	s_delay_alu instid0(VALU_DEP_3) | instskip(NEXT) | instid1(VALU_DEP_3)
	v_dot4_i32_iu8 v167, v160, v19, v167 neg_lo:[1,1,0]
	v_dot4_i32_iu8 v158, v160, v27, v158 neg_lo:[1,1,0]
	s_delay_alu instid0(VALU_DEP_2) | instskip(NEXT) | instid1(VALU_DEP_2)
	v_dot4_i32_iu8 v167, v161, v20, v167 neg_lo:[1,1,0]
	v_dot4_i32_iu8 v158, v161, v28, v158 neg_lo:[1,1,0]
	s_delay_alu instid0(VALU_DEP_2) | instskip(NEXT) | instid1(VALU_DEP_2)
	v_dot4_i32_iu8 v167, v162, v15, v167 neg_lo:[1,1,0]
	v_dot4_i32_iu8 v158, v162, v23, v158 neg_lo:[1,1,0]
	v_add_nc_u32_e32 v162, s12, v123
	s_add_co_i32 s12, s5, 8
	s_cmp_lt_u32 s5, 24
	v_dot4_i32_iu8 v167, v163, v16, v167 neg_lo:[1,1,0]
	v_dot4_i32_iu8 v158, v163, v24, v158 neg_lo:[1,1,0]
	s_wait_alu 0xfffe
	s_mov_b32 s5, s12
	s_delay_alu instid0(VALU_DEP_2) | instskip(NEXT) | instid1(VALU_DEP_2)
	v_dot4_i32_iu8 v167, v164, v13, v167 neg_lo:[1,1,0]
	v_dot4_i32_iu8 v158, v164, v21, v158 neg_lo:[1,1,0]
	s_delay_alu instid0(VALU_DEP_2) | instskip(NEXT) | instid1(VALU_DEP_2)
	v_dot4_i32_iu8 v167, v165, v14, v167 neg_lo:[1,1,0]
	v_dot4_i32_iu8 v158, v165, v22, v158 neg_lo:[1,1,0]
	s_delay_alu instid0(VALU_DEP_2) | instskip(NEXT) | instid1(VALU_DEP_2)
	v_cvt_f32_i32_e32 v167, v167
	v_cvt_f32_i32_e32 v158, v158
	s_delay_alu instid0(VALU_DEP_1)
	v_dual_fmac_f32 v42, v168, v167 :: v_dual_fmac_f32 v41, v159, v158
	v_add_nc_u32_e32 v158, s13, v131
	ds_load_b32 v166, v158
	ds_load_b128 v[158:161], v162
	ds_load_b128 v[162:165], v162 offset:16
	s_wait_dscnt 0x1
	v_dot4_i32_iu8 v11, v11, v158, 0 neg_lo:[1,1,0]
	s_delay_alu instid0(VALU_DEP_1) | instskip(NEXT) | instid1(VALU_DEP_1)
	v_dot4_i32_iu8 v11, v12, v159, v11 neg_lo:[1,1,0]
	v_dot4_i32_iu8 v9, v9, v160, v11 neg_lo:[1,1,0]
	s_delay_alu instid0(VALU_DEP_1) | instskip(SKIP_1) | instid1(VALU_DEP_1)
	v_dot4_i32_iu8 v9, v10, v161, v9 neg_lo:[1,1,0]
	s_wait_dscnt 0x0
	v_dot4_i32_iu8 v7, v7, v162, v9 neg_lo:[1,1,0]
	s_delay_alu instid0(VALU_DEP_1) | instskip(NEXT) | instid1(VALU_DEP_1)
	v_dot4_i32_iu8 v7, v8, v163, v7 neg_lo:[1,1,0]
	v_dot4_i32_iu8 v5, v5, v164, v7 neg_lo:[1,1,0]
	s_delay_alu instid0(VALU_DEP_1) | instskip(SKIP_1) | instid1(VALU_DEP_2)
	v_dot4_i32_iu8 v5, v6, v165, v5 neg_lo:[1,1,0]
	v_mul_f32_e32 v6, v155, v166
	v_cvt_f32_i32_e32 v5, v5
	s_delay_alu instid0(VALU_DEP_1) | instskip(SKIP_2) | instid1(VALU_DEP_2)
	v_fmac_f32_e32 v40, v6, v5
	v_dot4_i32_iu8 v5, v29, v158, 0 neg_lo:[1,1,0]
	v_mul_f32_e32 v6, v157, v166
	v_dot4_i32_iu8 v5, v30, v159, v5 neg_lo:[1,1,0]
	s_delay_alu instid0(VALU_DEP_1) | instskip(NEXT) | instid1(VALU_DEP_1)
	v_dot4_i32_iu8 v5, v31, v160, v5 neg_lo:[1,1,0]
	v_dot4_i32_iu8 v5, v32, v161, v5 neg_lo:[1,1,0]
	s_delay_alu instid0(VALU_DEP_1) | instskip(NEXT) | instid1(VALU_DEP_1)
	v_dot4_i32_iu8 v5, v33, v162, v5 neg_lo:[1,1,0]
	;; [unrolled: 3-line block ×3, first 2 shown]
	v_dot4_i32_iu8 v5, v36, v165, v5 neg_lo:[1,1,0]
	s_delay_alu instid0(VALU_DEP_1) | instskip(NEXT) | instid1(VALU_DEP_1)
	v_cvt_f32_i32_e32 v5, v5
	v_fmac_f32_e32 v39, v6, v5
	v_dot4_i32_iu8 v5, v158, v17, 0 neg_lo:[1,1,0]
	v_mul_f32_e32 v6, v156, v166
	s_delay_alu instid0(VALU_DEP_2) | instskip(NEXT) | instid1(VALU_DEP_1)
	v_dot4_i32_iu8 v5, v159, v18, v5 neg_lo:[1,1,0]
	v_dot4_i32_iu8 v5, v160, v19, v5 neg_lo:[1,1,0]
	s_delay_alu instid0(VALU_DEP_1) | instskip(NEXT) | instid1(VALU_DEP_1)
	v_dot4_i32_iu8 v5, v161, v20, v5 neg_lo:[1,1,0]
	v_dot4_i32_iu8 v5, v162, v15, v5 neg_lo:[1,1,0]
	s_delay_alu instid0(VALU_DEP_1) | instskip(NEXT) | instid1(VALU_DEP_1)
	;; [unrolled: 3-line block ×3, first 2 shown]
	v_dot4_i32_iu8 v5, v165, v14, v5 neg_lo:[1,1,0]
	v_cvt_f32_i32_e32 v5, v5
	s_delay_alu instid0(VALU_DEP_1) | instskip(SKIP_2) | instid1(VALU_DEP_2)
	v_fmac_f32_e32 v38, v6, v5
	v_dot4_i32_iu8 v5, v158, v25, 0 neg_lo:[1,1,0]
	v_mul_f32_e32 v6, v154, v166
	v_dot4_i32_iu8 v5, v159, v26, v5 neg_lo:[1,1,0]
	s_delay_alu instid0(VALU_DEP_1) | instskip(NEXT) | instid1(VALU_DEP_1)
	v_dot4_i32_iu8 v5, v160, v27, v5 neg_lo:[1,1,0]
	v_dot4_i32_iu8 v5, v161, v28, v5 neg_lo:[1,1,0]
	s_delay_alu instid0(VALU_DEP_1) | instskip(NEXT) | instid1(VALU_DEP_1)
	v_dot4_i32_iu8 v5, v162, v23, v5 neg_lo:[1,1,0]
	;; [unrolled: 3-line block ×3, first 2 shown]
	v_dot4_i32_iu8 v5, v165, v22, v5 neg_lo:[1,1,0]
	s_delay_alu instid0(VALU_DEP_1) | instskip(NEXT) | instid1(VALU_DEP_1)
	v_cvt_f32_i32_e32 v5, v5
	v_fmac_f32_e32 v37, v6, v5
	s_cbranch_scc1 .LBB125_6
; %bb.7:                                ;   in Loop: Header=BB125_5 Depth=1
	s_add_co_i32 s10, s10, 4
	s_wait_loadcnt 0x0
	s_wait_alu 0xfffe
	s_cmp_ge_i32 s10, s15
	s_barrier_signal -1
	s_barrier_wait -1
	global_inv scope:SCOPE_SE
	s_cbranch_scc0 .LBB125_5
; %bb.8:
	v_dual_mov_b32 v1, v53 :: v_dual_mov_b32 v2, v54
.LBB125_9:
	s_mov_b32 s0, exec_lo
	v_cmpx_gt_u32_e64 s4, v58
	s_cbranch_execz .LBB125_60
; %bb.10:
	s_delay_alu instid0(VALU_DEP_2) | instskip(SKIP_1) | instid1(VALU_DEP_2)
	v_add_nc_u32_e32 v0, s14, v2
	v_mul_lo_u32 v5, v58, s6
	v_cmp_gt_u32_e32 vcc_lo, s6, v0
	s_and_saveexec_b32 s1, vcc_lo
	s_cbranch_execz .LBB125_12
; %bb.11:
	s_delay_alu instid0(VALU_DEP_2) | instskip(NEXT) | instid1(VALU_DEP_1)
	v_dual_mov_b32 v3, 0 :: v_dual_add_nc_u32 v2, v0, v5
	v_lshlrev_b64_e32 v[2:3], 2, v[2:3]
	s_wait_kmcnt 0x0
	s_delay_alu instid0(VALU_DEP_1) | instskip(NEXT) | instid1(VALU_DEP_1)
	v_add_co_u32 v2, s0, s8, v2
	v_add_co_ci_u32_e64 v3, null, s9, v3, s0
	global_store_b32 v[2:3], v64, off
.LBB125_12:
	s_or_b32 exec_lo, exec_lo, s1
	v_add_nc_u32_e32 v2, 32, v0
	s_delay_alu instid0(VALU_DEP_1)
	v_cmp_gt_u32_e64 s0, s6, v2
	s_and_saveexec_b32 s2, s0
	s_cbranch_execz .LBB125_14
; %bb.13:
	v_dual_mov_b32 v4, 0 :: v_dual_add_nc_u32 v3, v2, v5
	s_delay_alu instid0(VALU_DEP_1) | instskip(SKIP_1) | instid1(VALU_DEP_1)
	v_lshlrev_b64_e32 v[3:4], 2, v[3:4]
	s_wait_kmcnt 0x0
	v_add_co_u32 v3, s1, s8, v3
	s_wait_alu 0xf1ff
	s_delay_alu instid0(VALU_DEP_2)
	v_add_co_ci_u32_e64 v4, null, s9, v4, s1
	global_store_b32 v[3:4], v74, off
.LBB125_14:
	s_wait_alu 0xfffe
	s_or_b32 exec_lo, exec_lo, s2
	v_add_nc_u32_e32 v3, 64, v0
	s_delay_alu instid0(VALU_DEP_1)
	v_cmp_gt_u32_e64 s1, s6, v3
	s_and_saveexec_b32 s3, s1
	s_cbranch_execz .LBB125_16
; %bb.15:
	v_dual_mov_b32 v7, 0 :: v_dual_add_nc_u32 v6, v3, v5
	s_delay_alu instid0(VALU_DEP_1) | instskip(SKIP_1) | instid1(VALU_DEP_1)
	v_lshlrev_b64_e32 v[6:7], 2, v[6:7]
	s_wait_kmcnt 0x0
	v_add_co_u32 v6, s2, s8, v6
	s_wait_alu 0xf1ff
	s_delay_alu instid0(VALU_DEP_2)
	v_add_co_ci_u32_e64 v7, null, s9, v7, s2
	global_store_b32 v[6:7], v71, off
.LBB125_16:
	s_wait_alu 0xfffe
	;; [unrolled: 18-line block ×3, first 2 shown]
	s_or_b32 exec_lo, exec_lo, s5
	v_add3_u32 v5, v1, s7, 8
	s_delay_alu instid0(VALU_DEP_1)
	v_cmp_gt_u32_e64 s3, s4, v5
	s_and_b32 exec_lo, exec_lo, s3
	s_cbranch_execz .LBB125_60
; %bb.19:
	v_mul_lo_u32 v5, v5, s6
	s_and_saveexec_b32 s5, vcc_lo
	s_cbranch_execnz .LBB125_61
; %bb.20:
	s_wait_alu 0xfffe
	s_or_b32 exec_lo, exec_lo, s5
	s_and_saveexec_b32 s5, s0
	s_cbranch_execnz .LBB125_62
.LBB125_21:
	s_wait_alu 0xfffe
	s_or_b32 exec_lo, exec_lo, s5
	s_and_saveexec_b32 s5, s1
	s_cbranch_execnz .LBB125_63
.LBB125_22:
	s_wait_alu 0xfffe
	s_or_b32 exec_lo, exec_lo, s5
	s_and_saveexec_b32 s5, s2
	s_cbranch_execz .LBB125_24
.LBB125_23:
	v_dual_mov_b32 v6, 0 :: v_dual_add_nc_u32 v5, v5, v4
	s_delay_alu instid0(VALU_DEP_1) | instskip(SKIP_1) | instid1(VALU_DEP_1)
	v_lshlrev_b64_e32 v[5:6], 2, v[5:6]
	s_wait_kmcnt 0x0
	v_add_co_u32 v5, s3, s8, v5
	s_wait_alu 0xf1ff
	s_delay_alu instid0(VALU_DEP_2)
	v_add_co_ci_u32_e64 v6, null, s9, v6, s3
	global_store_b32 v[5:6], v65, off
.LBB125_24:
	s_wait_alu 0xfffe
	s_or_b32 exec_lo, exec_lo, s5
	v_add3_u32 v5, v1, s7, 16
	s_delay_alu instid0(VALU_DEP_1)
	v_cmp_gt_u32_e64 s3, s4, v5
	s_and_b32 exec_lo, exec_lo, s3
	s_cbranch_execz .LBB125_60
; %bb.25:
	v_mul_lo_u32 v5, v5, s6
	s_and_saveexec_b32 s5, vcc_lo
	s_cbranch_execnz .LBB125_64
; %bb.26:
	s_wait_alu 0xfffe
	s_or_b32 exec_lo, exec_lo, s5
	s_and_saveexec_b32 s5, s0
	s_cbranch_execnz .LBB125_65
.LBB125_27:
	s_wait_alu 0xfffe
	s_or_b32 exec_lo, exec_lo, s5
	s_and_saveexec_b32 s5, s1
	s_cbranch_execnz .LBB125_66
.LBB125_28:
	s_wait_alu 0xfffe
	s_or_b32 exec_lo, exec_lo, s5
	s_and_saveexec_b32 s5, s2
	s_cbranch_execz .LBB125_30
.LBB125_29:
	v_dual_mov_b32 v6, 0 :: v_dual_add_nc_u32 v5, v5, v4
	s_delay_alu instid0(VALU_DEP_1) | instskip(SKIP_1) | instid1(VALU_DEP_1)
	v_lshlrev_b64_e32 v[5:6], 2, v[5:6]
	s_wait_kmcnt 0x0
	v_add_co_u32 v5, s3, s8, v5
	s_wait_alu 0xf1ff
	s_delay_alu instid0(VALU_DEP_2)
	v_add_co_ci_u32_e64 v6, null, s9, v6, s3
	global_store_b32 v[5:6], v60, off
.LBB125_30:
	s_wait_alu 0xfffe
	s_or_b32 exec_lo, exec_lo, s5
	v_add3_u32 v5, v1, s7, 24
	s_delay_alu instid0(VALU_DEP_1)
	v_cmp_gt_u32_e64 s3, s4, v5
	s_and_b32 exec_lo, exec_lo, s3
	s_cbranch_execz .LBB125_60
; %bb.31:
	v_mul_lo_u32 v5, v5, s6
	s_and_saveexec_b32 s5, vcc_lo
	s_cbranch_execnz .LBB125_67
; %bb.32:
	s_wait_alu 0xfffe
	s_or_b32 exec_lo, exec_lo, s5
	s_and_saveexec_b32 s5, s0
	s_cbranch_execnz .LBB125_68
.LBB125_33:
	s_wait_alu 0xfffe
	s_or_b32 exec_lo, exec_lo, s5
	s_and_saveexec_b32 s5, s1
	s_cbranch_execnz .LBB125_69
.LBB125_34:
	s_wait_alu 0xfffe
	s_or_b32 exec_lo, exec_lo, s5
	s_and_saveexec_b32 s5, s2
	s_cbranch_execz .LBB125_36
.LBB125_35:
	v_dual_mov_b32 v6, 0 :: v_dual_add_nc_u32 v5, v5, v4
	s_delay_alu instid0(VALU_DEP_1) | instskip(SKIP_1) | instid1(VALU_DEP_1)
	v_lshlrev_b64_e32 v[5:6], 2, v[5:6]
	s_wait_kmcnt 0x0
	v_add_co_u32 v5, s3, s8, v5
	s_wait_alu 0xf1ff
	s_delay_alu instid0(VALU_DEP_2)
	v_add_co_ci_u32_e64 v6, null, s9, v6, s3
	global_store_b32 v[5:6], v55, off
.LBB125_36:
	s_wait_alu 0xfffe
	s_or_b32 exec_lo, exec_lo, s5
	v_add3_u32 v5, v1, s7, 32
	s_delay_alu instid0(VALU_DEP_1)
	v_cmp_gt_u32_e64 s3, s4, v5
	s_and_b32 exec_lo, exec_lo, s3
	s_cbranch_execz .LBB125_60
; %bb.37:
	v_mul_lo_u32 v5, v5, s6
	s_and_saveexec_b32 s5, vcc_lo
	s_cbranch_execnz .LBB125_70
; %bb.38:
	s_wait_alu 0xfffe
	s_or_b32 exec_lo, exec_lo, s5
	s_and_saveexec_b32 s5, s0
	s_cbranch_execnz .LBB125_71
.LBB125_39:
	s_wait_alu 0xfffe
	s_or_b32 exec_lo, exec_lo, s5
	s_and_saveexec_b32 s5, s1
	s_cbranch_execnz .LBB125_72
.LBB125_40:
	s_wait_alu 0xfffe
	s_or_b32 exec_lo, exec_lo, s5
	s_and_saveexec_b32 s5, s2
	s_cbranch_execz .LBB125_42
.LBB125_41:
	v_dual_mov_b32 v6, 0 :: v_dual_add_nc_u32 v5, v5, v4
	s_delay_alu instid0(VALU_DEP_1) | instskip(SKIP_1) | instid1(VALU_DEP_1)
	v_lshlrev_b64_e32 v[5:6], 2, v[5:6]
	s_wait_kmcnt 0x0
	v_add_co_u32 v5, s3, s8, v5
	s_wait_alu 0xf1ff
	s_delay_alu instid0(VALU_DEP_2)
	v_add_co_ci_u32_e64 v6, null, s9, v6, s3
	global_store_b32 v[5:6], v49, off
.LBB125_42:
	s_wait_alu 0xfffe
	s_or_b32 exec_lo, exec_lo, s5
	v_add3_u32 v5, v1, s7, 40
	s_delay_alu instid0(VALU_DEP_1)
	v_cmp_gt_u32_e64 s3, s4, v5
	s_and_b32 exec_lo, exec_lo, s3
	s_cbranch_execz .LBB125_60
; %bb.43:
	v_mul_lo_u32 v5, v5, s6
	s_and_saveexec_b32 s5, vcc_lo
	s_cbranch_execnz .LBB125_73
; %bb.44:
	s_wait_alu 0xfffe
	s_or_b32 exec_lo, exec_lo, s5
	s_and_saveexec_b32 s5, s0
	s_cbranch_execnz .LBB125_74
.LBB125_45:
	s_wait_alu 0xfffe
	s_or_b32 exec_lo, exec_lo, s5
	s_and_saveexec_b32 s5, s1
	s_cbranch_execnz .LBB125_75
.LBB125_46:
	s_wait_alu 0xfffe
	s_or_b32 exec_lo, exec_lo, s5
	s_and_saveexec_b32 s5, s2
	s_cbranch_execz .LBB125_48
.LBB125_47:
	v_dual_mov_b32 v6, 0 :: v_dual_add_nc_u32 v5, v5, v4
	s_delay_alu instid0(VALU_DEP_1) | instskip(SKIP_1) | instid1(VALU_DEP_1)
	v_lshlrev_b64_e32 v[5:6], 2, v[5:6]
	s_wait_kmcnt 0x0
	v_add_co_u32 v5, s3, s8, v5
	s_wait_alu 0xf1ff
	s_delay_alu instid0(VALU_DEP_2)
	v_add_co_ci_u32_e64 v6, null, s9, v6, s3
	global_store_b32 v[5:6], v45, off
.LBB125_48:
	s_wait_alu 0xfffe
	s_or_b32 exec_lo, exec_lo, s5
	v_add3_u32 v5, v1, s7, 48
	s_delay_alu instid0(VALU_DEP_1)
	v_cmp_gt_u32_e64 s3, s4, v5
	s_and_b32 exec_lo, exec_lo, s3
	s_cbranch_execz .LBB125_60
; %bb.49:
	v_mul_lo_u32 v5, v5, s6
	s_and_saveexec_b32 s5, vcc_lo
	s_cbranch_execnz .LBB125_76
; %bb.50:
	s_wait_alu 0xfffe
	s_or_b32 exec_lo, exec_lo, s5
	s_and_saveexec_b32 s5, s0
	s_cbranch_execnz .LBB125_77
.LBB125_51:
	s_wait_alu 0xfffe
	s_or_b32 exec_lo, exec_lo, s5
	s_and_saveexec_b32 s5, s1
	s_cbranch_execnz .LBB125_78
.LBB125_52:
	s_wait_alu 0xfffe
	s_or_b32 exec_lo, exec_lo, s5
	s_and_saveexec_b32 s5, s2
	s_cbranch_execz .LBB125_54
.LBB125_53:
	v_dual_mov_b32 v6, 0 :: v_dual_add_nc_u32 v5, v5, v4
	s_delay_alu instid0(VALU_DEP_1) | instskip(SKIP_1) | instid1(VALU_DEP_1)
	v_lshlrev_b64_e32 v[5:6], 2, v[5:6]
	s_wait_kmcnt 0x0
	v_add_co_u32 v5, s3, s8, v5
	s_wait_alu 0xf1ff
	s_delay_alu instid0(VALU_DEP_2)
	v_add_co_ci_u32_e64 v6, null, s9, v6, s3
	global_store_b32 v[5:6], v41, off
.LBB125_54:
	s_wait_alu 0xfffe
	s_or_b32 exec_lo, exec_lo, s5
	v_add3_u32 v1, v1, s7, 56
	s_delay_alu instid0(VALU_DEP_1)
	v_cmp_gt_u32_e64 s3, s4, v1
	s_and_b32 exec_lo, exec_lo, s3
	s_cbranch_execz .LBB125_60
; %bb.55:
	v_mul_lo_u32 v1, v1, s6
	s_and_saveexec_b32 s3, vcc_lo
	s_cbranch_execnz .LBB125_79
; %bb.56:
	s_wait_alu 0xfffe
	s_or_b32 exec_lo, exec_lo, s3
	s_and_saveexec_b32 s3, s0
	s_cbranch_execnz .LBB125_80
.LBB125_57:
	s_wait_alu 0xfffe
	s_or_b32 exec_lo, exec_lo, s3
	s_and_saveexec_b32 s0, s1
	s_cbranch_execnz .LBB125_81
.LBB125_58:
	s_wait_alu 0xfffe
	s_or_b32 exec_lo, exec_lo, s0
	s_delay_alu instid0(SALU_CYCLE_1)
	s_and_b32 exec_lo, exec_lo, s2
	s_cbranch_execz .LBB125_60
.LBB125_59:
	v_dual_mov_b32 v1, 0 :: v_dual_add_nc_u32 v0, v1, v4
	s_delay_alu instid0(VALU_DEP_1) | instskip(SKIP_1) | instid1(VALU_DEP_1)
	v_lshlrev_b64_e32 v[0:1], 2, v[0:1]
	s_wait_kmcnt 0x0
	v_add_co_u32 v0, vcc_lo, s8, v0
	s_wait_alu 0xfffd
	s_delay_alu instid0(VALU_DEP_2)
	v_add_co_ci_u32_e64 v1, null, s9, v1, vcc_lo
	global_store_b32 v[0:1], v37, off
.LBB125_60:
	s_nop 0
	s_sendmsg sendmsg(MSG_DEALLOC_VGPRS)
	s_endpgm
.LBB125_61:
	s_delay_alu instid0(VALU_DEP_1) | instskip(NEXT) | instid1(VALU_DEP_1)
	v_dual_mov_b32 v7, 0 :: v_dual_add_nc_u32 v6, v5, v0
	v_lshlrev_b64_e32 v[6:7], 2, v[6:7]
	s_wait_kmcnt 0x0
	s_delay_alu instid0(VALU_DEP_1) | instskip(SKIP_1) | instid1(VALU_DEP_2)
	v_add_co_u32 v6, s3, s8, v6
	s_wait_alu 0xf1ff
	v_add_co_ci_u32_e64 v7, null, s9, v7, s3
	global_store_b32 v[6:7], v68, off
	s_wait_alu 0xfffe
	s_or_b32 exec_lo, exec_lo, s5
	s_and_saveexec_b32 s5, s0
	s_cbranch_execz .LBB125_21
.LBB125_62:
	s_delay_alu instid0(VALU_DEP_1) | instskip(NEXT) | instid1(VALU_DEP_1)
	v_dual_mov_b32 v7, 0 :: v_dual_add_nc_u32 v6, v5, v2
	v_lshlrev_b64_e32 v[6:7], 2, v[6:7]
	s_wait_kmcnt 0x0
	s_delay_alu instid0(VALU_DEP_1) | instskip(SKIP_1) | instid1(VALU_DEP_2)
	v_add_co_u32 v6, s3, s8, v6
	s_wait_alu 0xf1ff
	v_add_co_ci_u32_e64 v7, null, s9, v7, s3
	global_store_b32 v[6:7], v67, off
	s_wait_alu 0xfffe
	s_or_b32 exec_lo, exec_lo, s5
	s_and_saveexec_b32 s5, s1
	s_cbranch_execz .LBB125_22
.LBB125_63:
	v_dual_mov_b32 v7, 0 :: v_dual_add_nc_u32 v6, v5, v3
	s_delay_alu instid0(VALU_DEP_1) | instskip(SKIP_1) | instid1(VALU_DEP_1)
	v_lshlrev_b64_e32 v[6:7], 2, v[6:7]
	s_wait_kmcnt 0x0
	v_add_co_u32 v6, s3, s8, v6
	s_wait_alu 0xf1ff
	s_delay_alu instid0(VALU_DEP_2)
	v_add_co_ci_u32_e64 v7, null, s9, v7, s3
	global_store_b32 v[6:7], v66, off
	s_wait_alu 0xfffe
	s_or_b32 exec_lo, exec_lo, s5
	s_and_saveexec_b32 s5, s2
	s_cbranch_execnz .LBB125_23
	s_branch .LBB125_24
.LBB125_64:
	s_delay_alu instid0(VALU_DEP_1) | instskip(NEXT) | instid1(VALU_DEP_1)
	v_dual_mov_b32 v7, 0 :: v_dual_add_nc_u32 v6, v5, v0
	v_lshlrev_b64_e32 v[6:7], 2, v[6:7]
	s_wait_kmcnt 0x0
	s_delay_alu instid0(VALU_DEP_1) | instskip(SKIP_1) | instid1(VALU_DEP_2)
	v_add_co_u32 v6, s3, s8, v6
	s_wait_alu 0xf1ff
	v_add_co_ci_u32_e64 v7, null, s9, v7, s3
	global_store_b32 v[6:7], v63, off
	s_wait_alu 0xfffe
	s_or_b32 exec_lo, exec_lo, s5
	s_and_saveexec_b32 s5, s0
	s_cbranch_execz .LBB125_27
.LBB125_65:
	s_delay_alu instid0(VALU_DEP_1) | instskip(NEXT) | instid1(VALU_DEP_1)
	v_dual_mov_b32 v7, 0 :: v_dual_add_nc_u32 v6, v5, v2
	v_lshlrev_b64_e32 v[6:7], 2, v[6:7]
	s_wait_kmcnt 0x0
	s_delay_alu instid0(VALU_DEP_1) | instskip(SKIP_1) | instid1(VALU_DEP_2)
	v_add_co_u32 v6, s3, s8, v6
	s_wait_alu 0xf1ff
	v_add_co_ci_u32_e64 v7, null, s9, v7, s3
	global_store_b32 v[6:7], v62, off
	s_wait_alu 0xfffe
	s_or_b32 exec_lo, exec_lo, s5
	s_and_saveexec_b32 s5, s1
	s_cbranch_execz .LBB125_28
.LBB125_66:
	v_dual_mov_b32 v7, 0 :: v_dual_add_nc_u32 v6, v5, v3
	s_delay_alu instid0(VALU_DEP_1) | instskip(SKIP_1) | instid1(VALU_DEP_1)
	v_lshlrev_b64_e32 v[6:7], 2, v[6:7]
	s_wait_kmcnt 0x0
	v_add_co_u32 v6, s3, s8, v6
	s_wait_alu 0xf1ff
	s_delay_alu instid0(VALU_DEP_2)
	v_add_co_ci_u32_e64 v7, null, s9, v7, s3
	global_store_b32 v[6:7], v61, off
	s_wait_alu 0xfffe
	s_or_b32 exec_lo, exec_lo, s5
	s_and_saveexec_b32 s5, s2
	s_cbranch_execnz .LBB125_29
	s_branch .LBB125_30
.LBB125_67:
	s_delay_alu instid0(VALU_DEP_1) | instskip(NEXT) | instid1(VALU_DEP_1)
	v_dual_mov_b32 v7, 0 :: v_dual_add_nc_u32 v6, v5, v0
	v_lshlrev_b64_e32 v[6:7], 2, v[6:7]
	s_wait_kmcnt 0x0
	s_delay_alu instid0(VALU_DEP_1) | instskip(SKIP_1) | instid1(VALU_DEP_2)
	v_add_co_u32 v6, s3, s8, v6
	s_wait_alu 0xf1ff
	v_add_co_ci_u32_e64 v7, null, s9, v7, s3
	global_store_b32 v[6:7], v59, off
	s_wait_alu 0xfffe
	s_or_b32 exec_lo, exec_lo, s5
	s_and_saveexec_b32 s5, s0
	s_cbranch_execz .LBB125_33
.LBB125_68:
	s_delay_alu instid0(VALU_DEP_1) | instskip(NEXT) | instid1(VALU_DEP_1)
	v_dual_mov_b32 v7, 0 :: v_dual_add_nc_u32 v6, v5, v2
	v_lshlrev_b64_e32 v[6:7], 2, v[6:7]
	s_wait_kmcnt 0x0
	s_delay_alu instid0(VALU_DEP_1) | instskip(SKIP_1) | instid1(VALU_DEP_2)
	v_add_co_u32 v6, s3, s8, v6
	s_wait_alu 0xf1ff
	v_add_co_ci_u32_e64 v7, null, s9, v7, s3
	global_store_b32 v[6:7], v57, off
	s_wait_alu 0xfffe
	s_or_b32 exec_lo, exec_lo, s5
	s_and_saveexec_b32 s5, s1
	s_cbranch_execz .LBB125_34
.LBB125_69:
	v_dual_mov_b32 v7, 0 :: v_dual_add_nc_u32 v6, v5, v3
	s_delay_alu instid0(VALU_DEP_1) | instskip(SKIP_1) | instid1(VALU_DEP_1)
	v_lshlrev_b64_e32 v[6:7], 2, v[6:7]
	s_wait_kmcnt 0x0
	v_add_co_u32 v6, s3, s8, v6
	s_wait_alu 0xf1ff
	s_delay_alu instid0(VALU_DEP_2)
	v_add_co_ci_u32_e64 v7, null, s9, v7, s3
	global_store_b32 v[6:7], v56, off
	s_wait_alu 0xfffe
	s_or_b32 exec_lo, exec_lo, s5
	s_and_saveexec_b32 s5, s2
	s_cbranch_execnz .LBB125_35
	s_branch .LBB125_36
.LBB125_70:
	s_delay_alu instid0(VALU_DEP_1) | instskip(NEXT) | instid1(VALU_DEP_1)
	v_dual_mov_b32 v7, 0 :: v_dual_add_nc_u32 v6, v5, v0
	v_lshlrev_b64_e32 v[6:7], 2, v[6:7]
	s_wait_kmcnt 0x0
	s_delay_alu instid0(VALU_DEP_1) | instskip(SKIP_1) | instid1(VALU_DEP_2)
	v_add_co_u32 v6, s3, s8, v6
	s_wait_alu 0xf1ff
	v_add_co_ci_u32_e64 v7, null, s9, v7, s3
	global_store_b32 v[6:7], v52, off
	s_wait_alu 0xfffe
	s_or_b32 exec_lo, exec_lo, s5
	s_and_saveexec_b32 s5, s0
	s_cbranch_execz .LBB125_39
.LBB125_71:
	s_delay_alu instid0(VALU_DEP_1) | instskip(NEXT) | instid1(VALU_DEP_1)
	v_dual_mov_b32 v7, 0 :: v_dual_add_nc_u32 v6, v5, v2
	v_lshlrev_b64_e32 v[6:7], 2, v[6:7]
	s_wait_kmcnt 0x0
	s_delay_alu instid0(VALU_DEP_1) | instskip(SKIP_1) | instid1(VALU_DEP_2)
	v_add_co_u32 v6, s3, s8, v6
	s_wait_alu 0xf1ff
	v_add_co_ci_u32_e64 v7, null, s9, v7, s3
	global_store_b32 v[6:7], v51, off
	s_wait_alu 0xfffe
	s_or_b32 exec_lo, exec_lo, s5
	s_and_saveexec_b32 s5, s1
	s_cbranch_execz .LBB125_40
.LBB125_72:
	v_dual_mov_b32 v7, 0 :: v_dual_add_nc_u32 v6, v5, v3
	s_delay_alu instid0(VALU_DEP_1) | instskip(SKIP_1) | instid1(VALU_DEP_1)
	v_lshlrev_b64_e32 v[6:7], 2, v[6:7]
	s_wait_kmcnt 0x0
	v_add_co_u32 v6, s3, s8, v6
	s_wait_alu 0xf1ff
	s_delay_alu instid0(VALU_DEP_2)
	v_add_co_ci_u32_e64 v7, null, s9, v7, s3
	global_store_b32 v[6:7], v50, off
	s_wait_alu 0xfffe
	s_or_b32 exec_lo, exec_lo, s5
	s_and_saveexec_b32 s5, s2
	s_cbranch_execnz .LBB125_41
	s_branch .LBB125_42
.LBB125_73:
	s_delay_alu instid0(VALU_DEP_1) | instskip(NEXT) | instid1(VALU_DEP_1)
	v_dual_mov_b32 v7, 0 :: v_dual_add_nc_u32 v6, v5, v0
	v_lshlrev_b64_e32 v[6:7], 2, v[6:7]
	s_wait_kmcnt 0x0
	s_delay_alu instid0(VALU_DEP_1) | instskip(SKIP_1) | instid1(VALU_DEP_2)
	v_add_co_u32 v6, s3, s8, v6
	s_wait_alu 0xf1ff
	v_add_co_ci_u32_e64 v7, null, s9, v7, s3
	global_store_b32 v[6:7], v48, off
	s_wait_alu 0xfffe
	s_or_b32 exec_lo, exec_lo, s5
	s_and_saveexec_b32 s5, s0
	s_cbranch_execz .LBB125_45
.LBB125_74:
	s_delay_alu instid0(VALU_DEP_1) | instskip(NEXT) | instid1(VALU_DEP_1)
	v_dual_mov_b32 v7, 0 :: v_dual_add_nc_u32 v6, v5, v2
	v_lshlrev_b64_e32 v[6:7], 2, v[6:7]
	s_wait_kmcnt 0x0
	s_delay_alu instid0(VALU_DEP_1) | instskip(SKIP_1) | instid1(VALU_DEP_2)
	v_add_co_u32 v6, s3, s8, v6
	s_wait_alu 0xf1ff
	v_add_co_ci_u32_e64 v7, null, s9, v7, s3
	global_store_b32 v[6:7], v47, off
	s_wait_alu 0xfffe
	s_or_b32 exec_lo, exec_lo, s5
	s_and_saveexec_b32 s5, s1
	s_cbranch_execz .LBB125_46
.LBB125_75:
	v_dual_mov_b32 v7, 0 :: v_dual_add_nc_u32 v6, v5, v3
	s_delay_alu instid0(VALU_DEP_1) | instskip(SKIP_1) | instid1(VALU_DEP_1)
	v_lshlrev_b64_e32 v[6:7], 2, v[6:7]
	s_wait_kmcnt 0x0
	v_add_co_u32 v6, s3, s8, v6
	s_wait_alu 0xf1ff
	s_delay_alu instid0(VALU_DEP_2)
	v_add_co_ci_u32_e64 v7, null, s9, v7, s3
	global_store_b32 v[6:7], v46, off
	s_wait_alu 0xfffe
	s_or_b32 exec_lo, exec_lo, s5
	s_and_saveexec_b32 s5, s2
	s_cbranch_execnz .LBB125_47
	s_branch .LBB125_48
.LBB125_76:
	s_delay_alu instid0(VALU_DEP_1) | instskip(NEXT) | instid1(VALU_DEP_1)
	v_dual_mov_b32 v7, 0 :: v_dual_add_nc_u32 v6, v5, v0
	v_lshlrev_b64_e32 v[6:7], 2, v[6:7]
	s_wait_kmcnt 0x0
	s_delay_alu instid0(VALU_DEP_1) | instskip(SKIP_1) | instid1(VALU_DEP_2)
	v_add_co_u32 v6, s3, s8, v6
	s_wait_alu 0xf1ff
	v_add_co_ci_u32_e64 v7, null, s9, v7, s3
	global_store_b32 v[6:7], v44, off
	s_wait_alu 0xfffe
	s_or_b32 exec_lo, exec_lo, s5
	s_and_saveexec_b32 s5, s0
	s_cbranch_execz .LBB125_51
.LBB125_77:
	s_delay_alu instid0(VALU_DEP_1) | instskip(NEXT) | instid1(VALU_DEP_1)
	v_dual_mov_b32 v7, 0 :: v_dual_add_nc_u32 v6, v5, v2
	v_lshlrev_b64_e32 v[6:7], 2, v[6:7]
	s_wait_kmcnt 0x0
	s_delay_alu instid0(VALU_DEP_1) | instskip(SKIP_1) | instid1(VALU_DEP_2)
	v_add_co_u32 v6, s3, s8, v6
	s_wait_alu 0xf1ff
	v_add_co_ci_u32_e64 v7, null, s9, v7, s3
	global_store_b32 v[6:7], v43, off
	s_wait_alu 0xfffe
	s_or_b32 exec_lo, exec_lo, s5
	s_and_saveexec_b32 s5, s1
	s_cbranch_execz .LBB125_52
.LBB125_78:
	v_dual_mov_b32 v7, 0 :: v_dual_add_nc_u32 v6, v5, v3
	s_delay_alu instid0(VALU_DEP_1) | instskip(SKIP_1) | instid1(VALU_DEP_1)
	v_lshlrev_b64_e32 v[6:7], 2, v[6:7]
	s_wait_kmcnt 0x0
	v_add_co_u32 v6, s3, s8, v6
	s_wait_alu 0xf1ff
	s_delay_alu instid0(VALU_DEP_2)
	v_add_co_ci_u32_e64 v7, null, s9, v7, s3
	global_store_b32 v[6:7], v42, off
	s_wait_alu 0xfffe
	s_or_b32 exec_lo, exec_lo, s5
	s_and_saveexec_b32 s5, s2
	s_cbranch_execnz .LBB125_53
	s_branch .LBB125_54
.LBB125_79:
	s_delay_alu instid0(VALU_DEP_1) | instskip(NEXT) | instid1(VALU_DEP_1)
	v_dual_mov_b32 v6, 0 :: v_dual_add_nc_u32 v5, v1, v0
	v_lshlrev_b64_e32 v[5:6], 2, v[5:6]
	s_wait_kmcnt 0x0
	s_delay_alu instid0(VALU_DEP_1) | instskip(SKIP_1) | instid1(VALU_DEP_2)
	v_add_co_u32 v5, vcc_lo, s8, v5
	s_wait_alu 0xfffd
	v_add_co_ci_u32_e64 v6, null, s9, v6, vcc_lo
	global_store_b32 v[5:6], v40, off
	s_wait_alu 0xfffe
	s_or_b32 exec_lo, exec_lo, s3
	s_and_saveexec_b32 s3, s0
	s_cbranch_execz .LBB125_57
.LBB125_80:
	s_delay_alu instid0(VALU_DEP_1) | instskip(NEXT) | instid1(VALU_DEP_1)
	v_dual_mov_b32 v6, 0 :: v_dual_add_nc_u32 v5, v1, v2
	v_lshlrev_b64_e32 v[5:6], 2, v[5:6]
	s_wait_kmcnt 0x0
	s_delay_alu instid0(VALU_DEP_1) | instskip(SKIP_1) | instid1(VALU_DEP_2)
	v_add_co_u32 v5, vcc_lo, s8, v5
	s_wait_alu 0xfffd
	v_add_co_ci_u32_e64 v6, null, s9, v6, vcc_lo
	global_store_b32 v[5:6], v39, off
	s_wait_alu 0xfffe
	s_or_b32 exec_lo, exec_lo, s3
	s_and_saveexec_b32 s0, s1
	s_cbranch_execz .LBB125_58
.LBB125_81:
	v_dual_mov_b32 v3, 0 :: v_dual_add_nc_u32 v2, v1, v3
	s_delay_alu instid0(VALU_DEP_1) | instskip(SKIP_1) | instid1(VALU_DEP_1)
	v_lshlrev_b64_e32 v[2:3], 2, v[2:3]
	s_wait_kmcnt 0x0
	v_add_co_u32 v2, vcc_lo, s8, v2
	s_wait_alu 0xfffd
	s_delay_alu instid0(VALU_DEP_2) | instskip(SKIP_3) | instid1(SALU_CYCLE_1)
	v_add_co_ci_u32_e64 v3, null, s9, v3, vcc_lo
	global_store_b32 v[2:3], v38, off
	s_wait_alu 0xfffe
	s_or_b32 exec_lo, exec_lo, s0
	s_and_b32 exec_lo, exec_lo, s2
	s_cbranch_execnz .LBB125_59
	s_branch .LBB125_60
	.section	.rodata,"a",@progbits
	.p2align	6, 0x0
	.amdhsa_kernel _ZL12mul_mat_q8_0IfLb0EEvPKvS1_PT_iiiii
		.amdhsa_group_segment_fixed_size 28224
		.amdhsa_private_segment_fixed_size 0
		.amdhsa_kernarg_size 44
		.amdhsa_user_sgpr_count 2
		.amdhsa_user_sgpr_dispatch_ptr 0
		.amdhsa_user_sgpr_queue_ptr 0
		.amdhsa_user_sgpr_kernarg_segment_ptr 1
		.amdhsa_user_sgpr_dispatch_id 0
		.amdhsa_user_sgpr_private_segment_size 0
		.amdhsa_wavefront_size32 1
		.amdhsa_uses_dynamic_stack 0
		.amdhsa_enable_private_segment 0
		.amdhsa_system_sgpr_workgroup_id_x 1
		.amdhsa_system_sgpr_workgroup_id_y 1
		.amdhsa_system_sgpr_workgroup_id_z 0
		.amdhsa_system_sgpr_workgroup_info 0
		.amdhsa_system_vgpr_workitem_id 1
		.amdhsa_next_free_vgpr 174
		.amdhsa_next_free_sgpr 21
		.amdhsa_reserve_vcc 1
		.amdhsa_float_round_mode_32 0
		.amdhsa_float_round_mode_16_64 0
		.amdhsa_float_denorm_mode_32 3
		.amdhsa_float_denorm_mode_16_64 3
		.amdhsa_fp16_overflow 0
		.amdhsa_workgroup_processor_mode 1
		.amdhsa_memory_ordered 1
		.amdhsa_forward_progress 1
		.amdhsa_inst_pref_size 81
		.amdhsa_round_robin_scheduling 0
		.amdhsa_exception_fp_ieee_invalid_op 0
		.amdhsa_exception_fp_denorm_src 0
		.amdhsa_exception_fp_ieee_div_zero 0
		.amdhsa_exception_fp_ieee_overflow 0
		.amdhsa_exception_fp_ieee_underflow 0
		.amdhsa_exception_fp_ieee_inexact 0
		.amdhsa_exception_int_div_zero 0
	.end_amdhsa_kernel
	.section	.text._ZL12mul_mat_q8_0IfLb0EEvPKvS1_PT_iiiii,"axG",@progbits,_ZL12mul_mat_q8_0IfLb0EEvPKvS1_PT_iiiii,comdat
.Lfunc_end125:
	.size	_ZL12mul_mat_q8_0IfLb0EEvPKvS1_PT_iiiii, .Lfunc_end125-_ZL12mul_mat_q8_0IfLb0EEvPKvS1_PT_iiiii
                                        ; -- End function
	.set _ZL12mul_mat_q8_0IfLb0EEvPKvS1_PT_iiiii.num_vgpr, 174
	.set _ZL12mul_mat_q8_0IfLb0EEvPKvS1_PT_iiiii.num_agpr, 0
	.set _ZL12mul_mat_q8_0IfLb0EEvPKvS1_PT_iiiii.numbered_sgpr, 21
	.set _ZL12mul_mat_q8_0IfLb0EEvPKvS1_PT_iiiii.num_named_barrier, 0
	.set _ZL12mul_mat_q8_0IfLb0EEvPKvS1_PT_iiiii.private_seg_size, 0
	.set _ZL12mul_mat_q8_0IfLb0EEvPKvS1_PT_iiiii.uses_vcc, 1
	.set _ZL12mul_mat_q8_0IfLb0EEvPKvS1_PT_iiiii.uses_flat_scratch, 0
	.set _ZL12mul_mat_q8_0IfLb0EEvPKvS1_PT_iiiii.has_dyn_sized_stack, 0
	.set _ZL12mul_mat_q8_0IfLb0EEvPKvS1_PT_iiiii.has_recursion, 0
	.set _ZL12mul_mat_q8_0IfLb0EEvPKvS1_PT_iiiii.has_indirect_call, 0
	.section	.AMDGPU.csdata,"",@progbits
; Kernel info:
; codeLenInByte = 10296
; TotalNumSgprs: 23
; NumVgprs: 174
; ScratchSize: 0
; MemoryBound: 0
; FloatMode: 240
; IeeeMode: 1
; LDSByteSize: 28224 bytes/workgroup (compile time only)
; SGPRBlocks: 0
; VGPRBlocks: 21
; NumSGPRsForWavesPerEU: 23
; NumVGPRsForWavesPerEU: 174
; Occupancy: 8
; WaveLimiterHint : 0
; COMPUTE_PGM_RSRC2:SCRATCH_EN: 0
; COMPUTE_PGM_RSRC2:USER_SGPR: 2
; COMPUTE_PGM_RSRC2:TRAP_HANDLER: 0
; COMPUTE_PGM_RSRC2:TGID_X_EN: 1
; COMPUTE_PGM_RSRC2:TGID_Y_EN: 1
; COMPUTE_PGM_RSRC2:TGID_Z_EN: 0
; COMPUTE_PGM_RSRC2:TIDIG_COMP_CNT: 1
	.section	.text._ZL12mul_mat_q8_0IfLb1EEvPKvS1_PT_iiiii,"axG",@progbits,_ZL12mul_mat_q8_0IfLb1EEvPKvS1_PT_iiiii,comdat
	.globl	_ZL12mul_mat_q8_0IfLb1EEvPKvS1_PT_iiiii ; -- Begin function _ZL12mul_mat_q8_0IfLb1EEvPKvS1_PT_iiiii
	.p2align	8
	.type	_ZL12mul_mat_q8_0IfLb1EEvPKvS1_PT_iiiii,@function
_ZL12mul_mat_q8_0IfLb1EEvPKvS1_PT_iiiii: ; @_ZL12mul_mat_q8_0IfLb1EEvPKvS1_PT_iiiii
; %bb.0:
	s_clause 0x1
	s_load_b128 s[4:7], s[0:1], 0x18
	s_load_b32 s12, s[0:1], 0x28
	v_bfe_u32 v66, v0, 10, 10
	v_and_b32_e32 v67, 0x3ff, v0
	s_lshl_b32 s13, ttmp7, 6
	s_wait_kmcnt 0x0
	s_cmp_gt_i32 s4, 31
	s_cbranch_scc1 .LBB126_2
; %bb.1:
	v_bfe_u32 v1, v0, 10, 10
	v_and_b32_e32 v2, 0x3ff, v0
	s_mov_b32 s2, 0
	s_delay_alu instid0(VALU_DEP_2)
	v_add_nc_u32_e32 v75, s13, v1
	s_branch .LBB126_3
.LBB126_2:
	s_mov_b32 s2, -1
                                        ; implicit-def: $vgpr1
                                        ; implicit-def: $vgpr2
                                        ; implicit-def: $vgpr75
.LBB126_3:
	s_load_b64 s[8:9], s[0:1], 0x10
	v_dual_mov_b32 v53, 0 :: v_dual_mov_b32 v72, 0
	v_dual_mov_b32 v57, 0 :: v_dual_mov_b32 v92, 0
	;; [unrolled: 1-line block ×15, first 2 shown]
	v_mov_b32_e32 v76, 0
	v_mov_b32_e32 v86, 0
	s_and_not1_b32 vcc_lo, exec_lo, s2
	s_lshl_b32 s14, ttmp9, 7
	s_cbranch_vccnz .LBB126_9
; %bb.4:
	s_not_b32 s16, s14
	v_dual_mov_b32 v71, 0 :: v_dual_add_nc_u32 v20, 8, v66
	s_ashr_i32 s10, s4, 31
	v_dual_mov_b32 v91, 0 :: v_dual_add_nc_u32 v34, 16, v66
	s_add_co_i32 s5, s5, s16
	v_dual_mov_b32 v70, 0 :: v_dual_add_nc_u32 v35, 24, v66
	v_dual_mov_b32 v60, 0 :: v_dual_add_nc_u32 v75, s13, v66
	s_lshr_b32 s10, s10, 27
	v_dual_mov_b32 v86, 0 :: v_dual_lshlrev_b32 v21, 2, v67
	v_min_i32_e32 v1, s5, v66
	s_add_co_i32 s4, s4, s10
	v_min_i32_e32 v3, s5, v20
	v_min_i32_e32 v4, s5, v34
	s_wait_alu 0xfffe
	s_ashr_i32 s15, s4, 5
	v_min_i32_e32 v5, s5, v35
	v_dual_mov_b32 v100, 0 :: v_dual_add_nc_u32 v9, 24, v75
	v_mul_lo_u32 v80, v1, s15
	v_mad_co_u64_u32 v[1:2], null, 0x84, v1, v[21:22]
	v_mul_lo_u32 v81, v3, s15
	v_mad_co_u64_u32 v[2:3], null, 0x84, v3, v[21:22]
	s_ashr_i32 s11, s7, 31
	v_mul_lo_u32 v83, v4, s15
	v_mad_co_u64_u32 v[3:4], null, 0x84, v4, v[21:22]
	v_mul_lo_u32 v84, v5, s15
	v_mad_co_u64_u32 v[4:5], null, 0x84, v5, v[21:22]
	v_cvt_f64_u32_e32 v[22:23], v9
	s_lshr_b32 s4, s11, 27
	v_dual_mov_b32 v56, 0 :: v_dual_add_nc_u32 v5, 8, v75
	s_wait_alu 0xfffe
	s_add_co_i32 s4, s7, s4
	s_add_co_i32 s7, s6, -1
	v_dual_mov_b32 v69, 0 :: v_dual_add_nc_u32 v8, 16, v75
	v_cvt_f64_i32_e32 v[12:13], s7
	v_cvt_f64_u32_e32 v[16:17], v5
	v_dual_mov_b32 v90, 0 :: v_dual_add_nc_u32 v5, 32, v75
	s_delay_alu instid0(VALU_DEP_4)
	v_cvt_f64_u32_e32 v[18:19], v8
	v_dual_mov_b32 v63, 0 :: v_dual_add_nc_u32 v8, 40, v75
	v_dual_mov_b32 v74, 0 :: v_dual_add_nc_u32 v9, 48, v75
	;; [unrolled: 1-line block ×4, first 2 shown]
	v_cvt_f64_u32_e32 v[24:25], v5
	v_dual_mov_b32 v64, 0 :: v_dual_add_nc_u32 v37, 40, v66
	v_cvt_f64_u32_e32 v[14:15], v75
	v_dual_mov_b32 v55, 0 :: v_dual_add_nc_u32 v38, 48, v66
	v_cvt_f64_u32_e32 v[26:27], v8
	v_cvt_f64_u32_e32 v[28:29], v9
	;; [unrolled: 1-line block ×3, first 2 shown]
	v_dual_mov_b32 v88, 0 :: v_dual_add_nc_u32 v39, 56, v66
	v_dual_mov_b32 v95, 0 :: v_dual_add_nc_u32 v10, 64, v66
	v_min_i32_e32 v6, s5, v36
	v_dual_mov_b32 v82, 0 :: v_dual_add_nc_u32 v11, 0x48, v66
	v_min_i32_e32 v7, s5, v37
	v_min_i32_e32 v8, s5, v38
	;; [unrolled: 1-line block ×4, first 2 shown]
	v_mul_lo_u32 v89, v6, s15
	v_mad_co_u64_u32 v[5:6], null, 0x84, v6, v[21:22]
	v_min_i32_e32 v11, s5, v11
	v_mul_lo_u32 v93, v7, s15
	v_mad_co_u64_u32 v[6:7], null, 0x84, v7, v[21:22]
	v_mul_lo_u32 v94, v8, s15
	v_mad_co_u64_u32 v[7:8], null, 0x84, v8, v[21:22]
	;; [unrolled: 2-line block ×5, first 2 shown]
	v_min_num_f64_e32 v[22:23], v[22:23], v[12:13]
	v_dual_mov_b32 v73, 0 :: v_dual_add_nc_u32 v32, 0x50, v66
	v_min_num_f64_e32 v[24:25], v[24:25], v[12:13]
	v_min_num_f64_e32 v[16:17], v[16:17], v[12:13]
	;; [unrolled: 1-line block ×3, first 2 shown]
	s_delay_alu instid0(VALU_DEP_4)
	v_min_i32_e32 v40, s5, v32
	v_min_num_f64_e32 v[32:33], v[14:15], v[12:13]
	v_min_num_f64_e32 v[26:27], v[26:27], v[12:13]
	;; [unrolled: 1-line block ×4, first 2 shown]
	v_dual_mov_b32 v68, 0 :: v_dual_add_nc_u32 v41, 0x58, v66
	v_dual_mov_b32 v62, 0 :: v_dual_add_nc_u32 v15, 0x60, v66
	v_mul_lo_u32 v99, v40, s15
	s_delay_alu instid0(VALU_DEP_3) | instskip(SKIP_1) | instid1(VALU_DEP_4)
	v_min_i32_e32 v14, s5, v41
	v_bfe_u32 v41, v0, 2, 8
	v_min_i32_e32 v15, s5, v15
	v_mov_b32_e32 v87, 0
	v_mov_b32_e32 v65, 0
	v_mul_lo_u32 v101, v14, s15
	v_lshl_add_u32 v41, v66, 3, v41
	v_mul_lo_u32 v102, v15, s15
	v_dual_mov_b32 v77, 0 :: v_dual_add_nc_u32 v42, 0x70, v66
	v_mov_b32_e32 v58, 0
	s_delay_alu instid0(VALU_DEP_4) | instskip(SKIP_1) | instid1(VALU_DEP_4)
	v_min_i32_e32 v43, s5, v41
	v_add_nc_u32_e32 v44, 64, v41
	v_min_i32_e32 v42, s5, v42
	v_dual_mov_b32 v61, 0 :: v_dual_mov_b32 v92, 0
	s_delay_alu instid0(VALU_DEP_4) | instskip(NEXT) | instid1(VALU_DEP_4)
	v_ashrrev_i32_e32 v45, 31, v43
	v_min_i32_e32 v44, s5, v44
	s_load_b128 s[0:3], s[0:1], 0x0
	v_dual_mov_b32 v54, 0 :: v_dual_mov_b32 v57, 0
	s_ashr_i32 s4, s4, 5
	v_mad_co_u64_u32 v[11:12], null, 0x84, v40, v[21:22]
	v_add_nc_u32_e32 v40, 0x68, v66
	v_mad_co_u64_u32 v[12:13], null, 0x84, v14, v[21:22]
	v_mad_co_u64_u32 v[13:14], null, 0x84, v15, v[21:22]
	s_delay_alu instid0(VALU_DEP_3)
	v_min_i32_e32 v40, s5, v40
	v_cvt_i32_f64_e32 v32, v[32:33]
	v_cvt_i32_f64_e32 v46, v[16:17]
	v_mov_b32_e32 v53, 0
	v_bfe_u32 v78, v0, 3, 7
	v_mad_co_u64_u32 v[14:15], null, 0x84, v40, v[21:22]
	v_cvt_i32_f64_e32 v22, v[22:23]
	v_mul_lo_u32 v103, v40, s15
	v_lshrrev_b32_e32 v40, 29, v45
	v_cvt_i32_f64_e32 v23, v[24:25]
	v_cvt_i32_f64_e32 v24, v[26:27]
	;; [unrolled: 1-line block ×4, first 2 shown]
	v_add_nc_u32_e32 v16, v43, v40
	v_cvt_i32_f64_e32 v40, v[18:19]
	v_ashrrev_i32_e32 v45, 31, v44
	v_add_nc_u32_e32 v15, 0x78, v66
	v_and_b32_e32 v29, 63, v41
	v_ashrrev_i32_e32 v18, 3, v16
	v_dual_mov_b32 v76, 0 :: v_dual_and_b32 v79, 28, v21
	v_lshrrev_b32_e32 v17, 29, v45
	v_min_i32_e32 v33, s5, v15
	v_and_b32_e32 v15, 3, v0
	v_dual_mov_b32 v72, 0 :: v_dual_lshlrev_b32 v27, 2, v18
	s_delay_alu instid0(VALU_DEP_4) | instskip(SKIP_1) | instid1(VALU_DEP_4)
	v_add_nc_u32_e32 v19, v44, v17
	v_and_b32_e32 v0, 31, v0
	v_lshlrev_b32_e32 v28, 2, v15
	v_mul_lo_u32 v105, v33, s15
	v_lshlrev_b32_e32 v30, 4, v43
	v_ashrrev_i32_e32 v19, 3, v19
	v_lshlrev_b32_e32 v109, 7, v66
	v_add3_u32 v27, v27, v28, 0x6200
	v_lshlrev_b32_e32 v111, 7, v20
	v_lshlrev_b32_e32 v113, 7, v34
	;; [unrolled: 1-line block ×4, first 2 shown]
	s_wait_alu 0xfffe
	v_mul_lo_u32 v108, s4, v32
	v_mul_lo_u32 v110, s4, v46
	v_lshlrev_b32_e32 v119, 7, v37
	v_lshlrev_b32_e32 v121, 7, v38
	;; [unrolled: 1-line block ×3, first 2 shown]
	s_mul_i32 s10, s15, s14
	v_mad_co_u64_u32 v[16:17], null, 0x84, v42, v[21:22]
	v_mad_co_u64_u32 v[17:18], null, 0x84, v33, v[21:22]
	v_lshlrev_b32_e32 v18, 2, v19
	v_or_b32_e32 v19, s13, v29
	v_mul_lo_u32 v114, s4, v22
	v_mul_lo_u32 v116, s4, v23
	v_add_nc_u32_e32 v22, 64, v67
	v_add3_u32 v31, v18, v28, 0x6200
	v_min_i32_e32 v18, s7, v19
	v_add_nc_u32_e32 v23, 0x60, v67
	v_mul_lo_u32 v112, s4, v40
	v_mul_lo_u32 v118, s4, v24
	;; [unrolled: 1-line block ×3, first 2 shown]
	v_mad_co_u64_u32 v[18:19], null, v18, s4, v[15:16]
	v_add_nc_u32_e32 v19, 32, v67
	v_mul_lo_u32 v122, s4, v26
	s_movk_i32 s4, 0x1080
	v_lshl_or_b32 v28, v29, 4, v28
	s_wait_alu 0xfffe
	v_mad_u32_u24 v133, 0x84, v67, s4
	s_movk_i32 s4, 0x2100
	v_lshlrev_b32_e32 v29, 4, v44
	v_lshl_or_b32 v33, v0, 2, 0x4200
	v_lshrrev_b32_e32 v24, 3, v19
	v_lshrrev_b32_e32 v25, 3, v22
	;; [unrolled: 1-line block ×3, first 2 shown]
	s_wait_alu 0xfffe
	v_mad_u32_u24 v135, 0x84, v67, s4
	s_movk_i32 s4, 0x3180
	v_mul_lo_u32 v104, v42, s15
	v_mul_lo_u32 v106, v43, s15
	;; [unrolled: 1-line block ×3, first 2 shown]
	v_lshlrev_b32_e32 v134, 4, v19
	s_wait_alu 0xfffe
	v_mad_u32_u24 v137, 0x84, v67, s4
	s_wait_kmcnt 0x0
	v_add_co_u32 v19, s4, s2, v79
	s_ashr_i32 s11, s10, 31
	v_add_nc_u32_e32 v0, 0x6a40, v28
	v_lshlrev_b32_e32 v124, 4, v66
	v_lshlrev_b32_e32 v125, 4, v20
	;; [unrolled: 1-line block ×8, first 2 shown]
	v_mul_u32_u24_e32 v132, 0x84, v67
	v_lshlrev_b32_e32 v136, 4, v22
	v_lshlrev_b32_e32 v138, 4, v23
	s_wait_alu 0xf1ff
	v_add_co_ci_u32_e64 v20, null, s3, 0, s4
	v_add_nc_u32_e32 v139, v27, v30
	v_add_nc_u32_e32 v140, v31, v29
	;; [unrolled: 1-line block ×10, first 2 shown]
	v_lshlrev_b32_e32 v149, 2, v78
	v_lshlrev_b32_e32 v150, 2, v21
	;; [unrolled: 1-line block ×5, first 2 shown]
	s_mul_u64 s[10:11], s[10:11], 34
	s_mov_b32 s5, 0
	s_add_nc_u64 s[0:1], s[0:1], s[10:11]
	s_wait_alu 0xfffe
	s_mov_b32 s4, s5
.LBB126_5:                              ; =>This Loop Header: Depth=1
                                        ;     Child Loop BB126_6 Depth 2
	s_wait_alu 0xfffe
	s_mul_u64 s[10:11], s[4:5], 34
	v_add_nc_u32_e32 v51, s4, v78
	s_wait_alu 0xfffe
	s_add_nc_u64 s[10:11], s[0:1], s[10:11]
	v_add_nc_u32_e32 v41, s4, v18
	s_wait_alu 0xfffe
	v_mad_co_u64_u32 v[21:22], null, v78, 34, s[10:11]
	s_mov_b32 s7, 0
	v_mad_co_u64_u32 v[41:42], null, v41, 36, s[2:3]
	v_mad_co_i64_i32 v[23:24], null, v80, 34, v[21:22]
	v_mad_co_i64_i32 v[25:26], null, v81, 34, v[21:22]
	;; [unrolled: 1-line block ×4, first 2 shown]
	s_delay_alu instid0(VALU_DEP_4)
	v_add_co_u32 v23, vcc_lo, v23, v79
	v_mad_co_i64_i32 v[31:32], null, v89, 34, v[21:22]
	s_wait_alu 0xfffd
	v_add_co_ci_u32_e64 v24, null, 0, v24, vcc_lo
	v_add_co_u32 v25, vcc_lo, v25, v79
	v_mad_co_i64_i32 v[33:34], null, v93, 34, v[21:22]
	s_wait_alu 0xfffd
	v_add_co_ci_u32_e64 v26, null, 0, v26, vcc_lo
	;; [unrolled: 4-line block ×4, first 2 shown]
	v_add_co_u32 v31, vcc_lo, v31, v79
	s_wait_alu 0xfffd
	v_add_co_ci_u32_e64 v32, null, 0, v32, vcc_lo
	v_add_co_u32 v33, vcc_lo, v33, v79
	s_wait_alu 0xfffd
	v_add_co_ci_u32_e64 v34, null, 0, v34, vcc_lo
	;; [unrolled: 3-line block ×3, first 2 shown]
	v_add_co_u32 v37, vcc_lo, v37, v79
	v_mad_co_i64_i32 v[39:40], null, v97, 34, v[21:22]
	s_wait_alu 0xfffd
	v_add_co_ci_u32_e64 v38, null, 0, v38, vcc_lo
	s_clause 0x7
	global_load_b32 v43, v[23:24], off offset:2
	global_load_b32 v44, v[25:26], off offset:2
	;; [unrolled: 1-line block ×8, first 2 shown]
	v_mad_co_i64_i32 v[23:24], null, v98, 34, v[21:22]
	v_mad_co_i64_i32 v[27:28], null, v99, 34, v[21:22]
	;; [unrolled: 1-line block ×3, first 2 shown]
	v_add_co_u32 v25, vcc_lo, v39, v79
	v_mad_co_i64_i32 v[31:32], null, v102, 34, v[21:22]
	s_wait_alu 0xfffd
	v_add_co_ci_u32_e64 v26, null, 0, v40, vcc_lo
	v_add_co_u32 v23, vcc_lo, v23, v79
	v_mad_co_i64_i32 v[33:34], null, v103, 34, v[21:22]
	s_wait_alu 0xfffd
	v_add_co_ci_u32_e64 v24, null, 0, v24, vcc_lo
	;; [unrolled: 4-line block ×4, first 2 shown]
	v_add_co_u32 v31, vcc_lo, v31, v79
	s_wait_alu 0xfffd
	v_add_co_ci_u32_e64 v32, null, 0, v32, vcc_lo
	v_add_co_u32 v33, vcc_lo, v33, v79
	v_mad_co_u64_u32 v[37:38], null, v15, 34, s[10:11]
	s_wait_alu 0xfffd
	v_add_co_ci_u32_e64 v34, null, 0, v34, vcc_lo
	v_add_co_u32 v35, vcc_lo, v35, v79
	s_wait_alu 0xfffd
	v_add_co_ci_u32_e64 v36, null, 0, v36, vcc_lo
	v_add_co_u32 v21, vcc_lo, v21, v79
	s_wait_alu 0xfffd
	v_add_co_ci_u32_e64 v22, null, 0, v22, vcc_lo
	s_clause 0x7
	global_load_b32 v52, v[25:26], off offset:2
	global_load_b32 v154, v[23:24], off offset:2
	;; [unrolled: 1-line block ×8, first 2 shown]
	v_add_nc_u32_e32 v21, v51, v108
	v_add_nc_u32_e32 v23, v51, v110
	;; [unrolled: 1-line block ×3, first 2 shown]
	v_mad_co_i64_i32 v[39:40], null, v106, 34, v[37:38]
	v_add_nc_u32_e32 v27, v51, v114
	v_mad_co_i64_i32 v[37:38], null, v107, 34, v[37:38]
	v_add_nc_u32_e32 v29, v51, v116
	;; [unrolled: 2-line block ×5, first 2 shown]
	v_mad_co_i64_i32 v[27:28], null, v27, 36, v[19:20]
	v_mad_co_i64_i32 v[29:30], null, v29, 36, v[19:20]
	;; [unrolled: 1-line block ×3, first 2 shown]
	s_clause 0x1
	global_load_u16 v39, v[39:40], off
	global_load_u16 v37, v[37:38], off
	global_load_b32 v38, v[41:42], off
	v_mad_co_i64_i32 v[33:34], null, v33, 36, v[19:20]
	v_mad_co_i64_i32 v[35:36], null, v35, 36, v[19:20]
	s_clause 0x7
	global_load_b32 v21, v[21:22], off offset:4
	global_load_b32 v22, v[23:24], off offset:4
	;; [unrolled: 1-line block ×8, first 2 shown]
	s_wait_loadcnt 0xa
	v_cvt_f32_f16_e32 v29, v39
	s_wait_loadcnt 0x9
	v_cvt_f32_f16_e32 v31, v37
	;; [unrolled: 2-line block ×3, first 2 shown]
	ds_store_b32 v1, v43
	ds_store_b32 v139, v29
	;; [unrolled: 1-line block ×18, first 2 shown]
	s_wait_loadcnt 0x7
	ds_store_b32 v141, v21
	s_wait_loadcnt 0x6
	ds_store_b32 v142, v22
	;; [unrolled: 2-line block ×8, first 2 shown]
	ds_store_b32 v0, v30
	s_wait_dscnt 0x0
	s_barrier_signal -1
	s_barrier_wait -1
	global_inv scope:SCOPE_SE
.LBB126_6:                              ;   Parent Loop BB126_5 Depth=1
                                        ; =>  This Inner Loop Header: Depth=2
	s_wait_alu 0xfffe
	s_lshr_b32 s17, s7, 1
	s_lshl_b32 s16, s7, 2
	s_wait_alu 0xfffe
	s_add_co_i32 s11, s17, 0x6a40
	s_addk_co_i32 s17, 0x6200
	s_wait_alu 0xfffe
	v_add_nc_u32_e32 v22, s11, v124
	s_add_co_i32 s10, s16, 0x4200
	v_add3_u32 v23, s17, v149, v150
	s_wait_alu 0xfffe
	v_add_nc_u32_e32 v52, s10, v111
	ds_load_b32 v45, v22
	v_add_nc_u32_e32 v21, s10, v109
	v_add_nc_u32_e32 v22, s16, v132
	ds_load_b32 v155, v23
	ds_load_b128 v[47:50], v21
	ds_load_b128 v[158:161], v21 offset:16
	ds_load_2addr_b32 v[27:28], v22 offset1:1
	ds_load_2addr_b32 v[25:26], v22 offset0:2 offset1:3
	ds_load_2addr_b32 v[23:24], v22 offset0:4 offset1:5
	ds_load_2addr_b32 v[21:22], v22 offset0:6 offset1:7
	s_wait_dscnt 0x5
	v_perm_b32 v31, v50, v49, 0x5010c0c
	v_perm_b32 v32, v50, v49, 0x7030c0c
	s_wait_dscnt 0x3
	v_perm_b32 v29, v27, v28, 0xc0c0501
	s_wait_dscnt 0x2
	v_perm_b32 v30, v26, v25, 0x5010c0c
	v_perm_b32 v33, v50, v49, 0x4000c0c
	;; [unrolled: 1-line block ×4, first 2 shown]
	s_delay_alu instid0(VALU_DEP_4) | instskip(SKIP_1) | instid1(VALU_DEP_1)
	v_or_b32_e32 v29, v30, v29
	v_perm_b32 v30, v47, v48, 0xc0c0501
	v_or_b32_e32 v30, v31, v30
	v_perm_b32 v31, v26, v25, 0x7030c0c
	s_delay_alu instid0(VALU_DEP_2) | instskip(SKIP_1) | instid1(VALU_DEP_1)
	v_dot4_i32_iu8 v29, v29, v30, 0 neg_lo:[1,1,0]
	v_perm_b32 v30, v27, v28, 0xc0c0703
	v_or_b32_e32 v30, v31, v30
	v_perm_b32 v31, v47, v48, 0xc0c0703
	s_delay_alu instid0(VALU_DEP_1) | instskip(SKIP_1) | instid1(VALU_DEP_2)
	v_or_b32_e32 v31, v32, v31
	v_perm_b32 v32, v26, v25, 0x4000c0c
	v_dot4_i32_iu8 v30, v30, v31, 0 neg_lo:[1,1,0]
	v_perm_b32 v31, v27, v28, 0xc0c0400
	s_delay_alu instid0(VALU_DEP_1) | instskip(SKIP_1) | instid1(VALU_DEP_1)
	v_or_b32_e32 v31, v32, v31
	v_perm_b32 v32, v47, v48, 0xc0c0400
	v_or_b32_e32 v32, v33, v32
	v_perm_b32 v33, v26, v25, 0x6020c0c
	s_delay_alu instid0(VALU_DEP_2) | instskip(SKIP_1) | instid1(VALU_DEP_1)
	v_dot4_i32_iu8 v31, v31, v32, 0 neg_lo:[1,1,0]
	v_perm_b32 v32, v27, v28, 0xc0c0602
	v_or_b32_e32 v32, v33, v32
	v_perm_b32 v33, v47, v48, 0xc0c0602
	s_delay_alu instid0(VALU_DEP_1) | instskip(SKIP_2) | instid1(VALU_DEP_2)
	v_or_b32_e32 v33, v34, v33
	s_wait_dscnt 0x0
	v_perm_b32 v34, v22, v21, 0x6020c0c
	v_dot4_i32_iu8 v32, v32, v33, 0 neg_lo:[1,1,0]
	v_perm_b32 v33, v24, v23, 0xc0c0602
	s_delay_alu instid0(VALU_DEP_1) | instskip(SKIP_1) | instid1(VALU_DEP_1)
	v_or_b32_e32 v33, v34, v33
	v_perm_b32 v34, v159, v158, 0xc0c0602
	v_or_b32_e32 v34, v35, v34
	v_perm_b32 v35, v161, v160, 0x4000c0c
	s_delay_alu instid0(VALU_DEP_2) | instskip(SKIP_2) | instid1(VALU_DEP_1)
	v_dot4_i32_iu8 v32, v33, v34, v32 neg_lo:[1,1,0]
	v_perm_b32 v33, v24, v23, 0xc0c0400
	v_perm_b32 v34, v22, v21, 0x4000c0c
	v_or_b32_e32 v33, v34, v33
	v_perm_b32 v34, v159, v158, 0xc0c0400
	s_delay_alu instid0(VALU_DEP_1) | instskip(SKIP_1) | instid1(VALU_DEP_2)
	v_or_b32_e32 v34, v35, v34
	v_perm_b32 v35, v161, v160, 0x7030c0c
	v_dot4_i32_iu8 v31, v33, v34, v31 neg_lo:[1,1,0]
	v_perm_b32 v33, v24, v23, 0xc0c0703
	v_perm_b32 v34, v22, v21, 0x7030c0c
	s_delay_alu instid0(VALU_DEP_1) | instskip(SKIP_1) | instid1(VALU_DEP_1)
	v_or_b32_e32 v33, v34, v33
	v_perm_b32 v34, v159, v158, 0xc0c0703
	v_or_b32_e32 v34, v35, v34
	v_perm_b32 v35, v161, v160, 0x5010c0c
	s_delay_alu instid0(VALU_DEP_2) | instskip(SKIP_2) | instid1(VALU_DEP_1)
	v_dot4_i32_iu8 v30, v33, v34, v30 neg_lo:[1,1,0]
	v_perm_b32 v33, v24, v23, 0xc0c0501
	v_perm_b32 v34, v22, v21, 0x5010c0c
	v_or_b32_e32 v33, v34, v33
	v_perm_b32 v34, v159, v158, 0xc0c0501
	s_delay_alu instid0(VALU_DEP_1) | instskip(NEXT) | instid1(VALU_DEP_1)
	v_or_b32_e32 v34, v35, v34
	v_dot4_i32_iu8 v29, v33, v34, v29 neg_lo:[1,1,0]
	s_delay_alu instid0(VALU_DEP_1) | instskip(SKIP_1) | instid1(VALU_DEP_2)
	v_add_nc_u32_e32 v29, v29, v30
	v_mul_f32_e32 v30, v45, v155
	v_add3_u32 v29, v31, v32, v29
	s_delay_alu instid0(VALU_DEP_1) | instskip(NEXT) | instid1(VALU_DEP_1)
	v_cvt_f32_i32_e32 v29, v29
	v_fmac_f32_e32 v71, v30, v29
	v_add3_u32 v29, s17, v151, v134
	v_add3_u32 v30, s17, v152, v136
	ds_load_b32 v157, v29
	v_add_nc_u32_e32 v29, s16, v135
	ds_load_b32 v156, v30
	ds_load_2addr_b32 v[33:34], v29 offset1:1
	ds_load_2addr_b32 v[35:36], v29 offset0:2 offset1:3
	ds_load_2addr_b32 v[31:32], v29 offset0:4 offset1:5
	ds_load_2addr_b32 v[29:30], v29 offset0:6 offset1:7
	v_add_nc_u32_e32 v51, s16, v133
	s_wait_dscnt 0x5
	v_mul_f32_e32 v170, v45, v157
	s_wait_dscnt 0x4
	v_mul_f32_e32 v38, v45, v156
	s_wait_dscnt 0x3
	v_dot4_i32_iu8 v37, v47, v33, 0 neg_lo:[1,1,0]
	s_delay_alu instid0(VALU_DEP_1) | instskip(SKIP_1) | instid1(VALU_DEP_1)
	v_dot4_i32_iu8 v37, v48, v34, v37 neg_lo:[1,1,0]
	s_wait_dscnt 0x2
	v_dot4_i32_iu8 v37, v49, v35, v37 neg_lo:[1,1,0]
	s_delay_alu instid0(VALU_DEP_1) | instskip(SKIP_1) | instid1(VALU_DEP_1)
	v_dot4_i32_iu8 v37, v50, v36, v37 neg_lo:[1,1,0]
	;; [unrolled: 4-line block ×3, first 2 shown]
	s_wait_dscnt 0x0
	v_dot4_i32_iu8 v37, v160, v29, v37 neg_lo:[1,1,0]
	s_delay_alu instid0(VALU_DEP_1) | instskip(NEXT) | instid1(VALU_DEP_1)
	v_dot4_i32_iu8 v37, v161, v30, v37 neg_lo:[1,1,0]
	v_cvt_f32_i32_e32 v37, v37
	s_delay_alu instid0(VALU_DEP_1)
	v_fmac_f32_e32 v95, v38, v37
	v_add3_u32 v38, s17, v153, v138
	v_add_nc_u32_e32 v37, s16, v137
	ds_load_b32 v154, v38
	ds_load_2addr_b32 v[41:42], v37 offset1:1
	ds_load_2addr_b32 v[43:44], v37 offset0:2 offset1:3
	ds_load_2addr_b32 v[39:40], v37 offset0:4 offset1:5
	;; [unrolled: 1-line block ×3, first 2 shown]
	s_wait_dscnt 0x4
	v_mul_f32_e32 v45, v45, v154
	s_wait_dscnt 0x3
	v_dot4_i32_iu8 v46, v47, v41, 0 neg_lo:[1,1,0]
	s_delay_alu instid0(VALU_DEP_1) | instskip(SKIP_1) | instid1(VALU_DEP_1)
	v_dot4_i32_iu8 v46, v48, v42, v46 neg_lo:[1,1,0]
	s_wait_dscnt 0x2
	v_dot4_i32_iu8 v46, v49, v43, v46 neg_lo:[1,1,0]
	s_delay_alu instid0(VALU_DEP_1) | instskip(SKIP_1) | instid1(VALU_DEP_1)
	v_dot4_i32_iu8 v46, v50, v44, v46 neg_lo:[1,1,0]
	;; [unrolled: 4-line block ×3, first 2 shown]
	s_wait_dscnt 0x0
	v_dot4_i32_iu8 v46, v160, v37, v46 neg_lo:[1,1,0]
	s_delay_alu instid0(VALU_DEP_1) | instskip(NEXT) | instid1(VALU_DEP_1)
	v_dot4_i32_iu8 v46, v161, v38, v46 neg_lo:[1,1,0]
	v_cvt_f32_i32_e32 v46, v46
	s_delay_alu instid0(VALU_DEP_1)
	v_dual_fmac_f32 v92, v45, v46 :: v_dual_add_nc_u32 v45, s11, v125
	ds_load_b32 v171, v45
	ds_load_2addr_b32 v[45:46], v51 offset1:1
	ds_load_b128 v[162:165], v52
	ds_load_b128 v[166:169], v52 offset:16
	s_wait_dscnt 0x3
	v_mul_f32_e32 v172, v155, v171
	s_wait_dscnt 0x2
	v_dot4_i32_iu8 v47, v45, v47, 0 neg_lo:[1,1,0]
	s_wait_dscnt 0x1
	v_dot4_i32_iu8 v52, v162, v27, 0 neg_lo:[1,1,0]
	s_delay_alu instid0(VALU_DEP_2) | instskip(SKIP_2) | instid1(VALU_DEP_1)
	v_dot4_i32_iu8 v173, v46, v48, v47 neg_lo:[1,1,0]
	ds_load_2addr_b32 v[47:48], v51 offset0:2 offset1:3
	v_dot4_i32_iu8 v52, v163, v28, v52 neg_lo:[1,1,0]
	v_dot4_i32_iu8 v52, v164, v25, v52 neg_lo:[1,1,0]
	s_delay_alu instid0(VALU_DEP_1) | instskip(SKIP_1) | instid1(VALU_DEP_1)
	v_dot4_i32_iu8 v52, v165, v26, v52 neg_lo:[1,1,0]
	s_wait_dscnt 0x1
	v_dot4_i32_iu8 v52, v166, v23, v52 neg_lo:[1,1,0]
	s_wait_dscnt 0x0
	v_dot4_i32_iu8 v49, v47, v49, v173 neg_lo:[1,1,0]
	s_delay_alu instid0(VALU_DEP_1) | instskip(SKIP_4) | instid1(VALU_DEP_2)
	v_dot4_i32_iu8 v173, v48, v50, v49 neg_lo:[1,1,0]
	ds_load_2addr_b32 v[49:50], v51 offset0:4 offset1:5
	s_wait_dscnt 0x0
	v_dot4_i32_iu8 v158, v49, v158, v173 neg_lo:[1,1,0]
	v_perm_b32 v173, v169, v168, 0x6020c0c
	v_dot4_i32_iu8 v158, v50, v159, v158 neg_lo:[1,1,0]
	v_dot4_i32_iu8 v159, v167, v24, v52 neg_lo:[1,1,0]
	ds_load_2addr_b32 v[51:52], v51 offset0:6 offset1:7
	v_dot4_i32_iu8 v159, v168, v21, v159 neg_lo:[1,1,0]
	s_wait_dscnt 0x0
	v_dot4_i32_iu8 v158, v51, v160, v158 neg_lo:[1,1,0]
	v_perm_b32 v160, v165, v164, 0x5010c0c
	s_delay_alu instid0(VALU_DEP_2) | instskip(SKIP_1) | instid1(VALU_DEP_2)
	v_dot4_i32_iu8 v158, v52, v161, v158 neg_lo:[1,1,0]
	v_perm_b32 v161, v165, v164, 0x7030c0c
	v_cvt_f32_i32_e32 v158, v158
	s_delay_alu instid0(VALU_DEP_1) | instskip(SKIP_3) | instid1(VALU_DEP_3)
	v_fmac_f32_e32 v100, v170, v158
	v_dot4_i32_iu8 v158, v169, v22, v159 neg_lo:[1,1,0]
	v_perm_b32 v159, v48, v47, 0x5010c0c
	v_perm_b32 v170, v165, v164, 0x4000c0c
	v_cvt_f32_i32_e32 v158, v158
	s_delay_alu instid0(VALU_DEP_1) | instskip(SKIP_2) | instid1(VALU_DEP_2)
	v_fmac_f32_e32 v91, v172, v158
	v_perm_b32 v158, v45, v46, 0xc0c0501
	v_perm_b32 v172, v165, v164, 0x6020c0c
	v_or_b32_e32 v158, v159, v158
	v_perm_b32 v159, v162, v163, 0xc0c0501
	s_delay_alu instid0(VALU_DEP_1) | instskip(SKIP_1) | instid1(VALU_DEP_2)
	v_or_b32_e32 v159, v160, v159
	v_perm_b32 v160, v48, v47, 0x7030c0c
	v_dot4_i32_iu8 v158, v159, v158, 0 neg_lo:[1,1,0]
	v_perm_b32 v159, v45, v46, 0xc0c0703
	s_delay_alu instid0(VALU_DEP_1) | instskip(SKIP_1) | instid1(VALU_DEP_1)
	v_or_b32_e32 v159, v160, v159
	v_perm_b32 v160, v162, v163, 0xc0c0703
	v_or_b32_e32 v160, v161, v160
	v_perm_b32 v161, v48, v47, 0x4000c0c
	s_delay_alu instid0(VALU_DEP_2) | instskip(SKIP_1) | instid1(VALU_DEP_1)
	v_dot4_i32_iu8 v159, v160, v159, 0 neg_lo:[1,1,0]
	v_perm_b32 v160, v45, v46, 0xc0c0400
	v_or_b32_e32 v160, v161, v160
	v_perm_b32 v161, v162, v163, 0xc0c0400
	s_delay_alu instid0(VALU_DEP_1) | instskip(SKIP_1) | instid1(VALU_DEP_2)
	v_or_b32_e32 v161, v170, v161
	v_perm_b32 v170, v48, v47, 0x6020c0c
	v_dot4_i32_iu8 v160, v161, v160, 0 neg_lo:[1,1,0]
	v_perm_b32 v161, v45, v46, 0xc0c0602
	s_delay_alu instid0(VALU_DEP_1) | instskip(SKIP_1) | instid1(VALU_DEP_1)
	v_or_b32_e32 v161, v170, v161
	v_perm_b32 v170, v162, v163, 0xc0c0602
	v_or_b32_e32 v170, v172, v170
	v_perm_b32 v172, v52, v51, 0x6020c0c
	s_delay_alu instid0(VALU_DEP_2) | instskip(SKIP_1) | instid1(VALU_DEP_1)
	v_dot4_i32_iu8 v161, v170, v161, 0 neg_lo:[1,1,0]
	v_perm_b32 v170, v50, v49, 0xc0c0602
	v_or_b32_e32 v170, v172, v170
	v_perm_b32 v172, v167, v166, 0xc0c0602
	s_delay_alu instid0(VALU_DEP_1) | instskip(SKIP_1) | instid1(VALU_DEP_2)
	v_or_b32_e32 v172, v173, v172
	v_perm_b32 v173, v169, v168, 0x4000c0c
	v_dot4_i32_iu8 v161, v172, v170, v161 neg_lo:[1,1,0]
	v_perm_b32 v170, v50, v49, 0xc0c0400
	v_perm_b32 v172, v52, v51, 0x4000c0c
	s_delay_alu instid0(VALU_DEP_1) | instskip(SKIP_1) | instid1(VALU_DEP_1)
	v_or_b32_e32 v170, v172, v170
	v_perm_b32 v172, v167, v166, 0xc0c0400
	v_or_b32_e32 v172, v173, v172
	v_perm_b32 v173, v169, v168, 0x7030c0c
	s_delay_alu instid0(VALU_DEP_2) | instskip(SKIP_2) | instid1(VALU_DEP_1)
	v_dot4_i32_iu8 v160, v172, v170, v160 neg_lo:[1,1,0]
	v_perm_b32 v170, v50, v49, 0xc0c0703
	v_perm_b32 v172, v52, v51, 0x7030c0c
	v_or_b32_e32 v170, v172, v170
	v_perm_b32 v172, v167, v166, 0xc0c0703
	s_delay_alu instid0(VALU_DEP_1) | instskip(SKIP_1) | instid1(VALU_DEP_2)
	v_or_b32_e32 v172, v173, v172
	v_perm_b32 v173, v169, v168, 0x5010c0c
	v_dot4_i32_iu8 v159, v172, v170, v159 neg_lo:[1,1,0]
	v_perm_b32 v170, v50, v49, 0xc0c0501
	v_perm_b32 v172, v52, v51, 0x5010c0c
	s_delay_alu instid0(VALU_DEP_1) | instskip(SKIP_1) | instid1(VALU_DEP_1)
	v_or_b32_e32 v170, v172, v170
	v_perm_b32 v172, v167, v166, 0xc0c0501
	v_or_b32_e32 v172, v173, v172
	s_delay_alu instid0(VALU_DEP_1) | instskip(NEXT) | instid1(VALU_DEP_1)
	v_dot4_i32_iu8 v158, v172, v170, v158 neg_lo:[1,1,0]
	v_add_nc_u32_e32 v158, v158, v159
	v_mul_f32_e32 v159, v157, v171
	s_delay_alu instid0(VALU_DEP_2) | instskip(NEXT) | instid1(VALU_DEP_1)
	v_add3_u32 v158, v160, v161, v158
	v_cvt_f32_i32_e32 v158, v158
	s_delay_alu instid0(VALU_DEP_1) | instskip(SKIP_1) | instid1(VALU_DEP_1)
	v_dual_fmac_f32 v90, v159, v158 :: v_dual_mul_f32 v159, v156, v171
	v_dot4_i32_iu8 v158, v162, v33, 0 neg_lo:[1,1,0]
	v_dot4_i32_iu8 v158, v163, v34, v158 neg_lo:[1,1,0]
	s_delay_alu instid0(VALU_DEP_1) | instskip(NEXT) | instid1(VALU_DEP_1)
	v_dot4_i32_iu8 v158, v164, v35, v158 neg_lo:[1,1,0]
	v_dot4_i32_iu8 v158, v165, v36, v158 neg_lo:[1,1,0]
	s_delay_alu instid0(VALU_DEP_1) | instskip(NEXT) | instid1(VALU_DEP_1)
	;; [unrolled: 3-line block ×4, first 2 shown]
	v_cvt_f32_i32_e32 v158, v158
	v_dual_fmac_f32 v88, v159, v158 :: v_dual_mul_f32 v159, v154, v171
	v_dot4_i32_iu8 v158, v162, v41, 0 neg_lo:[1,1,0]
	v_add_nc_u32_e32 v162, s10, v113
	s_delay_alu instid0(VALU_DEP_2) | instskip(NEXT) | instid1(VALU_DEP_1)
	v_dot4_i32_iu8 v158, v163, v42, v158 neg_lo:[1,1,0]
	v_dot4_i32_iu8 v158, v164, v43, v158 neg_lo:[1,1,0]
	s_delay_alu instid0(VALU_DEP_1) | instskip(NEXT) | instid1(VALU_DEP_1)
	v_dot4_i32_iu8 v158, v165, v44, v158 neg_lo:[1,1,0]
	v_dot4_i32_iu8 v158, v166, v39, v158 neg_lo:[1,1,0]
	s_delay_alu instid0(VALU_DEP_1) | instskip(NEXT) | instid1(VALU_DEP_1)
	;; [unrolled: 3-line block ×3, first 2 shown]
	v_dot4_i32_iu8 v158, v169, v38, v158 neg_lo:[1,1,0]
	v_cvt_f32_i32_e32 v158, v158
	s_delay_alu instid0(VALU_DEP_1)
	v_fmac_f32_e32 v87, v159, v158
	v_add_nc_u32_e32 v158, s11, v126
	ds_load_b32 v166, v158
	ds_load_b128 v[158:161], v162
	ds_load_b128 v[162:165], v162 offset:16
	s_wait_dscnt 0x2
	v_mul_f32_e32 v168, v155, v166
	s_wait_dscnt 0x1
	v_dot4_i32_iu8 v167, v27, v158, 0 neg_lo:[1,1,0]
	s_delay_alu instid0(VALU_DEP_1) | instskip(NEXT) | instid1(VALU_DEP_1)
	v_dot4_i32_iu8 v167, v28, v159, v167 neg_lo:[1,1,0]
	v_dot4_i32_iu8 v167, v25, v160, v167 neg_lo:[1,1,0]
	s_delay_alu instid0(VALU_DEP_1) | instskip(SKIP_1) | instid1(VALU_DEP_1)
	v_dot4_i32_iu8 v167, v26, v161, v167 neg_lo:[1,1,0]
	s_wait_dscnt 0x0
	v_dot4_i32_iu8 v167, v23, v162, v167 neg_lo:[1,1,0]
	s_delay_alu instid0(VALU_DEP_1) | instskip(NEXT) | instid1(VALU_DEP_1)
	v_dot4_i32_iu8 v167, v24, v163, v167 neg_lo:[1,1,0]
	v_dot4_i32_iu8 v167, v21, v164, v167 neg_lo:[1,1,0]
	s_delay_alu instid0(VALU_DEP_1) | instskip(NEXT) | instid1(VALU_DEP_1)
	v_dot4_i32_iu8 v167, v22, v165, v167 neg_lo:[1,1,0]
	v_cvt_f32_i32_e32 v167, v167
	s_delay_alu instid0(VALU_DEP_1) | instskip(SKIP_2) | instid1(VALU_DEP_2)
	v_fmac_f32_e32 v86, v168, v167
	v_dot4_i32_iu8 v167, v45, v158, 0 neg_lo:[1,1,0]
	v_mul_f32_e32 v168, v157, v166
	v_dot4_i32_iu8 v167, v46, v159, v167 neg_lo:[1,1,0]
	s_delay_alu instid0(VALU_DEP_1) | instskip(NEXT) | instid1(VALU_DEP_1)
	v_dot4_i32_iu8 v167, v47, v160, v167 neg_lo:[1,1,0]
	v_dot4_i32_iu8 v167, v48, v161, v167 neg_lo:[1,1,0]
	s_delay_alu instid0(VALU_DEP_1) | instskip(NEXT) | instid1(VALU_DEP_1)
	v_dot4_i32_iu8 v167, v49, v162, v167 neg_lo:[1,1,0]
	;; [unrolled: 3-line block ×3, first 2 shown]
	v_dot4_i32_iu8 v167, v52, v165, v167 neg_lo:[1,1,0]
	s_delay_alu instid0(VALU_DEP_1) | instskip(NEXT) | instid1(VALU_DEP_1)
	v_cvt_f32_i32_e32 v167, v167
	v_fmac_f32_e32 v85, v168, v167
	v_dot4_i32_iu8 v167, v158, v33, 0 neg_lo:[1,1,0]
	v_dot4_i32_iu8 v158, v158, v41, 0 neg_lo:[1,1,0]
	v_mul_f32_e32 v168, v156, v166
	s_delay_alu instid0(VALU_DEP_3) | instskip(NEXT) | instid1(VALU_DEP_3)
	v_dot4_i32_iu8 v167, v159, v34, v167 neg_lo:[1,1,0]
	v_dot4_i32_iu8 v158, v159, v42, v158 neg_lo:[1,1,0]
	v_mul_f32_e32 v159, v154, v166
	s_delay_alu instid0(VALU_DEP_3) | instskip(NEXT) | instid1(VALU_DEP_3)
	v_dot4_i32_iu8 v167, v160, v35, v167 neg_lo:[1,1,0]
	v_dot4_i32_iu8 v158, v160, v43, v158 neg_lo:[1,1,0]
	s_delay_alu instid0(VALU_DEP_2) | instskip(NEXT) | instid1(VALU_DEP_2)
	v_dot4_i32_iu8 v167, v161, v36, v167 neg_lo:[1,1,0]
	v_dot4_i32_iu8 v158, v161, v44, v158 neg_lo:[1,1,0]
	s_delay_alu instid0(VALU_DEP_2) | instskip(NEXT) | instid1(VALU_DEP_2)
	v_dot4_i32_iu8 v167, v162, v31, v167 neg_lo:[1,1,0]
	v_dot4_i32_iu8 v158, v162, v39, v158 neg_lo:[1,1,0]
	v_add_nc_u32_e32 v162, s10, v115
	s_delay_alu instid0(VALU_DEP_3) | instskip(NEXT) | instid1(VALU_DEP_3)
	v_dot4_i32_iu8 v167, v163, v32, v167 neg_lo:[1,1,0]
	v_dot4_i32_iu8 v158, v163, v40, v158 neg_lo:[1,1,0]
	s_delay_alu instid0(VALU_DEP_2) | instskip(NEXT) | instid1(VALU_DEP_2)
	v_dot4_i32_iu8 v167, v164, v29, v167 neg_lo:[1,1,0]
	v_dot4_i32_iu8 v158, v164, v37, v158 neg_lo:[1,1,0]
	s_delay_alu instid0(VALU_DEP_2) | instskip(NEXT) | instid1(VALU_DEP_2)
	;; [unrolled: 3-line block ×3, first 2 shown]
	v_cvt_f32_i32_e32 v167, v167
	v_cvt_f32_i32_e32 v158, v158
	s_delay_alu instid0(VALU_DEP_1)
	v_dual_fmac_f32 v82, v168, v167 :: v_dual_fmac_f32 v77, v159, v158
	v_add_nc_u32_e32 v158, s11, v127
	ds_load_b32 v166, v158
	ds_load_b128 v[158:161], v162
	ds_load_b128 v[162:165], v162 offset:16
	s_wait_dscnt 0x2
	v_mul_f32_e32 v168, v155, v166
	s_wait_dscnt 0x1
	v_dot4_i32_iu8 v167, v27, v158, 0 neg_lo:[1,1,0]
	s_delay_alu instid0(VALU_DEP_1) | instskip(NEXT) | instid1(VALU_DEP_1)
	v_dot4_i32_iu8 v167, v28, v159, v167 neg_lo:[1,1,0]
	v_dot4_i32_iu8 v167, v25, v160, v167 neg_lo:[1,1,0]
	s_delay_alu instid0(VALU_DEP_1) | instskip(SKIP_1) | instid1(VALU_DEP_1)
	v_dot4_i32_iu8 v167, v26, v161, v167 neg_lo:[1,1,0]
	s_wait_dscnt 0x0
	v_dot4_i32_iu8 v167, v23, v162, v167 neg_lo:[1,1,0]
	s_delay_alu instid0(VALU_DEP_1) | instskip(NEXT) | instid1(VALU_DEP_1)
	v_dot4_i32_iu8 v167, v24, v163, v167 neg_lo:[1,1,0]
	v_dot4_i32_iu8 v167, v21, v164, v167 neg_lo:[1,1,0]
	s_delay_alu instid0(VALU_DEP_1) | instskip(NEXT) | instid1(VALU_DEP_1)
	v_dot4_i32_iu8 v167, v22, v165, v167 neg_lo:[1,1,0]
	v_cvt_f32_i32_e32 v167, v167
	s_delay_alu instid0(VALU_DEP_1) | instskip(SKIP_2) | instid1(VALU_DEP_2)
	v_fmac_f32_e32 v76, v168, v167
	v_dot4_i32_iu8 v167, v45, v158, 0 neg_lo:[1,1,0]
	v_mul_f32_e32 v168, v157, v166
	v_dot4_i32_iu8 v167, v46, v159, v167 neg_lo:[1,1,0]
	s_delay_alu instid0(VALU_DEP_1) | instskip(NEXT) | instid1(VALU_DEP_1)
	v_dot4_i32_iu8 v167, v47, v160, v167 neg_lo:[1,1,0]
	v_dot4_i32_iu8 v167, v48, v161, v167 neg_lo:[1,1,0]
	s_delay_alu instid0(VALU_DEP_1) | instskip(NEXT) | instid1(VALU_DEP_1)
	v_dot4_i32_iu8 v167, v49, v162, v167 neg_lo:[1,1,0]
	;; [unrolled: 3-line block ×3, first 2 shown]
	v_dot4_i32_iu8 v167, v52, v165, v167 neg_lo:[1,1,0]
	s_delay_alu instid0(VALU_DEP_1) | instskip(NEXT) | instid1(VALU_DEP_1)
	v_cvt_f32_i32_e32 v167, v167
	v_fmac_f32_e32 v74, v168, v167
	v_dot4_i32_iu8 v167, v158, v33, 0 neg_lo:[1,1,0]
	v_dot4_i32_iu8 v158, v158, v41, 0 neg_lo:[1,1,0]
	v_mul_f32_e32 v168, v156, v166
	s_delay_alu instid0(VALU_DEP_3) | instskip(NEXT) | instid1(VALU_DEP_3)
	v_dot4_i32_iu8 v167, v159, v34, v167 neg_lo:[1,1,0]
	v_dot4_i32_iu8 v158, v159, v42, v158 neg_lo:[1,1,0]
	v_mul_f32_e32 v159, v154, v166
	s_delay_alu instid0(VALU_DEP_3) | instskip(NEXT) | instid1(VALU_DEP_3)
	v_dot4_i32_iu8 v167, v160, v35, v167 neg_lo:[1,1,0]
	v_dot4_i32_iu8 v158, v160, v43, v158 neg_lo:[1,1,0]
	s_delay_alu instid0(VALU_DEP_2) | instskip(NEXT) | instid1(VALU_DEP_2)
	v_dot4_i32_iu8 v167, v161, v36, v167 neg_lo:[1,1,0]
	v_dot4_i32_iu8 v158, v161, v44, v158 neg_lo:[1,1,0]
	s_delay_alu instid0(VALU_DEP_2) | instskip(NEXT) | instid1(VALU_DEP_2)
	v_dot4_i32_iu8 v167, v162, v31, v167 neg_lo:[1,1,0]
	v_dot4_i32_iu8 v158, v162, v39, v158 neg_lo:[1,1,0]
	v_add_nc_u32_e32 v162, s10, v117
	s_delay_alu instid0(VALU_DEP_3) | instskip(NEXT) | instid1(VALU_DEP_3)
	v_dot4_i32_iu8 v167, v163, v32, v167 neg_lo:[1,1,0]
	v_dot4_i32_iu8 v158, v163, v40, v158 neg_lo:[1,1,0]
	s_delay_alu instid0(VALU_DEP_2) | instskip(NEXT) | instid1(VALU_DEP_2)
	v_dot4_i32_iu8 v167, v164, v29, v167 neg_lo:[1,1,0]
	v_dot4_i32_iu8 v158, v164, v37, v158 neg_lo:[1,1,0]
	s_delay_alu instid0(VALU_DEP_2) | instskip(NEXT) | instid1(VALU_DEP_2)
	;; [unrolled: 3-line block ×3, first 2 shown]
	v_cvt_f32_i32_e32 v167, v167
	v_cvt_f32_i32_e32 v158, v158
	s_delay_alu instid0(VALU_DEP_1)
	v_dual_fmac_f32 v73, v168, v167 :: v_dual_fmac_f32 v72, v159, v158
	v_add_nc_u32_e32 v158, s11, v128
	ds_load_b32 v166, v158
	ds_load_b128 v[158:161], v162
	ds_load_b128 v[162:165], v162 offset:16
	s_wait_dscnt 0x2
	v_mul_f32_e32 v168, v155, v166
	s_wait_dscnt 0x1
	v_dot4_i32_iu8 v167, v27, v158, 0 neg_lo:[1,1,0]
	s_delay_alu instid0(VALU_DEP_1) | instskip(NEXT) | instid1(VALU_DEP_1)
	v_dot4_i32_iu8 v167, v28, v159, v167 neg_lo:[1,1,0]
	v_dot4_i32_iu8 v167, v25, v160, v167 neg_lo:[1,1,0]
	s_delay_alu instid0(VALU_DEP_1) | instskip(SKIP_1) | instid1(VALU_DEP_1)
	v_dot4_i32_iu8 v167, v26, v161, v167 neg_lo:[1,1,0]
	s_wait_dscnt 0x0
	v_dot4_i32_iu8 v167, v23, v162, v167 neg_lo:[1,1,0]
	s_delay_alu instid0(VALU_DEP_1) | instskip(NEXT) | instid1(VALU_DEP_1)
	v_dot4_i32_iu8 v167, v24, v163, v167 neg_lo:[1,1,0]
	v_dot4_i32_iu8 v167, v21, v164, v167 neg_lo:[1,1,0]
	s_delay_alu instid0(VALU_DEP_1) | instskip(NEXT) | instid1(VALU_DEP_1)
	v_dot4_i32_iu8 v167, v22, v165, v167 neg_lo:[1,1,0]
	v_cvt_f32_i32_e32 v167, v167
	s_delay_alu instid0(VALU_DEP_1) | instskip(SKIP_2) | instid1(VALU_DEP_2)
	v_fmac_f32_e32 v70, v168, v167
	v_dot4_i32_iu8 v167, v45, v158, 0 neg_lo:[1,1,0]
	v_mul_f32_e32 v168, v157, v166
	v_dot4_i32_iu8 v167, v46, v159, v167 neg_lo:[1,1,0]
	s_delay_alu instid0(VALU_DEP_1) | instskip(NEXT) | instid1(VALU_DEP_1)
	v_dot4_i32_iu8 v167, v47, v160, v167 neg_lo:[1,1,0]
	v_dot4_i32_iu8 v167, v48, v161, v167 neg_lo:[1,1,0]
	s_delay_alu instid0(VALU_DEP_1) | instskip(NEXT) | instid1(VALU_DEP_1)
	v_dot4_i32_iu8 v167, v49, v162, v167 neg_lo:[1,1,0]
	;; [unrolled: 3-line block ×3, first 2 shown]
	v_dot4_i32_iu8 v167, v52, v165, v167 neg_lo:[1,1,0]
	s_delay_alu instid0(VALU_DEP_1) | instskip(NEXT) | instid1(VALU_DEP_1)
	v_cvt_f32_i32_e32 v167, v167
	v_fmac_f32_e32 v69, v168, v167
	v_dot4_i32_iu8 v167, v158, v33, 0 neg_lo:[1,1,0]
	v_dot4_i32_iu8 v158, v158, v41, 0 neg_lo:[1,1,0]
	v_mul_f32_e32 v168, v156, v166
	s_delay_alu instid0(VALU_DEP_3) | instskip(NEXT) | instid1(VALU_DEP_3)
	v_dot4_i32_iu8 v167, v159, v34, v167 neg_lo:[1,1,0]
	v_dot4_i32_iu8 v158, v159, v42, v158 neg_lo:[1,1,0]
	v_mul_f32_e32 v159, v154, v166
	s_delay_alu instid0(VALU_DEP_3) | instskip(NEXT) | instid1(VALU_DEP_3)
	v_dot4_i32_iu8 v167, v160, v35, v167 neg_lo:[1,1,0]
	v_dot4_i32_iu8 v158, v160, v43, v158 neg_lo:[1,1,0]
	s_delay_alu instid0(VALU_DEP_2) | instskip(NEXT) | instid1(VALU_DEP_2)
	v_dot4_i32_iu8 v167, v161, v36, v167 neg_lo:[1,1,0]
	v_dot4_i32_iu8 v158, v161, v44, v158 neg_lo:[1,1,0]
	s_delay_alu instid0(VALU_DEP_2) | instskip(NEXT) | instid1(VALU_DEP_2)
	v_dot4_i32_iu8 v167, v162, v31, v167 neg_lo:[1,1,0]
	v_dot4_i32_iu8 v158, v162, v39, v158 neg_lo:[1,1,0]
	v_add_nc_u32_e32 v162, s10, v119
	s_delay_alu instid0(VALU_DEP_3) | instskip(NEXT) | instid1(VALU_DEP_3)
	v_dot4_i32_iu8 v167, v163, v32, v167 neg_lo:[1,1,0]
	v_dot4_i32_iu8 v158, v163, v40, v158 neg_lo:[1,1,0]
	s_delay_alu instid0(VALU_DEP_2) | instskip(NEXT) | instid1(VALU_DEP_2)
	v_dot4_i32_iu8 v167, v164, v29, v167 neg_lo:[1,1,0]
	v_dot4_i32_iu8 v158, v164, v37, v158 neg_lo:[1,1,0]
	s_delay_alu instid0(VALU_DEP_2) | instskip(NEXT) | instid1(VALU_DEP_2)
	;; [unrolled: 3-line block ×3, first 2 shown]
	v_cvt_f32_i32_e32 v167, v167
	v_cvt_f32_i32_e32 v158, v158
	s_delay_alu instid0(VALU_DEP_1)
	v_dual_fmac_f32 v68, v168, v167 :: v_dual_fmac_f32 v65, v159, v158
	v_add_nc_u32_e32 v158, s11, v129
	ds_load_b32 v166, v158
	ds_load_b128 v[158:161], v162
	ds_load_b128 v[162:165], v162 offset:16
	s_wait_dscnt 0x2
	v_mul_f32_e32 v168, v155, v166
	s_wait_dscnt 0x1
	v_dot4_i32_iu8 v167, v27, v158, 0 neg_lo:[1,1,0]
	s_delay_alu instid0(VALU_DEP_1) | instskip(NEXT) | instid1(VALU_DEP_1)
	v_dot4_i32_iu8 v167, v28, v159, v167 neg_lo:[1,1,0]
	v_dot4_i32_iu8 v167, v25, v160, v167 neg_lo:[1,1,0]
	s_delay_alu instid0(VALU_DEP_1) | instskip(SKIP_1) | instid1(VALU_DEP_1)
	v_dot4_i32_iu8 v167, v26, v161, v167 neg_lo:[1,1,0]
	s_wait_dscnt 0x0
	v_dot4_i32_iu8 v167, v23, v162, v167 neg_lo:[1,1,0]
	s_delay_alu instid0(VALU_DEP_1) | instskip(NEXT) | instid1(VALU_DEP_1)
	v_dot4_i32_iu8 v167, v24, v163, v167 neg_lo:[1,1,0]
	v_dot4_i32_iu8 v167, v21, v164, v167 neg_lo:[1,1,0]
	s_delay_alu instid0(VALU_DEP_1) | instskip(NEXT) | instid1(VALU_DEP_1)
	v_dot4_i32_iu8 v167, v22, v165, v167 neg_lo:[1,1,0]
	v_cvt_f32_i32_e32 v167, v167
	s_delay_alu instid0(VALU_DEP_1) | instskip(SKIP_2) | instid1(VALU_DEP_2)
	v_fmac_f32_e32 v64, v168, v167
	v_dot4_i32_iu8 v167, v45, v158, 0 neg_lo:[1,1,0]
	v_mul_f32_e32 v168, v157, v166
	v_dot4_i32_iu8 v167, v46, v159, v167 neg_lo:[1,1,0]
	s_delay_alu instid0(VALU_DEP_1) | instskip(NEXT) | instid1(VALU_DEP_1)
	v_dot4_i32_iu8 v167, v47, v160, v167 neg_lo:[1,1,0]
	v_dot4_i32_iu8 v167, v48, v161, v167 neg_lo:[1,1,0]
	s_delay_alu instid0(VALU_DEP_1) | instskip(NEXT) | instid1(VALU_DEP_1)
	v_dot4_i32_iu8 v167, v49, v162, v167 neg_lo:[1,1,0]
	;; [unrolled: 3-line block ×3, first 2 shown]
	v_dot4_i32_iu8 v167, v52, v165, v167 neg_lo:[1,1,0]
	s_delay_alu instid0(VALU_DEP_1) | instskip(NEXT) | instid1(VALU_DEP_1)
	v_cvt_f32_i32_e32 v167, v167
	v_fmac_f32_e32 v63, v168, v167
	v_dot4_i32_iu8 v167, v158, v33, 0 neg_lo:[1,1,0]
	v_dot4_i32_iu8 v158, v158, v41, 0 neg_lo:[1,1,0]
	v_mul_f32_e32 v168, v156, v166
	s_delay_alu instid0(VALU_DEP_3) | instskip(NEXT) | instid1(VALU_DEP_3)
	v_dot4_i32_iu8 v167, v159, v34, v167 neg_lo:[1,1,0]
	v_dot4_i32_iu8 v158, v159, v42, v158 neg_lo:[1,1,0]
	v_mul_f32_e32 v159, v154, v166
	s_delay_alu instid0(VALU_DEP_3) | instskip(NEXT) | instid1(VALU_DEP_3)
	v_dot4_i32_iu8 v167, v160, v35, v167 neg_lo:[1,1,0]
	v_dot4_i32_iu8 v158, v160, v43, v158 neg_lo:[1,1,0]
	s_delay_alu instid0(VALU_DEP_2) | instskip(NEXT) | instid1(VALU_DEP_2)
	v_dot4_i32_iu8 v167, v161, v36, v167 neg_lo:[1,1,0]
	v_dot4_i32_iu8 v158, v161, v44, v158 neg_lo:[1,1,0]
	s_delay_alu instid0(VALU_DEP_2) | instskip(NEXT) | instid1(VALU_DEP_2)
	v_dot4_i32_iu8 v167, v162, v31, v167 neg_lo:[1,1,0]
	v_dot4_i32_iu8 v158, v162, v39, v158 neg_lo:[1,1,0]
	v_add_nc_u32_e32 v162, s10, v121
	s_delay_alu instid0(VALU_DEP_3) | instskip(NEXT) | instid1(VALU_DEP_3)
	v_dot4_i32_iu8 v167, v163, v32, v167 neg_lo:[1,1,0]
	v_dot4_i32_iu8 v158, v163, v40, v158 neg_lo:[1,1,0]
	s_delay_alu instid0(VALU_DEP_2) | instskip(NEXT) | instid1(VALU_DEP_2)
	v_dot4_i32_iu8 v167, v164, v29, v167 neg_lo:[1,1,0]
	v_dot4_i32_iu8 v158, v164, v37, v158 neg_lo:[1,1,0]
	s_delay_alu instid0(VALU_DEP_2) | instskip(NEXT) | instid1(VALU_DEP_2)
	;; [unrolled: 3-line block ×3, first 2 shown]
	v_cvt_f32_i32_e32 v167, v167
	v_cvt_f32_i32_e32 v158, v158
	s_delay_alu instid0(VALU_DEP_1)
	v_dual_fmac_f32 v62, v168, v167 :: v_dual_fmac_f32 v61, v159, v158
	v_add_nc_u32_e32 v158, s11, v130
	ds_load_b32 v166, v158
	ds_load_b128 v[158:161], v162
	ds_load_b128 v[162:165], v162 offset:16
	s_wait_dscnt 0x2
	v_mul_f32_e32 v168, v155, v166
	s_wait_dscnt 0x1
	v_dot4_i32_iu8 v167, v27, v158, 0 neg_lo:[1,1,0]
	s_delay_alu instid0(VALU_DEP_1) | instskip(NEXT) | instid1(VALU_DEP_1)
	v_dot4_i32_iu8 v167, v28, v159, v167 neg_lo:[1,1,0]
	v_dot4_i32_iu8 v167, v25, v160, v167 neg_lo:[1,1,0]
	s_delay_alu instid0(VALU_DEP_1) | instskip(SKIP_1) | instid1(VALU_DEP_1)
	v_dot4_i32_iu8 v167, v26, v161, v167 neg_lo:[1,1,0]
	s_wait_dscnt 0x0
	v_dot4_i32_iu8 v167, v23, v162, v167 neg_lo:[1,1,0]
	s_delay_alu instid0(VALU_DEP_1) | instskip(NEXT) | instid1(VALU_DEP_1)
	v_dot4_i32_iu8 v167, v24, v163, v167 neg_lo:[1,1,0]
	v_dot4_i32_iu8 v167, v21, v164, v167 neg_lo:[1,1,0]
	s_delay_alu instid0(VALU_DEP_1) | instskip(NEXT) | instid1(VALU_DEP_1)
	v_dot4_i32_iu8 v167, v22, v165, v167 neg_lo:[1,1,0]
	v_cvt_f32_i32_e32 v167, v167
	s_delay_alu instid0(VALU_DEP_1) | instskip(SKIP_2) | instid1(VALU_DEP_2)
	v_fmac_f32_e32 v60, v168, v167
	v_dot4_i32_iu8 v167, v45, v158, 0 neg_lo:[1,1,0]
	v_mul_f32_e32 v168, v157, v166
	v_dot4_i32_iu8 v167, v46, v159, v167 neg_lo:[1,1,0]
	s_delay_alu instid0(VALU_DEP_1) | instskip(NEXT) | instid1(VALU_DEP_1)
	v_dot4_i32_iu8 v167, v47, v160, v167 neg_lo:[1,1,0]
	v_dot4_i32_iu8 v167, v48, v161, v167 neg_lo:[1,1,0]
	s_delay_alu instid0(VALU_DEP_1) | instskip(NEXT) | instid1(VALU_DEP_1)
	v_dot4_i32_iu8 v167, v49, v162, v167 neg_lo:[1,1,0]
	;; [unrolled: 3-line block ×3, first 2 shown]
	v_dot4_i32_iu8 v167, v52, v165, v167 neg_lo:[1,1,0]
	s_delay_alu instid0(VALU_DEP_1) | instskip(NEXT) | instid1(VALU_DEP_1)
	v_cvt_f32_i32_e32 v167, v167
	v_fmac_f32_e32 v59, v168, v167
	v_dot4_i32_iu8 v167, v158, v33, 0 neg_lo:[1,1,0]
	v_dot4_i32_iu8 v158, v158, v41, 0 neg_lo:[1,1,0]
	v_mul_f32_e32 v168, v156, v166
	s_delay_alu instid0(VALU_DEP_3) | instskip(NEXT) | instid1(VALU_DEP_3)
	v_dot4_i32_iu8 v167, v159, v34, v167 neg_lo:[1,1,0]
	v_dot4_i32_iu8 v158, v159, v42, v158 neg_lo:[1,1,0]
	v_mul_f32_e32 v159, v154, v166
	s_delay_alu instid0(VALU_DEP_3) | instskip(NEXT) | instid1(VALU_DEP_3)
	v_dot4_i32_iu8 v167, v160, v35, v167 neg_lo:[1,1,0]
	v_dot4_i32_iu8 v158, v160, v43, v158 neg_lo:[1,1,0]
	s_delay_alu instid0(VALU_DEP_2) | instskip(NEXT) | instid1(VALU_DEP_2)
	v_dot4_i32_iu8 v167, v161, v36, v167 neg_lo:[1,1,0]
	v_dot4_i32_iu8 v158, v161, v44, v158 neg_lo:[1,1,0]
	s_delay_alu instid0(VALU_DEP_2) | instskip(NEXT) | instid1(VALU_DEP_2)
	v_dot4_i32_iu8 v167, v162, v31, v167 neg_lo:[1,1,0]
	v_dot4_i32_iu8 v158, v162, v39, v158 neg_lo:[1,1,0]
	v_add_nc_u32_e32 v162, s10, v123
	s_add_co_i32 s10, s7, 8
	s_cmp_lt_u32 s7, 24
	v_dot4_i32_iu8 v167, v163, v32, v167 neg_lo:[1,1,0]
	v_dot4_i32_iu8 v158, v163, v40, v158 neg_lo:[1,1,0]
	s_wait_alu 0xfffe
	s_mov_b32 s7, s10
	s_delay_alu instid0(VALU_DEP_2) | instskip(NEXT) | instid1(VALU_DEP_2)
	v_dot4_i32_iu8 v167, v164, v29, v167 neg_lo:[1,1,0]
	v_dot4_i32_iu8 v158, v164, v37, v158 neg_lo:[1,1,0]
	s_delay_alu instid0(VALU_DEP_2) | instskip(NEXT) | instid1(VALU_DEP_2)
	v_dot4_i32_iu8 v167, v165, v30, v167 neg_lo:[1,1,0]
	v_dot4_i32_iu8 v158, v165, v38, v158 neg_lo:[1,1,0]
	s_delay_alu instid0(VALU_DEP_2) | instskip(NEXT) | instid1(VALU_DEP_2)
	v_cvt_f32_i32_e32 v167, v167
	v_cvt_f32_i32_e32 v158, v158
	s_delay_alu instid0(VALU_DEP_1)
	v_dual_fmac_f32 v58, v168, v167 :: v_dual_fmac_f32 v57, v159, v158
	v_add_nc_u32_e32 v158, s11, v131
	ds_load_b32 v166, v158
	ds_load_b128 v[158:161], v162
	ds_load_b128 v[162:165], v162 offset:16
	s_wait_dscnt 0x1
	v_dot4_i32_iu8 v27, v27, v158, 0 neg_lo:[1,1,0]
	s_delay_alu instid0(VALU_DEP_1) | instskip(NEXT) | instid1(VALU_DEP_1)
	v_dot4_i32_iu8 v27, v28, v159, v27 neg_lo:[1,1,0]
	v_dot4_i32_iu8 v25, v25, v160, v27 neg_lo:[1,1,0]
	s_delay_alu instid0(VALU_DEP_1) | instskip(SKIP_1) | instid1(VALU_DEP_1)
	v_dot4_i32_iu8 v25, v26, v161, v25 neg_lo:[1,1,0]
	s_wait_dscnt 0x0
	v_dot4_i32_iu8 v23, v23, v162, v25 neg_lo:[1,1,0]
	s_delay_alu instid0(VALU_DEP_1) | instskip(NEXT) | instid1(VALU_DEP_1)
	v_dot4_i32_iu8 v23, v24, v163, v23 neg_lo:[1,1,0]
	v_dot4_i32_iu8 v21, v21, v164, v23 neg_lo:[1,1,0]
	s_delay_alu instid0(VALU_DEP_1) | instskip(SKIP_1) | instid1(VALU_DEP_2)
	v_dot4_i32_iu8 v21, v22, v165, v21 neg_lo:[1,1,0]
	v_mul_f32_e32 v22, v155, v166
	v_cvt_f32_i32_e32 v21, v21
	s_delay_alu instid0(VALU_DEP_1) | instskip(SKIP_2) | instid1(VALU_DEP_2)
	v_fmac_f32_e32 v56, v22, v21
	v_dot4_i32_iu8 v21, v45, v158, 0 neg_lo:[1,1,0]
	v_mul_f32_e32 v22, v157, v166
	v_dot4_i32_iu8 v21, v46, v159, v21 neg_lo:[1,1,0]
	s_delay_alu instid0(VALU_DEP_1) | instskip(NEXT) | instid1(VALU_DEP_1)
	v_dot4_i32_iu8 v21, v47, v160, v21 neg_lo:[1,1,0]
	v_dot4_i32_iu8 v21, v48, v161, v21 neg_lo:[1,1,0]
	s_delay_alu instid0(VALU_DEP_1) | instskip(NEXT) | instid1(VALU_DEP_1)
	v_dot4_i32_iu8 v21, v49, v162, v21 neg_lo:[1,1,0]
	;; [unrolled: 3-line block ×3, first 2 shown]
	v_dot4_i32_iu8 v21, v52, v165, v21 neg_lo:[1,1,0]
	s_delay_alu instid0(VALU_DEP_1) | instskip(NEXT) | instid1(VALU_DEP_1)
	v_cvt_f32_i32_e32 v21, v21
	v_fmac_f32_e32 v55, v22, v21
	v_dot4_i32_iu8 v21, v158, v33, 0 neg_lo:[1,1,0]
	v_mul_f32_e32 v22, v156, v166
	s_delay_alu instid0(VALU_DEP_2) | instskip(NEXT) | instid1(VALU_DEP_1)
	v_dot4_i32_iu8 v21, v159, v34, v21 neg_lo:[1,1,0]
	v_dot4_i32_iu8 v21, v160, v35, v21 neg_lo:[1,1,0]
	s_delay_alu instid0(VALU_DEP_1) | instskip(NEXT) | instid1(VALU_DEP_1)
	v_dot4_i32_iu8 v21, v161, v36, v21 neg_lo:[1,1,0]
	v_dot4_i32_iu8 v21, v162, v31, v21 neg_lo:[1,1,0]
	s_delay_alu instid0(VALU_DEP_1) | instskip(NEXT) | instid1(VALU_DEP_1)
	;; [unrolled: 3-line block ×3, first 2 shown]
	v_dot4_i32_iu8 v21, v165, v30, v21 neg_lo:[1,1,0]
	v_cvt_f32_i32_e32 v21, v21
	s_delay_alu instid0(VALU_DEP_1) | instskip(SKIP_2) | instid1(VALU_DEP_2)
	v_fmac_f32_e32 v54, v22, v21
	v_dot4_i32_iu8 v21, v158, v41, 0 neg_lo:[1,1,0]
	v_mul_f32_e32 v22, v154, v166
	v_dot4_i32_iu8 v21, v159, v42, v21 neg_lo:[1,1,0]
	s_delay_alu instid0(VALU_DEP_1) | instskip(NEXT) | instid1(VALU_DEP_1)
	v_dot4_i32_iu8 v21, v160, v43, v21 neg_lo:[1,1,0]
	v_dot4_i32_iu8 v21, v161, v44, v21 neg_lo:[1,1,0]
	s_delay_alu instid0(VALU_DEP_1) | instskip(NEXT) | instid1(VALU_DEP_1)
	v_dot4_i32_iu8 v21, v162, v39, v21 neg_lo:[1,1,0]
	;; [unrolled: 3-line block ×3, first 2 shown]
	v_dot4_i32_iu8 v21, v165, v38, v21 neg_lo:[1,1,0]
	s_delay_alu instid0(VALU_DEP_1) | instskip(NEXT) | instid1(VALU_DEP_1)
	v_cvt_f32_i32_e32 v21, v21
	v_fmac_f32_e32 v53, v22, v21
	s_cbranch_scc1 .LBB126_6
; %bb.7:                                ;   in Loop: Header=BB126_5 Depth=1
	s_add_co_i32 s4, s4, 4
	s_wait_loadcnt 0x0
	s_wait_alu 0xfffe
	s_cmp_ge_i32 s4, s15
	s_barrier_signal -1
	s_barrier_wait -1
	global_inv scope:SCOPE_SE
	s_cbranch_scc0 .LBB126_5
; %bb.8:
	v_dual_mov_b32 v1, v66 :: v_dual_mov_b32 v2, v67
.LBB126_9:
	s_mov_b32 s0, exec_lo
	v_cmpx_gt_u32_e64 s6, v75
	s_cbranch_execz .LBB126_60
; %bb.10:
	s_delay_alu instid0(VALU_DEP_2) | instskip(SKIP_1) | instid1(VALU_DEP_2)
	v_add_nc_u32_e32 v0, s14, v2
	v_mul_lo_u32 v5, v75, s12
	v_cmp_gt_u32_e32 vcc_lo, s12, v0
	s_and_saveexec_b32 s1, vcc_lo
	s_cbranch_execz .LBB126_12
; %bb.11:
	s_delay_alu instid0(VALU_DEP_2) | instskip(NEXT) | instid1(VALU_DEP_1)
	v_dual_mov_b32 v3, 0 :: v_dual_add_nc_u32 v2, v0, v5
	v_lshlrev_b64_e32 v[2:3], 2, v[2:3]
	s_wait_kmcnt 0x0
	s_delay_alu instid0(VALU_DEP_1) | instskip(NEXT) | instid1(VALU_DEP_1)
	v_add_co_u32 v2, s0, s8, v2
	v_add_co_ci_u32_e64 v3, null, s9, v3, s0
	global_store_b32 v[2:3], v71, off
.LBB126_12:
	s_or_b32 exec_lo, exec_lo, s1
	v_add_nc_u32_e32 v2, 32, v0
	s_delay_alu instid0(VALU_DEP_1)
	v_cmp_gt_u32_e64 s0, s12, v2
	s_and_saveexec_b32 s2, s0
	s_cbranch_execz .LBB126_14
; %bb.13:
	v_dual_mov_b32 v4, 0 :: v_dual_add_nc_u32 v3, v2, v5
	s_delay_alu instid0(VALU_DEP_1) | instskip(SKIP_1) | instid1(VALU_DEP_1)
	v_lshlrev_b64_e32 v[3:4], 2, v[3:4]
	s_wait_kmcnt 0x0
	v_add_co_u32 v3, s1, s8, v3
	s_wait_alu 0xf1ff
	s_delay_alu instid0(VALU_DEP_2)
	v_add_co_ci_u32_e64 v4, null, s9, v4, s1
	global_store_b32 v[3:4], v100, off
.LBB126_14:
	s_wait_alu 0xfffe
	s_or_b32 exec_lo, exec_lo, s2
	v_add_nc_u32_e32 v3, 64, v0
	s_delay_alu instid0(VALU_DEP_1)
	v_cmp_gt_u32_e64 s1, s12, v3
	s_and_saveexec_b32 s3, s1
	s_cbranch_execz .LBB126_16
; %bb.15:
	v_dual_mov_b32 v7, 0 :: v_dual_add_nc_u32 v6, v3, v5
	s_delay_alu instid0(VALU_DEP_1) | instskip(SKIP_1) | instid1(VALU_DEP_1)
	v_lshlrev_b64_e32 v[6:7], 2, v[6:7]
	s_wait_kmcnt 0x0
	v_add_co_u32 v6, s2, s8, v6
	s_wait_alu 0xf1ff
	s_delay_alu instid0(VALU_DEP_2)
	v_add_co_ci_u32_e64 v7, null, s9, v7, s2
	global_store_b32 v[6:7], v95, off
.LBB126_16:
	s_wait_alu 0xfffe
	;; [unrolled: 18-line block ×3, first 2 shown]
	s_or_b32 exec_lo, exec_lo, s4
	v_add3_u32 v5, v1, s13, 8
	s_delay_alu instid0(VALU_DEP_1)
	v_cmp_gt_u32_e64 s3, s6, v5
	s_and_b32 exec_lo, exec_lo, s3
	s_cbranch_execz .LBB126_60
; %bb.19:
	v_mul_lo_u32 v5, v5, s12
	s_and_saveexec_b32 s4, vcc_lo
	s_cbranch_execnz .LBB126_61
; %bb.20:
	s_wait_alu 0xfffe
	s_or_b32 exec_lo, exec_lo, s4
	s_and_saveexec_b32 s4, s0
	s_cbranch_execnz .LBB126_62
.LBB126_21:
	s_wait_alu 0xfffe
	s_or_b32 exec_lo, exec_lo, s4
	s_and_saveexec_b32 s4, s1
	s_cbranch_execnz .LBB126_63
.LBB126_22:
	s_wait_alu 0xfffe
	s_or_b32 exec_lo, exec_lo, s4
	s_and_saveexec_b32 s4, s2
	s_cbranch_execz .LBB126_24
.LBB126_23:
	v_dual_mov_b32 v6, 0 :: v_dual_add_nc_u32 v5, v5, v4
	s_delay_alu instid0(VALU_DEP_1) | instskip(SKIP_1) | instid1(VALU_DEP_1)
	v_lshlrev_b64_e32 v[5:6], 2, v[5:6]
	s_wait_kmcnt 0x0
	v_add_co_u32 v5, s3, s8, v5
	s_wait_alu 0xf1ff
	s_delay_alu instid0(VALU_DEP_2)
	v_add_co_ci_u32_e64 v6, null, s9, v6, s3
	global_store_b32 v[5:6], v87, off
.LBB126_24:
	s_wait_alu 0xfffe
	s_or_b32 exec_lo, exec_lo, s4
	v_add3_u32 v5, v1, s13, 16
	s_delay_alu instid0(VALU_DEP_1)
	v_cmp_gt_u32_e64 s3, s6, v5
	s_and_b32 exec_lo, exec_lo, s3
	s_cbranch_execz .LBB126_60
; %bb.25:
	v_mul_lo_u32 v5, v5, s12
	s_and_saveexec_b32 s4, vcc_lo
	s_cbranch_execnz .LBB126_64
; %bb.26:
	s_wait_alu 0xfffe
	s_or_b32 exec_lo, exec_lo, s4
	s_and_saveexec_b32 s4, s0
	s_cbranch_execnz .LBB126_65
.LBB126_27:
	s_wait_alu 0xfffe
	s_or_b32 exec_lo, exec_lo, s4
	s_and_saveexec_b32 s4, s1
	s_cbranch_execnz .LBB126_66
.LBB126_28:
	s_wait_alu 0xfffe
	s_or_b32 exec_lo, exec_lo, s4
	s_and_saveexec_b32 s4, s2
	s_cbranch_execz .LBB126_30
.LBB126_29:
	v_dual_mov_b32 v6, 0 :: v_dual_add_nc_u32 v5, v5, v4
	s_delay_alu instid0(VALU_DEP_1) | instskip(SKIP_1) | instid1(VALU_DEP_1)
	v_lshlrev_b64_e32 v[5:6], 2, v[5:6]
	s_wait_kmcnt 0x0
	v_add_co_u32 v5, s3, s8, v5
	s_wait_alu 0xf1ff
	s_delay_alu instid0(VALU_DEP_2)
	v_add_co_ci_u32_e64 v6, null, s9, v6, s3
	global_store_b32 v[5:6], v77, off
.LBB126_30:
	s_wait_alu 0xfffe
	s_or_b32 exec_lo, exec_lo, s4
	v_add3_u32 v5, v1, s13, 24
	s_delay_alu instid0(VALU_DEP_1)
	v_cmp_gt_u32_e64 s3, s6, v5
	s_and_b32 exec_lo, exec_lo, s3
	s_cbranch_execz .LBB126_60
; %bb.31:
	v_mul_lo_u32 v5, v5, s12
	s_and_saveexec_b32 s4, vcc_lo
	s_cbranch_execnz .LBB126_67
; %bb.32:
	s_wait_alu 0xfffe
	s_or_b32 exec_lo, exec_lo, s4
	s_and_saveexec_b32 s4, s0
	s_cbranch_execnz .LBB126_68
.LBB126_33:
	s_wait_alu 0xfffe
	s_or_b32 exec_lo, exec_lo, s4
	s_and_saveexec_b32 s4, s1
	s_cbranch_execnz .LBB126_69
.LBB126_34:
	s_wait_alu 0xfffe
	s_or_b32 exec_lo, exec_lo, s4
	s_and_saveexec_b32 s4, s2
	s_cbranch_execz .LBB126_36
.LBB126_35:
	v_dual_mov_b32 v6, 0 :: v_dual_add_nc_u32 v5, v5, v4
	s_delay_alu instid0(VALU_DEP_1) | instskip(SKIP_1) | instid1(VALU_DEP_1)
	v_lshlrev_b64_e32 v[5:6], 2, v[5:6]
	s_wait_kmcnt 0x0
	v_add_co_u32 v5, s3, s8, v5
	s_wait_alu 0xf1ff
	s_delay_alu instid0(VALU_DEP_2)
	v_add_co_ci_u32_e64 v6, null, s9, v6, s3
	global_store_b32 v[5:6], v72, off
.LBB126_36:
	s_wait_alu 0xfffe
	s_or_b32 exec_lo, exec_lo, s4
	v_add3_u32 v5, v1, s13, 32
	s_delay_alu instid0(VALU_DEP_1)
	v_cmp_gt_u32_e64 s3, s6, v5
	s_and_b32 exec_lo, exec_lo, s3
	s_cbranch_execz .LBB126_60
; %bb.37:
	v_mul_lo_u32 v5, v5, s12
	s_and_saveexec_b32 s4, vcc_lo
	s_cbranch_execnz .LBB126_70
; %bb.38:
	s_wait_alu 0xfffe
	s_or_b32 exec_lo, exec_lo, s4
	s_and_saveexec_b32 s4, s0
	s_cbranch_execnz .LBB126_71
.LBB126_39:
	s_wait_alu 0xfffe
	s_or_b32 exec_lo, exec_lo, s4
	s_and_saveexec_b32 s4, s1
	s_cbranch_execnz .LBB126_72
.LBB126_40:
	s_wait_alu 0xfffe
	s_or_b32 exec_lo, exec_lo, s4
	s_and_saveexec_b32 s4, s2
	s_cbranch_execz .LBB126_42
.LBB126_41:
	v_dual_mov_b32 v6, 0 :: v_dual_add_nc_u32 v5, v5, v4
	s_delay_alu instid0(VALU_DEP_1) | instskip(SKIP_1) | instid1(VALU_DEP_1)
	v_lshlrev_b64_e32 v[5:6], 2, v[5:6]
	s_wait_kmcnt 0x0
	v_add_co_u32 v5, s3, s8, v5
	s_wait_alu 0xf1ff
	s_delay_alu instid0(VALU_DEP_2)
	v_add_co_ci_u32_e64 v6, null, s9, v6, s3
	global_store_b32 v[5:6], v65, off
.LBB126_42:
	s_wait_alu 0xfffe
	s_or_b32 exec_lo, exec_lo, s4
	v_add3_u32 v5, v1, s13, 40
	s_delay_alu instid0(VALU_DEP_1)
	v_cmp_gt_u32_e64 s3, s6, v5
	s_and_b32 exec_lo, exec_lo, s3
	s_cbranch_execz .LBB126_60
; %bb.43:
	v_mul_lo_u32 v5, v5, s12
	s_and_saveexec_b32 s4, vcc_lo
	s_cbranch_execnz .LBB126_73
; %bb.44:
	s_wait_alu 0xfffe
	s_or_b32 exec_lo, exec_lo, s4
	s_and_saveexec_b32 s4, s0
	s_cbranch_execnz .LBB126_74
.LBB126_45:
	s_wait_alu 0xfffe
	s_or_b32 exec_lo, exec_lo, s4
	s_and_saveexec_b32 s4, s1
	s_cbranch_execnz .LBB126_75
.LBB126_46:
	s_wait_alu 0xfffe
	s_or_b32 exec_lo, exec_lo, s4
	s_and_saveexec_b32 s4, s2
	s_cbranch_execz .LBB126_48
.LBB126_47:
	v_dual_mov_b32 v6, 0 :: v_dual_add_nc_u32 v5, v5, v4
	s_delay_alu instid0(VALU_DEP_1) | instskip(SKIP_1) | instid1(VALU_DEP_1)
	v_lshlrev_b64_e32 v[5:6], 2, v[5:6]
	s_wait_kmcnt 0x0
	v_add_co_u32 v5, s3, s8, v5
	s_wait_alu 0xf1ff
	s_delay_alu instid0(VALU_DEP_2)
	v_add_co_ci_u32_e64 v6, null, s9, v6, s3
	global_store_b32 v[5:6], v61, off
.LBB126_48:
	s_wait_alu 0xfffe
	s_or_b32 exec_lo, exec_lo, s4
	v_add3_u32 v5, v1, s13, 48
	s_delay_alu instid0(VALU_DEP_1)
	v_cmp_gt_u32_e64 s3, s6, v5
	s_and_b32 exec_lo, exec_lo, s3
	s_cbranch_execz .LBB126_60
; %bb.49:
	v_mul_lo_u32 v5, v5, s12
	s_and_saveexec_b32 s4, vcc_lo
	s_cbranch_execnz .LBB126_76
; %bb.50:
	s_wait_alu 0xfffe
	s_or_b32 exec_lo, exec_lo, s4
	s_and_saveexec_b32 s4, s0
	s_cbranch_execnz .LBB126_77
.LBB126_51:
	s_wait_alu 0xfffe
	s_or_b32 exec_lo, exec_lo, s4
	s_and_saveexec_b32 s4, s1
	s_cbranch_execnz .LBB126_78
.LBB126_52:
	s_wait_alu 0xfffe
	s_or_b32 exec_lo, exec_lo, s4
	s_and_saveexec_b32 s4, s2
	s_cbranch_execz .LBB126_54
.LBB126_53:
	v_dual_mov_b32 v6, 0 :: v_dual_add_nc_u32 v5, v5, v4
	s_delay_alu instid0(VALU_DEP_1) | instskip(SKIP_1) | instid1(VALU_DEP_1)
	v_lshlrev_b64_e32 v[5:6], 2, v[5:6]
	s_wait_kmcnt 0x0
	v_add_co_u32 v5, s3, s8, v5
	s_wait_alu 0xf1ff
	s_delay_alu instid0(VALU_DEP_2)
	v_add_co_ci_u32_e64 v6, null, s9, v6, s3
	global_store_b32 v[5:6], v57, off
.LBB126_54:
	s_wait_alu 0xfffe
	s_or_b32 exec_lo, exec_lo, s4
	v_add3_u32 v1, v1, s13, 56
	s_delay_alu instid0(VALU_DEP_1)
	v_cmp_gt_u32_e64 s3, s6, v1
	s_and_b32 exec_lo, exec_lo, s3
	s_cbranch_execz .LBB126_60
; %bb.55:
	v_mul_lo_u32 v1, v1, s12
	s_and_saveexec_b32 s3, vcc_lo
	s_cbranch_execnz .LBB126_79
; %bb.56:
	s_wait_alu 0xfffe
	s_or_b32 exec_lo, exec_lo, s3
	s_and_saveexec_b32 s3, s0
	s_cbranch_execnz .LBB126_80
.LBB126_57:
	s_wait_alu 0xfffe
	s_or_b32 exec_lo, exec_lo, s3
	s_and_saveexec_b32 s0, s1
	s_cbranch_execnz .LBB126_81
.LBB126_58:
	s_wait_alu 0xfffe
	s_or_b32 exec_lo, exec_lo, s0
	s_delay_alu instid0(SALU_CYCLE_1)
	s_and_b32 exec_lo, exec_lo, s2
	s_cbranch_execz .LBB126_60
.LBB126_59:
	v_dual_mov_b32 v1, 0 :: v_dual_add_nc_u32 v0, v1, v4
	s_delay_alu instid0(VALU_DEP_1) | instskip(SKIP_1) | instid1(VALU_DEP_1)
	v_lshlrev_b64_e32 v[0:1], 2, v[0:1]
	s_wait_kmcnt 0x0
	v_add_co_u32 v0, vcc_lo, s8, v0
	s_wait_alu 0xfffd
	s_delay_alu instid0(VALU_DEP_2)
	v_add_co_ci_u32_e64 v1, null, s9, v1, vcc_lo
	global_store_b32 v[0:1], v53, off
.LBB126_60:
	s_nop 0
	s_sendmsg sendmsg(MSG_DEALLOC_VGPRS)
	s_endpgm
.LBB126_61:
	s_delay_alu instid0(VALU_DEP_1) | instskip(NEXT) | instid1(VALU_DEP_1)
	v_dual_mov_b32 v7, 0 :: v_dual_add_nc_u32 v6, v5, v0
	v_lshlrev_b64_e32 v[6:7], 2, v[6:7]
	s_wait_kmcnt 0x0
	s_delay_alu instid0(VALU_DEP_1) | instskip(SKIP_1) | instid1(VALU_DEP_2)
	v_add_co_u32 v6, s3, s8, v6
	s_wait_alu 0xf1ff
	v_add_co_ci_u32_e64 v7, null, s9, v7, s3
	global_store_b32 v[6:7], v91, off
	s_wait_alu 0xfffe
	s_or_b32 exec_lo, exec_lo, s4
	s_and_saveexec_b32 s4, s0
	s_cbranch_execz .LBB126_21
.LBB126_62:
	s_delay_alu instid0(VALU_DEP_1) | instskip(NEXT) | instid1(VALU_DEP_1)
	v_dual_mov_b32 v7, 0 :: v_dual_add_nc_u32 v6, v5, v2
	v_lshlrev_b64_e32 v[6:7], 2, v[6:7]
	s_wait_kmcnt 0x0
	s_delay_alu instid0(VALU_DEP_1) | instskip(SKIP_1) | instid1(VALU_DEP_2)
	v_add_co_u32 v6, s3, s8, v6
	s_wait_alu 0xf1ff
	v_add_co_ci_u32_e64 v7, null, s9, v7, s3
	global_store_b32 v[6:7], v90, off
	s_wait_alu 0xfffe
	s_or_b32 exec_lo, exec_lo, s4
	s_and_saveexec_b32 s4, s1
	s_cbranch_execz .LBB126_22
.LBB126_63:
	v_dual_mov_b32 v7, 0 :: v_dual_add_nc_u32 v6, v5, v3
	s_delay_alu instid0(VALU_DEP_1) | instskip(SKIP_1) | instid1(VALU_DEP_1)
	v_lshlrev_b64_e32 v[6:7], 2, v[6:7]
	s_wait_kmcnt 0x0
	v_add_co_u32 v6, s3, s8, v6
	s_wait_alu 0xf1ff
	s_delay_alu instid0(VALU_DEP_2)
	v_add_co_ci_u32_e64 v7, null, s9, v7, s3
	global_store_b32 v[6:7], v88, off
	s_wait_alu 0xfffe
	s_or_b32 exec_lo, exec_lo, s4
	s_and_saveexec_b32 s4, s2
	s_cbranch_execnz .LBB126_23
	s_branch .LBB126_24
.LBB126_64:
	s_delay_alu instid0(VALU_DEP_1) | instskip(NEXT) | instid1(VALU_DEP_1)
	v_dual_mov_b32 v7, 0 :: v_dual_add_nc_u32 v6, v5, v0
	v_lshlrev_b64_e32 v[6:7], 2, v[6:7]
	s_wait_kmcnt 0x0
	s_delay_alu instid0(VALU_DEP_1) | instskip(SKIP_1) | instid1(VALU_DEP_2)
	v_add_co_u32 v6, s3, s8, v6
	s_wait_alu 0xf1ff
	v_add_co_ci_u32_e64 v7, null, s9, v7, s3
	global_store_b32 v[6:7], v86, off
	s_wait_alu 0xfffe
	s_or_b32 exec_lo, exec_lo, s4
	s_and_saveexec_b32 s4, s0
	s_cbranch_execz .LBB126_27
.LBB126_65:
	s_delay_alu instid0(VALU_DEP_1) | instskip(NEXT) | instid1(VALU_DEP_1)
	v_dual_mov_b32 v7, 0 :: v_dual_add_nc_u32 v6, v5, v2
	v_lshlrev_b64_e32 v[6:7], 2, v[6:7]
	s_wait_kmcnt 0x0
	s_delay_alu instid0(VALU_DEP_1) | instskip(SKIP_1) | instid1(VALU_DEP_2)
	v_add_co_u32 v6, s3, s8, v6
	s_wait_alu 0xf1ff
	v_add_co_ci_u32_e64 v7, null, s9, v7, s3
	global_store_b32 v[6:7], v85, off
	s_wait_alu 0xfffe
	s_or_b32 exec_lo, exec_lo, s4
	s_and_saveexec_b32 s4, s1
	s_cbranch_execz .LBB126_28
.LBB126_66:
	v_dual_mov_b32 v7, 0 :: v_dual_add_nc_u32 v6, v5, v3
	s_delay_alu instid0(VALU_DEP_1) | instskip(SKIP_1) | instid1(VALU_DEP_1)
	v_lshlrev_b64_e32 v[6:7], 2, v[6:7]
	s_wait_kmcnt 0x0
	v_add_co_u32 v6, s3, s8, v6
	s_wait_alu 0xf1ff
	s_delay_alu instid0(VALU_DEP_2)
	v_add_co_ci_u32_e64 v7, null, s9, v7, s3
	global_store_b32 v[6:7], v82, off
	s_wait_alu 0xfffe
	s_or_b32 exec_lo, exec_lo, s4
	s_and_saveexec_b32 s4, s2
	s_cbranch_execnz .LBB126_29
	s_branch .LBB126_30
.LBB126_67:
	s_delay_alu instid0(VALU_DEP_1) | instskip(NEXT) | instid1(VALU_DEP_1)
	v_dual_mov_b32 v7, 0 :: v_dual_add_nc_u32 v6, v5, v0
	v_lshlrev_b64_e32 v[6:7], 2, v[6:7]
	s_wait_kmcnt 0x0
	s_delay_alu instid0(VALU_DEP_1) | instskip(SKIP_1) | instid1(VALU_DEP_2)
	v_add_co_u32 v6, s3, s8, v6
	s_wait_alu 0xf1ff
	v_add_co_ci_u32_e64 v7, null, s9, v7, s3
	global_store_b32 v[6:7], v76, off
	s_wait_alu 0xfffe
	s_or_b32 exec_lo, exec_lo, s4
	s_and_saveexec_b32 s4, s0
	s_cbranch_execz .LBB126_33
.LBB126_68:
	s_delay_alu instid0(VALU_DEP_1) | instskip(NEXT) | instid1(VALU_DEP_1)
	v_dual_mov_b32 v7, 0 :: v_dual_add_nc_u32 v6, v5, v2
	v_lshlrev_b64_e32 v[6:7], 2, v[6:7]
	s_wait_kmcnt 0x0
	s_delay_alu instid0(VALU_DEP_1) | instskip(SKIP_1) | instid1(VALU_DEP_2)
	v_add_co_u32 v6, s3, s8, v6
	s_wait_alu 0xf1ff
	v_add_co_ci_u32_e64 v7, null, s9, v7, s3
	global_store_b32 v[6:7], v74, off
	s_wait_alu 0xfffe
	s_or_b32 exec_lo, exec_lo, s4
	s_and_saveexec_b32 s4, s1
	s_cbranch_execz .LBB126_34
.LBB126_69:
	v_dual_mov_b32 v7, 0 :: v_dual_add_nc_u32 v6, v5, v3
	s_delay_alu instid0(VALU_DEP_1) | instskip(SKIP_1) | instid1(VALU_DEP_1)
	v_lshlrev_b64_e32 v[6:7], 2, v[6:7]
	s_wait_kmcnt 0x0
	v_add_co_u32 v6, s3, s8, v6
	s_wait_alu 0xf1ff
	s_delay_alu instid0(VALU_DEP_2)
	v_add_co_ci_u32_e64 v7, null, s9, v7, s3
	global_store_b32 v[6:7], v73, off
	s_wait_alu 0xfffe
	s_or_b32 exec_lo, exec_lo, s4
	s_and_saveexec_b32 s4, s2
	s_cbranch_execnz .LBB126_35
	s_branch .LBB126_36
.LBB126_70:
	s_delay_alu instid0(VALU_DEP_1) | instskip(NEXT) | instid1(VALU_DEP_1)
	v_dual_mov_b32 v7, 0 :: v_dual_add_nc_u32 v6, v5, v0
	v_lshlrev_b64_e32 v[6:7], 2, v[6:7]
	s_wait_kmcnt 0x0
	s_delay_alu instid0(VALU_DEP_1) | instskip(SKIP_1) | instid1(VALU_DEP_2)
	v_add_co_u32 v6, s3, s8, v6
	s_wait_alu 0xf1ff
	v_add_co_ci_u32_e64 v7, null, s9, v7, s3
	global_store_b32 v[6:7], v70, off
	s_wait_alu 0xfffe
	s_or_b32 exec_lo, exec_lo, s4
	s_and_saveexec_b32 s4, s0
	s_cbranch_execz .LBB126_39
.LBB126_71:
	s_delay_alu instid0(VALU_DEP_1) | instskip(NEXT) | instid1(VALU_DEP_1)
	v_dual_mov_b32 v7, 0 :: v_dual_add_nc_u32 v6, v5, v2
	v_lshlrev_b64_e32 v[6:7], 2, v[6:7]
	s_wait_kmcnt 0x0
	s_delay_alu instid0(VALU_DEP_1) | instskip(SKIP_1) | instid1(VALU_DEP_2)
	v_add_co_u32 v6, s3, s8, v6
	s_wait_alu 0xf1ff
	v_add_co_ci_u32_e64 v7, null, s9, v7, s3
	global_store_b32 v[6:7], v69, off
	s_wait_alu 0xfffe
	s_or_b32 exec_lo, exec_lo, s4
	s_and_saveexec_b32 s4, s1
	s_cbranch_execz .LBB126_40
.LBB126_72:
	v_dual_mov_b32 v7, 0 :: v_dual_add_nc_u32 v6, v5, v3
	s_delay_alu instid0(VALU_DEP_1) | instskip(SKIP_1) | instid1(VALU_DEP_1)
	v_lshlrev_b64_e32 v[6:7], 2, v[6:7]
	s_wait_kmcnt 0x0
	v_add_co_u32 v6, s3, s8, v6
	s_wait_alu 0xf1ff
	s_delay_alu instid0(VALU_DEP_2)
	v_add_co_ci_u32_e64 v7, null, s9, v7, s3
	global_store_b32 v[6:7], v68, off
	s_wait_alu 0xfffe
	s_or_b32 exec_lo, exec_lo, s4
	s_and_saveexec_b32 s4, s2
	s_cbranch_execnz .LBB126_41
	s_branch .LBB126_42
.LBB126_73:
	s_delay_alu instid0(VALU_DEP_1) | instskip(NEXT) | instid1(VALU_DEP_1)
	v_dual_mov_b32 v7, 0 :: v_dual_add_nc_u32 v6, v5, v0
	v_lshlrev_b64_e32 v[6:7], 2, v[6:7]
	s_wait_kmcnt 0x0
	s_delay_alu instid0(VALU_DEP_1) | instskip(SKIP_1) | instid1(VALU_DEP_2)
	v_add_co_u32 v6, s3, s8, v6
	s_wait_alu 0xf1ff
	v_add_co_ci_u32_e64 v7, null, s9, v7, s3
	global_store_b32 v[6:7], v64, off
	s_wait_alu 0xfffe
	s_or_b32 exec_lo, exec_lo, s4
	s_and_saveexec_b32 s4, s0
	s_cbranch_execz .LBB126_45
.LBB126_74:
	s_delay_alu instid0(VALU_DEP_1) | instskip(NEXT) | instid1(VALU_DEP_1)
	v_dual_mov_b32 v7, 0 :: v_dual_add_nc_u32 v6, v5, v2
	v_lshlrev_b64_e32 v[6:7], 2, v[6:7]
	s_wait_kmcnt 0x0
	s_delay_alu instid0(VALU_DEP_1) | instskip(SKIP_1) | instid1(VALU_DEP_2)
	v_add_co_u32 v6, s3, s8, v6
	s_wait_alu 0xf1ff
	v_add_co_ci_u32_e64 v7, null, s9, v7, s3
	global_store_b32 v[6:7], v63, off
	s_wait_alu 0xfffe
	s_or_b32 exec_lo, exec_lo, s4
	s_and_saveexec_b32 s4, s1
	s_cbranch_execz .LBB126_46
.LBB126_75:
	v_dual_mov_b32 v7, 0 :: v_dual_add_nc_u32 v6, v5, v3
	s_delay_alu instid0(VALU_DEP_1) | instskip(SKIP_1) | instid1(VALU_DEP_1)
	v_lshlrev_b64_e32 v[6:7], 2, v[6:7]
	s_wait_kmcnt 0x0
	v_add_co_u32 v6, s3, s8, v6
	s_wait_alu 0xf1ff
	s_delay_alu instid0(VALU_DEP_2)
	v_add_co_ci_u32_e64 v7, null, s9, v7, s3
	global_store_b32 v[6:7], v62, off
	s_wait_alu 0xfffe
	s_or_b32 exec_lo, exec_lo, s4
	s_and_saveexec_b32 s4, s2
	s_cbranch_execnz .LBB126_47
	s_branch .LBB126_48
.LBB126_76:
	s_delay_alu instid0(VALU_DEP_1) | instskip(NEXT) | instid1(VALU_DEP_1)
	v_dual_mov_b32 v7, 0 :: v_dual_add_nc_u32 v6, v5, v0
	v_lshlrev_b64_e32 v[6:7], 2, v[6:7]
	s_wait_kmcnt 0x0
	s_delay_alu instid0(VALU_DEP_1) | instskip(SKIP_1) | instid1(VALU_DEP_2)
	v_add_co_u32 v6, s3, s8, v6
	s_wait_alu 0xf1ff
	v_add_co_ci_u32_e64 v7, null, s9, v7, s3
	global_store_b32 v[6:7], v60, off
	s_wait_alu 0xfffe
	s_or_b32 exec_lo, exec_lo, s4
	s_and_saveexec_b32 s4, s0
	s_cbranch_execz .LBB126_51
.LBB126_77:
	s_delay_alu instid0(VALU_DEP_1) | instskip(NEXT) | instid1(VALU_DEP_1)
	v_dual_mov_b32 v7, 0 :: v_dual_add_nc_u32 v6, v5, v2
	v_lshlrev_b64_e32 v[6:7], 2, v[6:7]
	s_wait_kmcnt 0x0
	s_delay_alu instid0(VALU_DEP_1) | instskip(SKIP_1) | instid1(VALU_DEP_2)
	v_add_co_u32 v6, s3, s8, v6
	s_wait_alu 0xf1ff
	v_add_co_ci_u32_e64 v7, null, s9, v7, s3
	global_store_b32 v[6:7], v59, off
	s_wait_alu 0xfffe
	s_or_b32 exec_lo, exec_lo, s4
	s_and_saveexec_b32 s4, s1
	s_cbranch_execz .LBB126_52
.LBB126_78:
	v_dual_mov_b32 v7, 0 :: v_dual_add_nc_u32 v6, v5, v3
	s_delay_alu instid0(VALU_DEP_1) | instskip(SKIP_1) | instid1(VALU_DEP_1)
	v_lshlrev_b64_e32 v[6:7], 2, v[6:7]
	s_wait_kmcnt 0x0
	v_add_co_u32 v6, s3, s8, v6
	s_wait_alu 0xf1ff
	s_delay_alu instid0(VALU_DEP_2)
	v_add_co_ci_u32_e64 v7, null, s9, v7, s3
	global_store_b32 v[6:7], v58, off
	s_wait_alu 0xfffe
	s_or_b32 exec_lo, exec_lo, s4
	s_and_saveexec_b32 s4, s2
	s_cbranch_execnz .LBB126_53
	s_branch .LBB126_54
.LBB126_79:
	s_delay_alu instid0(VALU_DEP_1) | instskip(NEXT) | instid1(VALU_DEP_1)
	v_dual_mov_b32 v6, 0 :: v_dual_add_nc_u32 v5, v1, v0
	v_lshlrev_b64_e32 v[5:6], 2, v[5:6]
	s_wait_kmcnt 0x0
	s_delay_alu instid0(VALU_DEP_1) | instskip(SKIP_1) | instid1(VALU_DEP_2)
	v_add_co_u32 v5, vcc_lo, s8, v5
	s_wait_alu 0xfffd
	v_add_co_ci_u32_e64 v6, null, s9, v6, vcc_lo
	global_store_b32 v[5:6], v56, off
	s_wait_alu 0xfffe
	s_or_b32 exec_lo, exec_lo, s3
	s_and_saveexec_b32 s3, s0
	s_cbranch_execz .LBB126_57
.LBB126_80:
	s_delay_alu instid0(VALU_DEP_1) | instskip(NEXT) | instid1(VALU_DEP_1)
	v_dual_mov_b32 v6, 0 :: v_dual_add_nc_u32 v5, v1, v2
	v_lshlrev_b64_e32 v[5:6], 2, v[5:6]
	s_wait_kmcnt 0x0
	s_delay_alu instid0(VALU_DEP_1) | instskip(SKIP_1) | instid1(VALU_DEP_2)
	v_add_co_u32 v5, vcc_lo, s8, v5
	s_wait_alu 0xfffd
	v_add_co_ci_u32_e64 v6, null, s9, v6, vcc_lo
	global_store_b32 v[5:6], v55, off
	s_wait_alu 0xfffe
	s_or_b32 exec_lo, exec_lo, s3
	s_and_saveexec_b32 s0, s1
	s_cbranch_execz .LBB126_58
.LBB126_81:
	v_dual_mov_b32 v3, 0 :: v_dual_add_nc_u32 v2, v1, v3
	s_delay_alu instid0(VALU_DEP_1) | instskip(SKIP_1) | instid1(VALU_DEP_1)
	v_lshlrev_b64_e32 v[2:3], 2, v[2:3]
	s_wait_kmcnt 0x0
	v_add_co_u32 v2, vcc_lo, s8, v2
	s_wait_alu 0xfffd
	s_delay_alu instid0(VALU_DEP_2) | instskip(SKIP_3) | instid1(SALU_CYCLE_1)
	v_add_co_ci_u32_e64 v3, null, s9, v3, vcc_lo
	global_store_b32 v[2:3], v54, off
	s_wait_alu 0xfffe
	s_or_b32 exec_lo, exec_lo, s0
	s_and_b32 exec_lo, exec_lo, s2
	s_cbranch_execnz .LBB126_59
	s_branch .LBB126_60
	.section	.rodata,"a",@progbits
	.p2align	6, 0x0
	.amdhsa_kernel _ZL12mul_mat_q8_0IfLb1EEvPKvS1_PT_iiiii
		.amdhsa_group_segment_fixed_size 28224
		.amdhsa_private_segment_fixed_size 0
		.amdhsa_kernarg_size 44
		.amdhsa_user_sgpr_count 2
		.amdhsa_user_sgpr_dispatch_ptr 0
		.amdhsa_user_sgpr_queue_ptr 0
		.amdhsa_user_sgpr_kernarg_segment_ptr 1
		.amdhsa_user_sgpr_dispatch_id 0
		.amdhsa_user_sgpr_private_segment_size 0
		.amdhsa_wavefront_size32 1
		.amdhsa_uses_dynamic_stack 0
		.amdhsa_enable_private_segment 0
		.amdhsa_system_sgpr_workgroup_id_x 1
		.amdhsa_system_sgpr_workgroup_id_y 1
		.amdhsa_system_sgpr_workgroup_id_z 0
		.amdhsa_system_sgpr_workgroup_info 0
		.amdhsa_system_vgpr_workitem_id 1
		.amdhsa_next_free_vgpr 174
		.amdhsa_next_free_sgpr 18
		.amdhsa_reserve_vcc 1
		.amdhsa_float_round_mode_32 0
		.amdhsa_float_round_mode_16_64 0
		.amdhsa_float_denorm_mode_32 3
		.amdhsa_float_denorm_mode_16_64 3
		.amdhsa_fp16_overflow 0
		.amdhsa_workgroup_processor_mode 1
		.amdhsa_memory_ordered 1
		.amdhsa_forward_progress 1
		.amdhsa_inst_pref_size 83
		.amdhsa_round_robin_scheduling 0
		.amdhsa_exception_fp_ieee_invalid_op 0
		.amdhsa_exception_fp_denorm_src 0
		.amdhsa_exception_fp_ieee_div_zero 0
		.amdhsa_exception_fp_ieee_overflow 0
		.amdhsa_exception_fp_ieee_underflow 0
		.amdhsa_exception_fp_ieee_inexact 0
		.amdhsa_exception_int_div_zero 0
	.end_amdhsa_kernel
	.section	.text._ZL12mul_mat_q8_0IfLb1EEvPKvS1_PT_iiiii,"axG",@progbits,_ZL12mul_mat_q8_0IfLb1EEvPKvS1_PT_iiiii,comdat
.Lfunc_end126:
	.size	_ZL12mul_mat_q8_0IfLb1EEvPKvS1_PT_iiiii, .Lfunc_end126-_ZL12mul_mat_q8_0IfLb1EEvPKvS1_PT_iiiii
                                        ; -- End function
	.set _ZL12mul_mat_q8_0IfLb1EEvPKvS1_PT_iiiii.num_vgpr, 174
	.set _ZL12mul_mat_q8_0IfLb1EEvPKvS1_PT_iiiii.num_agpr, 0
	.set _ZL12mul_mat_q8_0IfLb1EEvPKvS1_PT_iiiii.numbered_sgpr, 18
	.set _ZL12mul_mat_q8_0IfLb1EEvPKvS1_PT_iiiii.num_named_barrier, 0
	.set _ZL12mul_mat_q8_0IfLb1EEvPKvS1_PT_iiiii.private_seg_size, 0
	.set _ZL12mul_mat_q8_0IfLb1EEvPKvS1_PT_iiiii.uses_vcc, 1
	.set _ZL12mul_mat_q8_0IfLb1EEvPKvS1_PT_iiiii.uses_flat_scratch, 0
	.set _ZL12mul_mat_q8_0IfLb1EEvPKvS1_PT_iiiii.has_dyn_sized_stack, 0
	.set _ZL12mul_mat_q8_0IfLb1EEvPKvS1_PT_iiiii.has_recursion, 0
	.set _ZL12mul_mat_q8_0IfLb1EEvPKvS1_PT_iiiii.has_indirect_call, 0
	.section	.AMDGPU.csdata,"",@progbits
; Kernel info:
; codeLenInByte = 10588
; TotalNumSgprs: 20
; NumVgprs: 174
; ScratchSize: 0
; MemoryBound: 0
; FloatMode: 240
; IeeeMode: 1
; LDSByteSize: 28224 bytes/workgroup (compile time only)
; SGPRBlocks: 0
; VGPRBlocks: 21
; NumSGPRsForWavesPerEU: 20
; NumVGPRsForWavesPerEU: 174
; Occupancy: 8
; WaveLimiterHint : 0
; COMPUTE_PGM_RSRC2:SCRATCH_EN: 0
; COMPUTE_PGM_RSRC2:USER_SGPR: 2
; COMPUTE_PGM_RSRC2:TRAP_HANDLER: 0
; COMPUTE_PGM_RSRC2:TGID_X_EN: 1
; COMPUTE_PGM_RSRC2:TGID_Y_EN: 1
; COMPUTE_PGM_RSRC2:TGID_Z_EN: 0
; COMPUTE_PGM_RSRC2:TIDIG_COMP_CNT: 1
	.section	.text._ZL12mul_mat_q2_KIfLb0EEvPKvS1_PT_iiiii,"axG",@progbits,_ZL12mul_mat_q2_KIfLb0EEvPKvS1_PT_iiiii,comdat
	.globl	_ZL12mul_mat_q2_KIfLb0EEvPKvS1_PT_iiiii ; -- Begin function _ZL12mul_mat_q2_KIfLb0EEvPKvS1_PT_iiiii
	.p2align	8
	.type	_ZL12mul_mat_q2_KIfLb0EEvPKvS1_PT_iiiii,@function
_ZL12mul_mat_q2_KIfLb0EEvPKvS1_PT_iiiii: ; @_ZL12mul_mat_q2_KIfLb0EEvPKvS1_PT_iiiii
; %bb.0:
	s_clause 0x1
	s_load_b32 s2, s[0:1], 0x18
	s_load_b96 s[4:6], s[0:1], 0x20
	v_bfe_u32 v1, v0, 10, 10
	s_lshl_b32 s7, ttmp7, 6
	scratch_store_b32 off, v1, off offset:212 ; 4-byte Folded Spill
	v_and_b32_e32 v1, 0x3ff, v0
	scratch_store_b32 off, v1, off offset:132 ; 4-byte Folded Spill
	s_wait_kmcnt 0x0
	s_cmp_gt_i32 s2, 0xff
	s_cbranch_scc1 .LBB127_2
; %bb.1:
	v_bfe_u32 v1, v0, 10, 10
	v_and_b32_e32 v2, 0x3ff, v0
	s_mov_b32 s3, 0
	s_delay_alu instid0(VALU_DEP_2)
	v_add_nc_u32_e32 v3, s7, v1
	scratch_store_b32 off, v3, off offset:348 ; 4-byte Folded Spill
	s_branch .LBB127_3
.LBB127_2:
	s_mov_b32 s3, -1
                                        ; implicit-def: $vgpr1
                                        ; implicit-def: $vgpr2
                                        ; implicit-def: $vgpr3
                                        ; kill: killed $vgpr3
.LBB127_3:
	s_load_b64 s[8:9], s[0:1], 0x10
	v_dual_mov_b32 v68, 0 :: v_dual_mov_b32 v21, 0
	v_dual_mov_b32 v110, 0 :: v_dual_mov_b32 v25, 0
	;; [unrolled: 1-line block ×16, first 2 shown]
	s_and_not1_b32 vcc_lo, exec_lo, s3
	s_lshl_b32 s14, ttmp9, 7
	s_cbranch_vccnz .LBB127_15
; %bb.4:
	s_ashr_i32 s3, s2, 31
	v_bfe_u32 v33, v0, 10, 10
	s_lshr_b32 s3, s3, 24
	s_add_co_i32 s10, s4, -1
	s_add_co_i32 s2, s2, s3
	v_cvt_f64_i32_e32 v[1:2], s10
	s_ashr_i32 s15, s2, 8
	v_add_nc_u32_e32 v14, s7, v33
	s_lshl_b32 s11, s15, 3
	v_and_b32_e32 v36, 0x3ff, v0
	s_wait_alu 0xfffe
	v_mad_i32_i24 v6, s15, v33, s11
	v_dual_mov_b32 v40, 0 :: v_dual_add_nc_u32 v5, 8, v14
	v_add_nc_u32_e32 v7, 16, v14
	v_add_nc_u32_e32 v9, 24, v14
	v_dual_mov_b32 v94, 0 :: v_dual_add_nc_u32 v11, 32, v14
	v_dual_mov_b32 v57, 0 :: v_dual_add_nc_u32 v12, s11, v6
	v_cvt_f64_u32_e32 v[3:4], v14
	v_add_nc_u32_e32 v13, 40, v14
	scratch_store_b32 off, v6, off offset:216 ; 4-byte Folded Spill
	v_cvt_f64_u32_e32 v[5:6], v5
	v_add_nc_u32_e32 v15, 48, v14
	v_cvt_f64_u32_e32 v[7:8], v7
	v_cvt_f64_u32_e32 v[9:10], v9
	v_add_nc_u32_e32 v18, s11, v12
	scratch_store_b32 off, v12, off offset:220 ; 4-byte Folded Spill
	v_cvt_f64_u32_e32 v[11:12], v11
	v_add_nc_u32_e32 v17, 56, v14
	scratch_store_b32 off, v14, off offset:348 ; 4-byte Folded Spill
	v_cvt_f64_u32_e32 v[13:14], v13
	v_cvt_f64_u32_e32 v[15:16], v15
	v_dual_mov_b32 v44, 0 :: v_dual_add_nc_u32 v19, s11, v18
	scratch_store_b32 off, v18, off offset:224 ; 4-byte Folded Spill
	v_cvt_f64_u32_e32 v[17:18], v17
	v_bfe_u32 v28, v0, 1, 9
	v_add_nc_u32_e32 v22, s11, v19
	scratch_store_b32 off, v19, off offset:228 ; 4-byte Folded Spill
	v_lshlrev_b32_e32 v19, 2, v36
	v_dual_mov_b32 v42, 0 :: v_dual_and_b32 v31, 1, v0
	v_add_nc_u32_e32 v26, s11, v22
	v_lshl_add_u32 v28, v33, 4, v28
	s_clause 0x1
	scratch_store_b32 off, v22, off offset:236
	scratch_store_b32 off, v31, off offset:248
	v_and_b32_e32 v34, 60, v19
	v_dual_mov_b32 v93, 0 :: v_dual_add_nc_u32 v30, s11, v26
	scratch_store_b32 off, v26, off offset:240 ; 4-byte Folded Spill
	v_lshlrev_b32_e32 v31, 2, v31
	v_bfe_u32 v29, v0, 3, 7
	scratch_store_b32 off, v30, off offset:244 ; 4-byte Folded Spill
	v_add_nc_u32_e32 v32, s11, v30
	v_dual_mov_b32 v63, 0 :: v_dual_and_b32 v30, 7, v0
	v_min_num_f64_e32 v[3:4], v[3:4], v[1:2]
	v_lshl_add_u32 v29, v33, 2, v29
	s_ashr_i32 s12, s5, 31
	v_min_num_f64_e32 v[5:6], v[5:6], v[1:2]
	v_cmp_lt_u32_e32 vcc_lo, 3, v30
	v_min_num_f64_e32 v[7:8], v[7:8], v[1:2]
	v_min_num_f64_e32 v[9:10], v[9:10], v[1:2]
	v_mov_b32_e32 v110, 0
	s_lshr_b32 s12, s12, 27
	v_min_num_f64_e32 v[11:12], v[11:12], v[1:2]
	s_add_co_i32 s5, s5, s12
	v_bfe_u32 v27, v0, 4, 6
	v_min_num_f64_e32 v[13:14], v[13:14], v[1:2]
	v_min_num_f64_e32 v[15:16], v[15:16], v[1:2]
	s_ashr_i32 s5, s5, 5
	v_dual_mov_b32 v51, 0 :: v_dual_add_nc_u32 v20, 8, v33
	v_min_num_f64_e32 v[1:2], v[17:18], v[1:2]
	v_and_b32_e32 v18, 0x7f, v28
	v_lshrrev_b32_e32 v28, 2, v28
	v_lshlrev_b32_e32 v17, 2, v30
	v_lshlrev_b32_e32 v30, 5, v29
	v_add_nc_u32_e32 v21, 16, v33
	v_lshl_or_b32 v31, v18, 3, v31
	v_mul_i32_i24_e32 v18, s15, v18
	v_and_b32_e32 v28, 28, v28
	v_add_nc_u32_e32 v26, 56, v33
	s_load_b128 s[0:3], s[0:1], 0x0
	v_add_nc_u32_e32 v22, 24, v33
	v_add_nc_u32_e32 v23, 32, v33
	v_lshlrev_b32_e32 v80, 2, v27
	v_lshlrev_b32_e32 v111, 5, v26
	v_add_nc_u32_e32 v24, 40, v33
	v_dual_mov_b32 v92, 0 :: v_dual_add_nc_u32 v25, 48, v33
	v_lshlrev_b32_e32 v69, 5, v33
	v_lshlrev_b32_e32 v70, 5, v20
	s_mul_i32 s12, s15, s14
	v_cvt_i32_f64_e32 v3, v[3:4]
	s_ashr_i32 s13, s12, 31
	v_lshlrev_b32_e32 v75, 5, v25
	v_cvt_i32_f64_e32 v4, v[5:6]
	s_mul_u64 s[12:13], s[12:13], 0x54
	v_cvt_i32_f64_e32 v6, v[7:8]
	v_cvt_i32_f64_e32 v7, v[9:10]
	s_clause 0x1
	scratch_store_b32 off, v34, off offset:260
	scratch_store_b32 off, v18, off offset:288
	v_cvt_i32_f64_e32 v9, v[11:12]
	v_bfe_u32 v11, v0, 2, 8
	v_mad_u32_u24 v34, 0x84, v33, v19
	v_add3_u32 v18, v31, v28, 0x7280
	v_add_nc_u32_e32 v28, 32, v29
	v_add_nc_u32_e32 v8, 64, v29
	v_lshlrev_b32_e32 v79, 2, v11
	v_cvt_i32_f64_e32 v10, v[13:14]
	v_cvt_i32_f64_e32 v2, v[1:2]
	v_lshl_add_u32 v1, v33, 3, v11
	v_mov_b32_e32 v11, 0
	scratch_store_b32 off, v32, off offset:252 ; 4-byte Folded Spill
	v_add_nc_u32_e32 v32, s11, v32
	scratch_store_b32 off, v34, off offset:264 ; 4-byte Folded Spill
	v_add_nc_u32_e32 v14, 0x60, v29
	v_dual_mov_b32 v68, 0 :: v_dual_and_b32 v5, 0xffc, v28
	scratch_store_b32 off, v32, off offset:256 ; 4-byte Folded Spill
	v_add_nc_u32_e32 v32, s11, v32
	v_cvt_i32_f64_e32 v12, v[15:16]
	v_and_b32_e32 v13, 0xffc, v8
	v_lshlrev_b32_e32 v15, 5, v28
	v_and_b32_e32 v16, 0xffc, v14
	scratch_store_b32 off, v32, off offset:268 ; 4-byte Folded Spill
	v_add_nc_u32_e32 v32, s11, v32
	v_and_b32_e32 v28, 63, v1
	v_and_b32_e32 v1, 3, v0
	v_add3_u32 v5, v5, v17, 0x6200
	v_add3_u32 v13, v13, v17, 0x6200
	scratch_store_b32 off, v32, off offset:272 ; 4-byte Folded Spill
	v_add_nc_u32_e32 v32, s11, v32
	v_add3_u32 v16, v16, v17, 0x6200
	v_and_b32_e32 v0, 31, v0
	v_lshlrev_b32_e32 v8, 5, v8
	v_lshlrev_b32_e32 v14, 5, v14
	scratch_store_b32 off, v32, off offset:276 ; 4-byte Folded Spill
	v_add_nc_u32_e32 v32, s11, v32
	v_lshl_or_b32 v0, v0, 2, 0x4200
	s_wait_kmcnt 0x0
	s_add_nc_u64 s[0:1], s[0:1], s[12:13]
	s_delay_alu instid0(VALU_DEP_2)
	v_add_nc_u32_e32 v34, s11, v32
	s_clause 0x2
	scratch_store_b32 off, v32, off offset:280
	scratch_store_b32 off, v18, off offset:292
	;; [unrolled: 1-line block ×3, first 2 shown]
	v_add_nc_u32_e32 v18, s11, v34
	s_lshl_b32 s11, s15, 5
	v_and_b32_e32 v32, 0x7fc, v29
	s_wait_alu 0xfffe
	v_mad_i32_i24 v31, s15, v29, s11
	s_clause 0x1
	scratch_store_b32 off, v27, off offset:232
	scratch_store_b32 off, v18, off offset:296
	v_cndmask_b32_e64 v18, 0, 1, vcc_lo
	v_dual_mov_b32 v27, 0 :: v_dual_lshlrev_b32 v72, 5, v22
	scratch_store_b32 off, v18, off offset:300 ; 4-byte Folded Spill
	v_and_b32_e32 v18, 12, v19
	scratch_store_b32 off, v18, off offset:304 ; 4-byte Folded Spill
	v_mul_i32_i24_e32 v18, s15, v29
	v_add_nc_u32_e32 v29, s11, v31
	s_clause 0x1
	scratch_store_b32 off, v18, off offset:308
	scratch_store_b32 off, v29, off offset:316
	v_add_nc_u32_e32 v29, s11, v29
	v_add3_u32 v18, v32, v17, 0x6200
	scratch_store_b32 off, v31, off offset:312 ; 4-byte Folded Spill
	v_or_b32_e32 v17, s7, v28
	s_mov_b32 s11, 0
	scratch_store_b32 off, v29, off offset:320 ; 4-byte Folded Spill
	v_lshlrev_b32_e32 v29, 2, v1
	v_min_i32_e32 v17, s10, v17
	s_wait_alu 0xfffe
	s_mov_b32 s10, s11
	s_delay_alu instid0(VALU_DEP_2) | instskip(NEXT) | instid1(VALU_DEP_2)
	v_lshl_or_b32 v28, v28, 4, v29
	v_mad_co_u64_u32 v[31:32], null, v17, s5, v[1:2]
	v_mul_lo_u32 v2, s5, v2
	s_delay_alu instid0(VALU_DEP_3)
	v_add_nc_u32_e32 v1, 0x76a0, v28
	scratch_store_b32 off, v1, off offset:136 ; 4-byte Folded Spill
	v_mul_lo_u32 v1, s5, v3
	v_mul_lo_u32 v3, s5, v4
	v_mul_lo_u32 v4, s5, v6
	v_mul_lo_u32 v6, s5, v7
	v_mul_lo_u32 v7, s5, v9
	v_mul_lo_u32 v9, s5, v10
	v_mul_lo_u32 v10, s5, v12
	v_lshlrev_b32_e32 v12, 7, v26
	s_clause 0x5
	scratch_store_b32 off, v1, off offset:140
	scratch_store_b32 off, v3, off offset:144
	;; [unrolled: 1-line block ×6, first 2 shown]
	v_lshlrev_b32_e32 v1, 7, v33
	v_dual_mov_b32 v26, 0 :: v_dual_lshlrev_b32 v3, 7, v20
	v_lshlrev_b32_e32 v4, 7, v21
	v_lshlrev_b32_e32 v6, 7, v22
	s_delay_alu instid0(VALU_DEP_4)
	v_add_nc_u32_e32 v1, v0, v1
	scratch_store_b32 off, v2, off offset:168 ; 4-byte Folded Spill
	v_add_nc_u32_e32 v2, 32, v36
	v_dual_mov_b32 v22, 0 :: v_dual_lshlrev_b32 v7, 7, v23
	scratch_store_b32 off, v1, off offset:180 ; 4-byte Folded Spill
	v_add_nc_u32_e32 v1, v0, v3
	scratch_store_b64 off, v[31:32], off offset:324 ; 8-byte Folded Spill
	v_lshrrev_b32_e32 v29, 2, v2
	v_lshrrev_b32_e32 v31, 4, v2
	v_lshlrev_b32_e32 v122, 5, v2
	v_lshlrev_b32_e32 v123, 3, v2
	v_add_nc_u32_e32 v2, v18, v30
	scratch_store_b32 off, v1, off offset:184 ; 4-byte Folded Spill
	v_add_nc_u32_e32 v1, v0, v4
	v_lshlrev_b32_e32 v73, 5, v23
	v_mov_b32_e32 v23, 0
	scratch_store_b32 off, v2, off offset:332 ; 4-byte Folded Spill
	v_dual_mov_b32 v15, 0 :: v_dual_add_nc_u32 v2, v5, v15
	v_add_nc_u32_e32 v17, 64, v36
	scratch_store_b32 off, v1, off offset:188 ; 4-byte Folded Spill
	v_add_nc_u32_e32 v1, v0, v6
	v_lshlrev_b32_e32 v9, 7, v24
	v_add_nc_u32_e32 v28, 0x60, v36
	v_lshrrev_b32_e32 v32, 2, v17
	s_clause 0x1
	scratch_store_b32 off, v2, off offset:336
	scratch_store_b32 off, v1, off offset:192
	v_add_nc_u32_e32 v2, v13, v8
	v_add_nc_u32_e32 v1, v0, v7
	v_lshlrev_b32_e32 v134, 2, v32
	v_dual_mov_b32 v32, 0 :: v_dual_and_b32 v19, 28, v19
	v_lshrrev_b32_e32 v33, 4, v17
	v_lshrrev_b32_e32 v34, 2, v28
	;; [unrolled: 1-line block ×3, first 2 shown]
	s_clause 0x1
	scratch_store_b32 off, v2, off offset:340
	scratch_store_b32 off, v1, off offset:196
	v_add_co_u32 v19, s5, s2, v19
	s_wait_alu 0xf1ff
	v_add_co_ci_u32_e64 v20, null, s3, 0, s5
	scratch_store_b32 off, v10, off offset:164 ; 4-byte Folded Spill
	v_lshlrev_b32_e32 v10, 7, v25
	v_add_nc_u32_e32 v2, v16, v14
	v_add_nc_u32_e32 v1, v0, v9
	v_lshlrev_b32_e32 v71, 5, v21
	v_lshlrev_b32_e32 v74, 5, v24
	v_mul_u32_u24_e32 v76, 0x84, v36
	v_lshlrev_b32_e32 v77, 5, v36
	v_lshlrev_b32_e32 v78, 3, v36
	;; [unrolled: 1-line block ×6, first 2 shown]
	s_clause 0x2
	scratch_store_b64 off, v[19:20], off offset:172
	scratch_store_b32 off, v2, off offset:344
	scratch_store_b32 off, v1, off offset:200
	v_add_nc_u32_e32 v1, v0, v10
	v_add_nc_u32_e32 v0, v0, v12
	v_dual_mov_b32 v29, 0 :: v_dual_lshlrev_b32 v124, 2, v29
	v_lshlrev_b32_e32 v125, 2, v31
	v_lshlrev_b32_e32 v135, 2, v33
	;; [unrolled: 1-line block ×3, first 2 shown]
	v_dual_mov_b32 v28, 0 :: v_dual_lshlrev_b32 v137, 2, v35
	v_dual_mov_b32 v24, 0 :: v_dual_mov_b32 v19, 0
	v_mov_b32_e32 v5, 0
	v_dual_mov_b32 v35, 0 :: v_dual_mov_b32 v18, 0
	v_mov_b32_e32 v4, 0
	;; [unrolled: 2-line block ×3, first 2 shown]
	v_mov_b32_e32 v25, 0
	v_dual_mov_b32 v21, 0 :: v_dual_mov_b32 v12, 0
	s_clause 0x1a
	scratch_store_b32 off, v1, off offset:204
	scratch_store_b32 off, v0, off offset:208
	;; [unrolled: 1-line block ×27, first 2 shown]
	s_branch .LBB127_6
.LBB127_5:                              ;   in Loop: Header=BB127_6 Depth=1
	s_add_co_i32 s10, s10, 2
	s_wait_alu 0xfffe
	s_cmp_ge_i32 s10, s15
	s_cbranch_scc1 .LBB127_14
.LBB127_6:                              ; =>This Loop Header: Depth=1
                                        ;     Child Loop BB127_8 Depth 2
                                        ;       Child Loop BB127_10 Depth 3
                                        ;       Child Loop BB127_12 Depth 3
	s_clause 0x2
	scratch_load_b32 v0, off, off offset:232
	scratch_load_b32 v2, off, off offset:212
	;; [unrolled: 1-line block ×3, first 2 shown]
	s_wait_alu 0xfffe
	s_mul_u64 s[12:13], s[10:11], 0x54
	s_lshl_b32 s5, s10, 3
	s_wait_alu 0xfffe
	s_add_nc_u64 s[12:13], s[0:1], s[12:13]
	scratch_load_b32 v7, off, off offset:260 ; 4-byte Folded Reload
	s_wait_loadcnt 0x3
	s_wait_alu 0xfffe
	v_mad_co_u64_u32 v[0:1], null, 0x54, v0, s[12:13]
	s_wait_loadcnt 0x2
	v_mul_i32_i24_e32 v2, s15, v2
	s_wait_loadcnt 0x1
	s_delay_alu instid0(VALU_DEP_2) | instskip(SKIP_3) | instid1(VALU_DEP_1)
	v_mad_co_u64_u32 v[13:14], null, 0x54, v6, v[0:1]
	scratch_load_b32 v6, off, off offset:220 ; 4-byte Folded Reload
	v_mad_co_u64_u32 v[2:3], null, 0x54, v2, v[0:1]
	s_wait_loadcnt 0x1
	v_add_co_u32 v2, vcc_lo, v2, v7
	s_wait_alu 0xfffd
	s_delay_alu instid0(VALU_DEP_2)
	v_add_co_ci_u32_e64 v3, null, 0, v3, vcc_lo
	v_add_co_u32 v13, vcc_lo, v13, v7
	s_wait_alu 0xfffd
	v_add_co_ci_u32_e64 v14, null, 0, v14, vcc_lo
	s_wait_loadcnt 0x0
	v_mad_co_u64_u32 v[33:34], null, 0x54, v6, v[0:1]
	scratch_load_b32 v6, off, off offset:224 ; 4-byte Folded Reload
	v_add_co_u32 v33, vcc_lo, v33, v7
	s_wait_alu 0xfffd
	v_add_co_ci_u32_e64 v34, null, 0, v34, vcc_lo
	s_wait_loadcnt 0x0
	v_mad_co_u64_u32 v[36:37], null, 0x54, v6, v[0:1]
	scratch_load_b32 v6, off, off offset:228 ; 4-byte Folded Reload
	;; [unrolled: 6-line block ×6, first 2 shown]
	v_add_co_u32 v49, vcc_lo, v49, v7
	s_wait_alu 0xfffd
	v_add_co_ci_u32_e64 v50, null, 0, v50, vcc_lo
	s_clause 0x7
	global_load_b32 v20, v[2:3], off offset:16
	global_load_b32 v30, v[13:14], off offset:16
	;; [unrolled: 1-line block ×8, first 2 shown]
	scratch_load_b32 v2, off, off offset:256 ; 4-byte Folded Reload
	s_wait_loadcnt 0x9
	v_mad_co_u64_u32 v[52:53], null, 0x54, v6, v[0:1]
	scratch_load_b32 v6, off, off offset:268 ; 4-byte Folded Reload
	v_add_co_u32 v13, vcc_lo, v52, v7
	s_wait_loadcnt 0x1
	v_mad_co_u64_u32 v[2:3], null, 0x54, v2, v[0:1]
	s_wait_alu 0xfffd
	v_add_co_ci_u32_e64 v14, null, 0, v53, vcc_lo
	s_delay_alu instid0(VALU_DEP_2) | instskip(SKIP_1) | instid1(VALU_DEP_3)
	v_add_co_u32 v2, vcc_lo, v2, v7
	s_wait_alu 0xfffd
	v_add_co_ci_u32_e64 v3, null, 0, v3, vcc_lo
	s_wait_loadcnt 0x0
	v_mad_co_u64_u32 v[33:34], null, 0x54, v6, v[0:1]
	scratch_load_b32 v6, off, off offset:272 ; 4-byte Folded Reload
	v_add_co_u32 v33, vcc_lo, v33, v7
	s_wait_alu 0xfffd
	v_add_co_ci_u32_e64 v34, null, 0, v34, vcc_lo
	s_wait_loadcnt 0x0
	v_mad_co_u64_u32 v[36:37], null, 0x54, v6, v[0:1]
	scratch_load_b32 v6, off, off offset:276 ; 4-byte Folded Reload
	;; [unrolled: 6-line block ×6, first 2 shown]
	s_wait_loadcnt 0x0
	v_mad_co_u64_u32 v[0:1], null, 0x54, v6, v[0:1]
	scratch_load_b32 v6, off, off offset:288 ; 4-byte Folded Reload
	s_wait_loadcnt 0x0
	v_mad_co_u64_u32 v[52:53], null, 0x54, v6, s[12:13]
	scratch_load_b32 v6, off, off offset:304 ; 4-byte Folded Reload
	s_mov_b32 s12, 0
	s_wait_loadcnt 0x0
	v_add_co_u32 v49, vcc_lo, v49, v6
	scratch_load_b32 v6, off, off offset:248 ; 4-byte Folded Reload
	s_wait_alu 0xfffd
	v_add_co_ci_u32_e64 v50, null, 0, v50, vcc_lo
	v_add_co_u32 v0, vcc_lo, v0, v7
	s_wait_alu 0xfffd
	v_add_co_ci_u32_e64 v1, null, 0, v1, vcc_lo
	s_wait_loadcnt 0x0
	v_mad_co_u64_u32 v[52:53], null, 0x54, v6, v[52:53]
	scratch_load_b32 v6, off, off offset:308 ; 4-byte Folded Reload
	s_wait_loadcnt 0x0
	v_mad_co_u64_u32 v[54:55], null, 0x54, v6, v[49:50]
	scratch_load_b32 v6, off, off offset:312 ; 4-byte Folded Reload
	;; [unrolled: 3-line block ×4, first 2 shown]
	s_wait_loadcnt 0x0
	v_mad_co_u64_u32 v[49:50], null, 0x54, v6, v[49:50]
	s_clause 0xc
	global_load_b32 v13, v[13:14], off offset:16
	global_load_b32 v2, v[2:3], off offset:16
	;; [unrolled: 1-line block ×9, first 2 shown]
	global_load_b32 v37, v[54:55], off
	global_load_b32 v38, v[58:59], off
	;; [unrolled: 1-line block ×4, first 2 shown]
	s_clause 0x1
	scratch_load_b32 v6, off, off offset:264
	scratch_load_b64 v[7:8], off, off offset:324
	s_wait_loadcnt 0x1
	v_add_nc_u32_e32 v46, 0x420, v6
	s_wait_loadcnt 0x0
	v_add_nc_u32_e32 v7, s5, v7
	v_add_nc_u32_e32 v47, 0x840, v6
	;; [unrolled: 1-line block ×15, first 2 shown]
	scratch_store_b32 off, v7, off offset:128 ; 4-byte Folded Spill
	ds_store_b32 v6, v20
	ds_store_b32 v46, v30
	;; [unrolled: 1-line block ×16, first 2 shown]
	scratch_load_b32 v0, off, off offset:292 ; 4-byte Folded Reload
	s_wait_loadcnt 0x0
	ds_store_b32 v0, v1
	scratch_load_b32 v0, off, off offset:332 ; 4-byte Folded Reload
	s_wait_loadcnt 0x0
	ds_store_b32 v0, v37
	;; [unrolled: 3-line block ×5, first 2 shown]
	s_branch .LBB127_8
.LBB127_7:                              ;   in Loop: Header=BB127_8 Depth=2
                                        ; implicit-def: $sgpr12
	s_wait_alu 0xfffe
	s_and_b32 vcc_lo, exec_lo, s13
	s_wait_alu 0xfffe
	s_cbranch_vccnz .LBB127_5
.LBB127_8:                              ;   Parent Loop BB127_6 Depth=1
                                        ; =>  This Loop Header: Depth=2
                                        ;       Child Loop BB127_10 Depth 3
                                        ;       Child Loop BB127_12 Depth 3
	s_wait_alu 0xfffe
	s_lshr_b32 s13, s12, 1
	s_wait_alu 0xfffe
	s_or_b32 s13, s13, s10
	s_wait_alu 0xfffe
	s_cmp_lt_i32 s13, s15
	s_mov_b32 s13, -1
	s_cbranch_scc0 .LBB127_7
; %bb.9:                                ;   in Loop: Header=BB127_8 Depth=2
	s_clause 0x3
	scratch_load_b32 v0, off, off offset:132
	scratch_load_b32 v2, off, off offset:144
	scratch_load_b64 v[6:7], off, off offset:172
	scratch_load_b32 v1, off, off offset:128
	v_mov_b32_e32 v10, v15
	s_or_b32 s16, s12, 1
	s_lshl_b32 s17, s12, 3
	s_wait_alu 0xfffe
	s_lshl_b32 s13, s16, 3
	scratch_load_b32 v3, off, off offset:148 ; 4-byte Folded Reload
	v_dual_mov_b32 v15, v16 :: v_dual_mov_b32 v16, v63
	v_mov_b32_e32 v63, v57
	v_mov_b32_e32 v57, v51
	v_dual_mov_b32 v51, v44 :: v_dual_mov_b32 v44, v42
	v_mov_b32_e32 v42, v40
	v_dual_mov_b32 v40, v35 :: v_dual_mov_b32 v35, v32
	v_dual_mov_b32 v32, v31 :: v_dual_mov_b32 v31, v29
	v_dual_mov_b32 v29, v28 :: v_dual_mov_b32 v28, v27
	v_dual_mov_b32 v27, v26 :: v_dual_mov_b32 v26, v25
	v_dual_mov_b32 v25, v24 :: v_dual_mov_b32 v24, v23
	v_dual_mov_b32 v23, v22 :: v_dual_mov_b32 v22, v21
	v_mov_b32_e32 v21, v19
	v_dual_mov_b32 v19, v18 :: v_dual_mov_b32 v18, v17
	v_mov_b32_e32 v17, v12
	s_wait_loadcnt 0x4
	v_lshl_add_u32 v0, s12, 5, v0
	s_wait_loadcnt 0x1
	v_lshl_add_u32 v20, s12, 2, v1
	scratch_load_b32 v1, off, off offset:140 ; 4-byte Folded Reload
	v_lshrrev_b32_e32 v0, 3, v0
	v_mad_co_u64_u32 v[36:37], null, v20, 36, s[2:3]
	s_delay_alu instid0(VALU_DEP_2) | instskip(SKIP_1) | instid1(VALU_DEP_1)
	v_add_nc_u32_e32 v0, s5, v0
	s_wait_loadcnt 0x1
	v_add_nc_u32_e32 v13, v0, v3
	scratch_load_b32 v3, off, off offset:152 ; 4-byte Folded Reload
	v_add_nc_u32_e32 v2, v0, v2
	v_mad_co_i64_i32 v[13:14], null, v13, 36, v[6:7]
	s_wait_loadcnt 0x1
	v_add_nc_u32_e32 v1, v0, v1
	s_wait_loadcnt 0x0
	v_add_nc_u32_e32 v30, v0, v3
	scratch_load_b32 v3, off, off offset:156 ; 4-byte Folded Reload
	v_mad_co_i64_i32 v[33:34], null, v30, 36, v[6:7]
	s_wait_loadcnt 0x0
	v_add_nc_u32_e32 v41, v0, v3
	scratch_load_b32 v3, off, off offset:160 ; 4-byte Folded Reload
	v_mad_co_i64_i32 v[45:46], null, v41, 36, v[6:7]
	;; [unrolled: 4-line block ×4, first 2 shown]
	s_wait_loadcnt 0x0
	v_add_nc_u32_e32 v38, v0, v3
	v_mad_co_i64_i32 v[0:1], null, v1, 36, v[6:7]
	v_mad_co_i64_i32 v[2:3], null, v2, 36, v[6:7]
	s_delay_alu instid0(VALU_DEP_3)
	v_mad_co_i64_i32 v[38:39], null, v38, 36, v[6:7]
	s_clause 0x8
	global_load_b32 v20, v[36:37], off
	global_load_b32 v30, v[38:39], off offset:4
	global_load_b32 v0, v[0:1], off offset:4
	;; [unrolled: 1-line block ×8, first 2 shown]
	scratch_load_b32 v6, off, off offset:208 ; 4-byte Folded Reload
	s_wait_loadcnt 0x9
	v_cvt_f32_f16_e32 v20, v20
	s_wait_loadcnt 0x0
	ds_store_b32 v6, v30
	scratch_load_b32 v6, off, off offset:180 ; 4-byte Folded Reload
	s_wait_loadcnt 0x0
	ds_store_b32 v6, v0
	scratch_load_b32 v0, off, off offset:184 ; 4-byte Folded Reload
	;; [unrolled: 3-line block ×8, first 2 shown]
	s_wait_loadcnt 0x0
	ds_store_b32 v0, v20
	s_wait_storecnt_dscnt 0x0
	s_barrier_signal -1
	s_barrier_wait -1
	global_inv scope:SCOPE_SE
	s_clause 0x1
	scratch_store_b32 off, v4, off offset:4
	scratch_store_b32 off, v5, off
.LBB127_10:                             ;   Parent Loop BB127_6 Depth=1
                                        ;     Parent Loop BB127_8 Depth=2
                                        ; =>    This Inner Loop Header: Depth=3
	s_lshl_b32 s18, s17, 2
	s_and_b32 s20, s17, 0x3ffffff8
	s_wait_alu 0xfffe
	s_and_b32 s18, s18, 24
	v_lshl_add_u32 v2, s20, 2, v76
	s_wait_loadcnt 0x0
	s_wait_alu 0xfffe
	v_or_b32_e32 v0, s18, v69
	s_clause 0x3
	scratch_store_b32 off, v94, off offset:20
	scratch_store_b32 off, v93, off offset:16
	;; [unrolled: 1-line block ×4, first 2 shown]
	s_and_b32 s19, s17, 6
	s_and_b32 s21, s17, 0x7ffffffe
	ds_load_2addr_b32 v[13:14], v2 offset1:1
	v_lshlrev_b32_e32 v3, 2, v0
	v_lshrrev_b32_e32 v0, 1, v0
	s_wait_alu 0xfffe
	s_add_co_i32 s20, s21, 0x6200
	s_lshr_b32 s21, s17, 2
	s_wait_alu 0xfffe
	v_add3_u32 v38, s20, v79, v77
	s_and_b32 s21, s21, 0x3ffffffc
	ds_load_b32 v1, v0 offset:30368
	s_wait_alu 0xfffe
	s_addk_co_i32 s21, 0x7280
	s_add_co_i32 s17, s17, 2
	s_wait_alu 0xfffe
	v_add3_u32 v0, s21, v80, v78
	s_cmp_lt_u32 s17, s13
	v_dual_mov_b32 v12, v11 :: v_dual_mov_b32 v11, v110
	s_wait_dscnt 0x1
	v_ashrrev_i32_e32 v20, s19, v13
	v_ashrrev_i32_e32 v30, s19, v14
	ds_load_2addr_b32 v[13:14], v2 offset0:2 offset1:3
	v_and_b32_e32 v253, 3, v20
	v_bfe_u32 v92, v20, 8, 2
	v_bfe_u32 v254, v20, 16, 2
	;; [unrolled: 1-line block ×3, first 2 shown]
	v_and_b32_e32 v93, 3, v30
	v_bfe_u32 v94, v30, 8, 2
	v_bfe_u32 v95, v30, 16, 2
	;; [unrolled: 1-line block ×3, first 2 shown]
	s_wait_dscnt 0x0
	v_ashrrev_i32_e32 v33, s19, v13
	v_ashrrev_i32_e32 v34, s19, v14
	ds_load_2addr_b32 v[13:14], v2 offset0:4 offset1:5
	v_and_b32_e32 v245, 3, v33
	v_bfe_u32 v246, v33, 8, 2
	v_bfe_u32 v247, v33, 16, 2
	;; [unrolled: 1-line block ×3, first 2 shown]
	v_and_b32_e32 v249, 3, v34
	v_bfe_u32 v250, v34, 8, 2
	v_bfe_u32 v251, v34, 16, 2
	;; [unrolled: 1-line block ×3, first 2 shown]
	s_wait_dscnt 0x0
	v_ashrrev_i32_e32 v36, s19, v13
	v_ashrrev_i32_e32 v37, s19, v14
	ds_load_2addr_b32 v[13:14], v2 offset0:6 offset1:7
	ds_load_b32 v0, v0
	ds_load_u16 v38, v38
	ds_load_b128 v[78:81], v3 offset:16896
	ds_load_b128 v[82:85], v3 offset:16912
	v_and_b32_e32 v60, 3, v36
	v_bfe_u32 v61, v36, 16, 2
	v_bfe_u32 v65, v36, 24, 2
	v_and_b32_e32 v33, 3, v37
	v_bfe_u32 v34, v37, 8, 2
	s_wait_dscnt 0x4
	v_ashrrev_i32_e32 v13, s19, v13
	s_wait_dscnt 0x2
	v_lshrrev_b16 v39, 8, v38
	v_bfe_u32 v41, v38, 4, 4
	v_ashrrev_i32_e32 v14, s19, v14
	v_and_b32_e32 v20, 15, v38
	v_and_b32_e32 v38, 3, v13
	;; [unrolled: 1-line block ×3, first 2 shown]
	v_mul_lo_u32 v46, 0x1010101, v41
	v_bfe_u32 v39, v13, 8, 2
	v_bfe_u32 v41, v13, 16, 2
	;; [unrolled: 1-line block ×3, first 2 shown]
	s_wait_dscnt 0x0
	v_lshrrev_b16 v13, 8, v82
	v_and_b32_e32 v55, 3, v14
	v_bfe_u32 v56, v14, 8, 2
	v_bfe_u32 v58, v14, 16, 2
	v_bfe_u32 v59, v14, 24, 2
	v_ashrrev_i32_e32 v14, 24, v82
	v_bfe_i32 v47, v13, 0, 8
	v_lshrrev_b16 v13, 8, v83
	v_ashrrev_i32_e32 v67, 24, v83
	v_bfe_i32 v77, v78, 0, 8
	v_bfe_i32 v76, v78, 16, 8
	;; [unrolled: 1-line block ×5, first 2 shown]
	v_lshrrev_b16 v13, 8, v80
	v_ashrrev_i32_e32 v71, 24, v84
	v_bfe_i32 v91, v85, 0, 8
	v_bfe_i32 v96, v85, 8, 8
	;; [unrolled: 1-line block ×3, first 2 shown]
	v_ashrrev_i32_e32 v85, 24, v85
	v_add_nc_u32_e32 v53, v67, v14
	v_ashrrev_i32_e32 v3, 24, v78
	v_bfe_i32 v48, v82, 16, 8
	v_bfe_i32 v66, v82, 0, 8
	;; [unrolled: 1-line block ×3, first 2 shown]
	v_ashrrev_i32_e32 v82, 24, v79
	v_bfe_i32 v68, v83, 16, 8
	v_bfe_i32 v70, v83, 0, 8
	;; [unrolled: 1-line block ×9, first 2 shown]
	v_lshrrev_b16 v13, 8, v81
	v_bfe_i32 v98, v81, 16, 8
	v_bfe_i32 v99, v81, 0, 8
	v_add_nc_u32_e32 v54, v87, v76
	v_add_nc_u32_e32 v64, v86, v77
	v_add3_u32 v103, v53, v71, v85
	v_mul_i32_i24_e32 v53, v93, v86
	v_ashrrev_i32_e32 v80, 24, v80
	v_bfe_i32 v90, v13, 0, 8
	v_ashrrev_i32_e32 v81, 24, v81
	v_add_nc_u32_e32 v13, v83, v73
	v_add_nc_u32_e32 v78, v82, v3
	v_add3_u32 v101, v64, v89, v99
	v_add3_u32 v102, v54, v84, v98
	v_mul_i32_i24_e32 v54, v95, v87
	v_mul_i32_i24_e32 v64, v244, v82
	v_mad_i32_i24 v53, v94, v73, v53
	v_add_nc_u32_e32 v45, v70, v66
	v_add_nc_u32_e32 v49, v69, v47
	v_add3_u32 v100, v78, v80, v81
	v_add3_u32 v108, v13, v88, v90
	v_mul_i32_i24_e32 v13, v77, v253
	v_mul_i32_i24_e32 v78, v245, v89
	v_add3_u32 v53, v53, v54, v64
	v_lshrrev_b32_e32 v30, 4, v62
	v_add_nc_u32_e32 v52, v68, v48
	v_add3_u32 v106, v49, v74, v96
	v_add3_u32 v107, v45, v75, v91
	v_mul_i32_i24_e32 v45, v83, v92
	v_mul_i32_i24_e32 v49, v76, v254
	v_add3_u32 v13, v53, v78, v13
	v_mul_lo_u32 v50, 0x1010101, v30
	v_add3_u32 v105, v52, v72, v97
	v_mul_i32_i24_e32 v52, v3, v255
	v_mul_i32_i24_e32 v79, v246, v88
	v_add3_u32 v13, v13, v45, v49
	v_lshrrev_b16 v78, 8, v46
	v_bfe_u32 v30, v36, 8, 2
	v_mul_i32_i24_e32 v109, v247, v84
	v_mul_i32_i24_e32 v112, v248, v80
	v_add3_u32 v13, v13, v52, v79
	v_lshrrev_b32_e32 v49, 24, v50
	v_bfe_i32 v53, v50, 16, 8
	v_bfe_i32 v52, v50, 8, 8
	v_bfe_i32 v54, v50, 0, 8
	v_bfe_i32 v50, v78, 0, 8
	v_mul_i32_i24_e32 v78, v60, v66
	v_add3_u32 v13, v13, v109, v112
	v_mul_i32_i24_e32 v79, v61, v48
	v_mul_i32_i24_e32 v109, v65, v14
	v_bfe_u32 v36, v37, 16, 2
	v_mad_i32_i24 v78, v30, v47, v78
	v_bfe_u32 v37, v37, 24, 2
	v_mul_i32_i24_e32 v113, v249, v99
	v_mul_i32_i24_e32 v114, v250, v90
	;; [unrolled: 1-line block ×3, first 2 shown]
	v_add3_u32 v78, v78, v79, v109
	v_mul_i32_i24_e32 v79, v33, v70
	v_mul_i32_i24_e32 v109, v34, v69
	;; [unrolled: 1-line block ×3, first 2 shown]
	v_add3_u32 v13, v13, v113, v114
	v_mul_i32_i24_e32 v112, v36, v68
	v_mul_i32_i24_e32 v113, v37, v67
	v_add3_u32 v78, v78, v79, v109
	v_mul_i32_i24_e32 v114, v38, v75
	v_add3_u32 v13, v13, v115, v116
	v_mul_i32_i24_e32 v115, v39, v74
	v_mul_i32_i24_e32 v116, v41, v72
	v_add3_u32 v78, v78, v112, v113
	v_mul_i32_i24_e32 v117, v43, v71
	v_lshrrev_b32_e32 v45, 24, v46
	v_mul_i32_i24_e32 v118, v55, v91
	v_mul_i32_i24_e32 v119, v56, v96
	v_add3_u32 v78, v78, v114, v115
	v_mul_i32_i24_e32 v114, v103, v49
	v_mul_lo_u32 v64, v13, v20
	v_bfe_i32 v13, v46, 0, 8
	v_bfe_i32 v46, v46, 16, 8
	v_add3_u32 v78, v78, v116, v117
	v_mul_i32_i24_e32 v120, v58, v97
	v_mul_i32_i24_e32 v121, v59, v85
	;; [unrolled: 1-line block ×4, first 2 shown]
	v_add3_u32 v78, v78, v118, v119
	v_mul_i32_i24_e32 v112, v106, v52
	v_mul_i32_i24_e32 v113, v105, v53
	v_mad_i32_i24 v114, v100, v45, v114
	v_mad_i32_i24 v109, v101, v13, v109
	v_add3_u32 v78, v78, v120, v121
	v_and_b32_e32 v62, 15, v62
	v_mad_i32_i24 v113, v102, v46, v113
	v_add3_u32 v79, v79, v112, v114
	v_add3_u32 v118, s21, v125, v123
	s_delay_alu instid0(VALU_DEP_2) | instskip(SKIP_2) | instid1(VALU_DEP_3)
	v_add3_u32 v109, v109, v113, v79
	v_mad_co_u64_u32 v[78:79], null, v78, v62, v[64:65]
	v_lshrrev_b32_e32 v64, 16, v0
	v_cvt_f32_i32_e32 v79, v109
	s_delay_alu instid0(VALU_DEP_2) | instskip(NEXT) | instid1(VALU_DEP_4)
	v_cvt_f32_f16_e32 v64, v64
	v_cvt_f32_i32_e32 v78, v78
	s_delay_alu instid0(VALU_DEP_2) | instskip(NEXT) | instid1(VALU_DEP_1)
	v_mul_f32_e32 v79, v64, v79
	v_fma_mix_f32 v78, v0, v78, -v79 op_sel_hi:[1,0,0]
	s_delay_alu instid0(VALU_DEP_1)
	v_fmac_f32_e32 v31, v1, v78
	v_add_nc_u32_e32 v78, 0x1080, v2
	ds_load_2addr_b32 v[78:79], v78 offset1:1
	s_wait_dscnt 0x0
	v_ashrrev_i32_e32 v109, s19, v78
	v_add_nc_u32_e32 v78, 0x1088, v2
	v_ashrrev_i32_e32 v112, s19, v79
	s_delay_alu instid0(VALU_DEP_3)
	v_and_b32_e32 v240, 3, v109
	ds_load_2addr_b32 v[78:79], v78 offset1:1
	v_and_b32_e32 v227, 3, v112
	v_bfe_u32 v228, v112, 8, 2
	v_bfe_u32 v229, v112, 16, 2
	;; [unrolled: 1-line block ×6, first 2 shown]
	v_mul_i32_i24_e32 v123, v229, v87
	v_mul_i32_i24_e32 v112, v230, v82
	;; [unrolled: 1-line block ×5, first 2 shown]
	s_wait_dscnt 0x0
	v_ashrrev_i32_e32 v113, s19, v78
	v_add_nc_u32_e32 v78, 0x1090, v2
	v_ashrrev_i32_e32 v114, s19, v79
	s_delay_alu instid0(VALU_DEP_3)
	v_and_b32_e32 v231, 3, v113
	ds_load_2addr_b32 v[78:79], v78 offset1:1
	v_bfe_u32 v233, v113, 8, 2
	v_bfe_u32 v234, v113, 16, 2
	;; [unrolled: 1-line block ×3, first 2 shown]
	v_and_b32_e32 v236, 3, v114
	v_bfe_u32 v237, v114, 8, 2
	v_mul_i32_i24_e32 v125, v233, v88
	v_mul_i32_i24_e32 v126, v234, v84
	;; [unrolled: 1-line block ×5, first 2 shown]
	v_bfe_u32 v238, v114, 16, 2
	v_bfe_u32 v239, v114, 24, 2
	s_delay_alu instid0(VALU_DEP_2) | instskip(NEXT) | instid1(VALU_DEP_2)
	v_mul_i32_i24_e32 v129, v238, v98
	v_mul_i32_i24_e32 v114, v239, v81
	s_wait_dscnt 0x0
	v_ashrrev_i32_e32 v115, s19, v78
	v_add_nc_u32_e32 v78, 0x1098, v2
	v_ashrrev_i32_e32 v116, s19, v79
	s_delay_alu instid0(VALU_DEP_3)
	v_and_b32_e32 v222, 3, v115
	ds_load_2addr_b32 v[78:79], v78 offset1:1
	v_bfe_u32 v212, v115, 8, 2
	v_bfe_u32 v225, v115, 16, 2
	;; [unrolled: 1-line block ×3, first 2 shown]
	v_and_b32_e32 v209, 3, v116
	v_bfe_u32 v210, v116, 8, 2
	v_bfe_u32 v211, v116, 16, 2
	;; [unrolled: 1-line block ×3, first 2 shown]
	s_delay_alu instid0(VALU_DEP_2) | instskip(NEXT) | instid1(VALU_DEP_2)
	v_mul_i32_i24_e32 v115, v211, v68
	v_mul_i32_i24_e32 v116, v213, v67
	s_wait_dscnt 0x0
	v_ashrrev_i32_e32 v117, s19, v78
	v_add3_u32 v78, s20, v124, v122
	ds_load_b32 v198, v118
	ds_load_u16 v78, v78
	v_mul_i32_i24_e32 v122, v227, v86
	v_mul_i32_i24_e32 v124, v231, v89
	v_and_b32_e32 v214, 3, v117
	v_bfe_u32 v215, v117, 8, 2
	v_ashrrev_i32_e32 v79, s19, v79
	v_mad_i32_i24 v122, v228, v73, v122
	v_bfe_u32 v216, v117, 16, 2
	v_bfe_u32 v217, v117, 24, 2
	s_delay_alu instid0(VALU_DEP_4) | instskip(NEXT) | instid1(VALU_DEP_4)
	v_and_b32_e32 v218, 3, v79
	v_add3_u32 v112, v122, v123, v112
	v_bfe_u32 v219, v79, 8, 2
	s_delay_alu instid0(VALU_DEP_4) | instskip(SKIP_2) | instid1(VALU_DEP_4)
	v_mul_i32_i24_e32 v117, v217, v71
	v_bfe_u32 v220, v79, 16, 2
	v_bfe_u32 v221, v79, 24, 2
	v_mul_i32_i24_e32 v122, v219, v96
	s_delay_alu instid0(VALU_DEP_3)
	v_mul_i32_i24_e32 v123, v220, v97
	s_wait_dscnt 0x0
	v_bfe_u32 v119, v78, 4, 4
	v_lshrrev_b16 v118, 8, v78
	v_and_b32_e32 v241, 15, v78
	v_mul_i32_i24_e32 v79, v221, v85
	s_delay_alu instid0(VALU_DEP_4) | instskip(NEXT) | instid1(VALU_DEP_1)
	v_mul_lo_u32 v119, 0x1010101, v119
	v_bfe_i32 v201, v119, 0, 8
	v_bfe_i32 v202, v119, 8, 8
	v_bfe_i32 v203, v119, 16, 8
	v_lshrrev_b32_e32 v204, 24, v119
	v_mul_i32_i24_e32 v119, v77, v240
	s_delay_alu instid0(VALU_DEP_1) | instskip(SKIP_1) | instid1(VALU_DEP_2)
	v_add3_u32 v112, v112, v124, v119
	v_mul_i32_i24_e32 v119, v215, v74
	v_add3_u32 v112, v112, v120, v121
	v_mul_i32_i24_e32 v120, v216, v72
	v_mul_i32_i24_e32 v121, v218, v91
	s_delay_alu instid0(VALU_DEP_3) | instskip(NEXT) | instid1(VALU_DEP_1)
	v_add3_u32 v109, v112, v109, v125
	v_add3_u32 v109, v109, v126, v113
	v_mul_i32_i24_e32 v113, v225, v48
	s_delay_alu instid0(VALU_DEP_2) | instskip(NEXT) | instid1(VALU_DEP_1)
	v_add3_u32 v109, v109, v127, v128
	v_add3_u32 v109, v109, v129, v114
	v_mul_i32_i24_e32 v114, v226, v14
	s_delay_alu instid0(VALU_DEP_2) | instskip(SKIP_2) | instid1(VALU_DEP_2)
	v_mul_lo_u32 v78, v109, v241
	v_and_b32_e32 v109, 0xffff, v118
	v_mul_i32_i24_e32 v118, v214, v75
	v_lshrrev_b32_e32 v112, 4, v109
	v_and_b32_e32 v223, 15, v109
	s_delay_alu instid0(VALU_DEP_2) | instskip(NEXT) | instid1(VALU_DEP_1)
	v_mul_lo_u32 v112, 0x1010101, v112
	v_bfe_i32 v205, v112, 0, 8
	v_bfe_i32 v206, v112, 8, 8
	;; [unrolled: 1-line block ×3, first 2 shown]
	v_lshrrev_b32_e32 v208, 24, v112
	v_mul_i32_i24_e32 v112, v222, v66
	s_delay_alu instid0(VALU_DEP_1) | instskip(NEXT) | instid1(VALU_DEP_1)
	v_mad_i32_i24 v112, v212, v47, v112
	v_add3_u32 v112, v112, v113, v114
	v_mul_i32_i24_e32 v113, v209, v70
	v_mul_i32_i24_e32 v114, v210, v69
	s_delay_alu instid0(VALU_DEP_1) | instskip(SKIP_2) | instid1(VALU_DEP_3)
	v_add3_u32 v112, v112, v113, v114
	v_mul_i32_i24_e32 v114, v107, v205
	v_mul_i32_i24_e32 v113, v105, v207
	v_add3_u32 v112, v112, v115, v116
	v_mul_i32_i24_e32 v116, v100, v204
	v_mul_i32_i24_e32 v115, v106, v206
	s_delay_alu instid0(VALU_DEP_3) | instskip(SKIP_1) | instid1(VALU_DEP_2)
	v_add3_u32 v112, v112, v118, v119
	v_mul_i32_i24_e32 v118, v101, v201
	v_add3_u32 v112, v112, v120, v117
	v_mul_i32_i24_e32 v117, v102, v203
	s_delay_alu instid0(VALU_DEP_3) | instskip(NEXT) | instid1(VALU_DEP_3)
	v_mad_i32_i24 v118, v108, v202, v118
	v_add3_u32 v112, v112, v121, v122
	s_delay_alu instid0(VALU_DEP_2) | instskip(SKIP_1) | instid1(VALU_DEP_3)
	v_add3_u32 v116, v118, v117, v116
	v_add3_u32 v118, s21, v135, v131
	;; [unrolled: 1-line block ×3, first 2 shown]
	v_mul_i32_i24_e32 v112, v103, v208
	s_delay_alu instid0(VALU_DEP_4) | instskip(NEXT) | instid1(VALU_DEP_3)
	v_add3_u32 v114, v116, v114, v115
	v_mad_co_u64_u32 v[78:79], null, v79, v223, v[78:79]
	s_delay_alu instid0(VALU_DEP_2) | instskip(SKIP_1) | instid1(VALU_DEP_1)
	v_add3_u32 v112, v114, v113, v112
	v_lshrrev_b32_e32 v79, 16, v198
	v_cvt_f32_f16_e64 v224, v79
	s_delay_alu instid0(VALU_DEP_3) | instskip(SKIP_1) | instid1(VALU_DEP_2)
	v_cvt_f32_i32_e32 v79, v112
	v_cvt_f32_i32_e32 v78, v78
	v_mul_f32_e32 v79, v224, v79
	s_delay_alu instid0(VALU_DEP_1) | instskip(NEXT) | instid1(VALU_DEP_1)
	v_fma_mix_f32 v78, v198, v78, -v79 op_sel_hi:[1,0,0]
	v_fmac_f32_e32 v10, v1, v78
	v_add_nc_u32_e32 v78, 0x2100, v2
	scratch_store_b32 off, v10, off offset:124 ; 4-byte Folded Spill
	ds_load_2addr_b32 v[78:79], v78 offset1:1
	s_wait_dscnt 0x0
	v_ashrrev_i32_e32 v109, s19, v78
	v_add_nc_u32_e32 v78, 0x2108, v2
	v_ashrrev_i32_e32 v112, s19, v79
	s_delay_alu instid0(VALU_DEP_3)
	v_and_b32_e32 v196, 3, v109
	ds_load_2addr_b32 v[78:79], v78 offset1:1
	v_and_b32_e32 v183, 3, v112
	v_bfe_u32 v184, v112, 8, 2
	v_bfe_u32 v185, v112, 16, 2
	;; [unrolled: 1-line block ×4, first 2 shown]
	v_mul_i32_i24_e32 v122, v183, v86
	v_bfe_u32 v199, v109, 16, 2
	v_mul_i32_i24_e32 v123, v185, v87
	v_mul_i32_i24_e32 v112, v186, v82
	;; [unrolled: 1-line block ×3, first 2 shown]
	v_mad_i32_i24 v122, v184, v73, v122
	v_mul_i32_i24_e32 v121, v76, v199
	v_bfe_u32 v200, v109, 24, 2
	s_delay_alu instid0(VALU_DEP_3) | instskip(NEXT) | instid1(VALU_DEP_2)
	v_add3_u32 v112, v122, v123, v112
	v_mul_i32_i24_e32 v109, v3, v200
	s_wait_dscnt 0x0
	v_ashrrev_i32_e32 v113, s19, v78
	v_add_nc_u32_e32 v78, 0x2110, v2
	v_ashrrev_i32_e32 v114, s19, v79
	s_delay_alu instid0(VALU_DEP_3)
	v_and_b32_e32 v187, 3, v113
	ds_load_2addr_b32 v[78:79], v78 offset1:1
	v_bfe_u32 v189, v113, 8, 2
	v_bfe_u32 v190, v113, 16, 2
	;; [unrolled: 1-line block ×3, first 2 shown]
	v_mul_i32_i24_e32 v124, v187, v89
	v_and_b32_e32 v192, 3, v114
	v_mul_i32_i24_e32 v125, v189, v88
	v_mul_i32_i24_e32 v126, v190, v84
	;; [unrolled: 1-line block ×3, first 2 shown]
	v_bfe_u32 v193, v114, 8, 2
	v_mul_i32_i24_e32 v127, v192, v99
	v_bfe_u32 v194, v114, 16, 2
	v_bfe_u32 v195, v114, 24, 2
	s_delay_alu instid0(VALU_DEP_4) | instskip(NEXT) | instid1(VALU_DEP_3)
	v_mul_i32_i24_e32 v128, v193, v90
	v_mul_i32_i24_e32 v129, v194, v98
	s_delay_alu instid0(VALU_DEP_3) | instskip(SKIP_4) | instid1(VALU_DEP_3)
	v_mul_i32_i24_e32 v114, v195, v81
	s_wait_dscnt 0x0
	v_ashrrev_i32_e32 v115, s19, v78
	v_add_nc_u32_e32 v78, 0x2118, v2
	v_ashrrev_i32_e32 v116, s19, v79
	v_and_b32_e32 v178, 3, v115
	ds_load_2addr_b32 v[78:79], v78 offset1:1
	v_bfe_u32 v168, v115, 8, 2
	v_bfe_u32 v181, v115, 16, 2
	v_bfe_u32 v182, v115, 24, 2
	v_and_b32_e32 v165, 3, v116
	v_bfe_u32 v166, v116, 8, 2
	v_bfe_u32 v167, v116, 16, 2
	v_bfe_u32 v169, v116, 24, 2
	s_delay_alu instid0(VALU_DEP_2) | instskip(NEXT) | instid1(VALU_DEP_2)
	v_mul_i32_i24_e32 v115, v167, v68
	v_mul_i32_i24_e32 v116, v169, v67
	s_wait_dscnt 0x0
	v_ashrrev_i32_e32 v117, s19, v78
	v_add3_u32 v78, s20, v134, v130
	ds_load_b32 v154, v118
	ds_load_u16 v78, v78
	v_and_b32_e32 v170, 3, v117
	v_bfe_u32 v171, v117, 8, 2
	v_ashrrev_i32_e32 v79, s19, v79
	v_bfe_u32 v172, v117, 16, 2
	v_bfe_u32 v173, v117, 24, 2
	s_delay_alu instid0(VALU_DEP_3) | instskip(SKIP_1) | instid1(VALU_DEP_3)
	v_and_b32_e32 v174, 3, v79
	v_bfe_u32 v175, v79, 8, 2
	v_mul_i32_i24_e32 v117, v173, v71
	v_bfe_u32 v176, v79, 16, 2
	v_bfe_u32 v177, v79, 24, 2
	s_delay_alu instid0(VALU_DEP_4) | instskip(NEXT) | instid1(VALU_DEP_3)
	v_mul_i32_i24_e32 v122, v175, v96
	v_mul_i32_i24_e32 v123, v176, v97
	s_delay_alu instid0(VALU_DEP_3) | instskip(SKIP_4) | instid1(VALU_DEP_3)
	v_mul_i32_i24_e32 v79, v177, v85
	s_wait_dscnt 0x0
	v_bfe_u32 v119, v78, 4, 4
	v_lshrrev_b16 v118, 8, v78
	v_and_b32_e32 v197, 15, v78
	v_mul_lo_u32 v119, 0x1010101, v119
	s_delay_alu instid0(VALU_DEP_1) | instskip(SKIP_4) | instid1(VALU_DEP_1)
	v_bfe_i32 v157, v119, 0, 8
	v_bfe_i32 v158, v119, 8, 8
	;; [unrolled: 1-line block ×3, first 2 shown]
	v_lshrrev_b32_e32 v160, 24, v119
	v_mul_i32_i24_e32 v119, v77, v196
	v_add3_u32 v112, v112, v124, v119
	v_mul_i32_i24_e32 v119, v171, v74
	s_delay_alu instid0(VALU_DEP_2) | instskip(SKIP_2) | instid1(VALU_DEP_3)
	v_add3_u32 v112, v112, v120, v121
	v_mul_i32_i24_e32 v120, v172, v72
	v_mul_i32_i24_e32 v121, v174, v91
	v_add3_u32 v109, v112, v109, v125
	s_delay_alu instid0(VALU_DEP_1) | instskip(SKIP_1) | instid1(VALU_DEP_2)
	v_add3_u32 v109, v109, v126, v113
	v_mul_i32_i24_e32 v113, v181, v48
	v_add3_u32 v109, v109, v127, v128
	s_delay_alu instid0(VALU_DEP_1) | instskip(SKIP_1) | instid1(VALU_DEP_2)
	v_add3_u32 v109, v109, v129, v114
	v_mul_i32_i24_e32 v114, v182, v14
	v_mul_lo_u32 v78, v109, v197
	v_and_b32_e32 v109, 0xffff, v118
	v_mul_i32_i24_e32 v118, v170, v75
	s_delay_alu instid0(VALU_DEP_2) | instskip(SKIP_1) | instid1(VALU_DEP_2)
	v_lshrrev_b32_e32 v112, 4, v109
	v_and_b32_e32 v179, 15, v109
	v_mul_lo_u32 v112, 0x1010101, v112
	s_delay_alu instid0(VALU_DEP_1) | instskip(SKIP_4) | instid1(VALU_DEP_1)
	v_bfe_i32 v161, v112, 0, 8
	v_bfe_i32 v162, v112, 8, 8
	;; [unrolled: 1-line block ×3, first 2 shown]
	v_lshrrev_b32_e32 v164, 24, v112
	v_mul_i32_i24_e32 v112, v178, v66
	v_mad_i32_i24 v112, v168, v47, v112
	s_delay_alu instid0(VALU_DEP_1) | instskip(SKIP_2) | instid1(VALU_DEP_1)
	v_add3_u32 v112, v112, v113, v114
	v_mul_i32_i24_e32 v113, v165, v70
	v_mul_i32_i24_e32 v114, v166, v69
	v_add3_u32 v112, v112, v113, v114
	v_mul_i32_i24_e32 v114, v107, v161
	v_mul_i32_i24_e32 v113, v105, v163
	s_delay_alu instid0(VALU_DEP_3) | instskip(SKIP_2) | instid1(VALU_DEP_3)
	v_add3_u32 v112, v112, v115, v116
	v_mul_i32_i24_e32 v116, v100, v160
	v_mul_i32_i24_e32 v115, v106, v162
	v_add3_u32 v112, v112, v118, v119
	v_mul_i32_i24_e32 v118, v101, v157
	s_delay_alu instid0(VALU_DEP_2) | instskip(SKIP_1) | instid1(VALU_DEP_3)
	v_add3_u32 v112, v112, v120, v117
	v_mul_i32_i24_e32 v117, v102, v159
	v_mad_i32_i24 v118, v108, v158, v118
	s_delay_alu instid0(VALU_DEP_3) | instskip(NEXT) | instid1(VALU_DEP_2)
	v_add3_u32 v112, v112, v121, v122
	v_add3_u32 v116, v118, v117, v116
	s_delay_alu instid0(VALU_DEP_2) | instskip(SKIP_1) | instid1(VALU_DEP_3)
	v_add3_u32 v79, v112, v123, v79
	v_mul_i32_i24_e32 v112, v103, v164
	v_add3_u32 v114, v116, v114, v115
	s_delay_alu instid0(VALU_DEP_3) | instskip(NEXT) | instid1(VALU_DEP_2)
	v_mad_co_u64_u32 v[78:79], null, v79, v179, v[78:79]
	v_add3_u32 v112, v114, v113, v112
	v_lshrrev_b32_e32 v79, 16, v154
	v_add3_u32 v113, s21, v137, v133
	s_delay_alu instid0(VALU_DEP_2) | instskip(NEXT) | instid1(VALU_DEP_4)
	v_cvt_f32_f16_e64 v180, v79
	v_cvt_f32_i32_e32 v79, v112
	v_cvt_f32_i32_e32 v78, v78
	s_delay_alu instid0(VALU_DEP_2) | instskip(NEXT) | instid1(VALU_DEP_1)
	v_mul_f32_e32 v79, v180, v79
	v_fma_mix_f32 v78, v154, v78, -v79 op_sel_hi:[1,0,0]
	s_delay_alu instid0(VALU_DEP_1)
	v_fmac_f32_e32 v15, v1, v78
	v_add_nc_u32_e32 v78, 0x3180, v2
	ds_load_2addr_b32 v[78:79], v78 offset1:1
	s_wait_dscnt 0x0
	v_ashrrev_i32_e32 v109, s19, v78
	v_add_nc_u32_e32 v78, 0x3188, v2
	v_ashrrev_i32_e32 v112, s19, v79
	s_delay_alu instid0(VALU_DEP_3)
	v_bfe_u32 v156, v109, 24, 2
	ds_load_2addr_b32 v[78:79], v78 offset1:1
	v_and_b32_e32 v152, 3, v109
	v_bfe_u32 v144, v109, 8, 2
	v_bfe_u32 v155, v109, 16, 2
	v_mul_i32_i24_e32 v109, v3, v156
	v_and_b32_e32 v3, 3, v112
	v_bfe_u32 v140, v112, 8, 2
	v_bfe_u32 v141, v112, 16, 2
	v_bfe_u32 v142, v112, 24, 2
	v_mul_i32_i24_e32 v77, v77, v152
	v_mul_i32_i24_e32 v86, v3, v86
	;; [unrolled: 1-line block ×6, first 2 shown]
	v_mad_i32_i24 v73, v140, v73, v86
	s_wait_dscnt 0x0
	v_ashrrev_i32_e32 v114, s19, v78
	v_add_nc_u32_e32 v78, 0x3190, v2
	v_ashrrev_i32_e32 v115, s19, v79
	v_add3_u32 v73, v73, v87, v82
	v_add_nc_u32_e32 v2, 0x3198, v2
	v_and_b32_e32 v143, 3, v114
	ds_load_2addr_b32 v[78:79], v78 offset1:1
	v_bfe_u32 v145, v114, 8, 2
	v_bfe_u32 v146, v114, 16, 2
	;; [unrolled: 1-line block ×3, first 2 shown]
	v_mul_i32_i24_e32 v89, v143, v89
	v_and_b32_e32 v148, 3, v115
	v_mul_i32_i24_e32 v88, v145, v88
	v_mul_i32_i24_e32 v84, v146, v84
	v_mul_i32_i24_e32 v80, v147, v80
	v_add3_u32 v73, v73, v89, v77
	v_bfe_u32 v149, v115, 8, 2
	v_mul_i32_i24_e32 v99, v148, v99
	v_bfe_u32 v150, v115, 16, 2
	v_bfe_u32 v151, v115, 24, 2
	v_add3_u32 v73, v73, v83, v76
	v_mul_i32_i24_e32 v90, v149, v90
	s_delay_alu instid0(VALU_DEP_4) | instskip(NEXT) | instid1(VALU_DEP_4)
	v_mul_i32_i24_e32 v98, v150, v98
	v_mul_i32_i24_e32 v81, v151, v81
	s_delay_alu instid0(VALU_DEP_4)
	v_add3_u32 v73, v73, v109, v88
	s_wait_dscnt 0x0
	v_ashrrev_i32_e32 v124, s19, v78
	v_ashrrev_i32_e32 v127, s19, v79
	ds_load_2addr_b32 v[78:79], v2 offset1:1
	v_add3_u32 v2, s20, v136, v132
	ds_load_b32 v113, v113
	ds_load_u16 v2, v2
	v_and_b32_e32 v137, 3, v124
	v_bfe_u32 v136, v124, 8, 2
	v_bfe_u32 v138, v124, 16, 2
	v_bfe_u32 v139, v124, 24, 2
	v_add3_u32 v73, v73, v84, v80
	v_mul_i32_i24_e32 v66, v137, v66
	v_and_b32_e32 v124, 3, v127
	v_mul_i32_i24_e32 v48, v138, v48
	v_mul_i32_i24_e32 v14, v139, v14
	v_bfe_u32 v125, v127, 8, 2
	v_mad_i32_i24 v47, v136, v47, v66
	v_add3_u32 v73, v73, v99, v90
	v_bfe_u32 v126, v127, 16, 2
	v_bfe_u32 v127, v127, 24, 2
	s_wait_dscnt 0x2
	v_ashrrev_i32_e32 v78, s19, v78
	v_add3_u32 v14, v47, v48, v14
	v_mul_i32_i24_e32 v47, v124, v70
	v_mul_i32_i24_e32 v48, v125, v69
	v_add3_u32 v73, v73, v98, v81
	s_wait_dscnt 0x0
	v_lshrrev_b16 v120, 8, v2
	v_bfe_u32 v116, v2, 4, 4
	v_and_b32_e32 v153, 15, v2
	v_mul_i32_i24_e32 v66, v126, v68
	v_mul_i32_i24_e32 v67, v127, v67
	v_and_b32_e32 v128, 3, v78
	v_bfe_u32 v129, v78, 8, 2
	v_add3_u32 v14, v14, v47, v48
	v_mul_lo_u32 v119, 0x1010101, v116
	v_mul_lo_u32 v2, v73, v153
	v_and_b32_e32 v73, 0xffff, v120
	v_mul_i32_i24_e32 v68, v128, v75
	v_mul_i32_i24_e32 v69, v129, v74
	v_bfe_u32 v130, v78, 16, 2
	v_bfe_u32 v131, v78, 24, 2
	v_add3_u32 v14, v14, v66, v67
	v_lshrrev_b32_e32 v76, 4, v73
	v_ashrrev_i32_e32 v79, s19, v79
	v_bfe_i32 v116, v119, 0, 8
	v_mul_i32_i24_e32 v70, v130, v72
	v_mul_i32_i24_e32 v71, v131, v71
	v_add3_u32 v14, v14, v68, v69
	v_mul_lo_u32 v76, 0x1010101, v76
	v_bfe_i32 v117, v119, 8, 8
	v_bfe_i32 v118, v119, 16, 8
	v_lshrrev_b32_e32 v119, 24, v119
	v_and_b32_e32 v132, 3, v79
	v_bfe_u32 v133, v79, 8, 2
	v_add3_u32 v14, v14, v70, v71
	v_mul_i32_i24_e32 v70, v101, v116
	v_bfe_i32 v120, v76, 0, 8
	v_bfe_i32 v121, v76, 8, 8
	v_mul_i32_i24_e32 v72, v132, v91
	v_mul_i32_i24_e32 v74, v133, v96
	v_bfe_u32 v134, v79, 16, 2
	v_bfe_u32 v135, v79, 24, 2
	v_mul_i32_i24_e32 v68, v100, v119
	v_mul_i32_i24_e32 v69, v102, v118
	v_mad_i32_i24 v70, v108, v117, v70
	v_bfe_i32 v122, v76, 16, 8
	v_lshrrev_b32_e32 v123, 24, v76
	v_mul_i32_i24_e32 v75, v134, v97
	v_mul_i32_i24_e32 v76, v135, v85
	v_add3_u32 v14, v14, v72, v74
	v_mul_i32_i24_e32 v66, v107, v120
	v_mul_i32_i24_e32 v67, v106, v121
	v_add3_u32 v68, v70, v69, v68
	v_mul_i32_i24_e32 v47, v103, v123
	v_add3_u32 v14, v14, v75, v76
	v_mul_i32_i24_e32 v48, v105, v122
	v_and_b32_e32 v115, 15, v73
	v_add3_u32 v66, v68, v66, v67
	s_delay_alu instid0(VALU_DEP_1) | instskip(NEXT) | instid1(VALU_DEP_3)
	v_add3_u32 v66, v66, v48, v47
	v_mad_co_u64_u32 v[47:48], null, v14, v115, v[2:3]
	v_lshrrev_b32_e32 v2, 16, v113
	s_delay_alu instid0(VALU_DEP_3) | instskip(NEXT) | instid1(VALU_DEP_2)
	v_cvt_f32_i32_e32 v14, v66
	v_cvt_f32_f16_e32 v114, v2
	s_delay_alu instid0(VALU_DEP_4) | instskip(NEXT) | instid1(VALU_DEP_2)
	v_cvt_f32_i32_e32 v2, v47
	v_mul_f32_e32 v14, v114, v14
	s_delay_alu instid0(VALU_DEP_1) | instskip(NEXT) | instid1(VALU_DEP_1)
	v_fma_mix_f32 v2, v113, v2, -v14 op_sel_hi:[1,0,0]
	v_fmac_f32_e32 v16, v1, v2
	scratch_load_b32 v1, off, off offset:44 ; 4-byte Folded Reload
	s_wait_loadcnt 0x0
	v_or_b32_e32 v1, s18, v1
	s_delay_alu instid0(VALU_DEP_1)
	v_lshlrev_b32_e32 v2, 2, v1
	v_lshrrev_b32_e32 v1, 1, v1
	ds_load_b32 v14, v1 offset:30368
	ds_load_b128 v[66:69], v2 offset:16896
	ds_load_b128 v[70:73], v2 offset:16912
	s_wait_dscnt 0x1
	v_ashrrev_i32_e32 v47, 24, v66
	s_wait_dscnt 0x0
	v_lshrrev_b16 v1, 8, v70
	v_bfe_i32 v48, v66, 0, 8
	v_bfe_i32 v74, v66, 16, 8
	;; [unrolled: 1-line block ×5, first 2 shown]
	v_lshrrev_b16 v1, 8, v71
	v_ashrrev_i32_e32 v75, 24, v70
	v_bfe_i32 v76, v70, 16, 8
	v_bfe_i32 v70, v70, 0, 8
	v_ashrrev_i32_e32 v81, 24, v71
	v_bfe_i32 v83, v1, 0, 8
	v_lshrrev_b16 v1, 8, v68
	v_bfe_i32 v82, v71, 16, 8
	v_bfe_i32 v71, v71, 0, 8
	;; [unrolled: 1-line block ×5, first 2 shown]
	v_lshrrev_b16 v1, 8, v69
	v_add_nc_u32_e32 v2, v71, v70
	v_bfe_i32 v80, v67, 0, 8
	v_mul_i32_i24_e32 v109, v47, v255
	v_ashrrev_i32_e32 v79, 24, v67
	v_bfe_i32 v90, v1, 0, 8
	v_add_nc_u32_e32 v1, v66, v78
	v_add3_u32 v107, v2, v85, v91
	v_mul_i32_i24_e32 v2, v74, v254
	v_bfe_i32 v67, v67, 16, 8
	v_bfe_i32 v89, v68, 0, 8
	v_add3_u32 v108, v1, v84, v90
	v_mul_i32_i24_e32 v1, v48, v253
	v_mul_i32_i24_e32 v104, v244, v79
	;; [unrolled: 1-line block ×3, first 2 shown]
	v_bfe_i32 v88, v68, 16, 8
	v_ashrrev_i32_e32 v68, 24, v68
	v_mad_i32_i24 v1, v66, v92, v1
	v_mul_i32_i24_e32 v110, v245, v89
	v_mul_i32_i24_e32 v111, v246, v84
	;; [unrolled: 1-line block ×4, first 2 shown]
	v_add3_u32 v1, v1, v2, v109
	v_mul_i32_i24_e32 v2, v93, v80
	v_mul_i32_i24_e32 v109, v94, v78
	v_bfe_i32 v99, v69, 0, 8
	v_bfe_i32 v98, v69, 16, 8
	v_ashrrev_i32_e32 v69, 24, v69
	v_mul_i32_i24_e32 v7, v250, v90
	v_add3_u32 v1, v1, v2, v109
	v_mul_i32_i24_e32 v2, v60, v70
	v_mul_i32_i24_e32 v6, v249, v99
	v_bfe_i32 v86, v72, 8, 8
	v_mul_i32_i24_e32 v8, v251, v98
	v_add3_u32 v1, v1, v112, v104
	v_mad_i32_i24 v2, v30, v77, v2
	v_mul_i32_i24_e32 v9, v252, v69
	v_bfe_i32 v87, v72, 16, 8
	v_ashrrev_i32_e32 v72, 24, v72
	v_add3_u32 v1, v1, v110, v111
	v_bfe_i32 v96, v73, 8, 8
	v_bfe_i32 v97, v73, 16, 8
	v_ashrrev_i32_e32 v73, 24, v73
	v_add_nc_u32_e32 v102, v81, v75
	v_add3_u32 v1, v1, v4, v5
	v_mul_i32_i24_e32 v4, v61, v76
	v_mul_i32_i24_e32 v5, v65, v75
	v_add_nc_u32_e32 v100, v83, v77
	v_add_nc_u32_e32 v101, v82, v76
	v_add3_u32 v1, v1, v6, v7
	v_mul_i32_i24_e32 v6, v36, v82
	v_add3_u32 v2, v2, v4, v5
	v_mul_i32_i24_e32 v4, v33, v71
	v_mul_i32_i24_e32 v5, v34, v83
	;; [unrolled: 1-line block ×3, first 2 shown]
	v_add3_u32 v1, v1, v8, v9
	v_mul_i32_i24_e32 v8, v38, v85
	v_mul_i32_i24_e32 v9, v39, v86
	v_add3_u32 v2, v2, v4, v5
	v_add_nc_u32_e32 v106, v79, v47
	v_add3_u32 v102, v102, v72, v73
	v_mul_i32_i24_e32 v104, v41, v87
	v_mul_i32_i24_e32 v109, v43, v72
	v_add3_u32 v2, v2, v6, v7
	v_add_nc_u32_e32 v103, v67, v74
	v_add_nc_u32_e32 v105, v80, v48
	v_add3_u32 v106, v106, v68, v69
	v_add3_u32 v101, v101, v87, v97
	;; [unrolled: 1-line block ×4, first 2 shown]
	v_mul_i32_i24_e32 v8, v102, v49
	v_mul_i32_i24_e32 v110, v55, v91
	;; [unrolled: 1-line block ×3, first 2 shown]
	v_add3_u32 v2, v2, v104, v109
	v_add3_u32 v105, v105, v89, v99
	;; [unrolled: 1-line block ×3, first 2 shown]
	v_mul_i32_i24_e32 v4, v108, v50
	v_mul_i32_i24_e32 v5, v107, v54
	;; [unrolled: 1-line block ×4, first 2 shown]
	v_mad_i32_i24 v8, v106, v45, v8
	v_mul_i32_i24_e32 v112, v58, v97
	v_mul_i32_i24_e32 v10, v59, v73
	v_add3_u32 v2, v2, v110, v111
	v_mul_lo_u32 v1, v1, v20
	v_mad_i32_i24 v7, v103, v46, v7
	v_mad_i32_i24 v5, v105, v13, v5
	v_add3_u32 v4, v4, v6, v8
	v_add3_u32 v2, v2, v112, v10
	v_mul_i32_i24_e32 v6, v230, v79
	v_mul_i32_i24_e32 v8, v233, v84
	v_mul_i32_i24_e32 v9, v234, v88
	v_add3_u32 v4, v5, v7, v4
	v_mad_co_u64_u32 v[1:2], null, v2, v62, v[1:2]
	v_mul_i32_i24_e32 v5, v229, v67
	v_mul_i32_i24_e32 v7, v231, v89
	s_delay_alu instid0(VALU_DEP_4)
	v_cvt_f32_i32_e32 v2, v4
	v_mul_i32_i24_e32 v4, v47, v243
	v_mul_i32_i24_e32 v10, v235, v68
	;; [unrolled: 1-line block ×3, first 2 shown]
	v_cvt_f32_i32_e32 v1, v1
	v_mul_f32_e32 v2, v64, v2
	v_mul_i32_i24_e32 v109, v237, v90
	v_mul_i32_i24_e32 v110, v238, v98
	;; [unrolled: 1-line block ×4, first 2 shown]
	v_fma_mix_f32 v1, v0, v1, -v2 op_sel_hi:[1,0,0]
	v_mul_i32_i24_e32 v2, v74, v242
	s_delay_alu instid0(VALU_DEP_2) | instskip(SKIP_1) | instid1(VALU_DEP_1)
	v_fmac_f32_e32 v63, v14, v1
	v_mul_i32_i24_e32 v1, v48, v240
	v_mad_i32_i24 v1, v66, v232, v1
	s_delay_alu instid0(VALU_DEP_1) | instskip(SKIP_2) | instid1(VALU_DEP_1)
	v_add3_u32 v1, v1, v2, v4
	v_mul_i32_i24_e32 v2, v227, v80
	v_mul_i32_i24_e32 v4, v228, v78
	v_add3_u32 v1, v1, v2, v4
	v_mul_i32_i24_e32 v2, v222, v70
	v_mul_i32_i24_e32 v4, v225, v76
	s_delay_alu instid0(VALU_DEP_3) | instskip(SKIP_1) | instid1(VALU_DEP_4)
	v_add3_u32 v1, v1, v5, v6
	v_mul_i32_i24_e32 v5, v226, v75
	v_mad_i32_i24 v2, v212, v77, v2
	v_mul_i32_i24_e32 v6, v211, v82
	s_delay_alu instid0(VALU_DEP_4) | instskip(SKIP_1) | instid1(VALU_DEP_4)
	v_add3_u32 v1, v1, v7, v8
	v_mul_i32_i24_e32 v7, v213, v81
	v_add3_u32 v2, v2, v4, v5
	v_mul_i32_i24_e32 v4, v209, v71
	v_mul_i32_i24_e32 v5, v210, v83
	v_add3_u32 v1, v1, v9, v10
	v_mul_i32_i24_e32 v8, v214, v85
	v_mul_i32_i24_e32 v9, v215, v86
	v_mul_i32_i24_e32 v10, v216, v87
	v_add3_u32 v2, v2, v4, v5
	v_add3_u32 v1, v1, v104, v109
	v_mul_i32_i24_e32 v104, v217, v72
	v_mul_i32_i24_e32 v109, v218, v91
	v_mul_i32_i24_e32 v4, v102, v208
	v_add3_u32 v2, v2, v6, v7
	;; [unrolled: 5-line block ×3, first 2 shown]
	v_mul_i32_i24_e32 v8, v106, v204
	v_mul_i32_i24_e32 v9, v103, v203
	;; [unrolled: 1-line block ×3, first 2 shown]
	v_mul_lo_u32 v1, v1, v241
	v_add3_u32 v2, v2, v10, v104
	v_mul_i32_i24_e32 v10, v105, v201
	v_mul_i32_i24_e32 v5, v101, v207
	;; [unrolled: 1-line block ×3, first 2 shown]
	s_delay_alu instid0(VALU_DEP_4) | instskip(NEXT) | instid1(VALU_DEP_4)
	v_add3_u32 v2, v2, v109, v110
	v_mad_i32_i24 v10, v108, v202, v10
	v_mul_i32_i24_e32 v109, v193, v90
	v_mul_i32_i24_e32 v110, v194, v98
	s_delay_alu instid0(VALU_DEP_4) | instskip(NEXT) | instid1(VALU_DEP_4)
	v_add3_u32 v2, v2, v111, v112
	v_add3_u32 v8, v10, v9, v8
	v_mul_i32_i24_e32 v9, v190, v88
	v_mul_i32_i24_e32 v10, v191, v68
	;; [unrolled: 1-line block ×3, first 2 shown]
	v_mad_co_u64_u32 v[1:2], null, v2, v223, v[1:2]
	v_add3_u32 v6, v8, v6, v7
	v_mul_i32_i24_e32 v7, v187, v89
	v_mul_i32_i24_e32 v8, v189, v84
	;; [unrolled: 1-line block ×3, first 2 shown]
	s_delay_alu instid0(VALU_DEP_4) | instskip(SKIP_3) | instid1(VALU_DEP_4)
	v_add3_u32 v4, v6, v5, v4
	v_cvt_f32_i32_e32 v1, v1
	v_mul_i32_i24_e32 v5, v185, v67
	v_mul_i32_i24_e32 v6, v186, v79
	v_cvt_f32_i32_e32 v2, v4
	v_mul_i32_i24_e32 v4, v47, v200
	s_delay_alu instid0(VALU_DEP_2) | instskip(NEXT) | instid1(VALU_DEP_1)
	v_mul_f32_e32 v2, v224, v2
	v_fma_mix_f32 v1, v198, v1, -v2 op_sel_hi:[1,0,0]
	v_mul_i32_i24_e32 v2, v74, v199
	s_delay_alu instid0(VALU_DEP_2) | instskip(SKIP_1) | instid1(VALU_DEP_1)
	v_fmac_f32_e32 v57, v14, v1
	v_mul_i32_i24_e32 v1, v48, v196
	v_mad_i32_i24 v1, v66, v188, v1
	s_delay_alu instid0(VALU_DEP_1) | instskip(SKIP_2) | instid1(VALU_DEP_1)
	v_add3_u32 v1, v1, v2, v4
	v_mul_i32_i24_e32 v2, v183, v80
	v_mul_i32_i24_e32 v4, v184, v78
	v_add3_u32 v1, v1, v2, v4
	v_mul_i32_i24_e32 v2, v178, v70
	v_mul_i32_i24_e32 v4, v181, v76
	s_delay_alu instid0(VALU_DEP_3) | instskip(SKIP_1) | instid1(VALU_DEP_4)
	v_add3_u32 v1, v1, v5, v6
	v_mul_i32_i24_e32 v5, v182, v75
	v_mad_i32_i24 v2, v168, v77, v2
	v_mul_i32_i24_e32 v6, v167, v82
	s_delay_alu instid0(VALU_DEP_4) | instskip(SKIP_1) | instid1(VALU_DEP_4)
	v_add3_u32 v1, v1, v7, v8
	v_mul_i32_i24_e32 v7, v169, v81
	v_add3_u32 v2, v2, v4, v5
	v_mul_i32_i24_e32 v4, v165, v71
	v_mul_i32_i24_e32 v5, v166, v83
	v_add3_u32 v1, v1, v9, v10
	v_mul_i32_i24_e32 v8, v170, v85
	v_mul_i32_i24_e32 v9, v171, v86
	v_mul_i32_i24_e32 v10, v172, v87
	v_add3_u32 v2, v2, v4, v5
	v_add3_u32 v1, v1, v104, v109
	v_mul_i32_i24_e32 v104, v173, v72
	v_mul_i32_i24_e32 v109, v174, v91
	v_mul_i32_i24_e32 v4, v102, v164
	v_add3_u32 v2, v2, v6, v7
	;; [unrolled: 5-line block ×3, first 2 shown]
	v_mul_i32_i24_e32 v8, v106, v160
	v_mul_i32_i24_e32 v9, v103, v159
	;; [unrolled: 1-line block ×3, first 2 shown]
	v_mul_lo_u32 v1, v1, v197
	v_add3_u32 v2, v2, v10, v104
	v_mul_i32_i24_e32 v10, v105, v157
	v_mul_i32_i24_e32 v5, v101, v163
	s_delay_alu instid0(VALU_DEP_3) | instskip(NEXT) | instid1(VALU_DEP_3)
	v_add3_u32 v2, v2, v109, v110
	v_mad_i32_i24 v10, v108, v158, v10
	s_delay_alu instid0(VALU_DEP_2) | instskip(NEXT) | instid1(VALU_DEP_2)
	v_add3_u32 v2, v2, v111, v112
	v_add3_u32 v8, v10, v9, v8
	v_mul_i32_i24_e32 v9, v146, v88
	v_mul_i32_i24_e32 v10, v147, v68
	v_mul_i32_i24_e32 v68, v135, v73
	v_mad_co_u64_u32 v[1:2], null, v2, v179, v[1:2]
	v_add3_u32 v6, v8, v6, v7
	v_mul_i32_i24_e32 v7, v143, v89
	v_mul_i32_i24_e32 v8, v145, v84
	s_delay_alu instid0(VALU_DEP_3)
	v_add3_u32 v4, v6, v5, v4
	v_cvt_f32_i32_e32 v1, v1
	v_mul_i32_i24_e32 v5, v141, v67
	v_mul_i32_i24_e32 v6, v142, v79
	;; [unrolled: 1-line block ×3, first 2 shown]
	v_cvt_f32_i32_e32 v2, v4
	v_mul_i32_i24_e32 v4, v47, v156
	v_mul_i32_i24_e32 v47, v148, v99
	s_delay_alu instid0(VALU_DEP_3) | instskip(NEXT) | instid1(VALU_DEP_1)
	v_mul_f32_e32 v2, v180, v2
	v_fma_mix_f32 v1, v154, v1, -v2 op_sel_hi:[1,0,0]
	v_mul_i32_i24_e32 v2, v74, v155
	s_delay_alu instid0(VALU_DEP_2) | instskip(SKIP_2) | instid1(VALU_DEP_2)
	v_fmac_f32_e32 v51, v14, v1
	v_mul_i32_i24_e32 v1, v48, v152
	v_mul_i32_i24_e32 v48, v149, v90
	v_mad_i32_i24 v1, v66, v144, v1
	v_mul_i32_i24_e32 v66, v150, v98
	s_delay_alu instid0(VALU_DEP_2) | instskip(SKIP_2) | instid1(VALU_DEP_1)
	v_add3_u32 v1, v1, v2, v4
	v_mul_i32_i24_e32 v2, v3, v80
	v_mul_i32_i24_e32 v4, v140, v78
	v_add3_u32 v1, v1, v2, v4
	v_mul_i32_i24_e32 v2, v137, v70
	v_mul_i32_i24_e32 v4, v138, v76
	s_delay_alu instid0(VALU_DEP_3) | instskip(SKIP_1) | instid1(VALU_DEP_4)
	v_add3_u32 v1, v1, v5, v6
	v_mul_i32_i24_e32 v5, v139, v75
	v_mad_i32_i24 v2, v136, v77, v2
	v_mul_i32_i24_e32 v6, v126, v82
	s_delay_alu instid0(VALU_DEP_4) | instskip(SKIP_1) | instid1(VALU_DEP_4)
	v_add3_u32 v1, v1, v7, v8
	v_mul_i32_i24_e32 v7, v127, v81
	v_add3_u32 v2, v2, v4, v5
	v_mul_i32_i24_e32 v4, v124, v71
	v_mul_i32_i24_e32 v5, v125, v83
	v_add3_u32 v1, v1, v9, v10
	v_mul_i32_i24_e32 v8, v128, v85
	v_mul_i32_i24_e32 v9, v129, v86
	v_mul_i32_i24_e32 v10, v130, v87
	v_add3_u32 v2, v2, v4, v5
	v_add3_u32 v1, v1, v47, v48
	v_mul_i32_i24_e32 v47, v131, v72
	v_mul_i32_i24_e32 v48, v132, v91
	v_mul_i32_i24_e32 v4, v102, v123
	v_add3_u32 v2, v2, v6, v7
	;; [unrolled: 5-line block ×3, first 2 shown]
	v_mul_i32_i24_e32 v8, v106, v119
	v_mul_i32_i24_e32 v9, v103, v118
	;; [unrolled: 1-line block ×3, first 2 shown]
	v_mul_lo_u32 v1, v1, v153
	v_add3_u32 v2, v2, v10, v47
	v_mul_i32_i24_e32 v10, v105, v116
	v_mul_i32_i24_e32 v5, v101, v122
	s_delay_alu instid0(VALU_DEP_3) | instskip(NEXT) | instid1(VALU_DEP_3)
	v_add3_u32 v2, v2, v48, v66
	v_mad_i32_i24 v10, v108, v117, v10
	s_delay_alu instid0(VALU_DEP_2) | instskip(NEXT) | instid1(VALU_DEP_2)
	v_add3_u32 v2, v2, v67, v68
	v_add3_u32 v8, v10, v9, v8
	s_delay_alu instid0(VALU_DEP_2) | instskip(NEXT) | instid1(VALU_DEP_2)
	v_mad_co_u64_u32 v[1:2], null, v2, v115, v[1:2]
	v_add3_u32 v6, v8, v6, v7
	s_delay_alu instid0(VALU_DEP_1) | instskip(NEXT) | instid1(VALU_DEP_3)
	v_add3_u32 v4, v6, v5, v4
	v_cvt_f32_i32_e32 v1, v1
	s_delay_alu instid0(VALU_DEP_2) | instskip(NEXT) | instid1(VALU_DEP_1)
	v_cvt_f32_i32_e32 v2, v4
	v_mul_f32_e32 v2, v114, v2
	s_delay_alu instid0(VALU_DEP_1) | instskip(NEXT) | instid1(VALU_DEP_1)
	v_fma_mix_f32 v1, v113, v1, -v2 op_sel_hi:[1,0,0]
	v_fmac_f32_e32 v44, v14, v1
	scratch_load_b32 v1, off, off offset:36 ; 4-byte Folded Reload
	s_wait_loadcnt 0x0
	v_or_b32_e32 v1, s18, v1
	s_delay_alu instid0(VALU_DEP_1)
	v_lshlrev_b32_e32 v2, 2, v1
	v_lshrrev_b32_e32 v1, 1, v1
	ds_load_b32 v4, v1 offset:30368
	ds_load_b128 v[66:69], v2 offset:16896
	ds_load_b128 v[70:73], v2 offset:16912
	s_wait_dscnt 0x1
	v_ashrrev_i32_e32 v5, 24, v66
	s_wait_dscnt 0x0
	v_lshrrev_b16 v1, 8, v70
	v_bfe_i32 v6, v66, 0, 8
	v_bfe_i32 v7, v66, 16, 8
	;; [unrolled: 1-line block ×5, first 2 shown]
	v_lshrrev_b16 v1, 8, v71
	v_bfe_i32 v14, v70, 0, 8
	v_ashrrev_i32_e32 v74, 24, v71
	v_bfe_i32 v75, v71, 16, 8
	v_bfe_i32 v71, v71, 0, 8
	;; [unrolled: 1-line block ×3, first 2 shown]
	v_lshrrev_b16 v1, 8, v68
	v_bfe_i32 v78, v72, 0, 8
	v_bfe_i32 v84, v73, 0, 8
	v_add_nc_u32_e32 v2, v71, v14
	v_ashrrev_i32_e32 v8, 24, v70
	v_bfe_i32 v77, v1, 0, 8
	v_lshrrev_b16 v1, 8, v69
	v_bfe_i32 v9, v70, 16, 8
	v_bfe_i32 v70, v67, 0, 8
	v_add3_u32 v99, v2, v78, v84
	v_mul_i32_i24_e32 v2, v7, v254
	v_bfe_i32 v83, v1, 0, 8
	v_add_nc_u32_e32 v1, v66, v47
	v_mul_i32_i24_e32 v101, v5, v255
	v_ashrrev_i32_e32 v48, 24, v67
	v_bfe_i32 v67, v67, 16, 8
	v_bfe_i32 v82, v68, 0, 8
	v_add3_u32 v100, v1, v77, v83
	v_mul_i32_i24_e32 v1, v6, v253
	v_mul_i32_i24_e32 v103, v244, v48
	;; [unrolled: 1-line block ×3, first 2 shown]
	v_bfe_i32 v81, v68, 16, 8
	v_ashrrev_i32_e32 v68, 24, v68
	v_mad_i32_i24 v1, v66, v92, v1
	v_mul_i32_i24_e32 v104, v245, v82
	v_mul_i32_i24_e32 v105, v246, v77
	v_bfe_i32 v79, v72, 8, 8
	v_bfe_i32 v88, v69, 0, 8
	v_add3_u32 v1, v1, v2, v101
	v_mul_i32_i24_e32 v2, v93, v70
	v_mul_i32_i24_e32 v101, v94, v47
	;; [unrolled: 1-line block ×4, first 2 shown]
	v_bfe_i32 v80, v72, 16, 8
	v_ashrrev_i32_e32 v72, 24, v72
	v_add3_u32 v1, v1, v2, v101
	v_mul_i32_i24_e32 v2, v60, v14
	v_mul_i32_i24_e32 v101, v61, v9
	v_bfe_i32 v85, v73, 8, 8
	v_bfe_i32 v86, v73, 16, 8
	v_add3_u32 v1, v1, v102, v103
	v_mul_i32_i24_e32 v102, v65, v8
	v_mad_i32_i24 v2, v30, v10, v2
	v_mul_i32_i24_e32 v103, v36, v75
	v_ashrrev_i32_e32 v73, 24, v73
	v_add3_u32 v1, v1, v104, v105
	v_mul_i32_i24_e32 v104, v37, v74
	v_add3_u32 v2, v2, v101, v102
	v_mul_i32_i24_e32 v101, v33, v71
	v_mul_i32_i24_e32 v102, v34, v76
	v_add_nc_u32_e32 v91, v74, v8
	v_bfe_i32 v87, v69, 16, 8
	v_ashrrev_i32_e32 v69, 24, v69
	v_mul_i32_i24_e32 v108, v249, v88
	v_add3_u32 v2, v2, v101, v102
	v_mul_i32_i24_e32 v109, v250, v83
	v_add3_u32 v1, v1, v106, v107
	v_mul_i32_i24_e32 v105, v38, v78
	v_mul_i32_i24_e32 v106, v39, v79
	v_add3_u32 v2, v2, v103, v104
	v_add_nc_u32_e32 v89, v76, v10
	v_add_nc_u32_e32 v90, v75, v9
	;; [unrolled: 1-line block ×3, first 2 shown]
	v_add3_u32 v91, v91, v72, v73
	v_mul_i32_i24_e32 v110, v251, v87
	v_mul_i32_i24_e32 v111, v252, v69
	v_add3_u32 v1, v1, v108, v109
	v_mul_i32_i24_e32 v107, v41, v80
	v_mul_i32_i24_e32 v108, v43, v72
	v_add3_u32 v2, v2, v105, v106
	v_add_nc_u32_e32 v96, v67, v7
	v_add_nc_u32_e32 v97, v70, v6
	v_add3_u32 v98, v98, v68, v69
	v_add3_u32 v90, v90, v80, v86
	;; [unrolled: 1-line block ×3, first 2 shown]
	v_mul_i32_i24_e32 v105, v91, v49
	v_add3_u32 v1, v1, v110, v111
	v_mul_i32_i24_e32 v109, v55, v84
	v_mul_i32_i24_e32 v110, v56, v85
	v_add3_u32 v2, v2, v107, v108
	v_add3_u32 v97, v97, v82, v88
	;; [unrolled: 1-line block ×3, first 2 shown]
	v_mul_i32_i24_e32 v101, v100, v50
	v_mul_i32_i24_e32 v102, v99, v54
	;; [unrolled: 1-line block ×4, first 2 shown]
	v_mad_i32_i24 v105, v98, v45, v105
	v_mul_i32_i24_e32 v111, v58, v86
	v_mul_i32_i24_e32 v112, v59, v73
	v_add3_u32 v2, v2, v109, v110
	v_mul_lo_u32 v1, v1, v20
	v_mad_i32_i24 v104, v96, v46, v104
	v_mad_i32_i24 v102, v97, v13, v102
	v_add3_u32 v101, v101, v103, v105
	v_add3_u32 v2, v2, v111, v112
	v_mul_i32_i24_e32 v103, v230, v48
	v_mul_i32_i24_e32 v105, v233, v77
	;; [unrolled: 1-line block ×3, first 2 shown]
	v_add3_u32 v101, v102, v104, v101
	v_mad_co_u64_u32 v[1:2], null, v2, v62, v[1:2]
	v_mul_i32_i24_e32 v102, v229, v67
	v_mul_i32_i24_e32 v107, v235, v68
	s_delay_alu instid0(VALU_DEP_4)
	v_cvt_f32_i32_e32 v2, v101
	v_mul_i32_i24_e32 v101, v5, v243
	v_mul_i32_i24_e32 v108, v236, v88
	;; [unrolled: 1-line block ×3, first 2 shown]
	v_cvt_f32_i32_e32 v1, v1
	v_mul_f32_e32 v2, v64, v2
	v_mul_i32_i24_e32 v104, v231, v82
	v_mul_i32_i24_e32 v110, v238, v87
	v_mul_i32_i24_e32 v111, v239, v69
	v_mul_i32_i24_e32 v112, v221, v73
	v_fma_mix_f32 v1, v0, v1, -v2 op_sel_hi:[1,0,0]
	v_mul_i32_i24_e32 v2, v7, v242
	s_delay_alu instid0(VALU_DEP_2) | instskip(SKIP_1) | instid1(VALU_DEP_1)
	v_fmac_f32_e32 v42, v4, v1
	v_mul_i32_i24_e32 v1, v6, v240
	v_mad_i32_i24 v1, v66, v232, v1
	s_delay_alu instid0(VALU_DEP_1) | instskip(SKIP_2) | instid1(VALU_DEP_1)
	v_add3_u32 v1, v1, v2, v101
	v_mul_i32_i24_e32 v2, v227, v70
	v_mul_i32_i24_e32 v101, v228, v47
	v_add3_u32 v1, v1, v2, v101
	v_mul_i32_i24_e32 v2, v222, v14
	v_mul_i32_i24_e32 v101, v225, v9
	s_delay_alu instid0(VALU_DEP_3) | instskip(SKIP_1) | instid1(VALU_DEP_4)
	v_add3_u32 v1, v1, v102, v103
	v_mul_i32_i24_e32 v102, v226, v8
	v_mad_i32_i24 v2, v212, v10, v2
	v_mul_i32_i24_e32 v103, v211, v75
	s_delay_alu instid0(VALU_DEP_4) | instskip(SKIP_1) | instid1(VALU_DEP_4)
	v_add3_u32 v1, v1, v104, v105
	v_mul_i32_i24_e32 v104, v213, v74
	v_add3_u32 v2, v2, v101, v102
	v_mul_i32_i24_e32 v101, v209, v71
	v_mul_i32_i24_e32 v102, v210, v76
	v_add3_u32 v1, v1, v106, v107
	v_mul_i32_i24_e32 v105, v214, v78
	v_mul_i32_i24_e32 v106, v215, v79
	v_mul_i32_i24_e32 v107, v216, v80
	v_add3_u32 v2, v2, v101, v102
	v_add3_u32 v1, v1, v108, v109
	v_mul_i32_i24_e32 v108, v217, v72
	v_mul_i32_i24_e32 v109, v218, v84
	v_mul_i32_i24_e32 v101, v91, v208
	v_add3_u32 v2, v2, v103, v104
	;; [unrolled: 5-line block ×3, first 2 shown]
	v_mul_i32_i24_e32 v105, v98, v204
	v_mul_i32_i24_e32 v106, v96, v203
	;; [unrolled: 1-line block ×3, first 2 shown]
	v_mul_lo_u32 v1, v1, v241
	v_add3_u32 v2, v2, v107, v108
	v_mul_i32_i24_e32 v107, v97, v201
	v_mul_i32_i24_e32 v102, v90, v207
	;; [unrolled: 1-line block ×3, first 2 shown]
	s_delay_alu instid0(VALU_DEP_4) | instskip(NEXT) | instid1(VALU_DEP_4)
	v_add3_u32 v2, v2, v109, v110
	v_mad_i32_i24 v107, v100, v202, v107
	v_mul_i32_i24_e32 v109, v193, v83
	v_mul_i32_i24_e32 v110, v194, v87
	s_delay_alu instid0(VALU_DEP_4) | instskip(NEXT) | instid1(VALU_DEP_4)
	v_add3_u32 v2, v2, v111, v112
	v_add3_u32 v105, v107, v106, v105
	v_mul_i32_i24_e32 v106, v190, v81
	v_mul_i32_i24_e32 v107, v191, v68
	;; [unrolled: 1-line block ×3, first 2 shown]
	v_mad_co_u64_u32 v[1:2], null, v2, v223, v[1:2]
	v_add3_u32 v103, v105, v103, v104
	v_mul_i32_i24_e32 v104, v187, v82
	v_mul_i32_i24_e32 v105, v189, v77
	;; [unrolled: 1-line block ×4, first 2 shown]
	v_add3_u32 v101, v103, v102, v101
	v_cvt_f32_i32_e32 v1, v1
	v_mul_i32_i24_e32 v102, v185, v67
	v_mul_i32_i24_e32 v103, v186, v48
	s_delay_alu instid0(VALU_DEP_4) | instskip(SKIP_2) | instid1(VALU_DEP_3)
	v_cvt_f32_i32_e32 v2, v101
	v_mul_i32_i24_e32 v101, v5, v200
	v_mul_i32_i24_e32 v5, v5, v156
	v_mul_f32_e32 v2, v224, v2
	s_delay_alu instid0(VALU_DEP_1) | instskip(SKIP_1) | instid1(VALU_DEP_2)
	v_fma_mix_f32 v1, v198, v1, -v2 op_sel_hi:[1,0,0]
	v_mul_i32_i24_e32 v2, v7, v199
	v_fmac_f32_e32 v40, v4, v1
	v_mul_i32_i24_e32 v1, v6, v196
	s_delay_alu instid0(VALU_DEP_1) | instskip(NEXT) | instid1(VALU_DEP_1)
	v_mad_i32_i24 v1, v66, v188, v1
	v_add3_u32 v1, v1, v2, v101
	v_mul_i32_i24_e32 v2, v183, v70
	v_mul_i32_i24_e32 v101, v184, v47
	s_delay_alu instid0(VALU_DEP_1) | instskip(SKIP_2) | instid1(VALU_DEP_3)
	v_add3_u32 v1, v1, v2, v101
	v_mul_i32_i24_e32 v2, v178, v14
	v_mul_i32_i24_e32 v101, v181, v9
	v_add3_u32 v1, v1, v102, v103
	v_mul_i32_i24_e32 v102, v182, v8
	s_delay_alu instid0(VALU_DEP_4) | instskip(SKIP_1) | instid1(VALU_DEP_4)
	v_mad_i32_i24 v2, v168, v10, v2
	v_mul_i32_i24_e32 v103, v167, v75
	v_add3_u32 v1, v1, v104, v105
	v_mul_i32_i24_e32 v104, v169, v74
	s_delay_alu instid0(VALU_DEP_4)
	v_add3_u32 v2, v2, v101, v102
	v_mul_i32_i24_e32 v101, v165, v71
	v_mul_i32_i24_e32 v102, v166, v76
	v_add3_u32 v1, v1, v106, v107
	v_mul_i32_i24_e32 v105, v170, v78
	v_mul_i32_i24_e32 v106, v171, v79
	v_mul_i32_i24_e32 v107, v172, v80
	v_add3_u32 v2, v2, v101, v102
	v_add3_u32 v1, v1, v108, v109
	v_mul_i32_i24_e32 v108, v173, v72
	v_mul_i32_i24_e32 v109, v174, v84
	v_mul_i32_i24_e32 v101, v91, v164
	v_add3_u32 v2, v2, v103, v104
	;; [unrolled: 5-line block ×3, first 2 shown]
	v_mul_i32_i24_e32 v105, v98, v160
	v_mul_i32_i24_e32 v106, v96, v159
	;; [unrolled: 1-line block ×3, first 2 shown]
	v_mul_lo_u32 v1, v1, v197
	v_add3_u32 v2, v2, v107, v108
	v_mul_i32_i24_e32 v107, v97, v157
	v_mul_i32_i24_e32 v102, v90, v163
	s_delay_alu instid0(VALU_DEP_3) | instskip(NEXT) | instid1(VALU_DEP_3)
	v_add3_u32 v2, v2, v109, v110
	v_mad_i32_i24 v107, v100, v158, v107
	s_delay_alu instid0(VALU_DEP_2) | instskip(NEXT) | instid1(VALU_DEP_2)
	v_add3_u32 v2, v2, v111, v112
	v_add3_u32 v105, v107, v106, v105
	s_delay_alu instid0(VALU_DEP_2) | instskip(NEXT) | instid1(VALU_DEP_2)
	v_mad_co_u64_u32 v[1:2], null, v2, v179, v[1:2]
	v_add3_u32 v103, v105, v103, v104
	s_delay_alu instid0(VALU_DEP_1) | instskip(NEXT) | instid1(VALU_DEP_3)
	v_add3_u32 v101, v103, v102, v101
	v_cvt_f32_i32_e32 v1, v1
	s_delay_alu instid0(VALU_DEP_2) | instskip(NEXT) | instid1(VALU_DEP_1)
	v_cvt_f32_i32_e32 v2, v101
	v_mul_f32_e32 v2, v180, v2
	s_delay_alu instid0(VALU_DEP_1)
	v_fma_mix_f32 v1, v154, v1, -v2 op_sel_hi:[1,0,0]
	v_mul_i32_i24_e32 v2, v7, v155
	v_mul_i32_i24_e32 v7, v142, v48
	;; [unrolled: 1-line block ×4, first 2 shown]
	v_fmac_f32_e32 v35, v4, v1
	v_mul_i32_i24_e32 v1, v6, v152
	v_mul_i32_i24_e32 v6, v141, v67
	;; [unrolled: 1-line block ×4, first 2 shown]
	s_delay_alu instid0(VALU_DEP_4) | instskip(SKIP_1) | instid1(VALU_DEP_2)
	v_mad_i32_i24 v1, v66, v144, v1
	v_mul_i32_i24_e32 v66, v146, v81
	v_add3_u32 v1, v1, v2, v5
	v_mul_i32_i24_e32 v2, v3, v70
	v_mul_i32_i24_e32 v5, v140, v47
	;; [unrolled: 1-line block ×4, first 2 shown]
	s_delay_alu instid0(VALU_DEP_3)
	v_add3_u32 v1, v1, v2, v5
	v_mul_i32_i24_e32 v2, v137, v14
	v_mul_i32_i24_e32 v5, v138, v9
	;; [unrolled: 1-line block ×4, first 2 shown]
	v_add3_u32 v1, v1, v6, v7
	v_mul_i32_i24_e32 v6, v139, v8
	v_mad_i32_i24 v2, v136, v10, v2
	v_mul_i32_i24_e32 v7, v126, v75
	v_mul_i32_i24_e32 v8, v127, v74
	v_mul_i32_i24_e32 v10, v129, v79
	v_add3_u32 v1, v1, v47, v48
	v_add3_u32 v2, v2, v5, v6
	v_mul_i32_i24_e32 v5, v124, v71
	v_mul_i32_i24_e32 v6, v125, v76
	;; [unrolled: 1-line block ×3, first 2 shown]
	v_add3_u32 v1, v1, v66, v67
	v_mul_i32_i24_e32 v48, v132, v84
	v_mul_i32_i24_e32 v66, v133, v85
	v_add3_u32 v2, v2, v5, v6
	v_mul_i32_i24_e32 v67, v134, v86
	v_add3_u32 v1, v1, v68, v70
	v_mul_i32_i24_e32 v68, v135, v73
	v_mul_i32_i24_e32 v5, v91, v123
	v_add3_u32 v2, v2, v7, v8
	v_mul_i32_i24_e32 v7, v99, v120
	;; [unrolled: 5-line block ×3, first 2 shown]
	v_mul_i32_i24_e32 v10, v96, v118
	v_mul_lo_u32 v1, v1, v153
	s_delay_alu instid0(VALU_DEP_4) | instskip(SKIP_1) | instid1(VALU_DEP_2)
	v_add3_u32 v2, v2, v14, v47
	v_mul_i32_i24_e32 v14, v97, v116
	v_add3_u32 v2, v2, v48, v66
	s_delay_alu instid0(VALU_DEP_2) | instskip(NEXT) | instid1(VALU_DEP_2)
	v_mad_i32_i24 v14, v100, v117, v14
	v_add3_u32 v2, v2, v67, v68
	s_delay_alu instid0(VALU_DEP_2) | instskip(NEXT) | instid1(VALU_DEP_2)
	v_add3_u32 v9, v14, v10, v9
	v_mad_co_u64_u32 v[1:2], null, v2, v115, v[1:2]
	s_delay_alu instid0(VALU_DEP_2) | instskip(NEXT) | instid1(VALU_DEP_1)
	v_add3_u32 v7, v9, v7, v8
	v_add3_u32 v5, v7, v6, v5
	s_delay_alu instid0(VALU_DEP_3) | instskip(NEXT) | instid1(VALU_DEP_2)
	v_cvt_f32_i32_e32 v1, v1
	v_cvt_f32_i32_e32 v2, v5
	s_delay_alu instid0(VALU_DEP_1) | instskip(NEXT) | instid1(VALU_DEP_1)
	v_mul_f32_e32 v2, v114, v2
	v_fma_mix_f32 v1, v113, v1, -v2 op_sel_hi:[1,0,0]
	s_delay_alu instid0(VALU_DEP_1) | instskip(SKIP_3) | instid1(VALU_DEP_1)
	v_fmac_f32_e32 v32, v4, v1
	scratch_load_b32 v1, off, off offset:40 ; 4-byte Folded Reload
	s_wait_loadcnt 0x0
	v_or_b32_e32 v1, s18, v1
	v_lshlrev_b32_e32 v2, 2, v1
	v_lshrrev_b32_e32 v1, 1, v1
	ds_load_b32 v4, v1 offset:30368
	ds_load_b128 v[66:69], v2 offset:16896
	ds_load_b128 v[70:73], v2 offset:16912
	s_wait_dscnt 0x1
	v_ashrrev_i32_e32 v8, 24, v66
	s_wait_dscnt 0x0
	v_bfe_i32 v77, v70, 0, 8
	v_bfe_i32 v78, v70, 8, 8
	v_bfe_i32 v79, v70, 16, 8
	v_ashrrev_i32_e32 v70, 24, v70
	v_bfe_i32 v80, v71, 0, 8
	v_bfe_i32 v81, v71, 8, 8
	v_bfe_i32 v82, v71, 16, 8
	v_ashrrev_i32_e32 v71, 24, v71
	v_bfe_i32 v83, v72, 0, 8
	v_bfe_i32 v84, v72, 8, 8
	v_bfe_i32 v85, v72, 16, 8
	v_ashrrev_i32_e32 v72, 24, v72
	v_bfe_i32 v86, v73, 0, 8
	v_bfe_i32 v87, v73, 8, 8
	v_bfe_i32 v88, v73, 16, 8
	v_ashrrev_i32_e32 v73, 24, v73
	v_add_nc_u32_e32 v1, v71, v70
	v_ashrrev_i32_e32 v47, 24, v67
	v_bfe_i32 v5, v66, 0, 8
	v_bfe_i32 v6, v66, 8, 8
	;; [unrolled: 1-line block ×3, first 2 shown]
	v_add3_u32 v89, v1, v72, v73
	v_add_nc_u32_e32 v1, v82, v79
	v_bfe_i32 v9, v67, 0, 8
	v_bfe_i32 v10, v67, 8, 8
	;; [unrolled: 1-line block ×4, first 2 shown]
	v_add3_u32 v90, v1, v85, v88
	v_add_nc_u32_e32 v1, v80, v77
	v_bfe_i32 v66, v68, 8, 8
	v_bfe_i32 v67, v68, 16, 8
	v_ashrrev_i32_e32 v68, 24, v68
	v_bfe_i32 v74, v69, 0, 8
	v_add3_u32 v91, v1, v83, v86
	v_add_nc_u32_e32 v1, v81, v78
	v_bfe_i32 v75, v69, 8, 8
	v_bfe_i32 v76, v69, 16, 8
	v_ashrrev_i32_e32 v69, 24, v69
	v_mul_i32_i24_e32 v2, v7, v254
	v_add3_u32 v96, v1, v84, v87
	v_add_nc_u32_e32 v1, v47, v8
	v_mul_i32_i24_e32 v101, v8, v255
	v_mul_i32_i24_e32 v102, v95, v14
	v_mul_i32_i24_e32 v103, v244, v47
	v_mul_i32_i24_e32 v104, v245, v48
	v_add3_u32 v97, v1, v68, v69
	v_add_nc_u32_e32 v1, v14, v7
	v_mul_i32_i24_e32 v105, v246, v66
	v_mul_i32_i24_e32 v106, v247, v67
	v_mul_i32_i24_e32 v107, v248, v68
	;; [unrolled: 6-line block ×3, first 2 shown]
	v_mul_i32_i24_e32 v112, v59, v73
	v_add3_u32 v99, v1, v66, v75
	v_add_nc_u32_e32 v1, v9, v5
	s_delay_alu instid0(VALU_DEP_1) | instskip(SKIP_1) | instid1(VALU_DEP_1)
	v_add3_u32 v100, v1, v48, v74
	v_mul_i32_i24_e32 v1, v5, v253
	v_mad_i32_i24 v1, v6, v92, v1
	s_delay_alu instid0(VALU_DEP_1) | instskip(SKIP_2) | instid1(VALU_DEP_1)
	v_add3_u32 v1, v1, v2, v101
	v_mul_i32_i24_e32 v2, v93, v9
	v_mul_i32_i24_e32 v101, v94, v10
	v_add3_u32 v1, v1, v2, v101
	v_mul_i32_i24_e32 v2, v60, v77
	v_mul_i32_i24_e32 v101, v61, v79
	s_delay_alu instid0(VALU_DEP_3) | instskip(SKIP_1) | instid1(VALU_DEP_4)
	v_add3_u32 v1, v1, v102, v103
	v_mul_i32_i24_e32 v102, v65, v70
	v_mad_i32_i24 v2, v30, v78, v2
	v_mul_i32_i24_e32 v103, v36, v82
	s_delay_alu instid0(VALU_DEP_4) | instskip(SKIP_1) | instid1(VALU_DEP_4)
	v_add3_u32 v1, v1, v104, v105
	v_mul_i32_i24_e32 v104, v37, v71
	v_add3_u32 v2, v2, v101, v102
	v_mul_i32_i24_e32 v101, v33, v80
	v_mul_i32_i24_e32 v102, v34, v81
	v_add3_u32 v1, v1, v106, v107
	v_mul_i32_i24_e32 v105, v38, v83
	v_mul_i32_i24_e32 v106, v39, v84
	v_mul_i32_i24_e32 v107, v41, v85
	v_add3_u32 v2, v2, v101, v102
	v_add3_u32 v1, v1, v108, v109
	v_mul_i32_i24_e32 v108, v43, v72
	v_mul_i32_i24_e32 v109, v55, v86
	v_mul_i32_i24_e32 v101, v89, v49
	v_add3_u32 v2, v2, v103, v104
	;; [unrolled: 5-line block ×3, first 2 shown]
	v_mul_i32_i24_e32 v105, v97, v45
	v_mul_i32_i24_e32 v106, v98, v46
	;; [unrolled: 1-line block ×3, first 2 shown]
	v_mul_lo_u32 v1, v1, v20
	v_add3_u32 v2, v2, v107, v108
	v_mul_i32_i24_e32 v107, v100, v13
	v_mul_i32_i24_e32 v102, v90, v53
	;; [unrolled: 1-line block ×3, first 2 shown]
	s_delay_alu instid0(VALU_DEP_4) | instskip(NEXT) | instid1(VALU_DEP_4)
	v_add3_u32 v2, v2, v109, v110
	v_mad_i32_i24 v107, v99, v50, v107
	v_mul_i32_i24_e32 v109, v237, v75
	v_mul_i32_i24_e32 v110, v238, v76
	s_delay_alu instid0(VALU_DEP_4) | instskip(NEXT) | instid1(VALU_DEP_4)
	v_add3_u32 v2, v2, v111, v112
	v_add3_u32 v105, v107, v106, v105
	v_mul_i32_i24_e32 v106, v234, v67
	v_mul_i32_i24_e32 v107, v235, v68
	;; [unrolled: 1-line block ×3, first 2 shown]
	v_mad_co_u64_u32 v[1:2], null, v2, v62, v[1:2]
	v_add3_u32 v103, v105, v103, v104
	v_mul_i32_i24_e32 v104, v231, v48
	v_mul_i32_i24_e32 v105, v233, v66
	;; [unrolled: 1-line block ×3, first 2 shown]
	s_delay_alu instid0(VALU_DEP_4) | instskip(SKIP_3) | instid1(VALU_DEP_4)
	v_add3_u32 v101, v103, v102, v101
	v_cvt_f32_i32_e32 v1, v1
	v_mul_i32_i24_e32 v102, v229, v14
	v_mul_i32_i24_e32 v103, v230, v47
	v_cvt_f32_i32_e32 v2, v101
	v_mul_i32_i24_e32 v101, v8, v243
	s_delay_alu instid0(VALU_DEP_2) | instskip(NEXT) | instid1(VALU_DEP_1)
	v_mul_f32_e32 v2, v64, v2
	v_fma_mix_f32 v1, v0, v1, -v2 op_sel_hi:[1,0,0]
	v_mul_i32_i24_e32 v2, v7, v242
	s_delay_alu instid0(VALU_DEP_2) | instskip(SKIP_1) | instid1(VALU_DEP_1)
	v_fmac_f32_e32 v29, v4, v1
	v_mul_i32_i24_e32 v1, v5, v240
	v_mad_i32_i24 v1, v6, v232, v1
	s_delay_alu instid0(VALU_DEP_1) | instskip(SKIP_2) | instid1(VALU_DEP_1)
	v_add3_u32 v1, v1, v2, v101
	v_mul_i32_i24_e32 v2, v227, v9
	v_mul_i32_i24_e32 v101, v228, v10
	v_add3_u32 v1, v1, v2, v101
	v_mul_i32_i24_e32 v2, v222, v77
	v_mul_i32_i24_e32 v101, v225, v79
	s_delay_alu instid0(VALU_DEP_3) | instskip(SKIP_1) | instid1(VALU_DEP_4)
	v_add3_u32 v1, v1, v102, v103
	v_mul_i32_i24_e32 v102, v226, v70
	v_mad_i32_i24 v2, v212, v78, v2
	v_mul_i32_i24_e32 v103, v211, v82
	s_delay_alu instid0(VALU_DEP_4) | instskip(SKIP_1) | instid1(VALU_DEP_4)
	v_add3_u32 v1, v1, v104, v105
	v_mul_i32_i24_e32 v104, v213, v71
	v_add3_u32 v2, v2, v101, v102
	v_mul_i32_i24_e32 v101, v209, v80
	v_mul_i32_i24_e32 v102, v210, v81
	v_add3_u32 v1, v1, v106, v107
	v_mul_i32_i24_e32 v105, v214, v83
	v_mul_i32_i24_e32 v106, v215, v84
	v_mul_i32_i24_e32 v107, v216, v85
	v_add3_u32 v2, v2, v101, v102
	v_add3_u32 v1, v1, v108, v109
	v_mul_i32_i24_e32 v108, v217, v72
	v_mul_i32_i24_e32 v109, v218, v86
	v_mul_i32_i24_e32 v101, v89, v208
	v_add3_u32 v2, v2, v103, v104
	v_add3_u32 v1, v1, v110, v111
	v_mul_i32_i24_e32 v110, v219, v87
	v_mul_i32_i24_e32 v103, v91, v205
	v_mul_i32_i24_e32 v104, v96, v206
	v_add3_u32 v2, v2, v105, v106
	v_mul_i32_i24_e32 v105, v97, v204
	v_mul_i32_i24_e32 v106, v98, v203
	;; [unrolled: 1-line block ×3, first 2 shown]
	v_mul_lo_u32 v1, v1, v241
	v_add3_u32 v2, v2, v107, v108
	v_mul_i32_i24_e32 v107, v100, v201
	v_mul_i32_i24_e32 v102, v90, v207
	;; [unrolled: 1-line block ×3, first 2 shown]
	s_delay_alu instid0(VALU_DEP_4) | instskip(NEXT) | instid1(VALU_DEP_4)
	v_add3_u32 v2, v2, v109, v110
	v_mad_i32_i24 v107, v99, v202, v107
	v_mul_i32_i24_e32 v109, v193, v75
	v_mul_i32_i24_e32 v110, v194, v76
	s_delay_alu instid0(VALU_DEP_4) | instskip(NEXT) | instid1(VALU_DEP_4)
	v_add3_u32 v2, v2, v111, v112
	v_add3_u32 v105, v107, v106, v105
	v_mul_i32_i24_e32 v106, v190, v67
	v_mul_i32_i24_e32 v107, v191, v68
	v_mul_i32_i24_e32 v111, v195, v69
	v_mad_co_u64_u32 v[1:2], null, v2, v223, v[1:2]
	v_add3_u32 v103, v105, v103, v104
	v_mul_i32_i24_e32 v104, v187, v48
	v_mul_i32_i24_e32 v105, v189, v66
	;; [unrolled: 1-line block ×3, first 2 shown]
	s_delay_alu instid0(VALU_DEP_4) | instskip(SKIP_3) | instid1(VALU_DEP_4)
	v_add3_u32 v101, v103, v102, v101
	v_cvt_f32_i32_e32 v1, v1
	v_mul_i32_i24_e32 v102, v185, v14
	v_mul_i32_i24_e32 v103, v186, v47
	v_cvt_f32_i32_e32 v2, v101
	v_mul_i32_i24_e32 v101, v8, v200
	s_delay_alu instid0(VALU_DEP_2) | instskip(NEXT) | instid1(VALU_DEP_1)
	v_mul_f32_e32 v2, v224, v2
	v_fma_mix_f32 v1, v198, v1, -v2 op_sel_hi:[1,0,0]
	v_mul_i32_i24_e32 v2, v7, v199
	s_delay_alu instid0(VALU_DEP_2) | instskip(SKIP_1) | instid1(VALU_DEP_1)
	v_fmac_f32_e32 v28, v4, v1
	v_mul_i32_i24_e32 v1, v5, v196
	v_mad_i32_i24 v1, v6, v188, v1
	s_delay_alu instid0(VALU_DEP_1) | instskip(SKIP_2) | instid1(VALU_DEP_1)
	v_add3_u32 v1, v1, v2, v101
	v_mul_i32_i24_e32 v2, v183, v9
	v_mul_i32_i24_e32 v101, v184, v10
	v_add3_u32 v1, v1, v2, v101
	v_mul_i32_i24_e32 v2, v178, v77
	v_mul_i32_i24_e32 v101, v181, v79
	s_delay_alu instid0(VALU_DEP_3) | instskip(SKIP_1) | instid1(VALU_DEP_4)
	v_add3_u32 v1, v1, v102, v103
	v_mul_i32_i24_e32 v102, v182, v70
	v_mad_i32_i24 v2, v168, v78, v2
	v_mul_i32_i24_e32 v103, v167, v82
	s_delay_alu instid0(VALU_DEP_4) | instskip(SKIP_1) | instid1(VALU_DEP_4)
	v_add3_u32 v1, v1, v104, v105
	v_mul_i32_i24_e32 v104, v169, v71
	v_add3_u32 v2, v2, v101, v102
	v_mul_i32_i24_e32 v101, v165, v80
	v_mul_i32_i24_e32 v102, v166, v81
	v_add3_u32 v1, v1, v106, v107
	v_mul_i32_i24_e32 v105, v170, v83
	v_mul_i32_i24_e32 v106, v171, v84
	v_mul_i32_i24_e32 v107, v172, v85
	v_add3_u32 v2, v2, v101, v102
	v_add3_u32 v1, v1, v108, v109
	v_mul_i32_i24_e32 v108, v173, v72
	v_mul_i32_i24_e32 v109, v174, v86
	v_mul_i32_i24_e32 v101, v89, v164
	v_add3_u32 v2, v2, v103, v104
	;; [unrolled: 5-line block ×3, first 2 shown]
	v_mul_i32_i24_e32 v105, v97, v160
	v_mul_i32_i24_e32 v106, v98, v159
	v_mul_i32_i24_e32 v111, v176, v88
	v_mul_lo_u32 v1, v1, v197
	v_add3_u32 v2, v2, v107, v108
	v_mul_i32_i24_e32 v107, v100, v157
	v_mul_i32_i24_e32 v102, v90, v163
	s_delay_alu instid0(VALU_DEP_3) | instskip(NEXT) | instid1(VALU_DEP_3)
	v_add3_u32 v2, v2, v109, v110
	v_mad_i32_i24 v107, v99, v158, v107
	s_delay_alu instid0(VALU_DEP_2) | instskip(NEXT) | instid1(VALU_DEP_2)
	v_add3_u32 v2, v2, v111, v112
	v_add3_u32 v105, v107, v106, v105
	s_delay_alu instid0(VALU_DEP_2) | instskip(NEXT) | instid1(VALU_DEP_2)
	v_mad_co_u64_u32 v[1:2], null, v2, v179, v[1:2]
	v_add3_u32 v103, v105, v103, v104
	s_delay_alu instid0(VALU_DEP_1) | instskip(NEXT) | instid1(VALU_DEP_3)
	v_add3_u32 v101, v103, v102, v101
	v_cvt_f32_i32_e32 v1, v1
	s_delay_alu instid0(VALU_DEP_2) | instskip(NEXT) | instid1(VALU_DEP_1)
	v_cvt_f32_i32_e32 v2, v101
	v_mul_f32_e32 v2, v180, v2
	s_delay_alu instid0(VALU_DEP_1) | instskip(SKIP_3) | instid1(VALU_DEP_4)
	v_fma_mix_f32 v1, v154, v1, -v2 op_sel_hi:[1,0,0]
	v_mul_i32_i24_e32 v2, v7, v155
	v_mul_i32_i24_e32 v7, v142, v47
	;; [unrolled: 1-line block ×3, first 2 shown]
	v_fmac_f32_e32 v27, v4, v1
	v_mul_i32_i24_e32 v1, v5, v152
	v_mul_i32_i24_e32 v5, v8, v156
	;; [unrolled: 1-line block ×4, first 2 shown]
	s_delay_alu instid0(VALU_DEP_4) | instskip(SKIP_3) | instid1(VALU_DEP_4)
	v_mad_i32_i24 v1, v6, v144, v1
	v_mul_i32_i24_e32 v6, v141, v14
	v_mul_i32_i24_e32 v14, v147, v68
	v_mul_i32_i24_e32 v68, v135, v73
	v_add3_u32 v1, v1, v2, v5
	v_mul_i32_i24_e32 v2, v3, v9
	v_mul_i32_i24_e32 v5, v140, v10
	;; [unrolled: 1-line block ×6, first 2 shown]
	v_add3_u32 v1, v1, v2, v5
	v_mul_i32_i24_e32 v2, v137, v77
	v_mul_i32_i24_e32 v5, v138, v79
	s_delay_alu instid0(VALU_DEP_3) | instskip(SKIP_1) | instid1(VALU_DEP_4)
	v_add3_u32 v1, v1, v6, v7
	v_mul_i32_i24_e32 v6, v139, v70
	v_mad_i32_i24 v2, v136, v78, v2
	v_mul_i32_i24_e32 v7, v126, v82
	s_delay_alu instid0(VALU_DEP_4) | instskip(SKIP_1) | instid1(VALU_DEP_4)
	v_add3_u32 v1, v1, v8, v9
	v_mul_i32_i24_e32 v8, v127, v71
	v_add3_u32 v2, v2, v5, v6
	v_mul_i32_i24_e32 v5, v124, v80
	v_mul_i32_i24_e32 v6, v125, v81
	v_add3_u32 v1, v1, v10, v14
	v_mul_i32_i24_e32 v9, v128, v83
	v_mul_i32_i24_e32 v10, v129, v84
	v_mul_i32_i24_e32 v14, v130, v85
	v_add3_u32 v2, v2, v5, v6
	v_add3_u32 v1, v1, v47, v48
	v_mul_i32_i24_e32 v47, v131, v72
	v_mul_i32_i24_e32 v48, v132, v86
	v_mul_i32_i24_e32 v5, v89, v123
	v_add3_u32 v2, v2, v7, v8
	;; [unrolled: 5-line block ×3, first 2 shown]
	v_mul_i32_i24_e32 v9, v97, v119
	v_mul_i32_i24_e32 v10, v98, v118
	;; [unrolled: 1-line block ×3, first 2 shown]
	v_mul_lo_u32 v1, v1, v153
	v_add3_u32 v2, v2, v14, v47
	v_mul_i32_i24_e32 v14, v100, v116
	v_mul_i32_i24_e32 v6, v90, v122
	s_delay_alu instid0(VALU_DEP_3) | instskip(NEXT) | instid1(VALU_DEP_3)
	v_add3_u32 v2, v2, v48, v66
	v_mad_i32_i24 v14, v99, v117, v14
	s_delay_alu instid0(VALU_DEP_2) | instskip(NEXT) | instid1(VALU_DEP_2)
	v_add3_u32 v2, v2, v67, v68
	v_add3_u32 v9, v14, v10, v9
	s_delay_alu instid0(VALU_DEP_2) | instskip(NEXT) | instid1(VALU_DEP_2)
	v_mad_co_u64_u32 v[1:2], null, v2, v115, v[1:2]
	v_add3_u32 v7, v9, v7, v8
	s_delay_alu instid0(VALU_DEP_1) | instskip(NEXT) | instid1(VALU_DEP_3)
	v_add3_u32 v5, v7, v6, v5
	v_cvt_f32_i32_e32 v1, v1
	s_delay_alu instid0(VALU_DEP_2) | instskip(NEXT) | instid1(VALU_DEP_1)
	v_cvt_f32_i32_e32 v2, v5
	v_mul_f32_e32 v2, v114, v2
	s_delay_alu instid0(VALU_DEP_1) | instskip(NEXT) | instid1(VALU_DEP_1)
	v_fma_mix_f32 v1, v113, v1, -v2 op_sel_hi:[1,0,0]
	v_fmac_f32_e32 v26, v4, v1
	scratch_load_b32 v1, off, off offset:28 ; 4-byte Folded Reload
	s_wait_loadcnt 0x0
	v_or_b32_e32 v1, s18, v1
	s_delay_alu instid0(VALU_DEP_1)
	v_lshlrev_b32_e32 v2, 2, v1
	v_lshrrev_b32_e32 v1, 1, v1
	ds_load_b32 v4, v1 offset:30368
	ds_load_b128 v[66:69], v2 offset:16896
	ds_load_b128 v[70:73], v2 offset:16912
	s_wait_dscnt 0x1
	v_ashrrev_i32_e32 v8, 24, v66
	s_wait_dscnt 0x0
	v_bfe_i32 v77, v70, 0, 8
	v_bfe_i32 v78, v70, 8, 8
	v_bfe_i32 v79, v70, 16, 8
	v_ashrrev_i32_e32 v70, 24, v70
	v_bfe_i32 v80, v71, 0, 8
	v_bfe_i32 v81, v71, 8, 8
	v_bfe_i32 v82, v71, 16, 8
	v_ashrrev_i32_e32 v71, 24, v71
	;; [unrolled: 4-line block ×4, first 2 shown]
	v_add_nc_u32_e32 v1, v71, v70
	v_ashrrev_i32_e32 v47, 24, v67
	v_bfe_i32 v5, v66, 0, 8
	v_bfe_i32 v6, v66, 8, 8
	;; [unrolled: 1-line block ×3, first 2 shown]
	v_add3_u32 v89, v1, v72, v73
	v_add_nc_u32_e32 v1, v82, v79
	v_bfe_i32 v9, v67, 0, 8
	v_bfe_i32 v10, v67, 8, 8
	;; [unrolled: 1-line block ×4, first 2 shown]
	v_add3_u32 v90, v1, v85, v88
	v_add_nc_u32_e32 v1, v80, v77
	v_bfe_i32 v66, v68, 8, 8
	v_bfe_i32 v67, v68, 16, 8
	v_ashrrev_i32_e32 v68, 24, v68
	v_bfe_i32 v74, v69, 0, 8
	v_add3_u32 v91, v1, v83, v86
	v_add_nc_u32_e32 v1, v81, v78
	v_bfe_i32 v75, v69, 8, 8
	v_bfe_i32 v76, v69, 16, 8
	v_ashrrev_i32_e32 v69, 24, v69
	v_mul_i32_i24_e32 v2, v7, v254
	v_add3_u32 v96, v1, v84, v87
	v_add_nc_u32_e32 v1, v47, v8
	v_mul_i32_i24_e32 v101, v8, v255
	v_mul_i32_i24_e32 v102, v95, v14
	v_mul_i32_i24_e32 v103, v244, v47
	v_mul_i32_i24_e32 v104, v245, v48
	v_add3_u32 v97, v1, v68, v69
	v_add_nc_u32_e32 v1, v14, v7
	v_mul_i32_i24_e32 v105, v246, v66
	v_mul_i32_i24_e32 v106, v247, v67
	v_mul_i32_i24_e32 v107, v248, v68
	;; [unrolled: 6-line block ×3, first 2 shown]
	v_mul_i32_i24_e32 v112, v59, v73
	v_add3_u32 v99, v1, v66, v75
	v_add_nc_u32_e32 v1, v9, v5
	s_delay_alu instid0(VALU_DEP_1) | instskip(SKIP_1) | instid1(VALU_DEP_1)
	v_add3_u32 v100, v1, v48, v74
	v_mul_i32_i24_e32 v1, v5, v253
	v_mad_i32_i24 v1, v6, v92, v1
	s_delay_alu instid0(VALU_DEP_1) | instskip(SKIP_2) | instid1(VALU_DEP_1)
	v_add3_u32 v1, v1, v2, v101
	v_mul_i32_i24_e32 v2, v93, v9
	v_mul_i32_i24_e32 v101, v94, v10
	v_add3_u32 v1, v1, v2, v101
	v_mul_i32_i24_e32 v2, v60, v77
	v_mul_i32_i24_e32 v101, v61, v79
	s_delay_alu instid0(VALU_DEP_3) | instskip(SKIP_1) | instid1(VALU_DEP_4)
	v_add3_u32 v1, v1, v102, v103
	v_mul_i32_i24_e32 v102, v65, v70
	v_mad_i32_i24 v2, v30, v78, v2
	v_mul_i32_i24_e32 v103, v36, v82
	s_delay_alu instid0(VALU_DEP_4) | instskip(SKIP_1) | instid1(VALU_DEP_4)
	v_add3_u32 v1, v1, v104, v105
	v_mul_i32_i24_e32 v104, v37, v71
	v_add3_u32 v2, v2, v101, v102
	v_mul_i32_i24_e32 v101, v33, v80
	v_mul_i32_i24_e32 v102, v34, v81
	v_add3_u32 v1, v1, v106, v107
	v_mul_i32_i24_e32 v105, v38, v83
	v_mul_i32_i24_e32 v106, v39, v84
	v_mul_i32_i24_e32 v107, v41, v85
	v_add3_u32 v2, v2, v101, v102
	v_add3_u32 v1, v1, v108, v109
	v_mul_i32_i24_e32 v108, v43, v72
	v_mul_i32_i24_e32 v109, v55, v86
	v_mul_i32_i24_e32 v101, v89, v49
	v_add3_u32 v2, v2, v103, v104
	;; [unrolled: 5-line block ×3, first 2 shown]
	v_mul_i32_i24_e32 v105, v97, v45
	v_mul_i32_i24_e32 v106, v98, v46
	;; [unrolled: 1-line block ×3, first 2 shown]
	v_mul_lo_u32 v1, v1, v20
	v_add3_u32 v2, v2, v107, v108
	v_mul_i32_i24_e32 v107, v100, v13
	v_mul_i32_i24_e32 v102, v90, v53
	s_delay_alu instid0(VALU_DEP_3) | instskip(NEXT) | instid1(VALU_DEP_3)
	v_add3_u32 v2, v2, v109, v110
	v_mad_i32_i24 v107, v99, v50, v107
	v_mul_i32_i24_e32 v109, v237, v75
	v_mul_i32_i24_e32 v110, v238, v76
	s_delay_alu instid0(VALU_DEP_4) | instskip(NEXT) | instid1(VALU_DEP_4)
	v_add3_u32 v2, v2, v111, v112
	v_add3_u32 v105, v107, v106, v105
	v_mul_i32_i24_e32 v106, v234, v67
	v_mul_i32_i24_e32 v107, v235, v68
	;; [unrolled: 1-line block ×3, first 2 shown]
	v_mad_co_u64_u32 v[1:2], null, v2, v62, v[1:2]
	v_add3_u32 v103, v105, v103, v104
	v_mul_i32_i24_e32 v104, v231, v48
	v_mul_i32_i24_e32 v105, v233, v66
	;; [unrolled: 1-line block ×3, first 2 shown]
	s_delay_alu instid0(VALU_DEP_4) | instskip(SKIP_3) | instid1(VALU_DEP_4)
	v_add3_u32 v101, v103, v102, v101
	v_cvt_f32_i32_e32 v1, v1
	v_mul_i32_i24_e32 v102, v229, v14
	v_mul_i32_i24_e32 v103, v230, v47
	v_cvt_f32_i32_e32 v2, v101
	v_mul_i32_i24_e32 v101, v8, v243
	s_delay_alu instid0(VALU_DEP_2) | instskip(NEXT) | instid1(VALU_DEP_1)
	v_mul_f32_e32 v2, v64, v2
	v_fma_mix_f32 v1, v0, v1, -v2 op_sel_hi:[1,0,0]
	v_mul_i32_i24_e32 v2, v7, v242
	s_delay_alu instid0(VALU_DEP_2) | instskip(SKIP_2) | instid1(VALU_DEP_2)
	v_fmac_f32_e32 v25, v4, v1
	v_mul_i32_i24_e32 v1, v5, v240
	v_mul_i32_i24_e32 v108, v236, v74
	v_mad_i32_i24 v1, v6, v232, v1
	s_delay_alu instid0(VALU_DEP_1) | instskip(SKIP_2) | instid1(VALU_DEP_1)
	v_add3_u32 v1, v1, v2, v101
	v_mul_i32_i24_e32 v2, v227, v9
	v_mul_i32_i24_e32 v101, v228, v10
	v_add3_u32 v1, v1, v2, v101
	v_mul_i32_i24_e32 v2, v222, v77
	v_mul_i32_i24_e32 v101, v225, v79
	s_delay_alu instid0(VALU_DEP_3) | instskip(SKIP_1) | instid1(VALU_DEP_4)
	v_add3_u32 v1, v1, v102, v103
	v_mul_i32_i24_e32 v102, v226, v70
	v_mad_i32_i24 v2, v212, v78, v2
	v_mul_i32_i24_e32 v103, v211, v82
	s_delay_alu instid0(VALU_DEP_4) | instskip(SKIP_1) | instid1(VALU_DEP_4)
	v_add3_u32 v1, v1, v104, v105
	v_mul_i32_i24_e32 v104, v213, v71
	v_add3_u32 v2, v2, v101, v102
	v_mul_i32_i24_e32 v101, v209, v80
	v_mul_i32_i24_e32 v102, v210, v81
	v_add3_u32 v1, v1, v106, v107
	v_mul_i32_i24_e32 v105, v214, v83
	v_mul_i32_i24_e32 v106, v215, v84
	v_mul_i32_i24_e32 v107, v216, v85
	v_add3_u32 v2, v2, v101, v102
	v_add3_u32 v1, v1, v108, v109
	v_mul_i32_i24_e32 v108, v217, v72
	v_mul_i32_i24_e32 v109, v218, v86
	v_mul_i32_i24_e32 v101, v89, v208
	v_add3_u32 v2, v2, v103, v104
	;; [unrolled: 5-line block ×3, first 2 shown]
	v_mul_i32_i24_e32 v105, v97, v204
	v_mul_i32_i24_e32 v106, v98, v203
	;; [unrolled: 1-line block ×3, first 2 shown]
	v_mul_lo_u32 v1, v1, v241
	v_add3_u32 v2, v2, v107, v108
	v_mul_i32_i24_e32 v107, v100, v201
	v_mul_i32_i24_e32 v102, v90, v207
	;; [unrolled: 1-line block ×3, first 2 shown]
	s_delay_alu instid0(VALU_DEP_4) | instskip(NEXT) | instid1(VALU_DEP_4)
	v_add3_u32 v2, v2, v109, v110
	v_mad_i32_i24 v107, v99, v202, v107
	v_mul_i32_i24_e32 v109, v193, v75
	v_mul_i32_i24_e32 v110, v194, v76
	s_delay_alu instid0(VALU_DEP_4) | instskip(NEXT) | instid1(VALU_DEP_4)
	v_add3_u32 v2, v2, v111, v112
	v_add3_u32 v105, v107, v106, v105
	v_mul_i32_i24_e32 v106, v190, v67
	v_mul_i32_i24_e32 v107, v191, v68
	;; [unrolled: 1-line block ×3, first 2 shown]
	v_mad_co_u64_u32 v[1:2], null, v2, v223, v[1:2]
	v_add3_u32 v103, v105, v103, v104
	v_mul_i32_i24_e32 v104, v187, v48
	v_mul_i32_i24_e32 v105, v189, v66
	;; [unrolled: 1-line block ×3, first 2 shown]
	s_delay_alu instid0(VALU_DEP_4) | instskip(SKIP_3) | instid1(VALU_DEP_4)
	v_add3_u32 v101, v103, v102, v101
	v_cvt_f32_i32_e32 v1, v1
	v_mul_i32_i24_e32 v102, v185, v14
	v_mul_i32_i24_e32 v103, v186, v47
	v_cvt_f32_i32_e32 v2, v101
	v_mul_i32_i24_e32 v101, v8, v200
	s_delay_alu instid0(VALU_DEP_2) | instskip(NEXT) | instid1(VALU_DEP_1)
	v_mul_f32_e32 v2, v224, v2
	v_fma_mix_f32 v1, v198, v1, -v2 op_sel_hi:[1,0,0]
	v_mul_i32_i24_e32 v2, v7, v199
	s_delay_alu instid0(VALU_DEP_2) | instskip(SKIP_1) | instid1(VALU_DEP_1)
	v_fmac_f32_e32 v24, v4, v1
	v_mul_i32_i24_e32 v1, v5, v196
	v_mad_i32_i24 v1, v6, v188, v1
	s_delay_alu instid0(VALU_DEP_1) | instskip(SKIP_2) | instid1(VALU_DEP_1)
	v_add3_u32 v1, v1, v2, v101
	v_mul_i32_i24_e32 v2, v183, v9
	v_mul_i32_i24_e32 v101, v184, v10
	v_add3_u32 v1, v1, v2, v101
	v_mul_i32_i24_e32 v2, v178, v77
	v_mul_i32_i24_e32 v101, v181, v79
	s_delay_alu instid0(VALU_DEP_3) | instskip(SKIP_1) | instid1(VALU_DEP_4)
	v_add3_u32 v1, v1, v102, v103
	v_mul_i32_i24_e32 v102, v182, v70
	v_mad_i32_i24 v2, v168, v78, v2
	v_mul_i32_i24_e32 v103, v167, v82
	s_delay_alu instid0(VALU_DEP_4) | instskip(SKIP_1) | instid1(VALU_DEP_4)
	v_add3_u32 v1, v1, v104, v105
	v_mul_i32_i24_e32 v104, v169, v71
	v_add3_u32 v2, v2, v101, v102
	v_mul_i32_i24_e32 v101, v165, v80
	v_mul_i32_i24_e32 v102, v166, v81
	v_add3_u32 v1, v1, v106, v107
	v_mul_i32_i24_e32 v105, v170, v83
	v_mul_i32_i24_e32 v106, v171, v84
	v_mul_i32_i24_e32 v107, v172, v85
	v_add3_u32 v2, v2, v101, v102
	v_add3_u32 v1, v1, v108, v109
	v_mul_i32_i24_e32 v108, v173, v72
	v_mul_i32_i24_e32 v109, v174, v86
	v_mul_i32_i24_e32 v101, v89, v164
	v_add3_u32 v2, v2, v103, v104
	;; [unrolled: 5-line block ×3, first 2 shown]
	v_mul_i32_i24_e32 v105, v97, v160
	v_mul_i32_i24_e32 v106, v98, v159
	;; [unrolled: 1-line block ×3, first 2 shown]
	v_mul_lo_u32 v1, v1, v197
	v_add3_u32 v2, v2, v107, v108
	v_mul_i32_i24_e32 v107, v100, v157
	v_mul_i32_i24_e32 v102, v90, v163
	s_delay_alu instid0(VALU_DEP_3) | instskip(NEXT) | instid1(VALU_DEP_3)
	v_add3_u32 v2, v2, v109, v110
	v_mad_i32_i24 v107, v99, v158, v107
	s_delay_alu instid0(VALU_DEP_2) | instskip(NEXT) | instid1(VALU_DEP_2)
	v_add3_u32 v2, v2, v111, v112
	v_add3_u32 v105, v107, v106, v105
	s_delay_alu instid0(VALU_DEP_2) | instskip(NEXT) | instid1(VALU_DEP_2)
	v_mad_co_u64_u32 v[1:2], null, v2, v179, v[1:2]
	v_add3_u32 v103, v105, v103, v104
	s_delay_alu instid0(VALU_DEP_1) | instskip(NEXT) | instid1(VALU_DEP_3)
	v_add3_u32 v101, v103, v102, v101
	v_cvt_f32_i32_e32 v1, v1
	s_delay_alu instid0(VALU_DEP_2) | instskip(NEXT) | instid1(VALU_DEP_1)
	v_cvt_f32_i32_e32 v2, v101
	v_mul_f32_e32 v2, v180, v2
	s_delay_alu instid0(VALU_DEP_1) | instskip(SKIP_3) | instid1(VALU_DEP_4)
	v_fma_mix_f32 v1, v154, v1, -v2 op_sel_hi:[1,0,0]
	v_mul_i32_i24_e32 v2, v7, v155
	v_mul_i32_i24_e32 v7, v142, v47
	;; [unrolled: 1-line block ×3, first 2 shown]
	v_fmac_f32_e32 v23, v4, v1
	v_mul_i32_i24_e32 v1, v5, v152
	v_mul_i32_i24_e32 v5, v8, v156
	;; [unrolled: 1-line block ×4, first 2 shown]
	s_delay_alu instid0(VALU_DEP_4) | instskip(SKIP_3) | instid1(VALU_DEP_4)
	v_mad_i32_i24 v1, v6, v144, v1
	v_mul_i32_i24_e32 v6, v141, v14
	v_mul_i32_i24_e32 v14, v147, v68
	;; [unrolled: 1-line block ×3, first 2 shown]
	v_add3_u32 v1, v1, v2, v5
	v_mul_i32_i24_e32 v2, v3, v9
	v_mul_i32_i24_e32 v5, v140, v10
	;; [unrolled: 1-line block ×6, first 2 shown]
	v_add3_u32 v1, v1, v2, v5
	v_mul_i32_i24_e32 v2, v137, v77
	v_mul_i32_i24_e32 v5, v138, v79
	s_delay_alu instid0(VALU_DEP_3) | instskip(SKIP_1) | instid1(VALU_DEP_4)
	v_add3_u32 v1, v1, v6, v7
	v_mul_i32_i24_e32 v6, v139, v70
	v_mad_i32_i24 v2, v136, v78, v2
	v_mul_i32_i24_e32 v7, v126, v82
	s_delay_alu instid0(VALU_DEP_4) | instskip(SKIP_1) | instid1(VALU_DEP_4)
	v_add3_u32 v1, v1, v8, v9
	v_mul_i32_i24_e32 v8, v127, v71
	v_add3_u32 v2, v2, v5, v6
	v_mul_i32_i24_e32 v5, v124, v80
	v_mul_i32_i24_e32 v6, v125, v81
	v_add3_u32 v1, v1, v10, v14
	v_mul_i32_i24_e32 v9, v128, v83
	v_mul_i32_i24_e32 v10, v129, v84
	v_mul_i32_i24_e32 v14, v130, v85
	v_add3_u32 v2, v2, v5, v6
	v_add3_u32 v1, v1, v47, v48
	v_mul_i32_i24_e32 v47, v131, v72
	v_mul_i32_i24_e32 v48, v132, v86
	v_mul_i32_i24_e32 v5, v89, v123
	v_add3_u32 v2, v2, v7, v8
	;; [unrolled: 5-line block ×3, first 2 shown]
	v_mul_i32_i24_e32 v9, v97, v119
	v_mul_i32_i24_e32 v10, v98, v118
	;; [unrolled: 1-line block ×3, first 2 shown]
	v_mul_lo_u32 v1, v1, v153
	v_add3_u32 v2, v2, v14, v47
	v_mul_i32_i24_e32 v14, v100, v116
	v_mul_i32_i24_e32 v6, v90, v122
	s_delay_alu instid0(VALU_DEP_3) | instskip(NEXT) | instid1(VALU_DEP_3)
	v_add3_u32 v2, v2, v48, v66
	v_mad_i32_i24 v14, v99, v117, v14
	s_delay_alu instid0(VALU_DEP_2) | instskip(NEXT) | instid1(VALU_DEP_2)
	v_add3_u32 v2, v2, v67, v68
	v_add3_u32 v9, v14, v10, v9
	s_delay_alu instid0(VALU_DEP_2) | instskip(NEXT) | instid1(VALU_DEP_2)
	v_mad_co_u64_u32 v[1:2], null, v2, v115, v[1:2]
	v_add3_u32 v7, v9, v7, v8
	s_delay_alu instid0(VALU_DEP_1) | instskip(NEXT) | instid1(VALU_DEP_3)
	v_add3_u32 v5, v7, v6, v5
	v_cvt_f32_i32_e32 v1, v1
	s_delay_alu instid0(VALU_DEP_2) | instskip(NEXT) | instid1(VALU_DEP_1)
	v_cvt_f32_i32_e32 v2, v5
	v_mul_f32_e32 v2, v114, v2
	s_delay_alu instid0(VALU_DEP_1) | instskip(NEXT) | instid1(VALU_DEP_1)
	v_fma_mix_f32 v1, v113, v1, -v2 op_sel_hi:[1,0,0]
	v_fmac_f32_e32 v22, v4, v1
	scratch_load_b32 v1, off, off offset:32 ; 4-byte Folded Reload
	s_wait_loadcnt 0x0
	v_or_b32_e32 v1, s18, v1
	s_delay_alu instid0(VALU_DEP_1)
	v_lshlrev_b32_e32 v2, 2, v1
	v_lshrrev_b32_e32 v1, 1, v1
	ds_load_b32 v4, v1 offset:30368
	ds_load_b128 v[66:69], v2 offset:16896
	ds_load_b128 v[70:73], v2 offset:16912
	s_wait_dscnt 0x1
	v_ashrrev_i32_e32 v8, 24, v66
	s_wait_dscnt 0x0
	v_bfe_i32 v77, v70, 0, 8
	v_bfe_i32 v78, v70, 8, 8
	v_bfe_i32 v79, v70, 16, 8
	v_ashrrev_i32_e32 v70, 24, v70
	v_bfe_i32 v80, v71, 0, 8
	v_bfe_i32 v81, v71, 8, 8
	v_bfe_i32 v82, v71, 16, 8
	v_ashrrev_i32_e32 v71, 24, v71
	v_bfe_i32 v83, v72, 0, 8
	v_bfe_i32 v84, v72, 8, 8
	v_bfe_i32 v85, v72, 16, 8
	v_ashrrev_i32_e32 v72, 24, v72
	v_bfe_i32 v86, v73, 0, 8
	v_bfe_i32 v87, v73, 8, 8
	v_bfe_i32 v88, v73, 16, 8
	v_ashrrev_i32_e32 v73, 24, v73
	v_add_nc_u32_e32 v1, v71, v70
	v_ashrrev_i32_e32 v47, 24, v67
	v_bfe_i32 v5, v66, 0, 8
	v_bfe_i32 v6, v66, 8, 8
	;; [unrolled: 1-line block ×3, first 2 shown]
	v_add3_u32 v89, v1, v72, v73
	v_add_nc_u32_e32 v1, v82, v79
	v_bfe_i32 v9, v67, 0, 8
	v_bfe_i32 v10, v67, 8, 8
	;; [unrolled: 1-line block ×4, first 2 shown]
	v_add3_u32 v90, v1, v85, v88
	v_add_nc_u32_e32 v1, v80, v77
	v_bfe_i32 v66, v68, 8, 8
	v_bfe_i32 v67, v68, 16, 8
	v_ashrrev_i32_e32 v68, 24, v68
	v_bfe_i32 v74, v69, 0, 8
	v_add3_u32 v91, v1, v83, v86
	v_add_nc_u32_e32 v1, v81, v78
	v_bfe_i32 v75, v69, 8, 8
	v_bfe_i32 v76, v69, 16, 8
	v_ashrrev_i32_e32 v69, 24, v69
	v_mul_i32_i24_e32 v2, v7, v254
	v_add3_u32 v96, v1, v84, v87
	v_add_nc_u32_e32 v1, v47, v8
	v_mul_i32_i24_e32 v101, v8, v255
	v_mul_i32_i24_e32 v102, v95, v14
	v_mul_i32_i24_e32 v103, v244, v47
	v_mul_i32_i24_e32 v104, v245, v48
	v_add3_u32 v97, v1, v68, v69
	v_add_nc_u32_e32 v1, v14, v7
	v_mul_i32_i24_e32 v105, v246, v66
	v_mul_i32_i24_e32 v106, v247, v67
	v_mul_i32_i24_e32 v107, v248, v68
	;; [unrolled: 6-line block ×3, first 2 shown]
	v_mul_i32_i24_e32 v112, v59, v73
	v_add3_u32 v99, v1, v66, v75
	v_add_nc_u32_e32 v1, v9, v5
	s_delay_alu instid0(VALU_DEP_1) | instskip(SKIP_1) | instid1(VALU_DEP_1)
	v_add3_u32 v100, v1, v48, v74
	v_mul_i32_i24_e32 v1, v5, v253
	v_mad_i32_i24 v1, v6, v92, v1
	s_delay_alu instid0(VALU_DEP_1) | instskip(SKIP_2) | instid1(VALU_DEP_1)
	v_add3_u32 v1, v1, v2, v101
	v_mul_i32_i24_e32 v2, v93, v9
	v_mul_i32_i24_e32 v101, v94, v10
	v_add3_u32 v1, v1, v2, v101
	v_mul_i32_i24_e32 v2, v60, v77
	v_mul_i32_i24_e32 v101, v61, v79
	s_delay_alu instid0(VALU_DEP_3) | instskip(SKIP_1) | instid1(VALU_DEP_4)
	v_add3_u32 v1, v1, v102, v103
	v_mul_i32_i24_e32 v102, v65, v70
	v_mad_i32_i24 v2, v30, v78, v2
	v_mul_i32_i24_e32 v103, v36, v82
	s_delay_alu instid0(VALU_DEP_4) | instskip(SKIP_1) | instid1(VALU_DEP_4)
	v_add3_u32 v1, v1, v104, v105
	v_mul_i32_i24_e32 v104, v37, v71
	v_add3_u32 v2, v2, v101, v102
	v_mul_i32_i24_e32 v101, v33, v80
	v_mul_i32_i24_e32 v102, v34, v81
	v_add3_u32 v1, v1, v106, v107
	v_mul_i32_i24_e32 v105, v38, v83
	v_mul_i32_i24_e32 v106, v39, v84
	v_mul_i32_i24_e32 v107, v41, v85
	v_add3_u32 v2, v2, v101, v102
	v_add3_u32 v1, v1, v108, v109
	v_mul_i32_i24_e32 v108, v43, v72
	v_mul_i32_i24_e32 v109, v55, v86
	v_mul_i32_i24_e32 v101, v89, v49
	v_add3_u32 v2, v2, v103, v104
	;; [unrolled: 5-line block ×3, first 2 shown]
	v_mul_i32_i24_e32 v105, v97, v45
	v_mul_i32_i24_e32 v106, v98, v46
	;; [unrolled: 1-line block ×3, first 2 shown]
	v_mul_lo_u32 v1, v1, v20
	v_add3_u32 v2, v2, v107, v108
	v_mul_i32_i24_e32 v107, v100, v13
	v_mul_i32_i24_e32 v102, v90, v53
	;; [unrolled: 1-line block ×3, first 2 shown]
	s_delay_alu instid0(VALU_DEP_4) | instskip(NEXT) | instid1(VALU_DEP_4)
	v_add3_u32 v2, v2, v109, v110
	v_mad_i32_i24 v107, v99, v50, v107
	v_mul_i32_i24_e32 v109, v237, v75
	v_mul_i32_i24_e32 v110, v238, v76
	s_delay_alu instid0(VALU_DEP_4) | instskip(NEXT) | instid1(VALU_DEP_4)
	v_add3_u32 v2, v2, v111, v112
	v_add3_u32 v105, v107, v106, v105
	v_mul_i32_i24_e32 v106, v234, v67
	v_mul_i32_i24_e32 v107, v235, v68
	;; [unrolled: 1-line block ×3, first 2 shown]
	v_mad_co_u64_u32 v[1:2], null, v2, v62, v[1:2]
	v_add3_u32 v103, v105, v103, v104
	v_mul_i32_i24_e32 v104, v231, v48
	v_mul_i32_i24_e32 v105, v233, v66
	;; [unrolled: 1-line block ×3, first 2 shown]
	s_delay_alu instid0(VALU_DEP_4) | instskip(SKIP_3) | instid1(VALU_DEP_4)
	v_add3_u32 v101, v103, v102, v101
	v_cvt_f32_i32_e32 v1, v1
	v_mul_i32_i24_e32 v102, v229, v14
	v_mul_i32_i24_e32 v103, v230, v47
	v_cvt_f32_i32_e32 v2, v101
	v_mul_i32_i24_e32 v101, v8, v243
	s_delay_alu instid0(VALU_DEP_2) | instskip(NEXT) | instid1(VALU_DEP_1)
	v_mul_f32_e32 v2, v64, v2
	v_fma_mix_f32 v1, v0, v1, -v2 op_sel_hi:[1,0,0]
	v_mul_i32_i24_e32 v2, v7, v242
	s_delay_alu instid0(VALU_DEP_2) | instskip(SKIP_1) | instid1(VALU_DEP_1)
	v_fmac_f32_e32 v21, v4, v1
	v_mul_i32_i24_e32 v1, v5, v240
	v_mad_i32_i24 v1, v6, v232, v1
	s_delay_alu instid0(VALU_DEP_1) | instskip(SKIP_2) | instid1(VALU_DEP_1)
	v_add3_u32 v1, v1, v2, v101
	v_mul_i32_i24_e32 v2, v227, v9
	v_mul_i32_i24_e32 v101, v228, v10
	v_add3_u32 v1, v1, v2, v101
	v_mul_i32_i24_e32 v2, v222, v77
	v_mul_i32_i24_e32 v101, v225, v79
	s_delay_alu instid0(VALU_DEP_3) | instskip(SKIP_1) | instid1(VALU_DEP_4)
	v_add3_u32 v1, v1, v102, v103
	v_mul_i32_i24_e32 v102, v226, v70
	v_mad_i32_i24 v2, v212, v78, v2
	v_mul_i32_i24_e32 v103, v211, v82
	s_delay_alu instid0(VALU_DEP_4) | instskip(SKIP_1) | instid1(VALU_DEP_4)
	v_add3_u32 v1, v1, v104, v105
	v_mul_i32_i24_e32 v104, v213, v71
	v_add3_u32 v2, v2, v101, v102
	v_mul_i32_i24_e32 v101, v209, v80
	v_mul_i32_i24_e32 v102, v210, v81
	v_add3_u32 v1, v1, v106, v107
	v_mul_i32_i24_e32 v105, v214, v83
	v_mul_i32_i24_e32 v106, v215, v84
	v_mul_i32_i24_e32 v107, v216, v85
	v_add3_u32 v2, v2, v101, v102
	v_add3_u32 v1, v1, v108, v109
	v_mul_i32_i24_e32 v108, v217, v72
	v_mul_i32_i24_e32 v109, v218, v86
	v_mul_i32_i24_e32 v101, v89, v208
	v_add3_u32 v2, v2, v103, v104
	;; [unrolled: 5-line block ×3, first 2 shown]
	v_mul_i32_i24_e32 v105, v97, v204
	v_mul_i32_i24_e32 v106, v98, v203
	;; [unrolled: 1-line block ×3, first 2 shown]
	v_mul_lo_u32 v1, v1, v241
	v_add3_u32 v2, v2, v107, v108
	v_mul_i32_i24_e32 v107, v100, v201
	v_mul_i32_i24_e32 v102, v90, v207
	;; [unrolled: 1-line block ×3, first 2 shown]
	s_delay_alu instid0(VALU_DEP_4) | instskip(NEXT) | instid1(VALU_DEP_4)
	v_add3_u32 v2, v2, v109, v110
	v_mad_i32_i24 v107, v99, v202, v107
	v_mul_i32_i24_e32 v109, v193, v75
	v_mul_i32_i24_e32 v110, v194, v76
	s_delay_alu instid0(VALU_DEP_4) | instskip(NEXT) | instid1(VALU_DEP_4)
	v_add3_u32 v2, v2, v111, v112
	v_add3_u32 v105, v107, v106, v105
	v_mul_i32_i24_e32 v106, v190, v67
	v_mul_i32_i24_e32 v107, v191, v68
	;; [unrolled: 1-line block ×3, first 2 shown]
	v_mad_co_u64_u32 v[1:2], null, v2, v223, v[1:2]
	v_add3_u32 v103, v105, v103, v104
	v_mul_i32_i24_e32 v104, v187, v48
	v_mul_i32_i24_e32 v105, v189, v66
	;; [unrolled: 1-line block ×3, first 2 shown]
	s_delay_alu instid0(VALU_DEP_4) | instskip(SKIP_3) | instid1(VALU_DEP_4)
	v_add3_u32 v101, v103, v102, v101
	v_cvt_f32_i32_e32 v1, v1
	v_mul_i32_i24_e32 v102, v185, v14
	v_mul_i32_i24_e32 v103, v186, v47
	v_cvt_f32_i32_e32 v2, v101
	v_mul_i32_i24_e32 v101, v8, v200
	s_delay_alu instid0(VALU_DEP_2) | instskip(NEXT) | instid1(VALU_DEP_1)
	v_mul_f32_e32 v2, v224, v2
	v_fma_mix_f32 v1, v198, v1, -v2 op_sel_hi:[1,0,0]
	v_mul_i32_i24_e32 v2, v7, v199
	s_delay_alu instid0(VALU_DEP_2) | instskip(SKIP_1) | instid1(VALU_DEP_1)
	v_fmac_f32_e32 v19, v4, v1
	v_mul_i32_i24_e32 v1, v5, v196
	v_mad_i32_i24 v1, v6, v188, v1
	s_delay_alu instid0(VALU_DEP_1) | instskip(SKIP_2) | instid1(VALU_DEP_1)
	v_add3_u32 v1, v1, v2, v101
	v_mul_i32_i24_e32 v2, v183, v9
	v_mul_i32_i24_e32 v101, v184, v10
	v_add3_u32 v1, v1, v2, v101
	v_mul_i32_i24_e32 v2, v178, v77
	v_mul_i32_i24_e32 v101, v181, v79
	s_delay_alu instid0(VALU_DEP_3) | instskip(SKIP_1) | instid1(VALU_DEP_4)
	v_add3_u32 v1, v1, v102, v103
	v_mul_i32_i24_e32 v102, v182, v70
	v_mad_i32_i24 v2, v168, v78, v2
	v_mul_i32_i24_e32 v103, v167, v82
	s_delay_alu instid0(VALU_DEP_4) | instskip(SKIP_1) | instid1(VALU_DEP_4)
	v_add3_u32 v1, v1, v104, v105
	v_mul_i32_i24_e32 v104, v169, v71
	v_add3_u32 v2, v2, v101, v102
	v_mul_i32_i24_e32 v101, v165, v80
	v_mul_i32_i24_e32 v102, v166, v81
	v_add3_u32 v1, v1, v106, v107
	v_mul_i32_i24_e32 v105, v170, v83
	v_mul_i32_i24_e32 v106, v171, v84
	v_mul_i32_i24_e32 v107, v172, v85
	v_add3_u32 v2, v2, v101, v102
	v_add3_u32 v1, v1, v108, v109
	v_mul_i32_i24_e32 v108, v173, v72
	v_mul_i32_i24_e32 v109, v174, v86
	v_mul_i32_i24_e32 v101, v89, v164
	v_add3_u32 v2, v2, v103, v104
	;; [unrolled: 5-line block ×3, first 2 shown]
	v_mul_i32_i24_e32 v105, v97, v160
	v_mul_i32_i24_e32 v106, v98, v159
	;; [unrolled: 1-line block ×3, first 2 shown]
	v_mul_lo_u32 v1, v1, v197
	v_add3_u32 v2, v2, v107, v108
	v_mul_i32_i24_e32 v107, v100, v157
	v_mul_i32_i24_e32 v102, v90, v163
	s_delay_alu instid0(VALU_DEP_3) | instskip(NEXT) | instid1(VALU_DEP_3)
	v_add3_u32 v2, v2, v109, v110
	v_mad_i32_i24 v107, v99, v158, v107
	s_delay_alu instid0(VALU_DEP_2) | instskip(NEXT) | instid1(VALU_DEP_2)
	v_add3_u32 v2, v2, v111, v112
	v_add3_u32 v105, v107, v106, v105
	s_delay_alu instid0(VALU_DEP_2) | instskip(NEXT) | instid1(VALU_DEP_2)
	v_mad_co_u64_u32 v[1:2], null, v2, v179, v[1:2]
	v_add3_u32 v103, v105, v103, v104
	s_delay_alu instid0(VALU_DEP_1) | instskip(NEXT) | instid1(VALU_DEP_3)
	v_add3_u32 v101, v103, v102, v101
	v_cvt_f32_i32_e32 v1, v1
	s_delay_alu instid0(VALU_DEP_2) | instskip(NEXT) | instid1(VALU_DEP_1)
	v_cvt_f32_i32_e32 v2, v101
	v_mul_f32_e32 v2, v180, v2
	s_delay_alu instid0(VALU_DEP_1) | instskip(SKIP_3) | instid1(VALU_DEP_4)
	v_fma_mix_f32 v1, v154, v1, -v2 op_sel_hi:[1,0,0]
	v_mul_i32_i24_e32 v2, v7, v155
	v_mul_i32_i24_e32 v7, v142, v47
	;; [unrolled: 1-line block ×3, first 2 shown]
	v_fmac_f32_e32 v18, v4, v1
	v_mul_i32_i24_e32 v1, v5, v152
	v_mul_i32_i24_e32 v5, v8, v156
	;; [unrolled: 1-line block ×4, first 2 shown]
	s_delay_alu instid0(VALU_DEP_4) | instskip(SKIP_3) | instid1(VALU_DEP_4)
	v_mad_i32_i24 v1, v6, v144, v1
	v_mul_i32_i24_e32 v6, v141, v14
	v_mul_i32_i24_e32 v14, v147, v68
	v_mul_i32_i24_e32 v68, v135, v73
	v_add3_u32 v1, v1, v2, v5
	v_mul_i32_i24_e32 v2, v3, v9
	v_mul_i32_i24_e32 v5, v140, v10
	;; [unrolled: 1-line block ×6, first 2 shown]
	v_add3_u32 v1, v1, v2, v5
	v_mul_i32_i24_e32 v2, v137, v77
	v_mul_i32_i24_e32 v5, v138, v79
	s_delay_alu instid0(VALU_DEP_3) | instskip(SKIP_1) | instid1(VALU_DEP_4)
	v_add3_u32 v1, v1, v6, v7
	v_mul_i32_i24_e32 v6, v139, v70
	v_mad_i32_i24 v2, v136, v78, v2
	v_mul_i32_i24_e32 v7, v126, v82
	s_delay_alu instid0(VALU_DEP_4) | instskip(SKIP_1) | instid1(VALU_DEP_4)
	v_add3_u32 v1, v1, v8, v9
	v_mul_i32_i24_e32 v8, v127, v71
	v_add3_u32 v2, v2, v5, v6
	v_mul_i32_i24_e32 v5, v124, v80
	v_mul_i32_i24_e32 v6, v125, v81
	v_add3_u32 v1, v1, v10, v14
	v_mul_i32_i24_e32 v9, v128, v83
	v_mul_i32_i24_e32 v10, v129, v84
	v_mul_i32_i24_e32 v14, v130, v85
	v_add3_u32 v2, v2, v5, v6
	v_add3_u32 v1, v1, v47, v48
	v_mul_i32_i24_e32 v47, v131, v72
	v_mul_i32_i24_e32 v48, v132, v86
	v_mul_i32_i24_e32 v5, v89, v123
	v_add3_u32 v2, v2, v7, v8
	;; [unrolled: 5-line block ×3, first 2 shown]
	v_mul_i32_i24_e32 v9, v97, v119
	v_mul_i32_i24_e32 v10, v98, v118
	;; [unrolled: 1-line block ×3, first 2 shown]
	v_mul_lo_u32 v1, v1, v153
	v_add3_u32 v2, v2, v14, v47
	v_mul_i32_i24_e32 v14, v100, v116
	v_mul_i32_i24_e32 v6, v90, v122
	s_delay_alu instid0(VALU_DEP_3) | instskip(NEXT) | instid1(VALU_DEP_3)
	v_add3_u32 v2, v2, v48, v66
	v_mad_i32_i24 v14, v99, v117, v14
	s_delay_alu instid0(VALU_DEP_2) | instskip(NEXT) | instid1(VALU_DEP_2)
	v_add3_u32 v2, v2, v67, v68
	v_add3_u32 v9, v14, v10, v9
	s_delay_alu instid0(VALU_DEP_2) | instskip(NEXT) | instid1(VALU_DEP_2)
	v_mad_co_u64_u32 v[1:2], null, v2, v115, v[1:2]
	v_add3_u32 v7, v9, v7, v8
	s_delay_alu instid0(VALU_DEP_1) | instskip(NEXT) | instid1(VALU_DEP_3)
	v_add3_u32 v5, v7, v6, v5
	v_cvt_f32_i32_e32 v1, v1
	s_delay_alu instid0(VALU_DEP_2) | instskip(NEXT) | instid1(VALU_DEP_1)
	v_cvt_f32_i32_e32 v2, v5
	v_mul_f32_e32 v2, v114, v2
	s_delay_alu instid0(VALU_DEP_1) | instskip(NEXT) | instid1(VALU_DEP_1)
	v_fma_mix_f32 v1, v113, v1, -v2 op_sel_hi:[1,0,0]
	v_fmac_f32_e32 v17, v4, v1
	scratch_load_b32 v1, off, off offset:24 ; 4-byte Folded Reload
	s_wait_loadcnt 0x0
	v_or_b32_e32 v1, s18, v1
	s_delay_alu instid0(VALU_DEP_1)
	v_lshlrev_b32_e32 v2, 2, v1
	v_lshrrev_b32_e32 v1, 1, v1
	ds_load_b32 v4, v1 offset:30368
	ds_load_b128 v[66:69], v2 offset:16896
	ds_load_b128 v[70:73], v2 offset:16912
	s_wait_dscnt 0x1
	v_ashrrev_i32_e32 v8, 24, v66
	s_wait_dscnt 0x0
	v_bfe_i32 v77, v70, 0, 8
	v_bfe_i32 v78, v70, 8, 8
	v_bfe_i32 v79, v70, 16, 8
	v_ashrrev_i32_e32 v70, 24, v70
	v_bfe_i32 v80, v71, 0, 8
	v_bfe_i32 v81, v71, 8, 8
	v_bfe_i32 v82, v71, 16, 8
	v_ashrrev_i32_e32 v71, 24, v71
	;; [unrolled: 4-line block ×4, first 2 shown]
	v_add_nc_u32_e32 v1, v71, v70
	v_ashrrev_i32_e32 v47, 24, v67
	v_bfe_i32 v5, v66, 0, 8
	v_bfe_i32 v6, v66, 8, 8
	;; [unrolled: 1-line block ×3, first 2 shown]
	v_add3_u32 v89, v1, v72, v73
	v_add_nc_u32_e32 v1, v82, v79
	v_bfe_i32 v9, v67, 0, 8
	v_bfe_i32 v10, v67, 8, 8
	;; [unrolled: 1-line block ×4, first 2 shown]
	v_add3_u32 v90, v1, v85, v88
	v_add_nc_u32_e32 v1, v80, v77
	v_bfe_i32 v66, v68, 8, 8
	v_bfe_i32 v67, v68, 16, 8
	v_ashrrev_i32_e32 v68, 24, v68
	v_bfe_i32 v74, v69, 0, 8
	v_add3_u32 v91, v1, v83, v86
	v_add_nc_u32_e32 v1, v81, v78
	v_bfe_i32 v75, v69, 8, 8
	v_bfe_i32 v76, v69, 16, 8
	v_ashrrev_i32_e32 v69, 24, v69
	v_mul_i32_i24_e32 v2, v7, v254
	v_add3_u32 v96, v1, v84, v87
	v_add_nc_u32_e32 v1, v47, v8
	v_mul_i32_i24_e32 v101, v8, v255
	v_mul_i32_i24_e32 v102, v95, v14
	v_mul_i32_i24_e32 v103, v244, v47
	v_mul_i32_i24_e32 v104, v245, v48
	v_add3_u32 v97, v1, v68, v69
	v_add_nc_u32_e32 v1, v14, v7
	v_mul_i32_i24_e32 v105, v246, v66
	v_mul_i32_i24_e32 v106, v247, v67
	v_mul_i32_i24_e32 v107, v248, v68
	;; [unrolled: 6-line block ×3, first 2 shown]
	v_mul_i32_i24_e32 v112, v59, v73
	v_add3_u32 v99, v1, v66, v75
	v_add_nc_u32_e32 v1, v9, v5
	s_delay_alu instid0(VALU_DEP_1) | instskip(SKIP_1) | instid1(VALU_DEP_1)
	v_add3_u32 v100, v1, v48, v74
	v_mul_i32_i24_e32 v1, v5, v253
	v_mad_i32_i24 v1, v6, v92, v1
	s_delay_alu instid0(VALU_DEP_1) | instskip(SKIP_2) | instid1(VALU_DEP_1)
	v_add3_u32 v1, v1, v2, v101
	v_mul_i32_i24_e32 v2, v93, v9
	v_mul_i32_i24_e32 v101, v94, v10
	v_add3_u32 v1, v1, v2, v101
	v_mul_i32_i24_e32 v2, v60, v77
	v_mul_i32_i24_e32 v101, v61, v79
	s_delay_alu instid0(VALU_DEP_3) | instskip(SKIP_1) | instid1(VALU_DEP_4)
	v_add3_u32 v1, v1, v102, v103
	v_mul_i32_i24_e32 v102, v65, v70
	v_mad_i32_i24 v2, v30, v78, v2
	v_mul_i32_i24_e32 v103, v36, v82
	s_delay_alu instid0(VALU_DEP_4) | instskip(SKIP_1) | instid1(VALU_DEP_4)
	v_add3_u32 v1, v1, v104, v105
	v_mul_i32_i24_e32 v104, v37, v71
	v_add3_u32 v2, v2, v101, v102
	v_mul_i32_i24_e32 v101, v33, v80
	v_mul_i32_i24_e32 v102, v34, v81
	v_add3_u32 v1, v1, v106, v107
	v_mul_i32_i24_e32 v105, v38, v83
	v_mul_i32_i24_e32 v106, v39, v84
	v_mul_i32_i24_e32 v107, v41, v85
	v_add3_u32 v2, v2, v101, v102
	v_add3_u32 v1, v1, v108, v109
	v_mul_i32_i24_e32 v108, v43, v72
	v_mul_i32_i24_e32 v109, v55, v86
	v_mul_i32_i24_e32 v101, v89, v49
	v_add3_u32 v2, v2, v103, v104
	;; [unrolled: 5-line block ×3, first 2 shown]
	v_mul_i32_i24_e32 v105, v97, v45
	v_mul_i32_i24_e32 v106, v98, v46
	;; [unrolled: 1-line block ×3, first 2 shown]
	v_mul_lo_u32 v1, v1, v20
	v_add3_u32 v2, v2, v107, v108
	v_mul_i32_i24_e32 v107, v100, v13
	v_mul_i32_i24_e32 v102, v90, v53
	;; [unrolled: 1-line block ×3, first 2 shown]
	s_delay_alu instid0(VALU_DEP_4) | instskip(NEXT) | instid1(VALU_DEP_4)
	v_add3_u32 v2, v2, v109, v110
	v_mad_i32_i24 v107, v99, v50, v107
	v_mul_i32_i24_e32 v109, v237, v75
	v_mul_i32_i24_e32 v110, v238, v76
	s_delay_alu instid0(VALU_DEP_4) | instskip(NEXT) | instid1(VALU_DEP_4)
	v_add3_u32 v2, v2, v111, v112
	v_add3_u32 v105, v107, v106, v105
	v_mul_i32_i24_e32 v106, v234, v67
	v_mul_i32_i24_e32 v107, v235, v68
	;; [unrolled: 1-line block ×3, first 2 shown]
	v_mad_co_u64_u32 v[1:2], null, v2, v62, v[1:2]
	v_add3_u32 v103, v105, v103, v104
	v_mul_i32_i24_e32 v104, v231, v48
	v_mul_i32_i24_e32 v105, v233, v66
	;; [unrolled: 1-line block ×3, first 2 shown]
	s_delay_alu instid0(VALU_DEP_4) | instskip(SKIP_3) | instid1(VALU_DEP_4)
	v_add3_u32 v101, v103, v102, v101
	v_cvt_f32_i32_e32 v1, v1
	v_mul_i32_i24_e32 v102, v229, v14
	v_mul_i32_i24_e32 v103, v230, v47
	v_cvt_f32_i32_e32 v2, v101
	v_mul_i32_i24_e32 v101, v8, v243
	s_delay_alu instid0(VALU_DEP_2) | instskip(NEXT) | instid1(VALU_DEP_1)
	v_mul_f32_e32 v2, v64, v2
	v_fma_mix_f32 v1, v0, v1, -v2 op_sel_hi:[1,0,0]
	scratch_load_b32 v2, off, off           ; 4-byte Folded Reload
	s_wait_loadcnt 0x0
	v_fmac_f32_e32 v2, v4, v1
	v_mul_i32_i24_e32 v1, v5, v240
	scratch_store_b32 off, v2, off          ; 4-byte Folded Spill
	v_mul_i32_i24_e32 v2, v7, v242
	v_mad_i32_i24 v1, v6, v232, v1
	s_delay_alu instid0(VALU_DEP_1) | instskip(SKIP_2) | instid1(VALU_DEP_1)
	v_add3_u32 v1, v1, v2, v101
	v_mul_i32_i24_e32 v2, v227, v9
	v_mul_i32_i24_e32 v101, v228, v10
	v_add3_u32 v1, v1, v2, v101
	v_mul_i32_i24_e32 v2, v222, v77
	v_mul_i32_i24_e32 v101, v225, v79
	s_delay_alu instid0(VALU_DEP_3) | instskip(SKIP_1) | instid1(VALU_DEP_4)
	v_add3_u32 v1, v1, v102, v103
	v_mul_i32_i24_e32 v102, v226, v70
	v_mad_i32_i24 v2, v212, v78, v2
	v_mul_i32_i24_e32 v103, v211, v82
	s_delay_alu instid0(VALU_DEP_4) | instskip(SKIP_1) | instid1(VALU_DEP_4)
	v_add3_u32 v1, v1, v104, v105
	v_mul_i32_i24_e32 v104, v213, v71
	v_add3_u32 v2, v2, v101, v102
	v_mul_i32_i24_e32 v101, v209, v80
	v_mul_i32_i24_e32 v102, v210, v81
	v_add3_u32 v1, v1, v106, v107
	v_mul_i32_i24_e32 v105, v214, v83
	v_mul_i32_i24_e32 v106, v215, v84
	v_mul_i32_i24_e32 v107, v216, v85
	v_add3_u32 v2, v2, v101, v102
	v_add3_u32 v1, v1, v108, v109
	v_mul_i32_i24_e32 v108, v217, v72
	v_mul_i32_i24_e32 v109, v218, v86
	v_mul_i32_i24_e32 v101, v89, v208
	v_add3_u32 v2, v2, v103, v104
	v_add3_u32 v1, v1, v110, v111
	v_mul_i32_i24_e32 v110, v219, v87
	v_mul_i32_i24_e32 v103, v91, v205
	v_mul_i32_i24_e32 v104, v96, v206
	v_add3_u32 v2, v2, v105, v106
	v_mul_i32_i24_e32 v105, v97, v204
	v_mul_i32_i24_e32 v106, v98, v203
	v_mul_i32_i24_e32 v111, v220, v88
	v_mul_lo_u32 v1, v1, v241
	v_add3_u32 v2, v2, v107, v108
	v_mul_i32_i24_e32 v107, v100, v201
	v_mul_i32_i24_e32 v102, v90, v207
	v_mul_i32_i24_e32 v108, v192, v74
	s_delay_alu instid0(VALU_DEP_4) | instskip(NEXT) | instid1(VALU_DEP_4)
	v_add3_u32 v2, v2, v109, v110
	v_mad_i32_i24 v107, v99, v202, v107
	v_mul_i32_i24_e32 v109, v193, v75
	v_mul_i32_i24_e32 v110, v194, v76
	s_delay_alu instid0(VALU_DEP_4) | instskip(NEXT) | instid1(VALU_DEP_4)
	v_add3_u32 v2, v2, v111, v112
	v_add3_u32 v105, v107, v106, v105
	v_mul_i32_i24_e32 v106, v190, v67
	v_mul_i32_i24_e32 v107, v191, v68
	;; [unrolled: 1-line block ×3, first 2 shown]
	v_mad_co_u64_u32 v[1:2], null, v2, v223, v[1:2]
	v_add3_u32 v103, v105, v103, v104
	v_mul_i32_i24_e32 v104, v187, v48
	v_mul_i32_i24_e32 v105, v189, v66
	;; [unrolled: 1-line block ×3, first 2 shown]
	s_delay_alu instid0(VALU_DEP_4) | instskip(SKIP_3) | instid1(VALU_DEP_4)
	v_add3_u32 v101, v103, v102, v101
	v_cvt_f32_i32_e32 v1, v1
	v_mul_i32_i24_e32 v102, v185, v14
	v_mul_i32_i24_e32 v103, v186, v47
	v_cvt_f32_i32_e32 v2, v101
	v_mul_i32_i24_e32 v101, v8, v200
	s_delay_alu instid0(VALU_DEP_2) | instskip(NEXT) | instid1(VALU_DEP_1)
	v_mul_f32_e32 v2, v224, v2
	v_fma_mix_f32 v1, v198, v1, -v2 op_sel_hi:[1,0,0]
	scratch_load_b32 v2, off, off offset:4  ; 4-byte Folded Reload
	s_wait_loadcnt 0x0
	v_fmac_f32_e32 v2, v4, v1
	v_mul_i32_i24_e32 v1, v5, v196
	scratch_store_b32 off, v2, off offset:4 ; 4-byte Folded Spill
	v_mul_i32_i24_e32 v2, v7, v199
	v_mad_i32_i24 v1, v6, v188, v1
	s_delay_alu instid0(VALU_DEP_1) | instskip(SKIP_2) | instid1(VALU_DEP_1)
	v_add3_u32 v1, v1, v2, v101
	v_mul_i32_i24_e32 v2, v183, v9
	v_mul_i32_i24_e32 v101, v184, v10
	v_add3_u32 v1, v1, v2, v101
	v_mul_i32_i24_e32 v2, v178, v77
	v_mul_i32_i24_e32 v101, v181, v79
	s_delay_alu instid0(VALU_DEP_3) | instskip(SKIP_1) | instid1(VALU_DEP_4)
	v_add3_u32 v1, v1, v102, v103
	v_mul_i32_i24_e32 v102, v182, v70
	v_mad_i32_i24 v2, v168, v78, v2
	v_mul_i32_i24_e32 v103, v167, v82
	s_delay_alu instid0(VALU_DEP_4) | instskip(SKIP_1) | instid1(VALU_DEP_4)
	v_add3_u32 v1, v1, v104, v105
	v_mul_i32_i24_e32 v104, v169, v71
	v_add3_u32 v2, v2, v101, v102
	v_mul_i32_i24_e32 v101, v165, v80
	v_mul_i32_i24_e32 v102, v166, v81
	v_add3_u32 v1, v1, v106, v107
	v_mul_i32_i24_e32 v105, v170, v83
	v_mul_i32_i24_e32 v106, v171, v84
	v_mul_i32_i24_e32 v107, v172, v85
	v_add3_u32 v2, v2, v101, v102
	v_add3_u32 v1, v1, v108, v109
	v_mul_i32_i24_e32 v108, v173, v72
	v_mul_i32_i24_e32 v109, v174, v86
	v_mul_i32_i24_e32 v101, v89, v164
	v_add3_u32 v2, v2, v103, v104
	v_add3_u32 v1, v1, v110, v111
	v_mul_i32_i24_e32 v110, v175, v87
	v_mul_i32_i24_e32 v111, v176, v88
	v_mul_i32_i24_e32 v103, v91, v161
	v_add3_u32 v2, v2, v105, v106
	v_mul_i32_i24_e32 v105, v97, v160
	v_mul_i32_i24_e32 v106, v98, v159
	;; [unrolled: 1-line block ×3, first 2 shown]
	v_mul_lo_u32 v1, v1, v197
	v_add3_u32 v2, v2, v107, v108
	v_mul_i32_i24_e32 v107, v100, v157
	v_mul_i32_i24_e32 v102, v90, v163
	s_delay_alu instid0(VALU_DEP_3) | instskip(NEXT) | instid1(VALU_DEP_3)
	v_add3_u32 v2, v2, v109, v110
	v_mad_i32_i24 v107, v99, v158, v107
	v_dual_mov_b32 v110, v11 :: v_dual_mov_b32 v11, v12
	s_delay_alu instid0(VALU_DEP_3) | instskip(SKIP_3) | instid1(VALU_DEP_2)
	v_add3_u32 v2, v2, v111, v112
	scratch_load_b32 v111, off, off offset:52 ; 4-byte Folded Reload
	v_add3_u32 v105, v107, v106, v105
	v_mad_co_u64_u32 v[1:2], null, v2, v179, v[1:2]
	v_add3_u32 v103, v105, v103, v104
	s_delay_alu instid0(VALU_DEP_1) | instskip(NEXT) | instid1(VALU_DEP_3)
	v_add3_u32 v101, v103, v102, v101
	v_cvt_f32_i32_e32 v1, v1
	s_delay_alu instid0(VALU_DEP_2) | instskip(NEXT) | instid1(VALU_DEP_1)
	v_cvt_f32_i32_e32 v2, v101
	v_mul_f32_e32 v2, v180, v2
	s_delay_alu instid0(VALU_DEP_1) | instskip(SKIP_3) | instid1(VALU_DEP_4)
	v_fma_mix_f32 v1, v154, v1, -v2 op_sel_hi:[1,0,0]
	v_mul_i32_i24_e32 v2, v7, v155
	v_mul_i32_i24_e32 v7, v142, v47
	;; [unrolled: 1-line block ×3, first 2 shown]
	v_fmac_f32_e32 v11, v4, v1
	v_mul_i32_i24_e32 v1, v5, v152
	v_mul_i32_i24_e32 v5, v8, v156
	;; [unrolled: 1-line block ×4, first 2 shown]
	s_delay_alu instid0(VALU_DEP_4) | instskip(SKIP_3) | instid1(VALU_DEP_4)
	v_mad_i32_i24 v1, v6, v144, v1
	v_mul_i32_i24_e32 v6, v141, v14
	v_mul_i32_i24_e32 v14, v147, v68
	;; [unrolled: 1-line block ×3, first 2 shown]
	v_add3_u32 v1, v1, v2, v5
	v_mul_i32_i24_e32 v2, v3, v9
	v_mul_i32_i24_e32 v5, v140, v10
	;; [unrolled: 1-line block ×6, first 2 shown]
	v_add3_u32 v1, v1, v2, v5
	v_mul_i32_i24_e32 v2, v137, v77
	v_mul_i32_i24_e32 v5, v138, v79
	s_delay_alu instid0(VALU_DEP_3) | instskip(SKIP_1) | instid1(VALU_DEP_4)
	v_add3_u32 v1, v1, v6, v7
	v_mul_i32_i24_e32 v6, v139, v70
	v_mad_i32_i24 v2, v136, v78, v2
	v_mul_i32_i24_e32 v7, v126, v82
	s_delay_alu instid0(VALU_DEP_4) | instskip(SKIP_1) | instid1(VALU_DEP_4)
	v_add3_u32 v1, v1, v8, v9
	v_mul_i32_i24_e32 v8, v127, v71
	v_add3_u32 v2, v2, v5, v6
	v_mul_i32_i24_e32 v5, v124, v80
	v_mul_i32_i24_e32 v6, v125, v81
	v_add3_u32 v1, v1, v10, v14
	v_mul_i32_i24_e32 v9, v128, v83
	v_mul_i32_i24_e32 v10, v129, v84
	v_mul_i32_i24_e32 v14, v130, v85
	v_add3_u32 v2, v2, v5, v6
	v_add3_u32 v1, v1, v47, v48
	v_mul_i32_i24_e32 v47, v131, v72
	v_mul_i32_i24_e32 v48, v132, v86
	v_mul_i32_i24_e32 v5, v89, v123
	v_add3_u32 v2, v2, v7, v8
	;; [unrolled: 5-line block ×3, first 2 shown]
	v_mul_i32_i24_e32 v9, v97, v119
	v_mul_i32_i24_e32 v10, v98, v118
	;; [unrolled: 1-line block ×3, first 2 shown]
	v_mul_lo_u32 v1, v1, v153
	v_add3_u32 v2, v2, v14, v47
	v_mul_i32_i24_e32 v14, v100, v116
	v_mul_i32_i24_e32 v6, v90, v122
	s_delay_alu instid0(VALU_DEP_3) | instskip(NEXT) | instid1(VALU_DEP_3)
	v_add3_u32 v2, v2, v48, v66
	v_mad_i32_i24 v14, v99, v117, v14
	s_delay_alu instid0(VALU_DEP_2) | instskip(NEXT) | instid1(VALU_DEP_2)
	v_add3_u32 v2, v2, v67, v68
	v_add3_u32 v9, v14, v10, v9
	s_delay_alu instid0(VALU_DEP_2) | instskip(NEXT) | instid1(VALU_DEP_2)
	v_mad_co_u64_u32 v[1:2], null, v2, v115, v[1:2]
	v_add3_u32 v7, v9, v7, v8
	s_delay_alu instid0(VALU_DEP_1) | instskip(NEXT) | instid1(VALU_DEP_3)
	v_add3_u32 v5, v7, v6, v5
	v_cvt_f32_i32_e32 v1, v1
	s_delay_alu instid0(VALU_DEP_2) | instskip(NEXT) | instid1(VALU_DEP_1)
	v_cvt_f32_i32_e32 v2, v5
	v_mul_f32_e32 v2, v114, v2
	s_delay_alu instid0(VALU_DEP_1) | instskip(NEXT) | instid1(VALU_DEP_1)
	v_fma_mix_f32 v1, v113, v1, -v2 op_sel_hi:[1,0,0]
	v_fmac_f32_e32 v110, v4, v1
	s_wait_loadcnt 0x0
	v_or_b32_e32 v1, s18, v111
	s_delay_alu instid0(VALU_DEP_1)
	v_lshlrev_b32_e32 v2, 2, v1
	v_lshrrev_b32_e32 v1, 1, v1
	ds_load_b32 v47, v1 offset:30368
	ds_load_b128 v[66:69], v2 offset:16896
	ds_load_b128 v[106:109], v2 offset:16912
	s_wait_dscnt 0x1
	v_bfe_i32 v76, v67, 0, 8
	s_wait_dscnt 0x0
	v_ashrrev_i32_e32 v83, 24, v106
	v_ashrrev_i32_e32 v96, 24, v107
	v_bfe_i32 v75, v106, 16, 8
	v_bfe_i32 v74, v107, 16, 8
	v_ashrrev_i32_e32 v100, 24, v108
	v_ashrrev_i32_e32 v112, 24, v109
	v_add_nc_u32_e32 v4, v96, v83
	v_bfe_i32 v77, v67, 8, 8
	v_bfe_i32 v78, v67, 16, 8
	v_ashrrev_i32_e32 v79, 24, v67
	v_bfe_i32 v2, v106, 0, 8
	v_bfe_i32 v14, v107, 0, 8
	;; [unrolled: 1-line block ×4, first 2 shown]
	v_add3_u32 v67, v4, v100, v112
	v_add_nc_u32_e32 v4, v74, v75
	v_bfe_i32 v80, v68, 0, 8
	v_bfe_i32 v81, v68, 8, 8
	;; [unrolled: 1-line block ×3, first 2 shown]
	v_ashrrev_i32_e32 v84, 24, v68
	v_bfe_i32 v1, v106, 8, 8
	v_bfe_i32 v73, v107, 8, 8
	v_bfe_i32 v97, v108, 0, 8
	v_bfe_i32 v101, v109, 0, 8
	v_add3_u32 v68, v4, v99, v103
	v_add_nc_u32_e32 v4, v14, v2
	v_ashrrev_i32_e32 v105, 24, v66
	v_bfe_i32 v85, v69, 0, 8
	v_bfe_i32 v86, v69, 8, 8
	;; [unrolled: 1-line block ×3, first 2 shown]
	v_ashrrev_i32_e32 v88, 24, v69
	v_bfe_i32 v98, v108, 8, 8
	v_bfe_i32 v102, v109, 8, 8
	v_add3_u32 v69, v4, v97, v101
	v_add_nc_u32_e32 v4, v73, v1
	v_bfe_i32 v91, v66, 16, 8
	v_bfe_i32 v89, v66, 8, 8
	v_bfe_i32 v90, v66, 0, 8
	v_mul_i32_i24_e32 v6, v105, v255
	v_add3_u32 v70, v4, v98, v102
	v_add_nc_u32_e32 v4, v79, v105
	v_mul_i32_i24_e32 v5, v91, v254
	v_mul_i32_i24_e32 v7, v95, v78
	;; [unrolled: 1-line block ×4, first 2 shown]
	v_add3_u32 v71, v4, v84, v88
	v_add_nc_u32_e32 v4, v78, v91
	v_mul_i32_i24_e32 v10, v246, v81
	v_mul_i32_i24_e32 v95, v250, v86
	v_mul_i32_i24_e32 v104, v251, v87
	v_mul_i32_i24_e32 v106, v252, v88
	v_add3_u32 v72, v4, v82, v87
	v_add_nc_u32_e32 v4, v77, v89
	v_mul_i32_i24_e32 v3, v3, v76
	s_delay_alu instid0(VALU_DEP_2) | instskip(SKIP_1) | instid1(VALU_DEP_1)
	v_add3_u32 v48, v4, v81, v86
	v_add_nc_u32_e32 v4, v76, v90
	v_add3_u32 v66, v4, v80, v85
	v_mul_i32_i24_e32 v4, v90, v253
	s_delay_alu instid0(VALU_DEP_2) | instskip(NEXT) | instid1(VALU_DEP_2)
	v_mul_i32_i24_e32 v13, v66, v13
	v_mad_i32_i24 v4, v89, v92, v4
	v_mul_i32_i24_e32 v92, v247, v82
	s_delay_alu instid0(VALU_DEP_3) | instskip(NEXT) | instid1(VALU_DEP_3)
	v_mad_i32_i24 v13, v48, v50, v13
	v_add3_u32 v4, v4, v5, v6
	v_mul_i32_i24_e32 v5, v93, v76
	v_mul_i32_i24_e32 v6, v94, v77
	;; [unrolled: 1-line block ×4, first 2 shown]
	s_delay_alu instid0(VALU_DEP_3) | instskip(SKIP_2) | instid1(VALU_DEP_3)
	v_add3_u32 v4, v4, v5, v6
	v_mul_i32_i24_e32 v5, v61, v75
	v_mul_i32_i24_e32 v6, v65, v83
	v_add3_u32 v4, v4, v7, v8
	v_mul_i32_i24_e32 v7, v36, v74
	v_mul_i32_i24_e32 v8, v37, v96
	;; [unrolled: 1-line block ×4, first 2 shown]
	v_add3_u32 v4, v4, v9, v10
	v_mul_i32_i24_e32 v9, v38, v97
	v_mul_i32_i24_e32 v10, v39, v98
	;; [unrolled: 1-line block ×3, first 2 shown]
	s_delay_alu instid0(VALU_DEP_4)
	v_add3_u32 v4, v4, v92, v93
	s_clause 0x1
	scratch_load_b32 v93, off, off offset:16 th:TH_LOAD_LU
	scratch_load_b32 v92, off, off offset:12 th:TH_LOAD_LU
	v_add3_u32 v4, v4, v94, v95
	scratch_load_b32 v94, off, off offset:20 th:TH_LOAD_LU ; 4-byte Folded Reload
	v_add3_u32 v4, v4, v104, v106
	s_delay_alu instid0(VALU_DEP_1) | instskip(SKIP_1) | instid1(VALU_DEP_1)
	v_mul_lo_u32 v20, v4, v20
	v_mul_i32_i24_e32 v4, v60, v2
	v_mad_i32_i24 v4, v30, v1, v4
	v_mul_i32_i24_e32 v30, v41, v99
	s_delay_alu instid0(VALU_DEP_2) | instskip(SKIP_4) | instid1(VALU_DEP_3)
	v_add3_u32 v4, v4, v5, v6
	v_mul_i32_i24_e32 v5, v33, v14
	v_mul_i32_i24_e32 v6, v34, v73
	;; [unrolled: 1-line block ×4, first 2 shown]
	v_add3_u32 v4, v4, v5, v6
	v_mul_i32_i24_e32 v5, v67, v49
	v_mul_i32_i24_e32 v6, v68, v53
	s_delay_alu instid0(VALU_DEP_3) | instskip(SKIP_2) | instid1(VALU_DEP_3)
	v_add3_u32 v4, v4, v7, v8
	v_mul_i32_i24_e32 v7, v69, v54
	v_mul_i32_i24_e32 v8, v70, v52
	v_add3_u32 v4, v4, v9, v10
	v_mul_i32_i24_e32 v9, v71, v45
	v_mul_i32_i24_e32 v10, v72, v46
	s_delay_alu instid0(VALU_DEP_3) | instskip(SKIP_1) | instid1(VALU_DEP_3)
	v_add3_u32 v4, v4, v30, v33
	v_mul_i32_i24_e32 v30, v237, v86
	v_add3_u32 v9, v13, v10, v9
	v_mul_i32_i24_e32 v10, v234, v82
	v_mul_i32_i24_e32 v13, v235, v84
	v_add3_u32 v4, v4, v34, v36
	v_mul_i32_i24_e32 v36, v221, v112
	v_add3_u32 v7, v9, v7, v8
	v_mul_i32_i24_e32 v8, v231, v80
	v_mul_i32_i24_e32 v9, v233, v81
	v_add3_u32 v4, v4, v37, v38
	s_delay_alu instid0(VALU_DEP_4) | instskip(SKIP_2) | instid1(VALU_DEP_4)
	v_add3_u32 v5, v7, v6, v5
	v_mul_i32_i24_e32 v6, v229, v78
	v_mul_i32_i24_e32 v7, v230, v79
	v_mad_co_u64_u32 v[33:34], null, v4, v62, v[20:21]
	s_delay_alu instid0(VALU_DEP_4) | instskip(SKIP_2) | instid1(VALU_DEP_3)
	v_cvt_f32_i32_e32 v5, v5
	v_mul_i32_i24_e32 v20, v236, v85
	v_mul_i32_i24_e32 v34, v239, v88
	v_mul_f32_e32 v5, v64, v5
	v_cvt_f32_i32_e32 v4, v33
	v_mul_i32_i24_e32 v33, v238, v87
	s_delay_alu instid0(VALU_DEP_2) | instskip(SKIP_3) | instid1(VALU_DEP_3)
	v_fma_mix_f32 v0, v0, v4, -v5 op_sel_hi:[1,0,0]
	v_mul_i32_i24_e32 v4, v91, v242
	v_mul_i32_i24_e32 v5, v105, v243
	s_wait_loadcnt 0x0
	v_fmac_f32_e32 v94, v47, v0
	v_mul_i32_i24_e32 v0, v90, v240
	s_delay_alu instid0(VALU_DEP_1) | instskip(NEXT) | instid1(VALU_DEP_1)
	v_mad_i32_i24 v0, v89, v232, v0
	v_add3_u32 v0, v0, v4, v5
	v_mul_i32_i24_e32 v4, v227, v76
	v_mul_i32_i24_e32 v5, v228, v77
	s_delay_alu instid0(VALU_DEP_1) | instskip(SKIP_2) | instid1(VALU_DEP_3)
	v_add3_u32 v0, v0, v4, v5
	v_mul_i32_i24_e32 v4, v222, v2
	v_mul_i32_i24_e32 v5, v225, v75
	v_add3_u32 v0, v0, v6, v7
	v_mul_i32_i24_e32 v6, v226, v83
	s_delay_alu instid0(VALU_DEP_4) | instskip(SKIP_1) | instid1(VALU_DEP_4)
	v_mad_i32_i24 v4, v212, v1, v4
	v_mul_i32_i24_e32 v7, v211, v74
	v_add3_u32 v0, v0, v8, v9
	v_mul_i32_i24_e32 v8, v213, v96
	s_delay_alu instid0(VALU_DEP_4)
	v_add3_u32 v4, v4, v5, v6
	v_mul_i32_i24_e32 v5, v209, v14
	v_mul_i32_i24_e32 v6, v210, v73
	v_add3_u32 v0, v0, v10, v13
	v_mul_i32_i24_e32 v9, v214, v97
	v_mul_i32_i24_e32 v10, v215, v98
	v_mul_i32_i24_e32 v13, v216, v99
	v_add3_u32 v4, v4, v5, v6
	v_add3_u32 v0, v0, v20, v30
	v_mul_i32_i24_e32 v20, v217, v100
	v_mul_i32_i24_e32 v30, v218, v101
	v_mul_i32_i24_e32 v5, v67, v208
	v_add3_u32 v4, v4, v7, v8
	;; [unrolled: 5-line block ×3, first 2 shown]
	v_mul_i32_i24_e32 v9, v71, v204
	v_mul_i32_i24_e32 v10, v72, v203
	;; [unrolled: 1-line block ×3, first 2 shown]
	v_mul_lo_u32 v0, v0, v241
	v_add3_u32 v4, v4, v13, v20
	v_mul_i32_i24_e32 v13, v66, v201
	v_mul_i32_i24_e32 v6, v68, v207
	;; [unrolled: 1-line block ×3, first 2 shown]
	s_delay_alu instid0(VALU_DEP_4) | instskip(NEXT) | instid1(VALU_DEP_4)
	v_add3_u32 v4, v4, v30, v33
	v_mad_i32_i24 v13, v48, v202, v13
	v_mul_i32_i24_e32 v30, v193, v86
	s_delay_alu instid0(VALU_DEP_3) | instskip(NEXT) | instid1(VALU_DEP_3)
	v_add3_u32 v4, v4, v34, v36
	v_add3_u32 v9, v13, v10, v9
	v_mul_i32_i24_e32 v10, v190, v82
	v_mul_i32_i24_e32 v13, v191, v84
	;; [unrolled: 1-line block ×3, first 2 shown]
	v_mad_co_u64_u32 v[33:34], null, v4, v223, v[0:1]
	v_add3_u32 v7, v9, v7, v8
	v_mul_i32_i24_e32 v8, v187, v80
	v_mul_i32_i24_e32 v9, v189, v81
	;; [unrolled: 1-line block ×3, first 2 shown]
	s_delay_alu instid0(VALU_DEP_4)
	v_add3_u32 v5, v7, v6, v5
	v_cvt_f32_i32_e32 v0, v33
	v_mul_i32_i24_e32 v6, v185, v78
	v_mul_i32_i24_e32 v7, v186, v79
	;; [unrolled: 1-line block ×3, first 2 shown]
	v_cvt_f32_i32_e32 v4, v5
	v_mul_i32_i24_e32 v5, v105, v200
	s_delay_alu instid0(VALU_DEP_2) | instskip(NEXT) | instid1(VALU_DEP_1)
	v_mul_f32_e32 v4, v224, v4
	v_fma_mix_f32 v0, v198, v0, -v4 op_sel_hi:[1,0,0]
	v_mul_i32_i24_e32 v4, v91, v199
	s_delay_alu instid0(VALU_DEP_2) | instskip(SKIP_1) | instid1(VALU_DEP_1)
	v_fmac_f32_e32 v93, v47, v0
	v_mul_i32_i24_e32 v0, v90, v196
	v_mad_i32_i24 v0, v89, v188, v0
	s_delay_alu instid0(VALU_DEP_1)
	v_add3_u32 v0, v0, v4, v5
	v_mul_i32_i24_e32 v4, v183, v76
	v_mul_i32_i24_e32 v5, v184, v77
	scratch_load_b32 v76, off, off offset:56 ; 4-byte Folded Reload
	v_add3_u32 v0, v0, v4, v5
	v_mul_i32_i24_e32 v4, v178, v2
	v_mul_i32_i24_e32 v5, v181, v75
	s_delay_alu instid0(VALU_DEP_3) | instskip(SKIP_1) | instid1(VALU_DEP_4)
	v_add3_u32 v0, v0, v6, v7
	v_mul_i32_i24_e32 v6, v182, v83
	v_mad_i32_i24 v4, v168, v1, v4
	v_mul_i32_i24_e32 v7, v167, v74
	s_delay_alu instid0(VALU_DEP_4) | instskip(SKIP_1) | instid1(VALU_DEP_4)
	v_add3_u32 v0, v0, v8, v9
	v_mul_i32_i24_e32 v8, v169, v96
	v_add3_u32 v4, v4, v5, v6
	v_mul_i32_i24_e32 v5, v165, v14
	v_mul_i32_i24_e32 v6, v166, v73
	v_add3_u32 v0, v0, v10, v13
	v_mul_i32_i24_e32 v9, v170, v97
	v_mul_i32_i24_e32 v10, v171, v98
	v_mul_i32_i24_e32 v13, v172, v99
	v_add3_u32 v4, v4, v5, v6
	v_add3_u32 v0, v0, v20, v30
	v_mul_i32_i24_e32 v20, v173, v100
	v_mul_i32_i24_e32 v30, v174, v101
	v_mul_i32_i24_e32 v5, v67, v164
	v_add3_u32 v4, v4, v7, v8
	;; [unrolled: 5-line block ×3, first 2 shown]
	v_mul_i32_i24_e32 v9, v71, v160
	v_mul_i32_i24_e32 v10, v72, v159
	;; [unrolled: 1-line block ×3, first 2 shown]
	v_mul_lo_u32 v0, v0, v197
	v_add3_u32 v4, v4, v13, v20
	v_mul_i32_i24_e32 v13, v66, v157
	v_mul_i32_i24_e32 v6, v68, v163
	;; [unrolled: 1-line block ×3, first 2 shown]
	s_delay_alu instid0(VALU_DEP_4) | instskip(NEXT) | instid1(VALU_DEP_4)
	v_add3_u32 v4, v4, v30, v33
	v_mad_i32_i24 v13, v48, v158, v13
	v_mul_i32_i24_e32 v30, v150, v87
	s_delay_alu instid0(VALU_DEP_3) | instskip(NEXT) | instid1(VALU_DEP_3)
	v_add3_u32 v4, v4, v34, v36
	v_add3_u32 v9, v13, v10, v9
	v_mul_i32_i24_e32 v10, v147, v84
	v_mul_i32_i24_e32 v13, v148, v85
	s_delay_alu instid0(VALU_DEP_4) | instskip(NEXT) | instid1(VALU_DEP_4)
	v_mad_co_u64_u32 v[33:34], null, v4, v179, v[0:1]
	v_add3_u32 v7, v9, v7, v8
	v_mul_i32_i24_e32 v8, v145, v81
	v_mul_i32_i24_e32 v9, v146, v82
	s_delay_alu instid0(VALU_DEP_3)
	v_add3_u32 v5, v7, v6, v5
	v_cvt_f32_i32_e32 v0, v33
	v_mul_i32_i24_e32 v6, v142, v79
	v_mul_i32_i24_e32 v7, v143, v80
	;; [unrolled: 1-line block ×3, first 2 shown]
	v_cvt_f32_i32_e32 v4, v5
	v_mul_i32_i24_e32 v5, v105, v156
	s_clause 0x1
	scratch_load_b32 v79, off, off offset:92
	scratch_load_b32 v80, off, off offset:96
	v_mul_f32_e32 v4, v180, v4
	s_delay_alu instid0(VALU_DEP_1) | instskip(SKIP_1) | instid1(VALU_DEP_2)
	v_fma_mix_f32 v0, v154, v0, -v4 op_sel_hi:[1,0,0]
	v_mul_i32_i24_e32 v4, v91, v155
	v_fmac_f32_e32 v92, v47, v0
	v_mul_i32_i24_e32 v0, v90, v152
	s_delay_alu instid0(VALU_DEP_1) | instskip(NEXT) | instid1(VALU_DEP_1)
	v_mad_i32_i24 v0, v89, v144, v0
	v_add3_u32 v0, v0, v4, v5
	v_mul_i32_i24_e32 v4, v140, v77
	v_mul_i32_i24_e32 v5, v141, v78
	s_clause 0x1
	scratch_load_b32 v77, off, off offset:60
	scratch_load_b32 v78, off, off offset:64
	v_add3_u32 v0, v0, v3, v4
	v_mul_i32_i24_e32 v4, v139, v83
	s_delay_alu instid0(VALU_DEP_2) | instskip(SKIP_2) | instid1(VALU_DEP_3)
	v_add3_u32 v0, v0, v5, v6
	v_mul_i32_i24_e32 v5, v127, v96
	v_mul_i32_i24_e32 v6, v128, v97
	v_add3_u32 v0, v0, v7, v8
	v_mul_i32_i24_e32 v7, v129, v98
	v_mul_i32_i24_e32 v8, v130, v99
	scratch_load_b32 v130, off, off offset:76 ; 4-byte Folded Reload
	v_add3_u32 v0, v0, v9, v10
	v_mul_i32_i24_e32 v9, v131, v100
	v_mul_i32_i24_e32 v10, v132, v101
	s_clause 0x1
	scratch_load_b32 v131, off, off offset:80
	scratch_load_b32 v132, off, off offset:84
	v_add3_u32 v0, v0, v13, v20
	v_mul_i32_i24_e32 v13, v133, v102
	v_mul_i32_i24_e32 v20, v135, v112
	s_clause 0x1
	scratch_load_b32 v133, off, off offset:88
	scratch_load_b32 v135, off, off offset:112
	v_add3_u32 v0, v0, v30, v33
	v_mul_i32_i24_e32 v30, v70, v121
	s_delay_alu instid0(VALU_DEP_2)
	v_mul_lo_u32 v3, v0, v153
	v_mul_i32_i24_e32 v0, v137, v2
	v_mul_i32_i24_e32 v2, v138, v75
	scratch_load_b32 v137, off, off offset:120 ; 4-byte Folded Reload
	v_mad_i32_i24 v0, v136, v1, v0
	v_mul_i32_i24_e32 v1, v124, v14
	v_mul_i32_i24_e32 v14, v134, v103
	s_clause 0x2
	scratch_load_b32 v136, off, off offset:116
	scratch_load_b32 v124, off, off offset:100
	;; [unrolled: 1-line block ×3, first 2 shown]
	v_add3_u32 v0, v0, v2, v4
	v_mul_i32_i24_e32 v2, v125, v73
	v_mul_i32_i24_e32 v4, v126, v74
	scratch_load_b32 v125, off, off offset:104 ; 4-byte Folded Reload
	v_add3_u32 v0, v0, v1, v2
	v_mul_i32_i24_e32 v1, v71, v119
	v_mul_i32_i24_e32 v2, v72, v118
	s_delay_alu instid0(VALU_DEP_3) | instskip(SKIP_1) | instid1(VALU_DEP_2)
	v_add3_u32 v0, v0, v4, v5
	v_mul_i32_i24_e32 v4, v66, v116
	v_add3_u32 v0, v0, v6, v7
	s_delay_alu instid0(VALU_DEP_2) | instskip(NEXT) | instid1(VALU_DEP_2)
	v_mad_i32_i24 v4, v48, v117, v4
	v_add3_u32 v0, v0, v8, v9
	s_delay_alu instid0(VALU_DEP_2) | instskip(NEXT) | instid1(VALU_DEP_2)
	v_add3_u32 v1, v4, v2, v1
	v_add3_u32 v0, v0, v10, v13
	scratch_load_b32 v10, off, off offset:124 ; 4-byte Folded Reload
	v_mul_i32_i24_e32 v13, v67, v123
	scratch_load_b32 v123, off, off offset:72 ; 4-byte Folded Reload
	v_add3_u32 v0, v0, v14, v20
	v_mul_i32_i24_e32 v20, v68, v122
	s_clause 0x1
	scratch_load_b32 v122, off, off offset:68
	scratch_load_b32 v68, off, off offset:8 th:TH_LOAD_LU
	v_mul_i32_i24_e32 v14, v69, v120
	scratch_load_b32 v69, off, off offset:48 ; 4-byte Folded Reload
	v_mad_co_u64_u32 v[2:3], null, v0, v115, v[3:4]
	v_add3_u32 v1, v1, v14, v30
	s_delay_alu instid0(VALU_DEP_1) | instskip(NEXT) | instid1(VALU_DEP_3)
	v_add3_u32 v1, v1, v20, v13
	v_cvt_f32_i32_e32 v0, v2
	s_delay_alu instid0(VALU_DEP_2) | instskip(NEXT) | instid1(VALU_DEP_1)
	v_cvt_f32_i32_e32 v1, v1
	v_mul_f32_e32 v1, v114, v1
	s_delay_alu instid0(VALU_DEP_1) | instskip(SKIP_1) | instid1(VALU_DEP_1)
	v_fma_mix_f32 v0, v113, v0, -v1 op_sel_hi:[1,0,0]
	s_wait_loadcnt 0x1
	v_fmac_f32_e32 v68, v47, v0
	s_cbranch_scc1 .LBB127_10
; %bb.11:                               ;   in Loop: Header=BB127_8 Depth=2
	scratch_load_b32 v0, off, off offset:132 ; 4-byte Folded Reload
	s_wait_loadcnt 0x0
	s_wait_storecnt 0x0
	s_barrier_signal -1
	s_barrier_wait -1
	global_inv scope:SCOPE_SE
	v_mov_b32_e32 v12, v17
	s_add_co_i32 s12, s12, 2
	s_clause 0x1
	scratch_load_b32 v1, off, off offset:144
	scratch_load_b32 v9, off, off offset:164
	v_dual_mov_b32 v17, v18 :: v_dual_mov_b32 v18, v19
	scratch_load_b64 v[49:50], off, off offset:172 ; 8-byte Folded Reload
	v_mov_b32_e32 v19, v21
	v_dual_mov_b32 v21, v22 :: v_dual_mov_b32 v22, v23
	v_dual_mov_b32 v23, v24 :: v_dual_mov_b32 v24, v25
	;; [unrolled: 1-line block ×4, first 2 shown]
	v_mov_b32_e32 v29, v31
	v_dual_mov_b32 v31, v32 :: v_dual_mov_b32 v32, v35
	v_dual_mov_b32 v35, v40 :: v_dual_mov_b32 v40, v42
	v_mov_b32_e32 v42, v44
	v_dual_mov_b32 v44, v51 :: v_dual_mov_b32 v51, v57
	v_mov_b32_e32 v57, v63
	;; [unrolled: 2-line block ×3, first 2 shown]
	v_lshl_add_u32 v0, s16, 5, v0
	s_delay_alu instid0(VALU_DEP_1) | instskip(NEXT) | instid1(VALU_DEP_1)
	v_lshrrev_b32_e32 v0, 3, v0
	v_add_nc_u32_e32 v4, s5, v0
	scratch_load_b32 v0, off, off offset:128 ; 4-byte Folded Reload
	s_wait_loadcnt 0x3
	v_add_nc_u32_e32 v2, v4, v1
	scratch_load_b32 v1, off, off offset:148 ; 4-byte Folded Reload
	s_wait_loadcnt 0x2
	v_mad_co_i64_i32 v[2:3], null, v2, 36, v[49:50]
	s_wait_loadcnt 0x1
	v_lshl_add_u32 v5, s16, 2, v0
	scratch_load_b32 v0, off, off offset:140 ; 4-byte Folded Reload
	s_wait_alu 0xfffe
	s_lshl_b32 s16, s12, 3
	s_wait_loadcnt 0x1
	v_add_nc_u32_e32 v6, v4, v1
	scratch_load_b32 v1, off, off offset:152 ; 4-byte Folded Reload
	v_mad_co_u64_u32 v[36:37], null, v5, 36, s[2:3]
	v_mad_co_i64_i32 v[13:14], null, v6, 36, v[49:50]
	scratch_load_b32 v6, off, off offset:160 ; 4-byte Folded Reload
	s_wait_loadcnt 0x2
	v_add_nc_u32_e32 v0, v4, v0
	s_wait_loadcnt 0x1
	v_add_nc_u32_e32 v7, v4, v1
	scratch_load_b32 v1, off, off offset:156 ; 4-byte Folded Reload
	v_mad_co_i64_i32 v[33:34], null, v7, 36, v[49:50]
	scratch_load_b32 v7, off, off offset:168 ; 4-byte Folded Reload
	s_wait_loadcnt 0x2
	v_add_nc_u32_e32 v6, v4, v6
	s_delay_alu instid0(VALU_DEP_1) | instskip(SKIP_3) | instid1(VALU_DEP_2)
	v_mad_co_i64_i32 v[47:48], null, v6, 36, v[49:50]
	s_wait_loadcnt 0x1
	v_add_nc_u32_e32 v8, v4, v1
	v_mad_co_i64_i32 v[0:1], null, v0, 36, v[49:50]
	v_mad_co_i64_i32 v[45:46], null, v8, 36, v[49:50]
	s_wait_loadcnt 0x0
	v_add_nc_u32_e32 v7, v4, v7
	v_add_nc_u32_e32 v4, v4, v9
	s_delay_alu instid0(VALU_DEP_2) | instskip(NEXT) | instid1(VALU_DEP_2)
	v_mad_co_i64_i32 v[38:39], null, v7, 36, v[49:50]
	v_mad_co_i64_i32 v[49:50], null, v4, 36, v[49:50]
	s_clause 0x8
	global_load_b32 v4, v[36:37], off
	global_load_b32 v5, v[38:39], off offset:4
	global_load_b32 v0, v[0:1], off offset:4
	;; [unrolled: 1-line block ×8, first 2 shown]
	scratch_load_b32 v9, off, off offset:208 ; 4-byte Folded Reload
	s_wait_loadcnt 0x9
	v_cvt_f32_f16_e32 v4, v4
	s_wait_loadcnt 0x0
	ds_store_b32 v9, v5
	scratch_load_b32 v5, off, off offset:180 ; 4-byte Folded Reload
	s_wait_loadcnt 0x0
	ds_store_b32 v5, v0
	scratch_load_b32 v0, off, off offset:184 ; 4-byte Folded Reload
	;; [unrolled: 3-line block ×8, first 2 shown]
	s_wait_loadcnt 0x0
	ds_store_b32 v0, v4
	s_wait_dscnt 0x0
	s_barrier_signal -1
	s_barrier_wait -1
	global_inv scope:SCOPE_SE
.LBB127_12:                             ;   Parent Loop BB127_6 Depth=1
                                        ;     Parent Loop BB127_8 Depth=2
                                        ; =>    This Inner Loop Header: Depth=3
	s_lshl_b32 s17, s13, 2
	s_and_b32 s19, s13, 0x3ffffff8
	s_wait_alu 0xfffe
	s_and_b32 s17, s17, 24
	v_lshl_add_u32 v2, s19, 2, v76
	s_wait_loadcnt 0x0
	s_wait_alu 0xfffe
	v_or_b32_e32 v0, s17, v69
	s_clause 0x4
	scratch_store_b32 off, v110, off offset:124
	scratch_store_b32 off, v94, off offset:20
	;; [unrolled: 1-line block ×5, first 2 shown]
	s_and_b32 s18, s13, 6
	s_and_b32 s20, s13, 0x7ffffffe
	ds_load_2addr_b32 v[13:14], v2 offset1:1
	v_lshlrev_b32_e32 v3, 2, v0
	v_lshrrev_b32_e32 v0, 1, v0
	s_wait_alu 0xfffe
	s_add_co_i32 s19, s20, 0x6200
	s_lshr_b32 s20, s13, 2
	s_add_co_i32 s13, s13, 2
	s_wait_alu 0xfffe
	s_and_b32 s20, s20, 0x3ffffffc
	ds_load_b32 v1, v0 offset:30368
	s_wait_alu 0xfffe
	s_addk_co_i32 s20, 0x7280
	s_cmp_lt_u32 s13, s16
	s_wait_dscnt 0x1
	v_ashrrev_i32_e32 v0, s18, v13
	v_ashrrev_i32_e32 v4, s18, v14
	ds_load_2addr_b32 v[13:14], v2 offset0:2 offset1:3
	v_and_b32_e32 v39, 3, v0
	v_bfe_u32 v61, v0, 8, 2
	v_bfe_u32 v41, v0, 16, 2
	;; [unrolled: 1-line block ×3, first 2 shown]
	v_and_b32_e32 v65, 3, v4
	v_bfe_u32 v0, v4, 8, 2
	v_bfe_u32 v92, v4, 16, 2
	;; [unrolled: 1-line block ×3, first 2 shown]
	s_wait_dscnt 0x0
	v_ashrrev_i32_e32 v5, s18, v13
	v_ashrrev_i32_e32 v6, s18, v14
	ds_load_2addr_b32 v[13:14], v2 offset0:4 offset1:5
	v_and_b32_e32 v94, 3, v5
	v_and_b32_e32 v34, 3, v6
	v_bfe_u32 v36, v6, 8, 2
	v_bfe_u32 v37, v6, 16, 2
	;; [unrolled: 1-line block ×6, first 2 shown]
	s_wait_dscnt 0x0
	v_ashrrev_i32_e32 v7, s18, v13
	v_ashrrev_i32_e32 v8, s18, v14
	ds_load_2addr_b32 v[13:14], v2 offset0:6 offset1:7
	v_and_b32_e32 v58, 3, v7
	v_and_b32_e32 v247, 3, v8
	v_bfe_u32 v248, v8, 8, 2
	v_bfe_u32 v249, v8, 16, 2
	;; [unrolled: 1-line block ×6, first 2 shown]
	s_wait_dscnt 0x0
	v_ashrrev_i32_e32 v10, s18, v14
	s_wait_alu 0xfffe
	v_add3_u32 v14, s20, v80, v78
	v_ashrrev_i32_e32 v9, s18, v13
	v_add3_u32 v13, s19, v79, v77
	ds_load_b32 v244, v14
	ds_load_u16 v13, v13
	ds_load_b128 v[78:81], v3 offset:16896
	ds_load_b128 v[82:85], v3 offset:16912
	v_and_b32_e32 v251, 3, v9
	v_bfe_u32 v252, v9, 8, 2
	v_bfe_u32 v253, v9, 16, 2
	;; [unrolled: 1-line block ×3, first 2 shown]
	v_and_b32_e32 v255, 3, v10
	v_bfe_u32 v55, v10, 16, 2
	v_bfe_u32 v56, v10, 24, 2
	s_wait_dscnt 0x1
	v_ashrrev_i32_e32 v3, 24, v78
	v_lshrrev_b16 v14, 8, v13
	s_wait_dscnt 0x0
	v_lshrrev_b16 v6, 8, v82
	v_ashrrev_i32_e32 v67, 24, v83
	v_bfe_u32 v20, v13, 4, 4
	v_bfe_i32 v77, v78, 0, 8
	v_and_b32_e32 v4, 0xffff, v14
	v_ashrrev_i32_e32 v14, 24, v82
	v_bfe_i32 v47, v6, 0, 8
	v_lshrrev_b16 v6, 8, v83
	v_bfe_i32 v76, v78, 16, 8
	v_bfe_i32 v8, v79, 0, 8
	;; [unrolled: 1-line block ×3, first 2 shown]
	v_ashrrev_i32_e32 v71, 24, v84
	v_bfe_i32 v69, v6, 0, 8
	v_bfe_i32 v6, v78, 8, 8
	v_ashrrev_i32_e32 v78, 24, v85
	v_add_nc_u32_e32 v52, v67, v14
	v_mul_lo_u32 v49, 0x1010101, v20
	v_and_b32_e32 v245, 15, v13
	v_bfe_u32 v20, v10, 8, 2
	v_bfe_i32 v73, v79, 8, 8
	v_ashrrev_i32_e32 v7, 24, v79
	v_bfe_i32 v68, v83, 16, 8
	v_bfe_i32 v70, v83, 0, 8
	v_lshrrev_b16 v10, 8, v80
	v_bfe_i32 v75, v84, 0, 8
	v_bfe_i32 v74, v84, 8, 8
	;; [unrolled: 1-line block ×5, first 2 shown]
	v_ashrrev_i32_e32 v86, 24, v80
	v_lshrrev_b16 v13, 8, v81
	v_bfe_i32 v88, v85, 0, 8
	v_bfe_i32 v80, v85, 8, 8
	;; [unrolled: 1-line block ×5, first 2 shown]
	v_add_nc_u32_e32 v53, v9, v76
	v_add_nc_u32_e32 v54, v8, v77
	v_add3_u32 v98, v52, v71, v78
	v_mul_i32_i24_e32 v52, v65, v8
	v_bfe_i32 v66, v82, 0, 8
	v_bfe_i32 v10, v10, 0, 8
	;; [unrolled: 1-line block ×3, first 2 shown]
	v_ashrrev_i32_e32 v90, 24, v81
	v_add_nc_u32_e32 v13, v6, v73
	v_add_nc_u32_e32 v62, v7, v3
	v_add3_u32 v96, v54, v84, v89
	v_add3_u32 v97, v53, v83, v85
	v_mul_i32_i24_e32 v53, v92, v9
	v_mul_i32_i24_e32 v54, v93, v7
	v_mad_i32_i24 v52, v0, v73, v52
	v_bfe_i32 v48, v82, 16, 8
	v_add_nc_u32_e32 v45, v70, v66
	v_add_nc_u32_e32 v46, v69, v47
	v_add3_u32 v91, v62, v86, v90
	v_add3_u32 v102, v13, v10, v87
	v_mul_i32_i24_e32 v13, v77, v39
	v_mul_i32_i24_e32 v62, v94, v84
	v_add3_u32 v52, v52, v53, v54
	v_lshrrev_b32_e32 v5, 4, v4
	v_add_nc_u32_e32 v50, v68, v48
	v_add3_u32 v100, v46, v74, v80
	v_add3_u32 v101, v45, v75, v88
	v_mul_i32_i24_e32 v45, v6, v61
	v_mul_i32_i24_e32 v46, v76, v41
	v_add3_u32 v13, v52, v62, v13
	v_mul_lo_u32 v5, 0x1010101, v5
	v_add3_u32 v99, v50, v72, v79
	v_mul_i32_i24_e32 v50, v3, v43
	v_mul_i32_i24_e32 v64, v95, v10
	v_add3_u32 v13, v13, v45, v46
	v_mul_i32_i24_e32 v81, v30, v83
	v_mul_i32_i24_e32 v82, v33, v86
	v_mul_i32_i24_e32 v103, v34, v89
	v_bfe_i32 v54, v5, 16, 8
	v_add3_u32 v13, v13, v50, v64
	v_lshrrev_b32_e32 v50, 24, v5
	v_bfe_i32 v53, v5, 8, 8
	v_bfe_i32 v62, v5, 0, 8
	v_mul_i32_i24_e32 v5, v58, v66
	v_add3_u32 v13, v13, v81, v82
	v_mul_i32_i24_e32 v64, v59, v48
	v_mul_i32_i24_e32 v81, v60, v14
	;; [unrolled: 1-line block ×3, first 2 shown]
	v_mad_i32_i24 v5, v246, v47, v5
	v_mul_i32_i24_e32 v105, v37, v85
	v_mul_i32_i24_e32 v106, v38, v90
	;; [unrolled: 1-line block ×3, first 2 shown]
	v_add3_u32 v13, v13, v103, v104
	v_add3_u32 v5, v5, v64, v81
	v_mul_i32_i24_e32 v64, v247, v70
	v_mul_i32_i24_e32 v81, v248, v69
	v_mul_i32_i24_e32 v103, v250, v67
	v_add3_u32 v13, v13, v105, v106
	v_lshrrev_b16 v52, 8, v49
	v_mul_i32_i24_e32 v104, v251, v75
	v_add3_u32 v5, v5, v64, v81
	v_mul_i32_i24_e32 v105, v252, v74
	v_lshrrev_b32_e32 v46, 24, v49
	v_bfe_i32 v52, v52, 0, 8
	v_mul_i32_i24_e32 v106, v253, v72
	v_add3_u32 v5, v5, v82, v103
	v_mul_i32_i24_e32 v107, v254, v71
	v_bfe_i32 v45, v49, 0, 8
	v_bfe_i32 v49, v49, 16, 8
	v_mul_i32_i24_e32 v108, v255, v88
	v_add3_u32 v5, v5, v104, v105
	v_mul_i32_i24_e32 v104, v98, v50
	v_mul_i32_i24_e32 v109, v20, v80
	;; [unrolled: 1-line block ×4, first 2 shown]
	v_add3_u32 v5, v5, v106, v107
	v_mul_i32_i24_e32 v82, v100, v53
	v_mul_i32_i24_e32 v103, v99, v54
	v_mad_i32_i24 v104, v91, v46, v104
	v_mul_i32_i24_e32 v110, v55, v79
	v_mul_i32_i24_e32 v111, v56, v78
	v_add3_u32 v5, v5, v108, v109
	v_mad_i32_i24 v103, v97, v49, v103
	v_mad_i32_i24 v81, v96, v45, v81
	v_add3_u32 v64, v64, v82, v104
	v_mul_lo_u32 v13, v13, v245
	v_add3_u32 v5, v5, v110, v111
	v_add3_u32 v108, s20, v125, v123
	s_delay_alu instid0(VALU_DEP_4) | instskip(SKIP_2) | instid1(VALU_DEP_2)
	v_add3_u32 v103, v81, v103, v64
	v_and_b32_e32 v64, 15, v4
	v_lshrrev_b32_e32 v4, 16, v244
	v_mad_co_u64_u32 v[81:82], null, v5, v64, v[13:14]
	s_delay_alu instid0(VALU_DEP_2) | instskip(SKIP_1) | instid1(VALU_DEP_3)
	v_cvt_f32_f16_e32 v13, v4
	v_cvt_f32_i32_e32 v5, v103
	v_cvt_f32_i32_e32 v4, v81
	s_delay_alu instid0(VALU_DEP_2) | instskip(NEXT) | instid1(VALU_DEP_1)
	v_mul_f32_e32 v5, v13, v5
	v_fma_mix_f32 v4, v244, v4, -v5 op_sel_hi:[1,0,0]
	s_delay_alu instid0(VALU_DEP_1)
	v_dual_fmac_f32 v29, v1, v4 :: v_dual_add_nc_u32 v4, 0x1080, v2
	ds_load_2addr_b32 v[81:82], v4 offset1:1
	s_wait_dscnt 0x0
	v_ashrrev_i32_e32 v4, s18, v81
	v_add_nc_u32_e32 v81, 0x1088, v2
	v_ashrrev_i32_e32 v5, s18, v82
	s_delay_alu instid0(VALU_DEP_3)
	v_and_b32_e32 v240, 3, v4
	ds_load_2addr_b32 v[81:82], v81 offset1:1
	v_and_b32_e32 v227, 3, v5
	v_bfe_u32 v228, v5, 8, 2
	v_bfe_u32 v229, v5, 16, 2
	;; [unrolled: 1-line block ×4, first 2 shown]
	v_mul_i32_i24_e32 v112, v227, v8
	v_bfe_u32 v242, v4, 16, 2
	v_mul_i32_i24_e32 v113, v229, v9
	v_mul_i32_i24_e32 v5, v230, v7
	;; [unrolled: 1-line block ×3, first 2 shown]
	v_mad_i32_i24 v112, v228, v73, v112
	v_mul_i32_i24_e32 v111, v76, v242
	v_bfe_u32 v243, v4, 24, 2
	s_delay_alu instid0(VALU_DEP_3) | instskip(NEXT) | instid1(VALU_DEP_2)
	v_add3_u32 v5, v112, v113, v5
	v_mul_i32_i24_e32 v4, v3, v243
	s_wait_dscnt 0x0
	v_ashrrev_i32_e32 v103, s18, v81
	v_add_nc_u32_e32 v81, 0x1090, v2
	v_ashrrev_i32_e32 v104, s18, v82
	s_delay_alu instid0(VALU_DEP_3)
	v_and_b32_e32 v231, 3, v103
	ds_load_2addr_b32 v[81:82], v81 offset1:1
	v_bfe_u32 v233, v103, 8, 2
	v_bfe_u32 v234, v103, 16, 2
	;; [unrolled: 1-line block ×3, first 2 shown]
	v_mul_i32_i24_e32 v114, v231, v84
	v_and_b32_e32 v236, 3, v104
	v_mul_i32_i24_e32 v115, v233, v10
	v_mul_i32_i24_e32 v116, v234, v83
	v_mul_i32_i24_e32 v103, v235, v86
	v_bfe_u32 v237, v104, 8, 2
	v_mul_i32_i24_e32 v117, v236, v89
	v_bfe_u32 v238, v104, 16, 2
	v_bfe_u32 v239, v104, 24, 2
	s_delay_alu instid0(VALU_DEP_4) | instskip(NEXT) | instid1(VALU_DEP_3)
	v_mul_i32_i24_e32 v118, v237, v87
	v_mul_i32_i24_e32 v119, v238, v85
	s_delay_alu instid0(VALU_DEP_3) | instskip(SKIP_4) | instid1(VALU_DEP_3)
	v_mul_i32_i24_e32 v104, v239, v90
	s_wait_dscnt 0x0
	v_ashrrev_i32_e32 v105, s18, v81
	v_add_nc_u32_e32 v81, 0x1098, v2
	v_ashrrev_i32_e32 v106, s18, v82
	v_and_b32_e32 v223, 3, v105
	ds_load_2addr_b32 v[81:82], v81 offset1:1
	v_bfe_u32 v212, v105, 8, 2
	v_bfe_u32 v225, v105, 16, 2
	;; [unrolled: 1-line block ×3, first 2 shown]
	v_and_b32_e32 v209, 3, v106
	v_bfe_u32 v210, v106, 8, 2
	v_bfe_u32 v211, v106, 16, 2
	;; [unrolled: 1-line block ×3, first 2 shown]
	s_delay_alu instid0(VALU_DEP_2) | instskip(NEXT) | instid1(VALU_DEP_2)
	v_mul_i32_i24_e32 v105, v211, v68
	v_mul_i32_i24_e32 v106, v213, v67
	s_wait_dscnt 0x0
	v_ashrrev_i32_e32 v107, s18, v81
	v_add3_u32 v81, s19, v124, v122
	ds_load_b32 v199, v108
	ds_load_u16 v81, v81
	v_and_b32_e32 v214, 3, v107
	v_bfe_u32 v215, v107, 8, 2
	v_ashrrev_i32_e32 v82, s18, v82
	v_bfe_u32 v216, v107, 16, 2
	v_bfe_u32 v217, v107, 24, 2
	s_delay_alu instid0(VALU_DEP_3) | instskip(SKIP_1) | instid1(VALU_DEP_3)
	v_and_b32_e32 v218, 3, v82
	v_bfe_u32 v219, v82, 8, 2
	v_mul_i32_i24_e32 v107, v217, v71
	v_bfe_u32 v220, v82, 16, 2
	v_bfe_u32 v221, v82, 24, 2
	s_delay_alu instid0(VALU_DEP_4) | instskip(NEXT) | instid1(VALU_DEP_3)
	v_mul_i32_i24_e32 v112, v219, v80
	v_mul_i32_i24_e32 v113, v220, v79
	s_delay_alu instid0(VALU_DEP_3) | instskip(SKIP_4) | instid1(VALU_DEP_3)
	v_mul_i32_i24_e32 v82, v221, v78
	s_wait_dscnt 0x0
	v_bfe_u32 v109, v81, 4, 4
	v_lshrrev_b16 v108, 8, v81
	v_and_b32_e32 v241, 15, v81
	v_mul_lo_u32 v109, 0x1010101, v109
	s_delay_alu instid0(VALU_DEP_1) | instskip(SKIP_4) | instid1(VALU_DEP_1)
	v_bfe_i32 v201, v109, 0, 8
	v_bfe_i32 v202, v109, 8, 8
	;; [unrolled: 1-line block ×3, first 2 shown]
	v_lshrrev_b32_e32 v204, 24, v109
	v_mul_i32_i24_e32 v109, v77, v240
	v_add3_u32 v5, v5, v114, v109
	v_mul_i32_i24_e32 v109, v215, v74
	s_delay_alu instid0(VALU_DEP_2) | instskip(SKIP_2) | instid1(VALU_DEP_3)
	v_add3_u32 v5, v5, v110, v111
	v_mul_i32_i24_e32 v110, v216, v72
	v_mul_i32_i24_e32 v111, v218, v88
	v_add3_u32 v4, v5, v4, v115
	s_delay_alu instid0(VALU_DEP_1) | instskip(SKIP_1) | instid1(VALU_DEP_2)
	v_add3_u32 v4, v4, v116, v103
	v_mul_i32_i24_e32 v103, v225, v48
	v_add3_u32 v4, v4, v117, v118
	s_delay_alu instid0(VALU_DEP_1) | instskip(SKIP_1) | instid1(VALU_DEP_2)
	v_add3_u32 v4, v4, v119, v104
	v_mul_i32_i24_e32 v104, v226, v14
	v_mul_lo_u32 v81, v4, v241
	v_and_b32_e32 v4, 0xffff, v108
	v_mul_i32_i24_e32 v108, v214, v75
	s_delay_alu instid0(VALU_DEP_2) | instskip(SKIP_2) | instid1(VALU_DEP_3)
	v_lshrrev_b32_e32 v5, 4, v4
	v_and_b32_e32 v222, 15, v4
	v_lshrrev_b32_e32 v4, 16, v199
	v_mul_lo_u32 v5, 0x1010101, v5
	s_delay_alu instid0(VALU_DEP_2) | instskip(NEXT) | instid1(VALU_DEP_2)
	v_cvt_f32_f16_e64 v224, v4
	v_bfe_i32 v205, v5, 0, 8
	v_bfe_i32 v206, v5, 8, 8
	;; [unrolled: 1-line block ×3, first 2 shown]
	v_lshrrev_b32_e32 v208, 24, v5
	v_mul_i32_i24_e32 v5, v223, v66
	s_delay_alu instid0(VALU_DEP_1) | instskip(NEXT) | instid1(VALU_DEP_1)
	v_mad_i32_i24 v5, v212, v47, v5
	v_add3_u32 v5, v5, v103, v104
	v_mul_i32_i24_e32 v103, v209, v70
	v_mul_i32_i24_e32 v104, v210, v69
	s_delay_alu instid0(VALU_DEP_1) | instskip(SKIP_2) | instid1(VALU_DEP_3)
	v_add3_u32 v5, v5, v103, v104
	v_mul_i32_i24_e32 v104, v101, v205
	v_mul_i32_i24_e32 v103, v99, v207
	v_add3_u32 v5, v5, v105, v106
	v_mul_i32_i24_e32 v106, v91, v204
	v_mul_i32_i24_e32 v105, v100, v206
	s_delay_alu instid0(VALU_DEP_3) | instskip(SKIP_1) | instid1(VALU_DEP_2)
	v_add3_u32 v5, v5, v108, v109
	v_mul_i32_i24_e32 v108, v96, v201
	v_add3_u32 v5, v5, v110, v107
	v_mul_i32_i24_e32 v107, v97, v203
	s_delay_alu instid0(VALU_DEP_3) | instskip(NEXT) | instid1(VALU_DEP_3)
	v_mad_i32_i24 v108, v102, v202, v108
	v_add3_u32 v5, v5, v111, v112
	s_delay_alu instid0(VALU_DEP_2) | instskip(SKIP_1) | instid1(VALU_DEP_3)
	v_add3_u32 v106, v108, v107, v106
	v_add3_u32 v108, s20, v135, v131
	;; [unrolled: 1-line block ×3, first 2 shown]
	v_mul_i32_i24_e32 v82, v98, v208
	s_delay_alu instid0(VALU_DEP_4) | instskip(NEXT) | instid1(VALU_DEP_1)
	v_add3_u32 v104, v106, v104, v105
	v_add3_u32 v103, v104, v103, v82
	s_delay_alu instid0(VALU_DEP_4) | instskip(NEXT) | instid1(VALU_DEP_2)
	v_mad_co_u64_u32 v[81:82], null, v5, v222, v[81:82]
	v_cvt_f32_i32_e32 v5, v103
	s_delay_alu instid0(VALU_DEP_2) | instskip(NEXT) | instid1(VALU_DEP_2)
	v_cvt_f32_i32_e32 v4, v81
	v_mul_f32_e32 v5, v224, v5
	s_delay_alu instid0(VALU_DEP_1) | instskip(NEXT) | instid1(VALU_DEP_1)
	v_fma_mix_f32 v4, v199, v4, -v5 op_sel_hi:[1,0,0]
	v_dual_fmac_f32 v15, v1, v4 :: v_dual_add_nc_u32 v4, 0x2100, v2
	ds_load_2addr_b32 v[81:82], v4 offset1:1
	s_wait_dscnt 0x0
	v_ashrrev_i32_e32 v4, s18, v81
	v_add_nc_u32_e32 v81, 0x2108, v2
	v_ashrrev_i32_e32 v5, s18, v82
	s_delay_alu instid0(VALU_DEP_3)
	v_and_b32_e32 v196, 3, v4
	ds_load_2addr_b32 v[81:82], v81 offset1:1
	v_and_b32_e32 v183, 3, v5
	v_bfe_u32 v184, v5, 8, 2
	v_bfe_u32 v185, v5, 16, 2
	;; [unrolled: 1-line block ×4, first 2 shown]
	v_mul_i32_i24_e32 v112, v183, v8
	v_bfe_u32 v198, v4, 16, 2
	v_mul_i32_i24_e32 v113, v185, v9
	v_mul_i32_i24_e32 v5, v186, v7
	;; [unrolled: 1-line block ×3, first 2 shown]
	v_mad_i32_i24 v112, v184, v73, v112
	v_mul_i32_i24_e32 v111, v76, v198
	v_bfe_u32 v200, v4, 24, 2
	s_delay_alu instid0(VALU_DEP_3) | instskip(NEXT) | instid1(VALU_DEP_2)
	v_add3_u32 v5, v112, v113, v5
	v_mul_i32_i24_e32 v4, v3, v200
	s_wait_dscnt 0x0
	v_ashrrev_i32_e32 v103, s18, v81
	v_add_nc_u32_e32 v81, 0x2110, v2
	v_ashrrev_i32_e32 v104, s18, v82
	s_delay_alu instid0(VALU_DEP_3)
	v_and_b32_e32 v187, 3, v103
	ds_load_2addr_b32 v[81:82], v81 offset1:1
	v_bfe_u32 v189, v103, 8, 2
	v_bfe_u32 v190, v103, 16, 2
	;; [unrolled: 1-line block ×3, first 2 shown]
	v_mul_i32_i24_e32 v114, v187, v84
	v_and_b32_e32 v192, 3, v104
	v_mul_i32_i24_e32 v115, v189, v10
	v_mul_i32_i24_e32 v116, v190, v83
	;; [unrolled: 1-line block ×3, first 2 shown]
	v_bfe_u32 v193, v104, 8, 2
	v_mul_i32_i24_e32 v117, v192, v89
	v_bfe_u32 v194, v104, 16, 2
	v_bfe_u32 v195, v104, 24, 2
	s_delay_alu instid0(VALU_DEP_4) | instskip(NEXT) | instid1(VALU_DEP_3)
	v_mul_i32_i24_e32 v118, v193, v87
	v_mul_i32_i24_e32 v119, v194, v85
	s_delay_alu instid0(VALU_DEP_3) | instskip(SKIP_4) | instid1(VALU_DEP_3)
	v_mul_i32_i24_e32 v104, v195, v90
	s_wait_dscnt 0x0
	v_ashrrev_i32_e32 v105, s18, v81
	v_add_nc_u32_e32 v81, 0x2118, v2
	v_ashrrev_i32_e32 v106, s18, v82
	v_and_b32_e32 v179, 3, v105
	ds_load_2addr_b32 v[81:82], v81 offset1:1
	v_bfe_u32 v168, v105, 8, 2
	v_bfe_u32 v181, v105, 16, 2
	;; [unrolled: 1-line block ×3, first 2 shown]
	v_and_b32_e32 v165, 3, v106
	v_bfe_u32 v166, v106, 8, 2
	v_bfe_u32 v167, v106, 16, 2
	v_bfe_u32 v169, v106, 24, 2
	s_delay_alu instid0(VALU_DEP_2) | instskip(NEXT) | instid1(VALU_DEP_2)
	v_mul_i32_i24_e32 v105, v167, v68
	v_mul_i32_i24_e32 v106, v169, v67
	s_wait_dscnt 0x0
	v_ashrrev_i32_e32 v107, s18, v81
	v_add3_u32 v81, s19, v134, v130
	ds_load_b32 v155, v108
	ds_load_u16 v81, v81
	v_and_b32_e32 v170, 3, v107
	v_bfe_u32 v171, v107, 8, 2
	v_ashrrev_i32_e32 v82, s18, v82
	v_bfe_u32 v172, v107, 16, 2
	v_bfe_u32 v173, v107, 24, 2
	s_delay_alu instid0(VALU_DEP_3) | instskip(SKIP_1) | instid1(VALU_DEP_3)
	v_and_b32_e32 v174, 3, v82
	v_bfe_u32 v175, v82, 8, 2
	v_mul_i32_i24_e32 v107, v173, v71
	v_bfe_u32 v176, v82, 16, 2
	v_bfe_u32 v177, v82, 24, 2
	s_delay_alu instid0(VALU_DEP_4) | instskip(NEXT) | instid1(VALU_DEP_3)
	v_mul_i32_i24_e32 v112, v175, v80
	v_mul_i32_i24_e32 v113, v176, v79
	s_delay_alu instid0(VALU_DEP_3) | instskip(SKIP_4) | instid1(VALU_DEP_3)
	v_mul_i32_i24_e32 v82, v177, v78
	s_wait_dscnt 0x0
	v_bfe_u32 v109, v81, 4, 4
	v_lshrrev_b16 v108, 8, v81
	v_and_b32_e32 v197, 15, v81
	v_mul_lo_u32 v109, 0x1010101, v109
	s_delay_alu instid0(VALU_DEP_1) | instskip(SKIP_4) | instid1(VALU_DEP_1)
	v_bfe_i32 v157, v109, 0, 8
	v_bfe_i32 v158, v109, 8, 8
	;; [unrolled: 1-line block ×3, first 2 shown]
	v_lshrrev_b32_e32 v160, 24, v109
	v_mul_i32_i24_e32 v109, v77, v196
	v_add3_u32 v5, v5, v114, v109
	v_mul_i32_i24_e32 v109, v171, v74
	s_delay_alu instid0(VALU_DEP_2) | instskip(SKIP_2) | instid1(VALU_DEP_3)
	v_add3_u32 v5, v5, v110, v111
	v_mul_i32_i24_e32 v110, v172, v72
	v_mul_i32_i24_e32 v111, v174, v88
	v_add3_u32 v4, v5, v4, v115
	s_delay_alu instid0(VALU_DEP_1) | instskip(SKIP_1) | instid1(VALU_DEP_2)
	v_add3_u32 v4, v4, v116, v103
	v_mul_i32_i24_e32 v103, v181, v48
	v_add3_u32 v4, v4, v117, v118
	s_delay_alu instid0(VALU_DEP_1) | instskip(SKIP_1) | instid1(VALU_DEP_2)
	v_add3_u32 v4, v4, v119, v104
	v_mul_i32_i24_e32 v104, v182, v14
	v_mul_lo_u32 v81, v4, v197
	v_and_b32_e32 v4, 0xffff, v108
	v_mul_i32_i24_e32 v108, v170, v75
	s_delay_alu instid0(VALU_DEP_2) | instskip(SKIP_2) | instid1(VALU_DEP_3)
	v_lshrrev_b32_e32 v5, 4, v4
	v_and_b32_e32 v178, 15, v4
	v_lshrrev_b32_e32 v4, 16, v155
	v_mul_lo_u32 v5, 0x1010101, v5
	s_delay_alu instid0(VALU_DEP_2) | instskip(NEXT) | instid1(VALU_DEP_2)
	v_cvt_f32_f16_e64 v180, v4
	v_bfe_i32 v161, v5, 0, 8
	v_bfe_i32 v162, v5, 8, 8
	v_bfe_i32 v163, v5, 16, 8
	v_lshrrev_b32_e32 v164, 24, v5
	v_mul_i32_i24_e32 v5, v179, v66
	s_delay_alu instid0(VALU_DEP_1) | instskip(NEXT) | instid1(VALU_DEP_1)
	v_mad_i32_i24 v5, v168, v47, v5
	v_add3_u32 v5, v5, v103, v104
	v_mul_i32_i24_e32 v103, v165, v70
	v_mul_i32_i24_e32 v104, v166, v69
	s_delay_alu instid0(VALU_DEP_1) | instskip(SKIP_2) | instid1(VALU_DEP_3)
	v_add3_u32 v5, v5, v103, v104
	v_mul_i32_i24_e32 v104, v101, v161
	v_mul_i32_i24_e32 v103, v99, v163
	v_add3_u32 v5, v5, v105, v106
	v_mul_i32_i24_e32 v106, v91, v160
	v_mul_i32_i24_e32 v105, v100, v162
	s_delay_alu instid0(VALU_DEP_3) | instskip(SKIP_1) | instid1(VALU_DEP_2)
	v_add3_u32 v5, v5, v108, v109
	v_mul_i32_i24_e32 v108, v96, v157
	v_add3_u32 v5, v5, v110, v107
	v_mul_i32_i24_e32 v107, v97, v159
	s_delay_alu instid0(VALU_DEP_3) | instskip(NEXT) | instid1(VALU_DEP_3)
	v_mad_i32_i24 v108, v102, v158, v108
	v_add3_u32 v5, v5, v111, v112
	s_delay_alu instid0(VALU_DEP_2) | instskip(SKIP_1) | instid1(VALU_DEP_3)
	v_add3_u32 v106, v108, v107, v106
	v_add3_u32 v107, s20, v137, v133
	;; [unrolled: 1-line block ×3, first 2 shown]
	v_mul_i32_i24_e32 v82, v98, v164
	s_delay_alu instid0(VALU_DEP_4) | instskip(NEXT) | instid1(VALU_DEP_1)
	v_add3_u32 v104, v106, v104, v105
	v_add3_u32 v103, v104, v103, v82
	s_delay_alu instid0(VALU_DEP_4) | instskip(NEXT) | instid1(VALU_DEP_2)
	v_mad_co_u64_u32 v[81:82], null, v5, v178, v[81:82]
	v_cvt_f32_i32_e32 v5, v103
	s_delay_alu instid0(VALU_DEP_2) | instskip(NEXT) | instid1(VALU_DEP_2)
	v_cvt_f32_i32_e32 v4, v81
	v_mul_f32_e32 v5, v180, v5
	s_delay_alu instid0(VALU_DEP_1) | instskip(NEXT) | instid1(VALU_DEP_1)
	v_fma_mix_f32 v4, v155, v4, -v5 op_sel_hi:[1,0,0]
	v_fmac_f32_e32 v16, v1, v4
	v_add_nc_u32_e32 v4, 0x3180, v2
	ds_load_2addr_b32 v[81:82], v4 offset1:1
	s_wait_dscnt 0x0
	v_ashrrev_i32_e32 v4, s18, v81
	v_add_nc_u32_e32 v81, 0x3188, v2
	v_ashrrev_i32_e32 v5, s18, v82
	s_delay_alu instid0(VALU_DEP_3)
	v_bfe_u32 v156, v4, 24, 2
	ds_load_2addr_b32 v[81:82], v81 offset1:1
	v_and_b32_e32 v152, 3, v4
	v_bfe_u32 v144, v4, 8, 2
	v_bfe_u32 v154, v4, 16, 2
	v_mul_i32_i24_e32 v4, v3, v156
	v_and_b32_e32 v3, 3, v5
	v_bfe_u32 v140, v5, 8, 2
	v_bfe_u32 v141, v5, 16, 2
	;; [unrolled: 1-line block ×3, first 2 shown]
	v_mul_i32_i24_e32 v77, v77, v152
	v_mul_i32_i24_e32 v8, v3, v8
	;; [unrolled: 1-line block ×6, first 2 shown]
	v_mad_i32_i24 v8, v140, v73, v8
	s_wait_dscnt 0x0
	v_ashrrev_i32_e32 v103, s18, v81
	v_add_nc_u32_e32 v81, 0x3190, v2
	v_ashrrev_i32_e32 v104, s18, v82
	v_add3_u32 v5, v8, v9, v5
	v_add_nc_u32_e32 v2, 0x3198, v2
	v_and_b32_e32 v143, 3, v103
	ds_load_2addr_b32 v[81:82], v81 offset1:1
	v_bfe_u32 v145, v103, 8, 2
	v_bfe_u32 v146, v103, 16, 2
	;; [unrolled: 1-line block ×3, first 2 shown]
	v_mul_i32_i24_e32 v7, v143, v84
	v_and_b32_e32 v148, 3, v104
	v_mul_i32_i24_e32 v10, v145, v10
	v_mul_i32_i24_e32 v83, v146, v83
	;; [unrolled: 1-line block ×3, first 2 shown]
	v_add3_u32 v5, v5, v7, v77
	v_bfe_u32 v149, v104, 8, 2
	v_mul_i32_i24_e32 v86, v148, v89
	v_bfe_u32 v150, v104, 16, 2
	v_bfe_u32 v151, v104, 24, 2
	v_add3_u32 v5, v5, v6, v76
	v_mul_i32_i24_e32 v87, v149, v87
	s_delay_alu instid0(VALU_DEP_4) | instskip(NEXT) | instid1(VALU_DEP_4)
	v_mul_i32_i24_e32 v85, v150, v85
	v_mul_i32_i24_e32 v89, v151, v90
	s_delay_alu instid0(VALU_DEP_4)
	v_add3_u32 v4, v5, v4, v10
	s_wait_dscnt 0x0
	v_ashrrev_i32_e32 v105, s18, v81
	v_ashrrev_i32_e32 v106, s18, v82
	ds_load_2addr_b32 v[81:82], v2 offset1:1
	v_add3_u32 v2, s19, v136, v132
	ds_load_b32 v113, v107
	ds_load_u16 v2, v2
	v_add3_u32 v4, v4, v83, v84
	v_and_b32_e32 v137, 3, v105
	v_bfe_u32 v136, v105, 8, 2
	v_bfe_u32 v138, v105, 16, 2
	;; [unrolled: 1-line block ×3, first 2 shown]
	v_add3_u32 v4, v4, v86, v87
	v_and_b32_e32 v124, 3, v106
	v_bfe_u32 v125, v106, 8, 2
	v_mul_i32_i24_e32 v6, v138, v48
	v_mul_i32_i24_e32 v7, v139, v14
	v_add3_u32 v4, v4, v85, v89
	v_bfe_u32 v126, v106, 16, 2
	v_bfe_u32 v127, v106, 24, 2
	s_wait_dscnt 0x2
	v_ashrrev_i32_e32 v81, s18, v81
	v_ashrrev_i32_e32 v82, s18, v82
	v_mul_i32_i24_e32 v8, v126, v68
	v_mul_i32_i24_e32 v9, v127, v67
	s_wait_dscnt 0x0
	v_lshrrev_b16 v107, 8, v2
	v_and_b32_e32 v153, 15, v2
	v_bfe_u32 v108, v2, 4, 4
	v_and_b32_e32 v128, 3, v81
	v_bfe_u32 v129, v81, 8, 2
	v_bfe_u32 v130, v81, 16, 2
	v_mul_lo_u32 v2, v4, v153
	v_and_b32_e32 v4, 0xffff, v107
	v_mul_lo_u32 v108, 0x1010101, v108
	v_mul_i32_i24_e32 v10, v128, v75
	v_mul_i32_i24_e32 v14, v129, v74
	v_bfe_u32 v131, v81, 24, 2
	v_lshrrev_b32_e32 v5, 4, v4
	v_and_b32_e32 v132, 3, v82
	v_bfe_u32 v133, v82, 8, 2
	v_bfe_u32 v134, v82, 16, 2
	v_bfe_i32 v116, v108, 0, 8
	v_mul_lo_u32 v5, 0x1010101, v5
	v_mul_i32_i24_e32 v48, v131, v71
	v_bfe_i32 v117, v108, 8, 8
	v_bfe_i32 v118, v108, 16, 8
	v_lshrrev_b32_e32 v119, 24, v108
	v_mul_i32_i24_e32 v67, v133, v80
	v_bfe_u32 v135, v82, 24, 2
	v_mul_i32_i24_e32 v68, v134, v79
	v_bfe_i32 v120, v5, 0, 8
	v_bfe_i32 v121, v5, 8, 8
	;; [unrolled: 1-line block ×3, first 2 shown]
	v_lshrrev_b32_e32 v123, 24, v5
	v_mul_i32_i24_e32 v5, v137, v66
	v_mul_i32_i24_e32 v66, v132, v88
	v_and_b32_e32 v115, 15, v4
	s_delay_alu instid0(VALU_DEP_3) | instskip(SKIP_1) | instid1(VALU_DEP_2)
	v_mad_i32_i24 v5, v136, v47, v5
	v_mul_i32_i24_e32 v47, v130, v72
	v_add3_u32 v5, v5, v6, v7
	v_mul_i32_i24_e32 v6, v124, v70
	v_mul_i32_i24_e32 v7, v125, v69
	;; [unrolled: 1-line block ×3, first 2 shown]
	s_delay_alu instid0(VALU_DEP_2) | instskip(SKIP_2) | instid1(VALU_DEP_3)
	v_add3_u32 v5, v5, v6, v7
	v_mul_i32_i24_e32 v6, v98, v123
	v_mul_i32_i24_e32 v7, v99, v122
	v_add3_u32 v5, v5, v8, v9
	v_mul_i32_i24_e32 v8, v101, v120
	v_mul_i32_i24_e32 v9, v100, v121
	s_delay_alu instid0(VALU_DEP_3) | instskip(SKIP_2) | instid1(VALU_DEP_3)
	v_add3_u32 v5, v5, v10, v14
	v_mul_i32_i24_e32 v10, v91, v119
	v_mul_i32_i24_e32 v14, v97, v118
	v_add3_u32 v5, v5, v47, v48
	v_mul_i32_i24_e32 v47, v96, v116
	s_delay_alu instid0(VALU_DEP_2) | instskip(NEXT) | instid1(VALU_DEP_2)
	v_add3_u32 v5, v5, v66, v67
	v_mad_i32_i24 v47, v102, v117, v47
	s_delay_alu instid0(VALU_DEP_2) | instskip(NEXT) | instid1(VALU_DEP_2)
	v_add3_u32 v5, v5, v68, v69
	v_add3_u32 v10, v47, v14, v10
	s_delay_alu instid0(VALU_DEP_2) | instskip(NEXT) | instid1(VALU_DEP_2)
	v_mad_co_u64_u32 v[47:48], null, v5, v115, v[2:3]
	v_add3_u32 v8, v10, v8, v9
	v_lshrrev_b32_e32 v2, 16, v113
	s_delay_alu instid0(VALU_DEP_2) | instskip(NEXT) | instid1(VALU_DEP_2)
	v_add3_u32 v6, v8, v7, v6
	v_cvt_f32_f16_e32 v114, v2
	v_cvt_f32_i32_e32 v2, v47
	s_delay_alu instid0(VALU_DEP_3) | instskip(NEXT) | instid1(VALU_DEP_1)
	v_cvt_f32_i32_e32 v4, v6
	v_mul_f32_e32 v4, v114, v4
	s_delay_alu instid0(VALU_DEP_1) | instskip(NEXT) | instid1(VALU_DEP_1)
	v_fma_mix_f32 v2, v113, v2, -v4 op_sel_hi:[1,0,0]
	v_fmac_f32_e32 v63, v1, v2
	scratch_load_b32 v1, off, off offset:44 ; 4-byte Folded Reload
	s_wait_loadcnt 0x0
	v_or_b32_e32 v1, s17, v1
	s_delay_alu instid0(VALU_DEP_1)
	v_lshlrev_b32_e32 v2, 2, v1
	v_lshrrev_b32_e32 v1, 1, v1
	ds_load_b32 v4, v1 offset:30368
	ds_load_b128 v[66:69], v2 offset:16896
	ds_load_b128 v[70:73], v2 offset:16912
	s_wait_dscnt 0x1
	v_ashrrev_i32_e32 v5, 24, v66
	s_wait_dscnt 0x0
	v_lshrrev_b16 v1, 8, v70
	v_bfe_i32 v6, v66, 0, 8
	v_bfe_i32 v7, v66, 16, 8
	;; [unrolled: 1-line block ×5, first 2 shown]
	v_lshrrev_b16 v1, 8, v71
	v_bfe_i32 v14, v70, 0, 8
	v_ashrrev_i32_e32 v74, 24, v71
	v_bfe_i32 v75, v71, 16, 8
	v_bfe_i32 v71, v71, 0, 8
	;; [unrolled: 1-line block ×3, first 2 shown]
	v_lshrrev_b16 v1, 8, v68
	v_bfe_i32 v78, v72, 0, 8
	v_bfe_i32 v84, v73, 0, 8
	v_add_nc_u32_e32 v2, v71, v14
	v_ashrrev_i32_e32 v8, 24, v70
	v_bfe_i32 v77, v1, 0, 8
	v_lshrrev_b16 v1, 8, v69
	v_bfe_i32 v9, v70, 16, 8
	v_bfe_i32 v70, v67, 0, 8
	v_add3_u32 v99, v2, v78, v84
	v_mul_i32_i24_e32 v2, v7, v41
	v_bfe_i32 v83, v1, 0, 8
	v_add_nc_u32_e32 v1, v66, v47
	v_mul_i32_i24_e32 v101, v5, v43
	v_ashrrev_i32_e32 v48, 24, v67
	v_bfe_i32 v67, v67, 16, 8
	v_bfe_i32 v82, v68, 0, 8
	v_add3_u32 v100, v1, v77, v83
	v_mul_i32_i24_e32 v1, v6, v39
	v_mul_i32_i24_e32 v103, v93, v48
	;; [unrolled: 1-line block ×3, first 2 shown]
	v_bfe_i32 v81, v68, 16, 8
	v_ashrrev_i32_e32 v68, 24, v68
	v_mad_i32_i24 v1, v66, v61, v1
	v_mul_i32_i24_e32 v104, v94, v82
	v_mul_i32_i24_e32 v105, v95, v77
	v_bfe_i32 v79, v72, 8, 8
	v_bfe_i32 v88, v69, 0, 8
	v_add3_u32 v1, v1, v2, v101
	v_mul_i32_i24_e32 v2, v65, v70
	v_mul_i32_i24_e32 v101, v0, v47
	;; [unrolled: 1-line block ×4, first 2 shown]
	v_bfe_i32 v80, v72, 16, 8
	v_ashrrev_i32_e32 v72, 24, v72
	v_add3_u32 v1, v1, v2, v101
	v_mul_i32_i24_e32 v2, v58, v14
	v_mul_i32_i24_e32 v101, v59, v9
	v_bfe_i32 v85, v73, 8, 8
	v_bfe_i32 v86, v73, 16, 8
	v_add3_u32 v1, v1, v102, v103
	v_mul_i32_i24_e32 v102, v60, v8
	v_mad_i32_i24 v2, v246, v10, v2
	v_mul_i32_i24_e32 v103, v249, v75
	v_ashrrev_i32_e32 v73, 24, v73
	v_add3_u32 v1, v1, v104, v105
	v_mul_i32_i24_e32 v104, v250, v74
	v_add3_u32 v2, v2, v101, v102
	v_mul_i32_i24_e32 v101, v247, v71
	v_mul_i32_i24_e32 v102, v248, v76
	v_add_nc_u32_e32 v91, v74, v8
	v_bfe_i32 v87, v69, 16, 8
	v_ashrrev_i32_e32 v69, 24, v69
	v_mul_i32_i24_e32 v108, v34, v88
	v_add3_u32 v2, v2, v101, v102
	v_mul_i32_i24_e32 v109, v36, v83
	v_add3_u32 v1, v1, v106, v107
	v_mul_i32_i24_e32 v105, v251, v78
	v_mul_i32_i24_e32 v106, v252, v79
	v_add3_u32 v2, v2, v103, v104
	v_add_nc_u32_e32 v89, v76, v10
	v_add_nc_u32_e32 v90, v75, v9
	;; [unrolled: 1-line block ×3, first 2 shown]
	v_add3_u32 v91, v91, v72, v73
	v_mul_i32_i24_e32 v110, v37, v87
	v_mul_i32_i24_e32 v111, v38, v69
	v_add3_u32 v1, v1, v108, v109
	v_mul_i32_i24_e32 v107, v253, v80
	v_mul_i32_i24_e32 v108, v254, v72
	v_add3_u32 v2, v2, v105, v106
	v_add_nc_u32_e32 v96, v67, v7
	v_add_nc_u32_e32 v97, v70, v6
	v_add3_u32 v98, v98, v68, v69
	v_add3_u32 v90, v90, v80, v86
	;; [unrolled: 1-line block ×3, first 2 shown]
	v_mul_i32_i24_e32 v105, v91, v50
	v_add3_u32 v1, v1, v110, v111
	v_mul_i32_i24_e32 v109, v255, v84
	v_mul_i32_i24_e32 v110, v20, v85
	v_add3_u32 v2, v2, v107, v108
	v_add3_u32 v97, v97, v82, v88
	;; [unrolled: 1-line block ×3, first 2 shown]
	v_mul_i32_i24_e32 v101, v100, v52
	v_mul_i32_i24_e32 v102, v99, v62
	;; [unrolled: 1-line block ×4, first 2 shown]
	v_mad_i32_i24 v105, v98, v46, v105
	v_mul_i32_i24_e32 v111, v55, v86
	v_mul_i32_i24_e32 v112, v56, v73
	v_add3_u32 v2, v2, v109, v110
	v_mul_lo_u32 v1, v1, v245
	v_mad_i32_i24 v104, v96, v49, v104
	v_mad_i32_i24 v102, v97, v45, v102
	v_add3_u32 v101, v101, v103, v105
	v_add3_u32 v2, v2, v111, v112
	v_mul_i32_i24_e32 v103, v230, v48
	v_mul_i32_i24_e32 v105, v233, v77
	;; [unrolled: 1-line block ×3, first 2 shown]
	v_add3_u32 v101, v102, v104, v101
	v_mad_co_u64_u32 v[1:2], null, v2, v64, v[1:2]
	v_mul_i32_i24_e32 v102, v229, v67
	v_mul_i32_i24_e32 v104, v231, v82
	s_delay_alu instid0(VALU_DEP_4)
	v_cvt_f32_i32_e32 v2, v101
	v_mul_i32_i24_e32 v101, v5, v243
	v_mul_i32_i24_e32 v107, v235, v68
	;; [unrolled: 1-line block ×3, first 2 shown]
	v_cvt_f32_i32_e32 v1, v1
	v_mul_f32_e32 v2, v13, v2
	v_mul_i32_i24_e32 v109, v237, v83
	v_mul_i32_i24_e32 v110, v238, v87
	v_mul_i32_i24_e32 v111, v239, v69
	v_mul_i32_i24_e32 v112, v221, v73
	v_fma_mix_f32 v1, v244, v1, -v2 op_sel_hi:[1,0,0]
	v_mul_i32_i24_e32 v2, v7, v242
	s_delay_alu instid0(VALU_DEP_2) | instskip(SKIP_1) | instid1(VALU_DEP_1)
	v_fmac_f32_e32 v57, v4, v1
	v_mul_i32_i24_e32 v1, v6, v240
	v_mad_i32_i24 v1, v66, v232, v1
	s_delay_alu instid0(VALU_DEP_1) | instskip(SKIP_2) | instid1(VALU_DEP_1)
	v_add3_u32 v1, v1, v2, v101
	v_mul_i32_i24_e32 v2, v227, v70
	v_mul_i32_i24_e32 v101, v228, v47
	v_add3_u32 v1, v1, v2, v101
	v_mul_i32_i24_e32 v2, v223, v14
	v_mul_i32_i24_e32 v101, v225, v9
	s_delay_alu instid0(VALU_DEP_3) | instskip(SKIP_1) | instid1(VALU_DEP_4)
	v_add3_u32 v1, v1, v102, v103
	v_mul_i32_i24_e32 v102, v226, v8
	v_mad_i32_i24 v2, v212, v10, v2
	v_mul_i32_i24_e32 v103, v211, v75
	s_delay_alu instid0(VALU_DEP_4) | instskip(SKIP_1) | instid1(VALU_DEP_4)
	v_add3_u32 v1, v1, v104, v105
	v_mul_i32_i24_e32 v104, v213, v74
	v_add3_u32 v2, v2, v101, v102
	v_mul_i32_i24_e32 v101, v209, v71
	v_mul_i32_i24_e32 v102, v210, v76
	v_add3_u32 v1, v1, v106, v107
	v_mul_i32_i24_e32 v105, v214, v78
	v_mul_i32_i24_e32 v106, v215, v79
	v_mul_i32_i24_e32 v107, v216, v80
	v_add3_u32 v2, v2, v101, v102
	v_add3_u32 v1, v1, v108, v109
	v_mul_i32_i24_e32 v108, v217, v72
	v_mul_i32_i24_e32 v109, v218, v84
	v_mul_i32_i24_e32 v101, v91, v208
	v_add3_u32 v2, v2, v103, v104
	v_add3_u32 v1, v1, v110, v111
	v_mul_i32_i24_e32 v110, v219, v85
	v_mul_i32_i24_e32 v103, v99, v205
	v_mul_i32_i24_e32 v104, v89, v206
	v_add3_u32 v2, v2, v105, v106
	v_mul_i32_i24_e32 v105, v98, v204
	v_mul_i32_i24_e32 v106, v96, v203
	;; [unrolled: 1-line block ×3, first 2 shown]
	v_mul_lo_u32 v1, v1, v241
	v_add3_u32 v2, v2, v107, v108
	v_mul_i32_i24_e32 v107, v97, v201
	v_mul_i32_i24_e32 v102, v90, v207
	;; [unrolled: 1-line block ×3, first 2 shown]
	s_delay_alu instid0(VALU_DEP_4) | instskip(NEXT) | instid1(VALU_DEP_4)
	v_add3_u32 v2, v2, v109, v110
	v_mad_i32_i24 v107, v100, v202, v107
	v_mul_i32_i24_e32 v109, v193, v83
	v_mul_i32_i24_e32 v110, v194, v87
	s_delay_alu instid0(VALU_DEP_4) | instskip(NEXT) | instid1(VALU_DEP_4)
	v_add3_u32 v2, v2, v111, v112
	v_add3_u32 v105, v107, v106, v105
	v_mul_i32_i24_e32 v106, v190, v81
	v_mul_i32_i24_e32 v107, v191, v68
	;; [unrolled: 1-line block ×3, first 2 shown]
	v_mad_co_u64_u32 v[1:2], null, v2, v222, v[1:2]
	v_add3_u32 v103, v105, v103, v104
	v_mul_i32_i24_e32 v104, v187, v82
	v_mul_i32_i24_e32 v105, v189, v77
	;; [unrolled: 1-line block ×4, first 2 shown]
	v_add3_u32 v101, v103, v102, v101
	v_cvt_f32_i32_e32 v1, v1
	v_mul_i32_i24_e32 v102, v185, v67
	v_mul_i32_i24_e32 v103, v186, v48
	s_delay_alu instid0(VALU_DEP_4) | instskip(SKIP_2) | instid1(VALU_DEP_3)
	v_cvt_f32_i32_e32 v2, v101
	v_mul_i32_i24_e32 v101, v5, v200
	v_mul_i32_i24_e32 v5, v5, v156
	v_mul_f32_e32 v2, v224, v2
	s_delay_alu instid0(VALU_DEP_1) | instskip(SKIP_1) | instid1(VALU_DEP_2)
	v_fma_mix_f32 v1, v199, v1, -v2 op_sel_hi:[1,0,0]
	v_mul_i32_i24_e32 v2, v7, v198
	v_fmac_f32_e32 v51, v4, v1
	v_mul_i32_i24_e32 v1, v6, v196
	s_delay_alu instid0(VALU_DEP_1) | instskip(NEXT) | instid1(VALU_DEP_1)
	v_mad_i32_i24 v1, v66, v188, v1
	v_add3_u32 v1, v1, v2, v101
	v_mul_i32_i24_e32 v2, v183, v70
	v_mul_i32_i24_e32 v101, v184, v47
	s_delay_alu instid0(VALU_DEP_1) | instskip(SKIP_2) | instid1(VALU_DEP_3)
	v_add3_u32 v1, v1, v2, v101
	v_mul_i32_i24_e32 v2, v179, v14
	v_mul_i32_i24_e32 v101, v181, v9
	v_add3_u32 v1, v1, v102, v103
	v_mul_i32_i24_e32 v102, v182, v8
	s_delay_alu instid0(VALU_DEP_4) | instskip(SKIP_1) | instid1(VALU_DEP_4)
	v_mad_i32_i24 v2, v168, v10, v2
	v_mul_i32_i24_e32 v103, v167, v75
	v_add3_u32 v1, v1, v104, v105
	v_mul_i32_i24_e32 v104, v169, v74
	s_delay_alu instid0(VALU_DEP_4)
	v_add3_u32 v2, v2, v101, v102
	v_mul_i32_i24_e32 v101, v165, v71
	v_mul_i32_i24_e32 v102, v166, v76
	v_add3_u32 v1, v1, v106, v107
	v_mul_i32_i24_e32 v105, v170, v78
	v_mul_i32_i24_e32 v106, v171, v79
	v_mul_i32_i24_e32 v107, v172, v80
	v_add3_u32 v2, v2, v101, v102
	v_add3_u32 v1, v1, v108, v109
	v_mul_i32_i24_e32 v108, v173, v72
	v_mul_i32_i24_e32 v109, v174, v84
	v_mul_i32_i24_e32 v101, v91, v164
	v_add3_u32 v2, v2, v103, v104
	v_add3_u32 v1, v1, v110, v111
	v_mul_i32_i24_e32 v110, v175, v85
	v_mul_i32_i24_e32 v103, v99, v161
	v_mul_i32_i24_e32 v104, v89, v162
	v_add3_u32 v2, v2, v105, v106
	v_mul_i32_i24_e32 v105, v98, v160
	v_mul_i32_i24_e32 v106, v96, v159
	;; [unrolled: 1-line block ×3, first 2 shown]
	v_mul_lo_u32 v1, v1, v197
	v_add3_u32 v2, v2, v107, v108
	v_mul_i32_i24_e32 v107, v97, v157
	v_mul_i32_i24_e32 v102, v90, v163
	s_delay_alu instid0(VALU_DEP_3) | instskip(NEXT) | instid1(VALU_DEP_3)
	v_add3_u32 v2, v2, v109, v110
	v_mad_i32_i24 v107, v100, v158, v107
	s_delay_alu instid0(VALU_DEP_2) | instskip(NEXT) | instid1(VALU_DEP_2)
	v_add3_u32 v2, v2, v111, v112
	v_add3_u32 v105, v107, v106, v105
	s_delay_alu instid0(VALU_DEP_2) | instskip(NEXT) | instid1(VALU_DEP_2)
	v_mad_co_u64_u32 v[1:2], null, v2, v178, v[1:2]
	v_add3_u32 v103, v105, v103, v104
	s_delay_alu instid0(VALU_DEP_1) | instskip(NEXT) | instid1(VALU_DEP_3)
	v_add3_u32 v101, v103, v102, v101
	v_cvt_f32_i32_e32 v1, v1
	s_delay_alu instid0(VALU_DEP_2) | instskip(NEXT) | instid1(VALU_DEP_1)
	v_cvt_f32_i32_e32 v2, v101
	v_mul_f32_e32 v2, v180, v2
	s_delay_alu instid0(VALU_DEP_1)
	v_fma_mix_f32 v1, v155, v1, -v2 op_sel_hi:[1,0,0]
	v_mul_i32_i24_e32 v2, v7, v154
	v_mul_i32_i24_e32 v7, v142, v48
	;; [unrolled: 1-line block ×4, first 2 shown]
	v_fmac_f32_e32 v44, v4, v1
	v_mul_i32_i24_e32 v1, v6, v152
	v_mul_i32_i24_e32 v6, v141, v67
	;; [unrolled: 1-line block ×4, first 2 shown]
	s_delay_alu instid0(VALU_DEP_4) | instskip(SKIP_1) | instid1(VALU_DEP_2)
	v_mad_i32_i24 v1, v66, v144, v1
	v_mul_i32_i24_e32 v66, v146, v81
	v_add3_u32 v1, v1, v2, v5
	v_mul_i32_i24_e32 v2, v3, v70
	v_mul_i32_i24_e32 v5, v140, v47
	;; [unrolled: 1-line block ×4, first 2 shown]
	s_delay_alu instid0(VALU_DEP_3)
	v_add3_u32 v1, v1, v2, v5
	v_mul_i32_i24_e32 v2, v137, v14
	v_mul_i32_i24_e32 v5, v138, v9
	;; [unrolled: 1-line block ×4, first 2 shown]
	v_add3_u32 v1, v1, v6, v7
	v_mul_i32_i24_e32 v6, v139, v8
	v_mad_i32_i24 v2, v136, v10, v2
	v_mul_i32_i24_e32 v7, v126, v75
	v_mul_i32_i24_e32 v8, v127, v74
	v_mul_i32_i24_e32 v10, v129, v79
	v_add3_u32 v1, v1, v47, v48
	v_add3_u32 v2, v2, v5, v6
	v_mul_i32_i24_e32 v5, v124, v71
	v_mul_i32_i24_e32 v6, v125, v76
	;; [unrolled: 1-line block ×3, first 2 shown]
	v_add3_u32 v1, v1, v66, v67
	v_mul_i32_i24_e32 v48, v132, v84
	v_mul_i32_i24_e32 v66, v133, v85
	v_add3_u32 v2, v2, v5, v6
	v_mul_i32_i24_e32 v67, v134, v86
	v_add3_u32 v1, v1, v68, v70
	v_mul_i32_i24_e32 v68, v135, v73
	v_mul_i32_i24_e32 v5, v91, v123
	v_add3_u32 v2, v2, v7, v8
	v_mul_i32_i24_e32 v7, v99, v120
	;; [unrolled: 5-line block ×3, first 2 shown]
	v_mul_i32_i24_e32 v10, v96, v118
	v_mul_lo_u32 v1, v1, v153
	s_delay_alu instid0(VALU_DEP_4) | instskip(SKIP_1) | instid1(VALU_DEP_2)
	v_add3_u32 v2, v2, v14, v47
	v_mul_i32_i24_e32 v14, v97, v116
	v_add3_u32 v2, v2, v48, v66
	s_delay_alu instid0(VALU_DEP_2) | instskip(NEXT) | instid1(VALU_DEP_2)
	v_mad_i32_i24 v14, v100, v117, v14
	v_add3_u32 v2, v2, v67, v68
	s_delay_alu instid0(VALU_DEP_2) | instskip(NEXT) | instid1(VALU_DEP_2)
	v_add3_u32 v9, v14, v10, v9
	v_mad_co_u64_u32 v[1:2], null, v2, v115, v[1:2]
	s_delay_alu instid0(VALU_DEP_2) | instskip(NEXT) | instid1(VALU_DEP_1)
	v_add3_u32 v7, v9, v7, v8
	v_add3_u32 v5, v7, v6, v5
	s_delay_alu instid0(VALU_DEP_3) | instskip(NEXT) | instid1(VALU_DEP_2)
	v_cvt_f32_i32_e32 v1, v1
	v_cvt_f32_i32_e32 v2, v5
	s_delay_alu instid0(VALU_DEP_1) | instskip(NEXT) | instid1(VALU_DEP_1)
	v_mul_f32_e32 v2, v114, v2
	v_fma_mix_f32 v1, v113, v1, -v2 op_sel_hi:[1,0,0]
	s_delay_alu instid0(VALU_DEP_1) | instskip(SKIP_3) | instid1(VALU_DEP_1)
	v_fmac_f32_e32 v42, v4, v1
	scratch_load_b32 v1, off, off offset:36 ; 4-byte Folded Reload
	s_wait_loadcnt 0x0
	v_or_b32_e32 v1, s17, v1
	v_lshlrev_b32_e32 v2, 2, v1
	v_lshrrev_b32_e32 v1, 1, v1
	ds_load_b32 v4, v1 offset:30368
	ds_load_b128 v[66:69], v2 offset:16896
	ds_load_b128 v[70:73], v2 offset:16912
	s_wait_dscnt 0x1
	v_ashrrev_i32_e32 v5, 24, v66
	s_wait_dscnt 0x0
	v_lshrrev_b16 v1, 8, v70
	v_bfe_i32 v6, v66, 0, 8
	v_bfe_i32 v7, v66, 16, 8
	v_bfe_i32 v47, v67, 8, 8
	v_bfe_i32 v66, v66, 8, 8
	v_bfe_i32 v10, v1, 0, 8
	v_lshrrev_b16 v1, 8, v71
	v_bfe_i32 v14, v70, 0, 8
	v_ashrrev_i32_e32 v74, 24, v71
	v_bfe_i32 v75, v71, 16, 8
	v_bfe_i32 v71, v71, 0, 8
	;; [unrolled: 1-line block ×3, first 2 shown]
	v_lshrrev_b16 v1, 8, v68
	v_bfe_i32 v78, v72, 0, 8
	v_bfe_i32 v84, v73, 0, 8
	v_add_nc_u32_e32 v2, v71, v14
	v_ashrrev_i32_e32 v8, 24, v70
	v_bfe_i32 v77, v1, 0, 8
	v_lshrrev_b16 v1, 8, v69
	v_bfe_i32 v9, v70, 16, 8
	v_bfe_i32 v70, v67, 0, 8
	v_add3_u32 v99, v2, v78, v84
	v_mul_i32_i24_e32 v2, v7, v41
	v_bfe_i32 v83, v1, 0, 8
	v_add_nc_u32_e32 v1, v66, v47
	v_mul_i32_i24_e32 v101, v5, v43
	v_ashrrev_i32_e32 v48, 24, v67
	v_bfe_i32 v67, v67, 16, 8
	v_bfe_i32 v82, v68, 0, 8
	v_add3_u32 v100, v1, v77, v83
	v_mul_i32_i24_e32 v1, v6, v39
	v_mul_i32_i24_e32 v103, v93, v48
	;; [unrolled: 1-line block ×3, first 2 shown]
	v_bfe_i32 v81, v68, 16, 8
	v_ashrrev_i32_e32 v68, 24, v68
	v_mad_i32_i24 v1, v66, v61, v1
	v_mul_i32_i24_e32 v104, v94, v82
	v_mul_i32_i24_e32 v105, v95, v77
	v_bfe_i32 v79, v72, 8, 8
	v_bfe_i32 v88, v69, 0, 8
	v_add3_u32 v1, v1, v2, v101
	v_mul_i32_i24_e32 v2, v65, v70
	v_mul_i32_i24_e32 v101, v0, v47
	;; [unrolled: 1-line block ×4, first 2 shown]
	v_bfe_i32 v80, v72, 16, 8
	v_ashrrev_i32_e32 v72, 24, v72
	v_add3_u32 v1, v1, v2, v101
	v_mul_i32_i24_e32 v2, v58, v14
	v_mul_i32_i24_e32 v101, v59, v9
	v_bfe_i32 v85, v73, 8, 8
	v_bfe_i32 v86, v73, 16, 8
	v_add3_u32 v1, v1, v102, v103
	v_mul_i32_i24_e32 v102, v60, v8
	v_mad_i32_i24 v2, v246, v10, v2
	v_mul_i32_i24_e32 v103, v249, v75
	v_ashrrev_i32_e32 v73, 24, v73
	v_add3_u32 v1, v1, v104, v105
	v_mul_i32_i24_e32 v104, v250, v74
	v_add3_u32 v2, v2, v101, v102
	v_mul_i32_i24_e32 v101, v247, v71
	v_mul_i32_i24_e32 v102, v248, v76
	v_add_nc_u32_e32 v91, v74, v8
	v_bfe_i32 v87, v69, 16, 8
	v_ashrrev_i32_e32 v69, 24, v69
	v_mul_i32_i24_e32 v108, v34, v88
	v_add3_u32 v2, v2, v101, v102
	v_mul_i32_i24_e32 v109, v36, v83
	v_add3_u32 v1, v1, v106, v107
	v_mul_i32_i24_e32 v105, v251, v78
	v_mul_i32_i24_e32 v106, v252, v79
	v_add3_u32 v2, v2, v103, v104
	v_add_nc_u32_e32 v89, v76, v10
	v_add_nc_u32_e32 v90, v75, v9
	;; [unrolled: 1-line block ×3, first 2 shown]
	v_add3_u32 v91, v91, v72, v73
	v_mul_i32_i24_e32 v110, v37, v87
	v_mul_i32_i24_e32 v111, v38, v69
	v_add3_u32 v1, v1, v108, v109
	v_mul_i32_i24_e32 v107, v253, v80
	v_mul_i32_i24_e32 v108, v254, v72
	v_add3_u32 v2, v2, v105, v106
	v_add_nc_u32_e32 v96, v67, v7
	v_add_nc_u32_e32 v97, v70, v6
	v_add3_u32 v98, v98, v68, v69
	v_add3_u32 v90, v90, v80, v86
	;; [unrolled: 1-line block ×3, first 2 shown]
	v_mul_i32_i24_e32 v105, v91, v50
	v_add3_u32 v1, v1, v110, v111
	v_mul_i32_i24_e32 v109, v255, v84
	v_mul_i32_i24_e32 v110, v20, v85
	v_add3_u32 v2, v2, v107, v108
	v_add3_u32 v97, v97, v82, v88
	;; [unrolled: 1-line block ×3, first 2 shown]
	v_mul_i32_i24_e32 v101, v100, v52
	v_mul_i32_i24_e32 v102, v99, v62
	;; [unrolled: 1-line block ×4, first 2 shown]
	v_mad_i32_i24 v105, v98, v46, v105
	v_mul_i32_i24_e32 v111, v55, v86
	v_mul_i32_i24_e32 v112, v56, v73
	v_add3_u32 v2, v2, v109, v110
	v_mul_lo_u32 v1, v1, v245
	v_mad_i32_i24 v104, v96, v49, v104
	v_mad_i32_i24 v102, v97, v45, v102
	v_add3_u32 v101, v101, v103, v105
	v_add3_u32 v2, v2, v111, v112
	v_mul_i32_i24_e32 v103, v230, v48
	v_mul_i32_i24_e32 v105, v233, v77
	;; [unrolled: 1-line block ×3, first 2 shown]
	v_add3_u32 v101, v102, v104, v101
	v_mad_co_u64_u32 v[1:2], null, v2, v64, v[1:2]
	v_mul_i32_i24_e32 v102, v229, v67
	v_mul_i32_i24_e32 v104, v231, v82
	s_delay_alu instid0(VALU_DEP_4)
	v_cvt_f32_i32_e32 v2, v101
	v_mul_i32_i24_e32 v101, v5, v243
	v_mul_i32_i24_e32 v107, v235, v68
	;; [unrolled: 1-line block ×3, first 2 shown]
	v_cvt_f32_i32_e32 v1, v1
	v_mul_f32_e32 v2, v13, v2
	v_mul_i32_i24_e32 v109, v237, v83
	v_mul_i32_i24_e32 v110, v238, v87
	;; [unrolled: 1-line block ×4, first 2 shown]
	v_fma_mix_f32 v1, v244, v1, -v2 op_sel_hi:[1,0,0]
	v_mul_i32_i24_e32 v2, v7, v242
	s_delay_alu instid0(VALU_DEP_2) | instskip(SKIP_1) | instid1(VALU_DEP_1)
	v_fmac_f32_e32 v40, v4, v1
	v_mul_i32_i24_e32 v1, v6, v240
	v_mad_i32_i24 v1, v66, v232, v1
	s_delay_alu instid0(VALU_DEP_1) | instskip(SKIP_2) | instid1(VALU_DEP_1)
	v_add3_u32 v1, v1, v2, v101
	v_mul_i32_i24_e32 v2, v227, v70
	v_mul_i32_i24_e32 v101, v228, v47
	v_add3_u32 v1, v1, v2, v101
	v_mul_i32_i24_e32 v2, v223, v14
	v_mul_i32_i24_e32 v101, v225, v9
	s_delay_alu instid0(VALU_DEP_3) | instskip(SKIP_1) | instid1(VALU_DEP_4)
	v_add3_u32 v1, v1, v102, v103
	v_mul_i32_i24_e32 v102, v226, v8
	v_mad_i32_i24 v2, v212, v10, v2
	v_mul_i32_i24_e32 v103, v211, v75
	s_delay_alu instid0(VALU_DEP_4) | instskip(SKIP_1) | instid1(VALU_DEP_4)
	v_add3_u32 v1, v1, v104, v105
	v_mul_i32_i24_e32 v104, v213, v74
	v_add3_u32 v2, v2, v101, v102
	v_mul_i32_i24_e32 v101, v209, v71
	v_mul_i32_i24_e32 v102, v210, v76
	v_add3_u32 v1, v1, v106, v107
	v_mul_i32_i24_e32 v105, v214, v78
	v_mul_i32_i24_e32 v106, v215, v79
	v_mul_i32_i24_e32 v107, v216, v80
	v_add3_u32 v2, v2, v101, v102
	v_add3_u32 v1, v1, v108, v109
	v_mul_i32_i24_e32 v108, v217, v72
	v_mul_i32_i24_e32 v109, v218, v84
	v_mul_i32_i24_e32 v101, v91, v208
	v_add3_u32 v2, v2, v103, v104
	;; [unrolled: 5-line block ×3, first 2 shown]
	v_mul_i32_i24_e32 v105, v98, v204
	v_mul_i32_i24_e32 v106, v96, v203
	;; [unrolled: 1-line block ×3, first 2 shown]
	v_mul_lo_u32 v1, v1, v241
	v_add3_u32 v2, v2, v107, v108
	v_mul_i32_i24_e32 v107, v97, v201
	v_mul_i32_i24_e32 v102, v90, v207
	;; [unrolled: 1-line block ×3, first 2 shown]
	s_delay_alu instid0(VALU_DEP_4) | instskip(NEXT) | instid1(VALU_DEP_4)
	v_add3_u32 v2, v2, v109, v110
	v_mad_i32_i24 v107, v100, v202, v107
	v_mul_i32_i24_e32 v109, v193, v83
	v_mul_i32_i24_e32 v110, v194, v87
	s_delay_alu instid0(VALU_DEP_4) | instskip(NEXT) | instid1(VALU_DEP_4)
	v_add3_u32 v2, v2, v111, v112
	v_add3_u32 v105, v107, v106, v105
	v_mul_i32_i24_e32 v106, v190, v81
	v_mul_i32_i24_e32 v107, v191, v68
	;; [unrolled: 1-line block ×3, first 2 shown]
	v_mad_co_u64_u32 v[1:2], null, v2, v222, v[1:2]
	v_add3_u32 v103, v105, v103, v104
	v_mul_i32_i24_e32 v104, v187, v82
	v_mul_i32_i24_e32 v105, v189, v77
	;; [unrolled: 1-line block ×4, first 2 shown]
	v_add3_u32 v101, v103, v102, v101
	v_cvt_f32_i32_e32 v1, v1
	v_mul_i32_i24_e32 v102, v185, v67
	v_mul_i32_i24_e32 v103, v186, v48
	s_delay_alu instid0(VALU_DEP_4) | instskip(SKIP_2) | instid1(VALU_DEP_3)
	v_cvt_f32_i32_e32 v2, v101
	v_mul_i32_i24_e32 v101, v5, v200
	v_mul_i32_i24_e32 v5, v5, v156
	v_mul_f32_e32 v2, v224, v2
	s_delay_alu instid0(VALU_DEP_1) | instskip(SKIP_1) | instid1(VALU_DEP_2)
	v_fma_mix_f32 v1, v199, v1, -v2 op_sel_hi:[1,0,0]
	v_mul_i32_i24_e32 v2, v7, v198
	v_fmac_f32_e32 v35, v4, v1
	v_mul_i32_i24_e32 v1, v6, v196
	s_delay_alu instid0(VALU_DEP_1) | instskip(NEXT) | instid1(VALU_DEP_1)
	v_mad_i32_i24 v1, v66, v188, v1
	v_add3_u32 v1, v1, v2, v101
	v_mul_i32_i24_e32 v2, v183, v70
	v_mul_i32_i24_e32 v101, v184, v47
	s_delay_alu instid0(VALU_DEP_1) | instskip(SKIP_2) | instid1(VALU_DEP_3)
	v_add3_u32 v1, v1, v2, v101
	v_mul_i32_i24_e32 v2, v179, v14
	v_mul_i32_i24_e32 v101, v181, v9
	v_add3_u32 v1, v1, v102, v103
	v_mul_i32_i24_e32 v102, v182, v8
	s_delay_alu instid0(VALU_DEP_4) | instskip(SKIP_1) | instid1(VALU_DEP_4)
	v_mad_i32_i24 v2, v168, v10, v2
	v_mul_i32_i24_e32 v103, v167, v75
	v_add3_u32 v1, v1, v104, v105
	v_mul_i32_i24_e32 v104, v169, v74
	s_delay_alu instid0(VALU_DEP_4)
	v_add3_u32 v2, v2, v101, v102
	v_mul_i32_i24_e32 v101, v165, v71
	v_mul_i32_i24_e32 v102, v166, v76
	v_add3_u32 v1, v1, v106, v107
	v_mul_i32_i24_e32 v105, v170, v78
	v_mul_i32_i24_e32 v106, v171, v79
	v_mul_i32_i24_e32 v107, v172, v80
	v_add3_u32 v2, v2, v101, v102
	v_add3_u32 v1, v1, v108, v109
	v_mul_i32_i24_e32 v108, v173, v72
	v_mul_i32_i24_e32 v109, v174, v84
	v_mul_i32_i24_e32 v101, v91, v164
	v_add3_u32 v2, v2, v103, v104
	;; [unrolled: 5-line block ×3, first 2 shown]
	v_mul_i32_i24_e32 v105, v98, v160
	v_mul_i32_i24_e32 v106, v96, v159
	;; [unrolled: 1-line block ×3, first 2 shown]
	v_mul_lo_u32 v1, v1, v197
	v_add3_u32 v2, v2, v107, v108
	v_mul_i32_i24_e32 v107, v97, v157
	v_mul_i32_i24_e32 v102, v90, v163
	s_delay_alu instid0(VALU_DEP_3) | instskip(NEXT) | instid1(VALU_DEP_3)
	v_add3_u32 v2, v2, v109, v110
	v_mad_i32_i24 v107, v100, v158, v107
	s_delay_alu instid0(VALU_DEP_2) | instskip(NEXT) | instid1(VALU_DEP_2)
	v_add3_u32 v2, v2, v111, v112
	v_add3_u32 v105, v107, v106, v105
	s_delay_alu instid0(VALU_DEP_2) | instskip(NEXT) | instid1(VALU_DEP_2)
	v_mad_co_u64_u32 v[1:2], null, v2, v178, v[1:2]
	v_add3_u32 v103, v105, v103, v104
	s_delay_alu instid0(VALU_DEP_1) | instskip(NEXT) | instid1(VALU_DEP_3)
	v_add3_u32 v101, v103, v102, v101
	v_cvt_f32_i32_e32 v1, v1
	s_delay_alu instid0(VALU_DEP_2) | instskip(NEXT) | instid1(VALU_DEP_1)
	v_cvt_f32_i32_e32 v2, v101
	v_mul_f32_e32 v2, v180, v2
	s_delay_alu instid0(VALU_DEP_1)
	v_fma_mix_f32 v1, v155, v1, -v2 op_sel_hi:[1,0,0]
	v_mul_i32_i24_e32 v2, v7, v154
	v_mul_i32_i24_e32 v7, v142, v48
	;; [unrolled: 1-line block ×4, first 2 shown]
	v_fmac_f32_e32 v32, v4, v1
	v_mul_i32_i24_e32 v1, v6, v152
	v_mul_i32_i24_e32 v6, v141, v67
	;; [unrolled: 1-line block ×4, first 2 shown]
	s_delay_alu instid0(VALU_DEP_4) | instskip(SKIP_1) | instid1(VALU_DEP_2)
	v_mad_i32_i24 v1, v66, v144, v1
	v_mul_i32_i24_e32 v66, v146, v81
	v_add3_u32 v1, v1, v2, v5
	v_mul_i32_i24_e32 v2, v3, v70
	v_mul_i32_i24_e32 v5, v140, v47
	;; [unrolled: 1-line block ×4, first 2 shown]
	s_delay_alu instid0(VALU_DEP_3)
	v_add3_u32 v1, v1, v2, v5
	v_mul_i32_i24_e32 v2, v137, v14
	v_mul_i32_i24_e32 v5, v138, v9
	;; [unrolled: 1-line block ×4, first 2 shown]
	v_add3_u32 v1, v1, v6, v7
	v_mul_i32_i24_e32 v6, v139, v8
	v_mad_i32_i24 v2, v136, v10, v2
	v_mul_i32_i24_e32 v7, v126, v75
	v_mul_i32_i24_e32 v8, v127, v74
	;; [unrolled: 1-line block ×3, first 2 shown]
	v_add3_u32 v1, v1, v47, v48
	v_add3_u32 v2, v2, v5, v6
	v_mul_i32_i24_e32 v5, v124, v71
	v_mul_i32_i24_e32 v6, v125, v76
	;; [unrolled: 1-line block ×3, first 2 shown]
	v_add3_u32 v1, v1, v66, v67
	v_mul_i32_i24_e32 v48, v132, v84
	v_mul_i32_i24_e32 v66, v133, v85
	v_add3_u32 v2, v2, v5, v6
	v_mul_i32_i24_e32 v67, v134, v86
	v_add3_u32 v1, v1, v68, v70
	v_mul_i32_i24_e32 v68, v135, v73
	v_mul_i32_i24_e32 v5, v91, v123
	v_add3_u32 v2, v2, v7, v8
	v_mul_i32_i24_e32 v7, v99, v120
	v_add3_u32 v1, v1, v77, v69
	v_mul_i32_i24_e32 v8, v89, v121
	v_mul_i32_i24_e32 v6, v90, v122
	v_add3_u32 v2, v2, v9, v10
	v_mul_i32_i24_e32 v9, v98, v119
	v_mul_i32_i24_e32 v10, v96, v118
	v_mul_lo_u32 v1, v1, v153
	s_delay_alu instid0(VALU_DEP_4) | instskip(SKIP_1) | instid1(VALU_DEP_2)
	v_add3_u32 v2, v2, v14, v47
	v_mul_i32_i24_e32 v14, v97, v116
	v_add3_u32 v2, v2, v48, v66
	s_delay_alu instid0(VALU_DEP_2) | instskip(NEXT) | instid1(VALU_DEP_2)
	v_mad_i32_i24 v14, v100, v117, v14
	v_add3_u32 v2, v2, v67, v68
	s_delay_alu instid0(VALU_DEP_2) | instskip(NEXT) | instid1(VALU_DEP_2)
	v_add3_u32 v9, v14, v10, v9
	v_mad_co_u64_u32 v[1:2], null, v2, v115, v[1:2]
	s_delay_alu instid0(VALU_DEP_2) | instskip(NEXT) | instid1(VALU_DEP_1)
	v_add3_u32 v7, v9, v7, v8
	v_add3_u32 v5, v7, v6, v5
	s_delay_alu instid0(VALU_DEP_3) | instskip(NEXT) | instid1(VALU_DEP_2)
	v_cvt_f32_i32_e32 v1, v1
	v_cvt_f32_i32_e32 v2, v5
	s_delay_alu instid0(VALU_DEP_1) | instskip(NEXT) | instid1(VALU_DEP_1)
	v_mul_f32_e32 v2, v114, v2
	v_fma_mix_f32 v1, v113, v1, -v2 op_sel_hi:[1,0,0]
	s_delay_alu instid0(VALU_DEP_1) | instskip(SKIP_3) | instid1(VALU_DEP_1)
	v_fmac_f32_e32 v31, v4, v1
	scratch_load_b32 v1, off, off offset:40 ; 4-byte Folded Reload
	s_wait_loadcnt 0x0
	v_or_b32_e32 v1, s17, v1
	v_lshlrev_b32_e32 v2, 2, v1
	v_lshrrev_b32_e32 v1, 1, v1
	ds_load_b32 v4, v1 offset:30368
	ds_load_b128 v[66:69], v2 offset:16896
	ds_load_b128 v[70:73], v2 offset:16912
	s_wait_dscnt 0x1
	v_ashrrev_i32_e32 v8, 24, v66
	s_wait_dscnt 0x0
	v_bfe_i32 v77, v70, 0, 8
	v_bfe_i32 v78, v70, 8, 8
	v_bfe_i32 v79, v70, 16, 8
	v_ashrrev_i32_e32 v70, 24, v70
	v_bfe_i32 v80, v71, 0, 8
	v_bfe_i32 v81, v71, 8, 8
	v_bfe_i32 v82, v71, 16, 8
	v_ashrrev_i32_e32 v71, 24, v71
	;; [unrolled: 4-line block ×4, first 2 shown]
	v_add_nc_u32_e32 v1, v71, v70
	v_ashrrev_i32_e32 v47, 24, v67
	v_bfe_i32 v5, v66, 0, 8
	v_bfe_i32 v6, v66, 8, 8
	;; [unrolled: 1-line block ×3, first 2 shown]
	v_add3_u32 v89, v1, v72, v73
	v_add_nc_u32_e32 v1, v82, v79
	v_bfe_i32 v9, v67, 0, 8
	v_bfe_i32 v10, v67, 8, 8
	;; [unrolled: 1-line block ×4, first 2 shown]
	v_add3_u32 v90, v1, v85, v88
	v_add_nc_u32_e32 v1, v80, v77
	v_bfe_i32 v66, v68, 8, 8
	v_bfe_i32 v67, v68, 16, 8
	v_ashrrev_i32_e32 v68, 24, v68
	v_bfe_i32 v74, v69, 0, 8
	v_add3_u32 v91, v1, v83, v86
	v_add_nc_u32_e32 v1, v81, v78
	v_bfe_i32 v75, v69, 8, 8
	v_bfe_i32 v76, v69, 16, 8
	v_ashrrev_i32_e32 v69, 24, v69
	v_mul_i32_i24_e32 v2, v7, v41
	v_add3_u32 v96, v1, v84, v87
	v_add_nc_u32_e32 v1, v47, v8
	v_mul_i32_i24_e32 v101, v8, v43
	v_mul_i32_i24_e32 v102, v92, v14
	v_mul_i32_i24_e32 v103, v93, v47
	v_mul_i32_i24_e32 v104, v94, v48
	v_add3_u32 v97, v1, v68, v69
	v_add_nc_u32_e32 v1, v14, v7
	v_mul_i32_i24_e32 v105, v95, v66
	v_mul_i32_i24_e32 v106, v30, v67
	v_mul_i32_i24_e32 v107, v33, v68
	v_mul_i32_i24_e32 v108, v34, v74
	v_add3_u32 v98, v1, v67, v76
	v_add_nc_u32_e32 v1, v10, v6
	v_mul_i32_i24_e32 v109, v36, v75
	v_mul_i32_i24_e32 v110, v37, v76
	v_mul_i32_i24_e32 v111, v38, v69
	v_mul_i32_i24_e32 v112, v56, v73
	v_add3_u32 v99, v1, v66, v75
	v_add_nc_u32_e32 v1, v9, v5
	s_delay_alu instid0(VALU_DEP_1) | instskip(SKIP_1) | instid1(VALU_DEP_1)
	v_add3_u32 v100, v1, v48, v74
	v_mul_i32_i24_e32 v1, v5, v39
	v_mad_i32_i24 v1, v6, v61, v1
	s_delay_alu instid0(VALU_DEP_1) | instskip(SKIP_2) | instid1(VALU_DEP_1)
	v_add3_u32 v1, v1, v2, v101
	v_mul_i32_i24_e32 v2, v65, v9
	v_mul_i32_i24_e32 v101, v0, v10
	v_add3_u32 v1, v1, v2, v101
	v_mul_i32_i24_e32 v2, v58, v77
	v_mul_i32_i24_e32 v101, v59, v79
	s_delay_alu instid0(VALU_DEP_3) | instskip(SKIP_1) | instid1(VALU_DEP_4)
	v_add3_u32 v1, v1, v102, v103
	v_mul_i32_i24_e32 v102, v60, v70
	v_mad_i32_i24 v2, v246, v78, v2
	v_mul_i32_i24_e32 v103, v249, v82
	s_delay_alu instid0(VALU_DEP_4) | instskip(SKIP_1) | instid1(VALU_DEP_4)
	v_add3_u32 v1, v1, v104, v105
	v_mul_i32_i24_e32 v104, v250, v71
	v_add3_u32 v2, v2, v101, v102
	v_mul_i32_i24_e32 v101, v247, v80
	v_mul_i32_i24_e32 v102, v248, v81
	v_add3_u32 v1, v1, v106, v107
	v_mul_i32_i24_e32 v105, v251, v83
	v_mul_i32_i24_e32 v106, v252, v84
	v_mul_i32_i24_e32 v107, v253, v85
	v_add3_u32 v2, v2, v101, v102
	v_add3_u32 v1, v1, v108, v109
	v_mul_i32_i24_e32 v108, v254, v72
	v_mul_i32_i24_e32 v109, v255, v86
	v_mul_i32_i24_e32 v101, v89, v50
	v_add3_u32 v2, v2, v103, v104
	v_add3_u32 v1, v1, v110, v111
	v_mul_i32_i24_e32 v110, v20, v87
	v_mul_i32_i24_e32 v103, v91, v62
	v_mul_i32_i24_e32 v104, v96, v53
	v_add3_u32 v2, v2, v105, v106
	v_mul_i32_i24_e32 v105, v97, v46
	v_mul_i32_i24_e32 v106, v98, v49
	;; [unrolled: 1-line block ×3, first 2 shown]
	v_mul_lo_u32 v1, v1, v245
	v_add3_u32 v2, v2, v107, v108
	v_mul_i32_i24_e32 v107, v100, v45
	v_mul_i32_i24_e32 v102, v90, v54
	;; [unrolled: 1-line block ×3, first 2 shown]
	s_delay_alu instid0(VALU_DEP_4) | instskip(NEXT) | instid1(VALU_DEP_4)
	v_add3_u32 v2, v2, v109, v110
	v_mad_i32_i24 v107, v99, v52, v107
	v_mul_i32_i24_e32 v109, v237, v75
	v_mul_i32_i24_e32 v110, v238, v76
	s_delay_alu instid0(VALU_DEP_4) | instskip(NEXT) | instid1(VALU_DEP_4)
	v_add3_u32 v2, v2, v111, v112
	v_add3_u32 v105, v107, v106, v105
	v_mul_i32_i24_e32 v106, v234, v67
	v_mul_i32_i24_e32 v107, v235, v68
	;; [unrolled: 1-line block ×3, first 2 shown]
	v_mad_co_u64_u32 v[1:2], null, v2, v64, v[1:2]
	v_add3_u32 v103, v105, v103, v104
	v_mul_i32_i24_e32 v104, v231, v48
	v_mul_i32_i24_e32 v105, v233, v66
	;; [unrolled: 1-line block ×3, first 2 shown]
	s_delay_alu instid0(VALU_DEP_4) | instskip(SKIP_3) | instid1(VALU_DEP_4)
	v_add3_u32 v101, v103, v102, v101
	v_cvt_f32_i32_e32 v1, v1
	v_mul_i32_i24_e32 v102, v229, v14
	v_mul_i32_i24_e32 v103, v230, v47
	v_cvt_f32_i32_e32 v2, v101
	v_mul_i32_i24_e32 v101, v8, v243
	s_delay_alu instid0(VALU_DEP_2) | instskip(NEXT) | instid1(VALU_DEP_1)
	v_mul_f32_e32 v2, v13, v2
	v_fma_mix_f32 v1, v244, v1, -v2 op_sel_hi:[1,0,0]
	v_mul_i32_i24_e32 v2, v7, v242
	s_delay_alu instid0(VALU_DEP_2) | instskip(SKIP_1) | instid1(VALU_DEP_1)
	v_fmac_f32_e32 v28, v4, v1
	v_mul_i32_i24_e32 v1, v5, v240
	v_mad_i32_i24 v1, v6, v232, v1
	s_delay_alu instid0(VALU_DEP_1) | instskip(SKIP_2) | instid1(VALU_DEP_1)
	v_add3_u32 v1, v1, v2, v101
	v_mul_i32_i24_e32 v2, v227, v9
	v_mul_i32_i24_e32 v101, v228, v10
	v_add3_u32 v1, v1, v2, v101
	v_mul_i32_i24_e32 v2, v223, v77
	v_mul_i32_i24_e32 v101, v225, v79
	s_delay_alu instid0(VALU_DEP_3) | instskip(SKIP_1) | instid1(VALU_DEP_4)
	v_add3_u32 v1, v1, v102, v103
	v_mul_i32_i24_e32 v102, v226, v70
	v_mad_i32_i24 v2, v212, v78, v2
	v_mul_i32_i24_e32 v103, v211, v82
	s_delay_alu instid0(VALU_DEP_4) | instskip(SKIP_1) | instid1(VALU_DEP_4)
	v_add3_u32 v1, v1, v104, v105
	v_mul_i32_i24_e32 v104, v213, v71
	v_add3_u32 v2, v2, v101, v102
	v_mul_i32_i24_e32 v101, v209, v80
	v_mul_i32_i24_e32 v102, v210, v81
	v_add3_u32 v1, v1, v106, v107
	v_mul_i32_i24_e32 v105, v214, v83
	v_mul_i32_i24_e32 v106, v215, v84
	v_mul_i32_i24_e32 v107, v216, v85
	v_add3_u32 v2, v2, v101, v102
	v_add3_u32 v1, v1, v108, v109
	v_mul_i32_i24_e32 v108, v217, v72
	v_mul_i32_i24_e32 v109, v218, v86
	v_mul_i32_i24_e32 v101, v89, v208
	v_add3_u32 v2, v2, v103, v104
	;; [unrolled: 5-line block ×3, first 2 shown]
	v_mul_i32_i24_e32 v105, v97, v204
	v_mul_i32_i24_e32 v106, v98, v203
	;; [unrolled: 1-line block ×3, first 2 shown]
	v_mul_lo_u32 v1, v1, v241
	v_add3_u32 v2, v2, v107, v108
	v_mul_i32_i24_e32 v107, v100, v201
	v_mul_i32_i24_e32 v102, v90, v207
	;; [unrolled: 1-line block ×3, first 2 shown]
	s_delay_alu instid0(VALU_DEP_4) | instskip(NEXT) | instid1(VALU_DEP_4)
	v_add3_u32 v2, v2, v109, v110
	v_mad_i32_i24 v107, v99, v202, v107
	v_mul_i32_i24_e32 v109, v193, v75
	v_mul_i32_i24_e32 v110, v194, v76
	s_delay_alu instid0(VALU_DEP_4) | instskip(NEXT) | instid1(VALU_DEP_4)
	v_add3_u32 v2, v2, v111, v112
	v_add3_u32 v105, v107, v106, v105
	v_mul_i32_i24_e32 v106, v190, v67
	v_mul_i32_i24_e32 v107, v191, v68
	;; [unrolled: 1-line block ×3, first 2 shown]
	v_mad_co_u64_u32 v[1:2], null, v2, v222, v[1:2]
	v_add3_u32 v103, v105, v103, v104
	v_mul_i32_i24_e32 v104, v187, v48
	v_mul_i32_i24_e32 v105, v189, v66
	;; [unrolled: 1-line block ×3, first 2 shown]
	s_delay_alu instid0(VALU_DEP_4) | instskip(SKIP_3) | instid1(VALU_DEP_4)
	v_add3_u32 v101, v103, v102, v101
	v_cvt_f32_i32_e32 v1, v1
	v_mul_i32_i24_e32 v102, v185, v14
	v_mul_i32_i24_e32 v103, v186, v47
	v_cvt_f32_i32_e32 v2, v101
	v_mul_i32_i24_e32 v101, v8, v200
	s_delay_alu instid0(VALU_DEP_2) | instskip(NEXT) | instid1(VALU_DEP_1)
	v_mul_f32_e32 v2, v224, v2
	v_fma_mix_f32 v1, v199, v1, -v2 op_sel_hi:[1,0,0]
	v_mul_i32_i24_e32 v2, v7, v198
	s_delay_alu instid0(VALU_DEP_2) | instskip(SKIP_1) | instid1(VALU_DEP_1)
	v_fmac_f32_e32 v27, v4, v1
	v_mul_i32_i24_e32 v1, v5, v196
	v_mad_i32_i24 v1, v6, v188, v1
	s_delay_alu instid0(VALU_DEP_1) | instskip(SKIP_2) | instid1(VALU_DEP_1)
	v_add3_u32 v1, v1, v2, v101
	v_mul_i32_i24_e32 v2, v183, v9
	v_mul_i32_i24_e32 v101, v184, v10
	v_add3_u32 v1, v1, v2, v101
	v_mul_i32_i24_e32 v2, v179, v77
	v_mul_i32_i24_e32 v101, v181, v79
	s_delay_alu instid0(VALU_DEP_3) | instskip(SKIP_1) | instid1(VALU_DEP_4)
	v_add3_u32 v1, v1, v102, v103
	v_mul_i32_i24_e32 v102, v182, v70
	v_mad_i32_i24 v2, v168, v78, v2
	v_mul_i32_i24_e32 v103, v167, v82
	s_delay_alu instid0(VALU_DEP_4) | instskip(SKIP_1) | instid1(VALU_DEP_4)
	v_add3_u32 v1, v1, v104, v105
	v_mul_i32_i24_e32 v104, v169, v71
	v_add3_u32 v2, v2, v101, v102
	v_mul_i32_i24_e32 v101, v165, v80
	v_mul_i32_i24_e32 v102, v166, v81
	v_add3_u32 v1, v1, v106, v107
	v_mul_i32_i24_e32 v105, v170, v83
	v_mul_i32_i24_e32 v106, v171, v84
	v_mul_i32_i24_e32 v107, v172, v85
	v_add3_u32 v2, v2, v101, v102
	v_add3_u32 v1, v1, v108, v109
	v_mul_i32_i24_e32 v108, v173, v72
	v_mul_i32_i24_e32 v109, v174, v86
	v_mul_i32_i24_e32 v101, v89, v164
	v_add3_u32 v2, v2, v103, v104
	v_add3_u32 v1, v1, v110, v111
	v_mul_i32_i24_e32 v110, v175, v87
	v_mul_i32_i24_e32 v103, v91, v161
	v_mul_i32_i24_e32 v104, v96, v162
	v_add3_u32 v2, v2, v105, v106
	v_mul_i32_i24_e32 v105, v97, v160
	v_mul_i32_i24_e32 v106, v98, v159
	v_mul_i32_i24_e32 v111, v176, v88
	v_mul_lo_u32 v1, v1, v197
	v_add3_u32 v2, v2, v107, v108
	v_mul_i32_i24_e32 v107, v100, v157
	v_mul_i32_i24_e32 v102, v90, v163
	s_delay_alu instid0(VALU_DEP_3) | instskip(NEXT) | instid1(VALU_DEP_3)
	v_add3_u32 v2, v2, v109, v110
	v_mad_i32_i24 v107, v99, v158, v107
	s_delay_alu instid0(VALU_DEP_2) | instskip(NEXT) | instid1(VALU_DEP_2)
	v_add3_u32 v2, v2, v111, v112
	v_add3_u32 v105, v107, v106, v105
	s_delay_alu instid0(VALU_DEP_2) | instskip(NEXT) | instid1(VALU_DEP_2)
	v_mad_co_u64_u32 v[1:2], null, v2, v178, v[1:2]
	v_add3_u32 v103, v105, v103, v104
	s_delay_alu instid0(VALU_DEP_1) | instskip(NEXT) | instid1(VALU_DEP_3)
	v_add3_u32 v101, v103, v102, v101
	v_cvt_f32_i32_e32 v1, v1
	s_delay_alu instid0(VALU_DEP_2) | instskip(NEXT) | instid1(VALU_DEP_1)
	v_cvt_f32_i32_e32 v2, v101
	v_mul_f32_e32 v2, v180, v2
	s_delay_alu instid0(VALU_DEP_1) | instskip(SKIP_3) | instid1(VALU_DEP_4)
	v_fma_mix_f32 v1, v155, v1, -v2 op_sel_hi:[1,0,0]
	v_mul_i32_i24_e32 v2, v7, v154
	v_mul_i32_i24_e32 v7, v142, v47
	;; [unrolled: 1-line block ×3, first 2 shown]
	v_fmac_f32_e32 v26, v4, v1
	v_mul_i32_i24_e32 v1, v5, v152
	v_mul_i32_i24_e32 v5, v8, v156
	;; [unrolled: 1-line block ×4, first 2 shown]
	s_delay_alu instid0(VALU_DEP_4) | instskip(SKIP_3) | instid1(VALU_DEP_4)
	v_mad_i32_i24 v1, v6, v144, v1
	v_mul_i32_i24_e32 v6, v141, v14
	v_mul_i32_i24_e32 v14, v147, v68
	;; [unrolled: 1-line block ×3, first 2 shown]
	v_add3_u32 v1, v1, v2, v5
	v_mul_i32_i24_e32 v2, v3, v9
	v_mul_i32_i24_e32 v5, v140, v10
	;; [unrolled: 1-line block ×6, first 2 shown]
	v_add3_u32 v1, v1, v2, v5
	v_mul_i32_i24_e32 v2, v137, v77
	v_mul_i32_i24_e32 v5, v138, v79
	s_delay_alu instid0(VALU_DEP_3) | instskip(SKIP_1) | instid1(VALU_DEP_4)
	v_add3_u32 v1, v1, v6, v7
	v_mul_i32_i24_e32 v6, v139, v70
	v_mad_i32_i24 v2, v136, v78, v2
	v_mul_i32_i24_e32 v7, v126, v82
	s_delay_alu instid0(VALU_DEP_4) | instskip(SKIP_1) | instid1(VALU_DEP_4)
	v_add3_u32 v1, v1, v8, v9
	v_mul_i32_i24_e32 v8, v127, v71
	v_add3_u32 v2, v2, v5, v6
	v_mul_i32_i24_e32 v5, v124, v80
	v_mul_i32_i24_e32 v6, v125, v81
	v_add3_u32 v1, v1, v10, v14
	v_mul_i32_i24_e32 v9, v128, v83
	v_mul_i32_i24_e32 v10, v129, v84
	v_mul_i32_i24_e32 v14, v130, v85
	v_add3_u32 v2, v2, v5, v6
	v_add3_u32 v1, v1, v47, v48
	v_mul_i32_i24_e32 v47, v131, v72
	v_mul_i32_i24_e32 v48, v132, v86
	v_mul_i32_i24_e32 v5, v89, v123
	v_add3_u32 v2, v2, v7, v8
	v_add3_u32 v1, v1, v66, v67
	v_mul_i32_i24_e32 v66, v133, v87
	v_mul_i32_i24_e32 v7, v91, v120
	v_mul_i32_i24_e32 v8, v96, v121
	v_add3_u32 v2, v2, v9, v10
	v_mul_i32_i24_e32 v9, v97, v119
	v_mul_i32_i24_e32 v10, v98, v118
	v_mul_i32_i24_e32 v67, v134, v88
	v_mul_lo_u32 v1, v1, v153
	v_add3_u32 v2, v2, v14, v47
	v_mul_i32_i24_e32 v14, v100, v116
	v_mul_i32_i24_e32 v6, v90, v122
	s_delay_alu instid0(VALU_DEP_3) | instskip(NEXT) | instid1(VALU_DEP_3)
	v_add3_u32 v2, v2, v48, v66
	v_mad_i32_i24 v14, v99, v117, v14
	s_delay_alu instid0(VALU_DEP_2) | instskip(NEXT) | instid1(VALU_DEP_2)
	v_add3_u32 v2, v2, v67, v68
	v_add3_u32 v9, v14, v10, v9
	s_delay_alu instid0(VALU_DEP_2) | instskip(NEXT) | instid1(VALU_DEP_2)
	v_mad_co_u64_u32 v[1:2], null, v2, v115, v[1:2]
	v_add3_u32 v7, v9, v7, v8
	s_delay_alu instid0(VALU_DEP_1) | instskip(NEXT) | instid1(VALU_DEP_3)
	v_add3_u32 v5, v7, v6, v5
	v_cvt_f32_i32_e32 v1, v1
	s_delay_alu instid0(VALU_DEP_2) | instskip(NEXT) | instid1(VALU_DEP_1)
	v_cvt_f32_i32_e32 v2, v5
	v_mul_f32_e32 v2, v114, v2
	s_delay_alu instid0(VALU_DEP_1) | instskip(NEXT) | instid1(VALU_DEP_1)
	v_fma_mix_f32 v1, v113, v1, -v2 op_sel_hi:[1,0,0]
	v_fmac_f32_e32 v25, v4, v1
	scratch_load_b32 v1, off, off offset:28 ; 4-byte Folded Reload
	s_wait_loadcnt 0x0
	v_or_b32_e32 v1, s17, v1
	s_delay_alu instid0(VALU_DEP_1)
	v_lshlrev_b32_e32 v2, 2, v1
	v_lshrrev_b32_e32 v1, 1, v1
	ds_load_b32 v4, v1 offset:30368
	ds_load_b128 v[66:69], v2 offset:16896
	ds_load_b128 v[70:73], v2 offset:16912
	s_wait_dscnt 0x1
	v_ashrrev_i32_e32 v8, 24, v66
	s_wait_dscnt 0x0
	v_bfe_i32 v77, v70, 0, 8
	v_bfe_i32 v78, v70, 8, 8
	v_bfe_i32 v79, v70, 16, 8
	v_ashrrev_i32_e32 v70, 24, v70
	v_bfe_i32 v80, v71, 0, 8
	v_bfe_i32 v81, v71, 8, 8
	v_bfe_i32 v82, v71, 16, 8
	v_ashrrev_i32_e32 v71, 24, v71
	;; [unrolled: 4-line block ×4, first 2 shown]
	v_add_nc_u32_e32 v1, v71, v70
	v_ashrrev_i32_e32 v47, 24, v67
	v_bfe_i32 v5, v66, 0, 8
	v_bfe_i32 v6, v66, 8, 8
	;; [unrolled: 1-line block ×3, first 2 shown]
	v_add3_u32 v89, v1, v72, v73
	v_add_nc_u32_e32 v1, v82, v79
	v_bfe_i32 v9, v67, 0, 8
	v_bfe_i32 v10, v67, 8, 8
	;; [unrolled: 1-line block ×4, first 2 shown]
	v_add3_u32 v90, v1, v85, v88
	v_add_nc_u32_e32 v1, v80, v77
	v_bfe_i32 v66, v68, 8, 8
	v_bfe_i32 v67, v68, 16, 8
	v_ashrrev_i32_e32 v68, 24, v68
	v_bfe_i32 v74, v69, 0, 8
	v_add3_u32 v91, v1, v83, v86
	v_add_nc_u32_e32 v1, v81, v78
	v_bfe_i32 v75, v69, 8, 8
	v_bfe_i32 v76, v69, 16, 8
	v_ashrrev_i32_e32 v69, 24, v69
	v_mul_i32_i24_e32 v2, v7, v41
	v_add3_u32 v96, v1, v84, v87
	v_add_nc_u32_e32 v1, v47, v8
	v_mul_i32_i24_e32 v101, v8, v43
	v_mul_i32_i24_e32 v102, v92, v14
	v_mul_i32_i24_e32 v103, v93, v47
	v_mul_i32_i24_e32 v104, v94, v48
	v_add3_u32 v97, v1, v68, v69
	v_add_nc_u32_e32 v1, v14, v7
	v_mul_i32_i24_e32 v105, v95, v66
	v_mul_i32_i24_e32 v106, v30, v67
	v_mul_i32_i24_e32 v107, v33, v68
	;; [unrolled: 6-line block ×3, first 2 shown]
	v_mul_i32_i24_e32 v112, v56, v73
	v_add3_u32 v99, v1, v66, v75
	v_add_nc_u32_e32 v1, v9, v5
	s_delay_alu instid0(VALU_DEP_1) | instskip(SKIP_1) | instid1(VALU_DEP_1)
	v_add3_u32 v100, v1, v48, v74
	v_mul_i32_i24_e32 v1, v5, v39
	v_mad_i32_i24 v1, v6, v61, v1
	s_delay_alu instid0(VALU_DEP_1) | instskip(SKIP_2) | instid1(VALU_DEP_1)
	v_add3_u32 v1, v1, v2, v101
	v_mul_i32_i24_e32 v2, v65, v9
	v_mul_i32_i24_e32 v101, v0, v10
	v_add3_u32 v1, v1, v2, v101
	v_mul_i32_i24_e32 v2, v58, v77
	v_mul_i32_i24_e32 v101, v59, v79
	s_delay_alu instid0(VALU_DEP_3) | instskip(SKIP_1) | instid1(VALU_DEP_4)
	v_add3_u32 v1, v1, v102, v103
	v_mul_i32_i24_e32 v102, v60, v70
	v_mad_i32_i24 v2, v246, v78, v2
	v_mul_i32_i24_e32 v103, v249, v82
	s_delay_alu instid0(VALU_DEP_4) | instskip(SKIP_1) | instid1(VALU_DEP_4)
	v_add3_u32 v1, v1, v104, v105
	v_mul_i32_i24_e32 v104, v250, v71
	v_add3_u32 v2, v2, v101, v102
	v_mul_i32_i24_e32 v101, v247, v80
	v_mul_i32_i24_e32 v102, v248, v81
	v_add3_u32 v1, v1, v106, v107
	v_mul_i32_i24_e32 v105, v251, v83
	v_mul_i32_i24_e32 v106, v252, v84
	v_mul_i32_i24_e32 v107, v253, v85
	v_add3_u32 v2, v2, v101, v102
	v_add3_u32 v1, v1, v108, v109
	v_mul_i32_i24_e32 v108, v254, v72
	v_mul_i32_i24_e32 v109, v255, v86
	v_mul_i32_i24_e32 v101, v89, v50
	v_add3_u32 v2, v2, v103, v104
	;; [unrolled: 5-line block ×3, first 2 shown]
	v_mul_i32_i24_e32 v105, v97, v46
	v_mul_i32_i24_e32 v106, v98, v49
	;; [unrolled: 1-line block ×3, first 2 shown]
	v_mul_lo_u32 v1, v1, v245
	v_add3_u32 v2, v2, v107, v108
	v_mul_i32_i24_e32 v107, v100, v45
	v_mul_i32_i24_e32 v102, v90, v54
	;; [unrolled: 1-line block ×3, first 2 shown]
	s_delay_alu instid0(VALU_DEP_4) | instskip(NEXT) | instid1(VALU_DEP_4)
	v_add3_u32 v2, v2, v109, v110
	v_mad_i32_i24 v107, v99, v52, v107
	v_mul_i32_i24_e32 v109, v237, v75
	v_mul_i32_i24_e32 v110, v238, v76
	s_delay_alu instid0(VALU_DEP_4) | instskip(NEXT) | instid1(VALU_DEP_4)
	v_add3_u32 v2, v2, v111, v112
	v_add3_u32 v105, v107, v106, v105
	v_mul_i32_i24_e32 v106, v234, v67
	v_mul_i32_i24_e32 v107, v235, v68
	;; [unrolled: 1-line block ×3, first 2 shown]
	v_mad_co_u64_u32 v[1:2], null, v2, v64, v[1:2]
	v_add3_u32 v103, v105, v103, v104
	v_mul_i32_i24_e32 v104, v231, v48
	v_mul_i32_i24_e32 v105, v233, v66
	;; [unrolled: 1-line block ×3, first 2 shown]
	s_delay_alu instid0(VALU_DEP_4) | instskip(SKIP_3) | instid1(VALU_DEP_4)
	v_add3_u32 v101, v103, v102, v101
	v_cvt_f32_i32_e32 v1, v1
	v_mul_i32_i24_e32 v102, v229, v14
	v_mul_i32_i24_e32 v103, v230, v47
	v_cvt_f32_i32_e32 v2, v101
	v_mul_i32_i24_e32 v101, v8, v243
	s_delay_alu instid0(VALU_DEP_2) | instskip(NEXT) | instid1(VALU_DEP_1)
	v_mul_f32_e32 v2, v13, v2
	v_fma_mix_f32 v1, v244, v1, -v2 op_sel_hi:[1,0,0]
	v_mul_i32_i24_e32 v2, v7, v242
	s_delay_alu instid0(VALU_DEP_2) | instskip(SKIP_1) | instid1(VALU_DEP_1)
	v_fmac_f32_e32 v24, v4, v1
	v_mul_i32_i24_e32 v1, v5, v240
	v_mad_i32_i24 v1, v6, v232, v1
	s_delay_alu instid0(VALU_DEP_1) | instskip(SKIP_2) | instid1(VALU_DEP_1)
	v_add3_u32 v1, v1, v2, v101
	v_mul_i32_i24_e32 v2, v227, v9
	v_mul_i32_i24_e32 v101, v228, v10
	v_add3_u32 v1, v1, v2, v101
	v_mul_i32_i24_e32 v2, v223, v77
	v_mul_i32_i24_e32 v101, v225, v79
	s_delay_alu instid0(VALU_DEP_3) | instskip(SKIP_1) | instid1(VALU_DEP_4)
	v_add3_u32 v1, v1, v102, v103
	v_mul_i32_i24_e32 v102, v226, v70
	v_mad_i32_i24 v2, v212, v78, v2
	v_mul_i32_i24_e32 v103, v211, v82
	s_delay_alu instid0(VALU_DEP_4) | instskip(SKIP_1) | instid1(VALU_DEP_4)
	v_add3_u32 v1, v1, v104, v105
	v_mul_i32_i24_e32 v104, v213, v71
	v_add3_u32 v2, v2, v101, v102
	v_mul_i32_i24_e32 v101, v209, v80
	v_mul_i32_i24_e32 v102, v210, v81
	v_add3_u32 v1, v1, v106, v107
	v_mul_i32_i24_e32 v105, v214, v83
	v_mul_i32_i24_e32 v106, v215, v84
	v_mul_i32_i24_e32 v107, v216, v85
	v_add3_u32 v2, v2, v101, v102
	v_add3_u32 v1, v1, v108, v109
	v_mul_i32_i24_e32 v108, v217, v72
	v_mul_i32_i24_e32 v109, v218, v86
	v_mul_i32_i24_e32 v101, v89, v208
	v_add3_u32 v2, v2, v103, v104
	v_add3_u32 v1, v1, v110, v111
	v_mul_i32_i24_e32 v110, v219, v87
	v_mul_i32_i24_e32 v103, v91, v205
	v_mul_i32_i24_e32 v104, v96, v206
	v_add3_u32 v2, v2, v105, v106
	v_mul_i32_i24_e32 v105, v97, v204
	v_mul_i32_i24_e32 v106, v98, v203
	;; [unrolled: 1-line block ×3, first 2 shown]
	v_mul_lo_u32 v1, v1, v241
	v_add3_u32 v2, v2, v107, v108
	v_mul_i32_i24_e32 v107, v100, v201
	v_mul_i32_i24_e32 v102, v90, v207
	;; [unrolled: 1-line block ×3, first 2 shown]
	s_delay_alu instid0(VALU_DEP_4) | instskip(NEXT) | instid1(VALU_DEP_4)
	v_add3_u32 v2, v2, v109, v110
	v_mad_i32_i24 v107, v99, v202, v107
	v_mul_i32_i24_e32 v109, v193, v75
	v_mul_i32_i24_e32 v110, v194, v76
	s_delay_alu instid0(VALU_DEP_4) | instskip(NEXT) | instid1(VALU_DEP_4)
	v_add3_u32 v2, v2, v111, v112
	v_add3_u32 v105, v107, v106, v105
	v_mul_i32_i24_e32 v106, v190, v67
	v_mul_i32_i24_e32 v107, v191, v68
	;; [unrolled: 1-line block ×3, first 2 shown]
	v_mad_co_u64_u32 v[1:2], null, v2, v222, v[1:2]
	v_add3_u32 v103, v105, v103, v104
	v_mul_i32_i24_e32 v104, v187, v48
	v_mul_i32_i24_e32 v105, v189, v66
	;; [unrolled: 1-line block ×3, first 2 shown]
	s_delay_alu instid0(VALU_DEP_4) | instskip(SKIP_3) | instid1(VALU_DEP_4)
	v_add3_u32 v101, v103, v102, v101
	v_cvt_f32_i32_e32 v1, v1
	v_mul_i32_i24_e32 v102, v185, v14
	v_mul_i32_i24_e32 v103, v186, v47
	v_cvt_f32_i32_e32 v2, v101
	v_mul_i32_i24_e32 v101, v8, v200
	s_delay_alu instid0(VALU_DEP_2) | instskip(NEXT) | instid1(VALU_DEP_1)
	v_mul_f32_e32 v2, v224, v2
	v_fma_mix_f32 v1, v199, v1, -v2 op_sel_hi:[1,0,0]
	v_mul_i32_i24_e32 v2, v7, v198
	s_delay_alu instid0(VALU_DEP_2) | instskip(SKIP_1) | instid1(VALU_DEP_1)
	v_fmac_f32_e32 v23, v4, v1
	v_mul_i32_i24_e32 v1, v5, v196
	v_mad_i32_i24 v1, v6, v188, v1
	s_delay_alu instid0(VALU_DEP_1) | instskip(SKIP_2) | instid1(VALU_DEP_1)
	v_add3_u32 v1, v1, v2, v101
	v_mul_i32_i24_e32 v2, v183, v9
	v_mul_i32_i24_e32 v101, v184, v10
	v_add3_u32 v1, v1, v2, v101
	v_mul_i32_i24_e32 v2, v179, v77
	v_mul_i32_i24_e32 v101, v181, v79
	s_delay_alu instid0(VALU_DEP_3) | instskip(SKIP_1) | instid1(VALU_DEP_4)
	v_add3_u32 v1, v1, v102, v103
	v_mul_i32_i24_e32 v102, v182, v70
	v_mad_i32_i24 v2, v168, v78, v2
	v_mul_i32_i24_e32 v103, v167, v82
	s_delay_alu instid0(VALU_DEP_4) | instskip(SKIP_1) | instid1(VALU_DEP_4)
	v_add3_u32 v1, v1, v104, v105
	v_mul_i32_i24_e32 v104, v169, v71
	v_add3_u32 v2, v2, v101, v102
	v_mul_i32_i24_e32 v101, v165, v80
	v_mul_i32_i24_e32 v102, v166, v81
	v_add3_u32 v1, v1, v106, v107
	v_mul_i32_i24_e32 v105, v170, v83
	v_mul_i32_i24_e32 v106, v171, v84
	v_mul_i32_i24_e32 v107, v172, v85
	v_add3_u32 v2, v2, v101, v102
	v_add3_u32 v1, v1, v108, v109
	v_mul_i32_i24_e32 v108, v173, v72
	v_mul_i32_i24_e32 v109, v174, v86
	v_mul_i32_i24_e32 v101, v89, v164
	v_add3_u32 v2, v2, v103, v104
	;; [unrolled: 5-line block ×3, first 2 shown]
	v_mul_i32_i24_e32 v105, v97, v160
	v_mul_i32_i24_e32 v106, v98, v159
	;; [unrolled: 1-line block ×3, first 2 shown]
	v_mul_lo_u32 v1, v1, v197
	v_add3_u32 v2, v2, v107, v108
	v_mul_i32_i24_e32 v107, v100, v157
	v_mul_i32_i24_e32 v102, v90, v163
	s_delay_alu instid0(VALU_DEP_3) | instskip(NEXT) | instid1(VALU_DEP_3)
	v_add3_u32 v2, v2, v109, v110
	v_mad_i32_i24 v107, v99, v158, v107
	s_delay_alu instid0(VALU_DEP_2) | instskip(NEXT) | instid1(VALU_DEP_2)
	v_add3_u32 v2, v2, v111, v112
	v_add3_u32 v105, v107, v106, v105
	s_delay_alu instid0(VALU_DEP_2) | instskip(NEXT) | instid1(VALU_DEP_2)
	v_mad_co_u64_u32 v[1:2], null, v2, v178, v[1:2]
	v_add3_u32 v103, v105, v103, v104
	s_delay_alu instid0(VALU_DEP_1) | instskip(NEXT) | instid1(VALU_DEP_3)
	v_add3_u32 v101, v103, v102, v101
	v_cvt_f32_i32_e32 v1, v1
	s_delay_alu instid0(VALU_DEP_2) | instskip(NEXT) | instid1(VALU_DEP_1)
	v_cvt_f32_i32_e32 v2, v101
	v_mul_f32_e32 v2, v180, v2
	s_delay_alu instid0(VALU_DEP_1) | instskip(SKIP_3) | instid1(VALU_DEP_4)
	v_fma_mix_f32 v1, v155, v1, -v2 op_sel_hi:[1,0,0]
	v_mul_i32_i24_e32 v2, v7, v154
	v_mul_i32_i24_e32 v7, v142, v47
	;; [unrolled: 1-line block ×3, first 2 shown]
	v_fmac_f32_e32 v22, v4, v1
	v_mul_i32_i24_e32 v1, v5, v152
	v_mul_i32_i24_e32 v5, v8, v156
	;; [unrolled: 1-line block ×4, first 2 shown]
	s_delay_alu instid0(VALU_DEP_4) | instskip(SKIP_3) | instid1(VALU_DEP_4)
	v_mad_i32_i24 v1, v6, v144, v1
	v_mul_i32_i24_e32 v6, v141, v14
	v_mul_i32_i24_e32 v14, v147, v68
	;; [unrolled: 1-line block ×3, first 2 shown]
	v_add3_u32 v1, v1, v2, v5
	v_mul_i32_i24_e32 v2, v3, v9
	v_mul_i32_i24_e32 v5, v140, v10
	;; [unrolled: 1-line block ×6, first 2 shown]
	v_add3_u32 v1, v1, v2, v5
	v_mul_i32_i24_e32 v2, v137, v77
	v_mul_i32_i24_e32 v5, v138, v79
	s_delay_alu instid0(VALU_DEP_3) | instskip(SKIP_1) | instid1(VALU_DEP_4)
	v_add3_u32 v1, v1, v6, v7
	v_mul_i32_i24_e32 v6, v139, v70
	v_mad_i32_i24 v2, v136, v78, v2
	v_mul_i32_i24_e32 v7, v126, v82
	s_delay_alu instid0(VALU_DEP_4) | instskip(SKIP_1) | instid1(VALU_DEP_4)
	v_add3_u32 v1, v1, v8, v9
	v_mul_i32_i24_e32 v8, v127, v71
	v_add3_u32 v2, v2, v5, v6
	v_mul_i32_i24_e32 v5, v124, v80
	v_mul_i32_i24_e32 v6, v125, v81
	v_add3_u32 v1, v1, v10, v14
	v_mul_i32_i24_e32 v9, v128, v83
	v_mul_i32_i24_e32 v10, v129, v84
	v_mul_i32_i24_e32 v14, v130, v85
	v_add3_u32 v2, v2, v5, v6
	v_add3_u32 v1, v1, v47, v48
	v_mul_i32_i24_e32 v47, v131, v72
	v_mul_i32_i24_e32 v48, v132, v86
	v_mul_i32_i24_e32 v5, v89, v123
	v_add3_u32 v2, v2, v7, v8
	;; [unrolled: 5-line block ×3, first 2 shown]
	v_mul_i32_i24_e32 v9, v97, v119
	v_mul_i32_i24_e32 v10, v98, v118
	;; [unrolled: 1-line block ×3, first 2 shown]
	v_mul_lo_u32 v1, v1, v153
	v_add3_u32 v2, v2, v14, v47
	v_mul_i32_i24_e32 v14, v100, v116
	v_mul_i32_i24_e32 v6, v90, v122
	s_delay_alu instid0(VALU_DEP_3) | instskip(NEXT) | instid1(VALU_DEP_3)
	v_add3_u32 v2, v2, v48, v66
	v_mad_i32_i24 v14, v99, v117, v14
	s_delay_alu instid0(VALU_DEP_2) | instskip(NEXT) | instid1(VALU_DEP_2)
	v_add3_u32 v2, v2, v67, v68
	v_add3_u32 v9, v14, v10, v9
	s_delay_alu instid0(VALU_DEP_2) | instskip(NEXT) | instid1(VALU_DEP_2)
	v_mad_co_u64_u32 v[1:2], null, v2, v115, v[1:2]
	v_add3_u32 v7, v9, v7, v8
	s_delay_alu instid0(VALU_DEP_1) | instskip(NEXT) | instid1(VALU_DEP_3)
	v_add3_u32 v5, v7, v6, v5
	v_cvt_f32_i32_e32 v1, v1
	s_delay_alu instid0(VALU_DEP_2) | instskip(NEXT) | instid1(VALU_DEP_1)
	v_cvt_f32_i32_e32 v2, v5
	v_mul_f32_e32 v2, v114, v2
	s_delay_alu instid0(VALU_DEP_1) | instskip(NEXT) | instid1(VALU_DEP_1)
	v_fma_mix_f32 v1, v113, v1, -v2 op_sel_hi:[1,0,0]
	v_fmac_f32_e32 v21, v4, v1
	scratch_load_b32 v1, off, off offset:32 ; 4-byte Folded Reload
	s_wait_loadcnt 0x0
	v_or_b32_e32 v1, s17, v1
	s_delay_alu instid0(VALU_DEP_1)
	v_lshlrev_b32_e32 v2, 2, v1
	v_lshrrev_b32_e32 v1, 1, v1
	ds_load_b32 v4, v1 offset:30368
	ds_load_b128 v[66:69], v2 offset:16896
	ds_load_b128 v[70:73], v2 offset:16912
	s_wait_dscnt 0x1
	v_ashrrev_i32_e32 v8, 24, v66
	s_wait_dscnt 0x0
	v_bfe_i32 v77, v70, 0, 8
	v_bfe_i32 v78, v70, 8, 8
	v_bfe_i32 v79, v70, 16, 8
	v_ashrrev_i32_e32 v70, 24, v70
	v_bfe_i32 v80, v71, 0, 8
	v_bfe_i32 v81, v71, 8, 8
	v_bfe_i32 v82, v71, 16, 8
	v_ashrrev_i32_e32 v71, 24, v71
	;; [unrolled: 4-line block ×4, first 2 shown]
	v_add_nc_u32_e32 v1, v71, v70
	v_ashrrev_i32_e32 v47, 24, v67
	v_bfe_i32 v5, v66, 0, 8
	v_bfe_i32 v6, v66, 8, 8
	v_bfe_i32 v7, v66, 16, 8
	v_add3_u32 v89, v1, v72, v73
	v_add_nc_u32_e32 v1, v82, v79
	v_bfe_i32 v9, v67, 0, 8
	v_bfe_i32 v10, v67, 8, 8
	v_bfe_i32 v14, v67, 16, 8
	v_bfe_i32 v48, v68, 0, 8
	v_add3_u32 v90, v1, v85, v88
	v_add_nc_u32_e32 v1, v80, v77
	v_bfe_i32 v66, v68, 8, 8
	v_bfe_i32 v67, v68, 16, 8
	v_ashrrev_i32_e32 v68, 24, v68
	v_bfe_i32 v74, v69, 0, 8
	v_add3_u32 v91, v1, v83, v86
	v_add_nc_u32_e32 v1, v81, v78
	v_bfe_i32 v75, v69, 8, 8
	v_bfe_i32 v76, v69, 16, 8
	v_ashrrev_i32_e32 v69, 24, v69
	v_mul_i32_i24_e32 v2, v7, v41
	v_add3_u32 v96, v1, v84, v87
	v_add_nc_u32_e32 v1, v47, v8
	v_mul_i32_i24_e32 v101, v8, v43
	v_mul_i32_i24_e32 v102, v92, v14
	v_mul_i32_i24_e32 v103, v93, v47
	v_mul_i32_i24_e32 v104, v94, v48
	v_add3_u32 v97, v1, v68, v69
	v_add_nc_u32_e32 v1, v14, v7
	v_mul_i32_i24_e32 v105, v95, v66
	v_mul_i32_i24_e32 v106, v30, v67
	v_mul_i32_i24_e32 v107, v33, v68
	;; [unrolled: 6-line block ×3, first 2 shown]
	v_mul_i32_i24_e32 v112, v56, v73
	v_add3_u32 v99, v1, v66, v75
	v_add_nc_u32_e32 v1, v9, v5
	s_delay_alu instid0(VALU_DEP_1) | instskip(SKIP_1) | instid1(VALU_DEP_1)
	v_add3_u32 v100, v1, v48, v74
	v_mul_i32_i24_e32 v1, v5, v39
	v_mad_i32_i24 v1, v6, v61, v1
	s_delay_alu instid0(VALU_DEP_1) | instskip(SKIP_2) | instid1(VALU_DEP_1)
	v_add3_u32 v1, v1, v2, v101
	v_mul_i32_i24_e32 v2, v65, v9
	v_mul_i32_i24_e32 v101, v0, v10
	v_add3_u32 v1, v1, v2, v101
	v_mul_i32_i24_e32 v2, v58, v77
	v_mul_i32_i24_e32 v101, v59, v79
	s_delay_alu instid0(VALU_DEP_3) | instskip(SKIP_1) | instid1(VALU_DEP_4)
	v_add3_u32 v1, v1, v102, v103
	v_mul_i32_i24_e32 v102, v60, v70
	v_mad_i32_i24 v2, v246, v78, v2
	v_mul_i32_i24_e32 v103, v249, v82
	s_delay_alu instid0(VALU_DEP_4) | instskip(SKIP_1) | instid1(VALU_DEP_4)
	v_add3_u32 v1, v1, v104, v105
	v_mul_i32_i24_e32 v104, v250, v71
	v_add3_u32 v2, v2, v101, v102
	v_mul_i32_i24_e32 v101, v247, v80
	v_mul_i32_i24_e32 v102, v248, v81
	v_add3_u32 v1, v1, v106, v107
	v_mul_i32_i24_e32 v105, v251, v83
	v_mul_i32_i24_e32 v106, v252, v84
	v_mul_i32_i24_e32 v107, v253, v85
	v_add3_u32 v2, v2, v101, v102
	v_add3_u32 v1, v1, v108, v109
	v_mul_i32_i24_e32 v108, v254, v72
	v_mul_i32_i24_e32 v109, v255, v86
	v_mul_i32_i24_e32 v101, v89, v50
	v_add3_u32 v2, v2, v103, v104
	;; [unrolled: 5-line block ×3, first 2 shown]
	v_mul_i32_i24_e32 v105, v97, v46
	v_mul_i32_i24_e32 v106, v98, v49
	;; [unrolled: 1-line block ×3, first 2 shown]
	v_mul_lo_u32 v1, v1, v245
	v_add3_u32 v2, v2, v107, v108
	v_mul_i32_i24_e32 v107, v100, v45
	v_mul_i32_i24_e32 v102, v90, v54
	;; [unrolled: 1-line block ×3, first 2 shown]
	s_delay_alu instid0(VALU_DEP_4) | instskip(NEXT) | instid1(VALU_DEP_4)
	v_add3_u32 v2, v2, v109, v110
	v_mad_i32_i24 v107, v99, v52, v107
	v_mul_i32_i24_e32 v109, v237, v75
	v_mul_i32_i24_e32 v110, v238, v76
	s_delay_alu instid0(VALU_DEP_4) | instskip(NEXT) | instid1(VALU_DEP_4)
	v_add3_u32 v2, v2, v111, v112
	v_add3_u32 v105, v107, v106, v105
	v_mul_i32_i24_e32 v106, v234, v67
	v_mul_i32_i24_e32 v107, v235, v68
	;; [unrolled: 1-line block ×3, first 2 shown]
	v_mad_co_u64_u32 v[1:2], null, v2, v64, v[1:2]
	v_add3_u32 v103, v105, v103, v104
	v_mul_i32_i24_e32 v104, v231, v48
	v_mul_i32_i24_e32 v105, v233, v66
	;; [unrolled: 1-line block ×3, first 2 shown]
	s_delay_alu instid0(VALU_DEP_4) | instskip(SKIP_3) | instid1(VALU_DEP_4)
	v_add3_u32 v101, v103, v102, v101
	v_cvt_f32_i32_e32 v1, v1
	v_mul_i32_i24_e32 v102, v229, v14
	v_mul_i32_i24_e32 v103, v230, v47
	v_cvt_f32_i32_e32 v2, v101
	v_mul_i32_i24_e32 v101, v8, v243
	s_delay_alu instid0(VALU_DEP_2) | instskip(NEXT) | instid1(VALU_DEP_1)
	v_mul_f32_e32 v2, v13, v2
	v_fma_mix_f32 v1, v244, v1, -v2 op_sel_hi:[1,0,0]
	v_mul_i32_i24_e32 v2, v7, v242
	s_delay_alu instid0(VALU_DEP_2) | instskip(SKIP_1) | instid1(VALU_DEP_1)
	v_fmac_f32_e32 v19, v4, v1
	v_mul_i32_i24_e32 v1, v5, v240
	v_mad_i32_i24 v1, v6, v232, v1
	s_delay_alu instid0(VALU_DEP_1) | instskip(SKIP_2) | instid1(VALU_DEP_1)
	v_add3_u32 v1, v1, v2, v101
	v_mul_i32_i24_e32 v2, v227, v9
	v_mul_i32_i24_e32 v101, v228, v10
	v_add3_u32 v1, v1, v2, v101
	v_mul_i32_i24_e32 v2, v223, v77
	v_mul_i32_i24_e32 v101, v225, v79
	s_delay_alu instid0(VALU_DEP_3) | instskip(SKIP_1) | instid1(VALU_DEP_4)
	v_add3_u32 v1, v1, v102, v103
	v_mul_i32_i24_e32 v102, v226, v70
	v_mad_i32_i24 v2, v212, v78, v2
	v_mul_i32_i24_e32 v103, v211, v82
	s_delay_alu instid0(VALU_DEP_4) | instskip(SKIP_1) | instid1(VALU_DEP_4)
	v_add3_u32 v1, v1, v104, v105
	v_mul_i32_i24_e32 v104, v213, v71
	v_add3_u32 v2, v2, v101, v102
	v_mul_i32_i24_e32 v101, v209, v80
	v_mul_i32_i24_e32 v102, v210, v81
	v_add3_u32 v1, v1, v106, v107
	v_mul_i32_i24_e32 v105, v214, v83
	v_mul_i32_i24_e32 v106, v215, v84
	v_mul_i32_i24_e32 v107, v216, v85
	v_add3_u32 v2, v2, v101, v102
	v_add3_u32 v1, v1, v108, v109
	v_mul_i32_i24_e32 v108, v217, v72
	v_mul_i32_i24_e32 v109, v218, v86
	v_mul_i32_i24_e32 v101, v89, v208
	v_add3_u32 v2, v2, v103, v104
	;; [unrolled: 5-line block ×3, first 2 shown]
	v_mul_i32_i24_e32 v105, v97, v204
	v_mul_i32_i24_e32 v106, v98, v203
	v_mul_i32_i24_e32 v111, v220, v88
	v_mul_lo_u32 v1, v1, v241
	v_add3_u32 v2, v2, v107, v108
	v_mul_i32_i24_e32 v107, v100, v201
	v_mul_i32_i24_e32 v102, v90, v207
	;; [unrolled: 1-line block ×3, first 2 shown]
	s_delay_alu instid0(VALU_DEP_4) | instskip(NEXT) | instid1(VALU_DEP_4)
	v_add3_u32 v2, v2, v109, v110
	v_mad_i32_i24 v107, v99, v202, v107
	v_mul_i32_i24_e32 v109, v193, v75
	v_mul_i32_i24_e32 v110, v194, v76
	s_delay_alu instid0(VALU_DEP_4) | instskip(NEXT) | instid1(VALU_DEP_4)
	v_add3_u32 v2, v2, v111, v112
	v_add3_u32 v105, v107, v106, v105
	v_mul_i32_i24_e32 v106, v190, v67
	v_mul_i32_i24_e32 v107, v191, v68
	;; [unrolled: 1-line block ×3, first 2 shown]
	v_mad_co_u64_u32 v[1:2], null, v2, v222, v[1:2]
	v_add3_u32 v103, v105, v103, v104
	v_mul_i32_i24_e32 v104, v187, v48
	v_mul_i32_i24_e32 v105, v189, v66
	;; [unrolled: 1-line block ×3, first 2 shown]
	s_delay_alu instid0(VALU_DEP_4) | instskip(SKIP_3) | instid1(VALU_DEP_4)
	v_add3_u32 v101, v103, v102, v101
	v_cvt_f32_i32_e32 v1, v1
	v_mul_i32_i24_e32 v102, v185, v14
	v_mul_i32_i24_e32 v103, v186, v47
	v_cvt_f32_i32_e32 v2, v101
	v_mul_i32_i24_e32 v101, v8, v200
	s_delay_alu instid0(VALU_DEP_2) | instskip(NEXT) | instid1(VALU_DEP_1)
	v_mul_f32_e32 v2, v224, v2
	v_fma_mix_f32 v1, v199, v1, -v2 op_sel_hi:[1,0,0]
	v_mul_i32_i24_e32 v2, v7, v198
	s_delay_alu instid0(VALU_DEP_2) | instskip(SKIP_1) | instid1(VALU_DEP_1)
	v_fmac_f32_e32 v18, v4, v1
	v_mul_i32_i24_e32 v1, v5, v196
	v_mad_i32_i24 v1, v6, v188, v1
	s_delay_alu instid0(VALU_DEP_1) | instskip(SKIP_2) | instid1(VALU_DEP_1)
	v_add3_u32 v1, v1, v2, v101
	v_mul_i32_i24_e32 v2, v183, v9
	v_mul_i32_i24_e32 v101, v184, v10
	v_add3_u32 v1, v1, v2, v101
	v_mul_i32_i24_e32 v2, v179, v77
	v_mul_i32_i24_e32 v101, v181, v79
	s_delay_alu instid0(VALU_DEP_3) | instskip(SKIP_1) | instid1(VALU_DEP_4)
	v_add3_u32 v1, v1, v102, v103
	v_mul_i32_i24_e32 v102, v182, v70
	v_mad_i32_i24 v2, v168, v78, v2
	v_mul_i32_i24_e32 v103, v167, v82
	s_delay_alu instid0(VALU_DEP_4) | instskip(SKIP_1) | instid1(VALU_DEP_4)
	v_add3_u32 v1, v1, v104, v105
	v_mul_i32_i24_e32 v104, v169, v71
	v_add3_u32 v2, v2, v101, v102
	v_mul_i32_i24_e32 v101, v165, v80
	v_mul_i32_i24_e32 v102, v166, v81
	v_add3_u32 v1, v1, v106, v107
	v_mul_i32_i24_e32 v105, v170, v83
	v_mul_i32_i24_e32 v106, v171, v84
	v_mul_i32_i24_e32 v107, v172, v85
	v_add3_u32 v2, v2, v101, v102
	v_add3_u32 v1, v1, v108, v109
	v_mul_i32_i24_e32 v108, v173, v72
	v_mul_i32_i24_e32 v109, v174, v86
	v_mul_i32_i24_e32 v101, v89, v164
	v_add3_u32 v2, v2, v103, v104
	;; [unrolled: 5-line block ×3, first 2 shown]
	v_mul_i32_i24_e32 v105, v97, v160
	v_mul_i32_i24_e32 v106, v98, v159
	;; [unrolled: 1-line block ×3, first 2 shown]
	v_mul_lo_u32 v1, v1, v197
	v_add3_u32 v2, v2, v107, v108
	v_mul_i32_i24_e32 v107, v100, v157
	v_mul_i32_i24_e32 v102, v90, v163
	s_delay_alu instid0(VALU_DEP_3) | instskip(NEXT) | instid1(VALU_DEP_3)
	v_add3_u32 v2, v2, v109, v110
	v_mad_i32_i24 v107, v99, v158, v107
	s_delay_alu instid0(VALU_DEP_2) | instskip(NEXT) | instid1(VALU_DEP_2)
	v_add3_u32 v2, v2, v111, v112
	v_add3_u32 v105, v107, v106, v105
	s_delay_alu instid0(VALU_DEP_2) | instskip(NEXT) | instid1(VALU_DEP_2)
	v_mad_co_u64_u32 v[1:2], null, v2, v178, v[1:2]
	v_add3_u32 v103, v105, v103, v104
	s_delay_alu instid0(VALU_DEP_1) | instskip(NEXT) | instid1(VALU_DEP_3)
	v_add3_u32 v101, v103, v102, v101
	v_cvt_f32_i32_e32 v1, v1
	s_delay_alu instid0(VALU_DEP_2) | instskip(NEXT) | instid1(VALU_DEP_1)
	v_cvt_f32_i32_e32 v2, v101
	v_mul_f32_e32 v2, v180, v2
	s_delay_alu instid0(VALU_DEP_1) | instskip(SKIP_3) | instid1(VALU_DEP_4)
	v_fma_mix_f32 v1, v155, v1, -v2 op_sel_hi:[1,0,0]
	v_mul_i32_i24_e32 v2, v7, v154
	v_mul_i32_i24_e32 v7, v142, v47
	;; [unrolled: 1-line block ×3, first 2 shown]
	v_fmac_f32_e32 v17, v4, v1
	v_mul_i32_i24_e32 v1, v5, v152
	v_mul_i32_i24_e32 v5, v8, v156
	;; [unrolled: 1-line block ×4, first 2 shown]
	s_delay_alu instid0(VALU_DEP_4) | instskip(SKIP_3) | instid1(VALU_DEP_4)
	v_mad_i32_i24 v1, v6, v144, v1
	v_mul_i32_i24_e32 v6, v141, v14
	v_mul_i32_i24_e32 v14, v147, v68
	;; [unrolled: 1-line block ×3, first 2 shown]
	v_add3_u32 v1, v1, v2, v5
	v_mul_i32_i24_e32 v2, v3, v9
	v_mul_i32_i24_e32 v5, v140, v10
	;; [unrolled: 1-line block ×6, first 2 shown]
	v_add3_u32 v1, v1, v2, v5
	v_mul_i32_i24_e32 v2, v137, v77
	v_mul_i32_i24_e32 v5, v138, v79
	s_delay_alu instid0(VALU_DEP_3) | instskip(SKIP_1) | instid1(VALU_DEP_4)
	v_add3_u32 v1, v1, v6, v7
	v_mul_i32_i24_e32 v6, v139, v70
	v_mad_i32_i24 v2, v136, v78, v2
	v_mul_i32_i24_e32 v7, v126, v82
	s_delay_alu instid0(VALU_DEP_4) | instskip(SKIP_1) | instid1(VALU_DEP_4)
	v_add3_u32 v1, v1, v8, v9
	v_mul_i32_i24_e32 v8, v127, v71
	v_add3_u32 v2, v2, v5, v6
	v_mul_i32_i24_e32 v5, v124, v80
	v_mul_i32_i24_e32 v6, v125, v81
	v_add3_u32 v1, v1, v10, v14
	v_mul_i32_i24_e32 v9, v128, v83
	v_mul_i32_i24_e32 v10, v129, v84
	v_mul_i32_i24_e32 v14, v130, v85
	v_add3_u32 v2, v2, v5, v6
	v_add3_u32 v1, v1, v47, v48
	v_mul_i32_i24_e32 v47, v131, v72
	v_mul_i32_i24_e32 v48, v132, v86
	v_mul_i32_i24_e32 v5, v89, v123
	v_add3_u32 v2, v2, v7, v8
	;; [unrolled: 5-line block ×3, first 2 shown]
	v_mul_i32_i24_e32 v9, v97, v119
	v_mul_i32_i24_e32 v10, v98, v118
	;; [unrolled: 1-line block ×3, first 2 shown]
	v_mul_lo_u32 v1, v1, v153
	v_add3_u32 v2, v2, v14, v47
	v_mul_i32_i24_e32 v14, v100, v116
	v_mul_i32_i24_e32 v6, v90, v122
	s_delay_alu instid0(VALU_DEP_3) | instskip(NEXT) | instid1(VALU_DEP_3)
	v_add3_u32 v2, v2, v48, v66
	v_mad_i32_i24 v14, v99, v117, v14
	s_delay_alu instid0(VALU_DEP_2) | instskip(NEXT) | instid1(VALU_DEP_2)
	v_add3_u32 v2, v2, v67, v68
	v_add3_u32 v9, v14, v10, v9
	s_delay_alu instid0(VALU_DEP_2) | instskip(NEXT) | instid1(VALU_DEP_2)
	v_mad_co_u64_u32 v[1:2], null, v2, v115, v[1:2]
	v_add3_u32 v7, v9, v7, v8
	s_delay_alu instid0(VALU_DEP_1) | instskip(NEXT) | instid1(VALU_DEP_3)
	v_add3_u32 v5, v7, v6, v5
	v_cvt_f32_i32_e32 v1, v1
	s_delay_alu instid0(VALU_DEP_2) | instskip(NEXT) | instid1(VALU_DEP_1)
	v_cvt_f32_i32_e32 v2, v5
	v_mul_f32_e32 v2, v114, v2
	s_delay_alu instid0(VALU_DEP_1) | instskip(NEXT) | instid1(VALU_DEP_1)
	v_fma_mix_f32 v1, v113, v1, -v2 op_sel_hi:[1,0,0]
	v_fmac_f32_e32 v12, v4, v1
	scratch_load_b32 v1, off, off offset:24 ; 4-byte Folded Reload
	s_wait_loadcnt 0x0
	v_or_b32_e32 v1, s17, v1
	s_delay_alu instid0(VALU_DEP_1)
	v_lshlrev_b32_e32 v2, 2, v1
	v_lshrrev_b32_e32 v1, 1, v1
	ds_load_b32 v4, v1 offset:30368
	ds_load_b128 v[66:69], v2 offset:16896
	ds_load_b128 v[70:73], v2 offset:16912
	s_wait_dscnt 0x1
	v_ashrrev_i32_e32 v8, 24, v66
	s_wait_dscnt 0x0
	v_bfe_i32 v77, v70, 0, 8
	v_bfe_i32 v78, v70, 8, 8
	v_bfe_i32 v79, v70, 16, 8
	v_ashrrev_i32_e32 v70, 24, v70
	v_bfe_i32 v80, v71, 0, 8
	v_bfe_i32 v81, v71, 8, 8
	v_bfe_i32 v82, v71, 16, 8
	v_ashrrev_i32_e32 v71, 24, v71
	;; [unrolled: 4-line block ×4, first 2 shown]
	v_add_nc_u32_e32 v1, v71, v70
	v_ashrrev_i32_e32 v47, 24, v67
	v_bfe_i32 v5, v66, 0, 8
	v_bfe_i32 v6, v66, 8, 8
	;; [unrolled: 1-line block ×3, first 2 shown]
	v_add3_u32 v89, v1, v72, v73
	v_add_nc_u32_e32 v1, v82, v79
	v_bfe_i32 v9, v67, 0, 8
	v_bfe_i32 v10, v67, 8, 8
	v_bfe_i32 v14, v67, 16, 8
	v_bfe_i32 v48, v68, 0, 8
	v_add3_u32 v90, v1, v85, v88
	v_add_nc_u32_e32 v1, v80, v77
	v_bfe_i32 v66, v68, 8, 8
	v_bfe_i32 v67, v68, 16, 8
	v_ashrrev_i32_e32 v68, 24, v68
	v_bfe_i32 v74, v69, 0, 8
	v_add3_u32 v91, v1, v83, v86
	v_add_nc_u32_e32 v1, v81, v78
	v_bfe_i32 v75, v69, 8, 8
	v_bfe_i32 v76, v69, 16, 8
	v_ashrrev_i32_e32 v69, 24, v69
	v_mul_i32_i24_e32 v2, v7, v41
	v_add3_u32 v96, v1, v84, v87
	v_add_nc_u32_e32 v1, v47, v8
	v_mul_i32_i24_e32 v101, v8, v43
	v_mul_i32_i24_e32 v102, v92, v14
	v_mul_i32_i24_e32 v103, v93, v47
	v_mul_i32_i24_e32 v104, v94, v48
	v_add3_u32 v97, v1, v68, v69
	v_add_nc_u32_e32 v1, v14, v7
	v_mul_i32_i24_e32 v105, v95, v66
	v_mul_i32_i24_e32 v106, v30, v67
	v_mul_i32_i24_e32 v107, v33, v68
	;; [unrolled: 6-line block ×3, first 2 shown]
	v_mul_i32_i24_e32 v112, v56, v73
	v_add3_u32 v99, v1, v66, v75
	v_add_nc_u32_e32 v1, v9, v5
	s_delay_alu instid0(VALU_DEP_1) | instskip(SKIP_1) | instid1(VALU_DEP_1)
	v_add3_u32 v100, v1, v48, v74
	v_mul_i32_i24_e32 v1, v5, v39
	v_mad_i32_i24 v1, v6, v61, v1
	s_delay_alu instid0(VALU_DEP_1) | instskip(SKIP_2) | instid1(VALU_DEP_1)
	v_add3_u32 v1, v1, v2, v101
	v_mul_i32_i24_e32 v2, v65, v9
	v_mul_i32_i24_e32 v101, v0, v10
	v_add3_u32 v1, v1, v2, v101
	v_mul_i32_i24_e32 v2, v58, v77
	v_mul_i32_i24_e32 v101, v59, v79
	s_delay_alu instid0(VALU_DEP_3) | instskip(SKIP_1) | instid1(VALU_DEP_4)
	v_add3_u32 v1, v1, v102, v103
	v_mul_i32_i24_e32 v102, v60, v70
	v_mad_i32_i24 v2, v246, v78, v2
	v_mul_i32_i24_e32 v103, v249, v82
	s_delay_alu instid0(VALU_DEP_4) | instskip(SKIP_1) | instid1(VALU_DEP_4)
	v_add3_u32 v1, v1, v104, v105
	v_mul_i32_i24_e32 v104, v250, v71
	v_add3_u32 v2, v2, v101, v102
	v_mul_i32_i24_e32 v101, v247, v80
	v_mul_i32_i24_e32 v102, v248, v81
	v_add3_u32 v1, v1, v106, v107
	v_mul_i32_i24_e32 v105, v251, v83
	v_mul_i32_i24_e32 v106, v252, v84
	v_mul_i32_i24_e32 v107, v253, v85
	v_add3_u32 v2, v2, v101, v102
	v_add3_u32 v1, v1, v108, v109
	v_mul_i32_i24_e32 v108, v254, v72
	v_mul_i32_i24_e32 v109, v255, v86
	v_mul_i32_i24_e32 v101, v89, v50
	v_add3_u32 v2, v2, v103, v104
	;; [unrolled: 5-line block ×3, first 2 shown]
	v_mul_i32_i24_e32 v105, v97, v46
	v_mul_i32_i24_e32 v106, v98, v49
	;; [unrolled: 1-line block ×3, first 2 shown]
	v_mul_lo_u32 v1, v1, v245
	v_add3_u32 v2, v2, v107, v108
	v_mul_i32_i24_e32 v107, v100, v45
	v_mul_i32_i24_e32 v102, v90, v54
	v_mul_i32_i24_e32 v108, v236, v74
	s_delay_alu instid0(VALU_DEP_4) | instskip(NEXT) | instid1(VALU_DEP_4)
	v_add3_u32 v2, v2, v109, v110
	v_mad_i32_i24 v107, v99, v52, v107
	v_mul_i32_i24_e32 v109, v237, v75
	v_mul_i32_i24_e32 v110, v238, v76
	s_delay_alu instid0(VALU_DEP_4) | instskip(NEXT) | instid1(VALU_DEP_4)
	v_add3_u32 v2, v2, v111, v112
	v_add3_u32 v105, v107, v106, v105
	v_mul_i32_i24_e32 v106, v234, v67
	v_mul_i32_i24_e32 v107, v235, v68
	;; [unrolled: 1-line block ×3, first 2 shown]
	v_mad_co_u64_u32 v[1:2], null, v2, v64, v[1:2]
	v_add3_u32 v103, v105, v103, v104
	v_mul_i32_i24_e32 v104, v231, v48
	v_mul_i32_i24_e32 v105, v233, v66
	;; [unrolled: 1-line block ×3, first 2 shown]
	s_delay_alu instid0(VALU_DEP_4) | instskip(SKIP_3) | instid1(VALU_DEP_4)
	v_add3_u32 v101, v103, v102, v101
	v_cvt_f32_i32_e32 v1, v1
	v_mul_i32_i24_e32 v102, v229, v14
	v_mul_i32_i24_e32 v103, v230, v47
	v_cvt_f32_i32_e32 v2, v101
	v_mul_i32_i24_e32 v101, v8, v243
	s_delay_alu instid0(VALU_DEP_2) | instskip(NEXT) | instid1(VALU_DEP_1)
	v_mul_f32_e32 v2, v13, v2
	v_fma_mix_f32 v1, v244, v1, -v2 op_sel_hi:[1,0,0]
	scratch_load_b32 v2, off, off           ; 4-byte Folded Reload
	s_wait_loadcnt 0x0
	v_fmac_f32_e32 v2, v4, v1
	v_mul_i32_i24_e32 v1, v5, v240
	scratch_store_b32 off, v2, off          ; 4-byte Folded Spill
	v_mul_i32_i24_e32 v2, v7, v242
	v_mad_i32_i24 v1, v6, v232, v1
	s_delay_alu instid0(VALU_DEP_1) | instskip(SKIP_2) | instid1(VALU_DEP_1)
	v_add3_u32 v1, v1, v2, v101
	v_mul_i32_i24_e32 v2, v227, v9
	v_mul_i32_i24_e32 v101, v228, v10
	v_add3_u32 v1, v1, v2, v101
	v_mul_i32_i24_e32 v2, v223, v77
	v_mul_i32_i24_e32 v101, v225, v79
	s_delay_alu instid0(VALU_DEP_3) | instskip(SKIP_1) | instid1(VALU_DEP_4)
	v_add3_u32 v1, v1, v102, v103
	v_mul_i32_i24_e32 v102, v226, v70
	v_mad_i32_i24 v2, v212, v78, v2
	v_mul_i32_i24_e32 v103, v211, v82
	s_delay_alu instid0(VALU_DEP_4) | instskip(SKIP_1) | instid1(VALU_DEP_4)
	v_add3_u32 v1, v1, v104, v105
	v_mul_i32_i24_e32 v104, v213, v71
	v_add3_u32 v2, v2, v101, v102
	v_mul_i32_i24_e32 v101, v209, v80
	v_mul_i32_i24_e32 v102, v210, v81
	v_add3_u32 v1, v1, v106, v107
	v_mul_i32_i24_e32 v105, v214, v83
	v_mul_i32_i24_e32 v106, v215, v84
	v_mul_i32_i24_e32 v107, v216, v85
	v_add3_u32 v2, v2, v101, v102
	v_add3_u32 v1, v1, v108, v109
	v_mul_i32_i24_e32 v108, v217, v72
	v_mul_i32_i24_e32 v109, v218, v86
	v_mul_i32_i24_e32 v101, v89, v208
	v_add3_u32 v2, v2, v103, v104
	;; [unrolled: 5-line block ×3, first 2 shown]
	v_mul_i32_i24_e32 v105, v97, v204
	v_mul_i32_i24_e32 v106, v98, v203
	;; [unrolled: 1-line block ×3, first 2 shown]
	v_mul_lo_u32 v1, v1, v241
	v_add3_u32 v2, v2, v107, v108
	v_mul_i32_i24_e32 v107, v100, v201
	v_mul_i32_i24_e32 v102, v90, v207
	;; [unrolled: 1-line block ×3, first 2 shown]
	s_delay_alu instid0(VALU_DEP_4) | instskip(NEXT) | instid1(VALU_DEP_4)
	v_add3_u32 v2, v2, v109, v110
	v_mad_i32_i24 v107, v99, v202, v107
	v_mul_i32_i24_e32 v109, v193, v75
	v_mul_i32_i24_e32 v110, v194, v76
	s_delay_alu instid0(VALU_DEP_4) | instskip(NEXT) | instid1(VALU_DEP_4)
	v_add3_u32 v2, v2, v111, v112
	v_add3_u32 v105, v107, v106, v105
	v_mul_i32_i24_e32 v106, v190, v67
	v_mul_i32_i24_e32 v107, v191, v68
	v_mul_i32_i24_e32 v111, v195, v69
	v_mad_co_u64_u32 v[1:2], null, v2, v222, v[1:2]
	v_add3_u32 v103, v105, v103, v104
	v_mul_i32_i24_e32 v104, v187, v48
	v_mul_i32_i24_e32 v105, v189, v66
	;; [unrolled: 1-line block ×3, first 2 shown]
	s_delay_alu instid0(VALU_DEP_4) | instskip(SKIP_3) | instid1(VALU_DEP_4)
	v_add3_u32 v101, v103, v102, v101
	v_cvt_f32_i32_e32 v1, v1
	v_mul_i32_i24_e32 v102, v185, v14
	v_mul_i32_i24_e32 v103, v186, v47
	v_cvt_f32_i32_e32 v2, v101
	v_mul_i32_i24_e32 v101, v8, v200
	s_delay_alu instid0(VALU_DEP_2) | instskip(NEXT) | instid1(VALU_DEP_1)
	v_mul_f32_e32 v2, v224, v2
	v_fma_mix_f32 v1, v199, v1, -v2 op_sel_hi:[1,0,0]
	scratch_load_b32 v2, off, off offset:4  ; 4-byte Folded Reload
	s_wait_loadcnt 0x0
	v_fmac_f32_e32 v2, v4, v1
	v_mul_i32_i24_e32 v1, v5, v196
	scratch_store_b32 off, v2, off offset:4 ; 4-byte Folded Spill
	v_mul_i32_i24_e32 v2, v7, v198
	v_mad_i32_i24 v1, v6, v188, v1
	s_delay_alu instid0(VALU_DEP_1) | instskip(SKIP_2) | instid1(VALU_DEP_1)
	v_add3_u32 v1, v1, v2, v101
	v_mul_i32_i24_e32 v2, v183, v9
	v_mul_i32_i24_e32 v101, v184, v10
	v_add3_u32 v1, v1, v2, v101
	v_mul_i32_i24_e32 v2, v179, v77
	v_mul_i32_i24_e32 v101, v181, v79
	s_delay_alu instid0(VALU_DEP_3) | instskip(SKIP_1) | instid1(VALU_DEP_4)
	v_add3_u32 v1, v1, v102, v103
	v_mul_i32_i24_e32 v102, v182, v70
	v_mad_i32_i24 v2, v168, v78, v2
	v_mul_i32_i24_e32 v103, v167, v82
	s_delay_alu instid0(VALU_DEP_4) | instskip(SKIP_1) | instid1(VALU_DEP_4)
	v_add3_u32 v1, v1, v104, v105
	v_mul_i32_i24_e32 v104, v169, v71
	v_add3_u32 v2, v2, v101, v102
	v_mul_i32_i24_e32 v101, v165, v80
	v_mul_i32_i24_e32 v102, v166, v81
	v_add3_u32 v1, v1, v106, v107
	v_mul_i32_i24_e32 v105, v170, v83
	v_mul_i32_i24_e32 v106, v171, v84
	v_mul_i32_i24_e32 v107, v172, v85
	v_add3_u32 v2, v2, v101, v102
	v_add3_u32 v1, v1, v108, v109
	v_mul_i32_i24_e32 v108, v173, v72
	v_mul_i32_i24_e32 v109, v174, v86
	v_mul_i32_i24_e32 v101, v89, v164
	v_add3_u32 v2, v2, v103, v104
	;; [unrolled: 5-line block ×3, first 2 shown]
	v_mul_i32_i24_e32 v105, v97, v160
	v_mul_i32_i24_e32 v106, v98, v159
	;; [unrolled: 1-line block ×3, first 2 shown]
	v_mul_lo_u32 v1, v1, v197
	v_add3_u32 v2, v2, v107, v108
	v_mul_i32_i24_e32 v107, v100, v157
	v_mul_i32_i24_e32 v102, v90, v163
	s_delay_alu instid0(VALU_DEP_3)
	v_add3_u32 v2, v2, v109, v110
	scratch_load_b32 v110, off, off offset:124 th:TH_LOAD_LU ; 4-byte Folded Reload
	v_mad_i32_i24 v107, v99, v158, v107
	v_add3_u32 v2, v2, v111, v112
	scratch_load_b32 v111, off, off offset:52 ; 4-byte Folded Reload
	v_add3_u32 v105, v107, v106, v105
	v_mad_co_u64_u32 v[1:2], null, v2, v178, v[1:2]
	s_delay_alu instid0(VALU_DEP_2) | instskip(NEXT) | instid1(VALU_DEP_1)
	v_add3_u32 v103, v105, v103, v104
	v_add3_u32 v101, v103, v102, v101
	s_delay_alu instid0(VALU_DEP_3) | instskip(NEXT) | instid1(VALU_DEP_2)
	v_cvt_f32_i32_e32 v1, v1
	v_cvt_f32_i32_e32 v2, v101
	s_delay_alu instid0(VALU_DEP_1) | instskip(NEXT) | instid1(VALU_DEP_1)
	v_mul_f32_e32 v2, v180, v2
	v_fma_mix_f32 v1, v155, v1, -v2 op_sel_hi:[1,0,0]
	v_mul_i32_i24_e32 v2, v7, v154
	v_mul_i32_i24_e32 v7, v142, v47
	;; [unrolled: 1-line block ×3, first 2 shown]
	s_delay_alu instid0(VALU_DEP_4) | instskip(SKIP_4) | instid1(VALU_DEP_4)
	v_fmac_f32_e32 v11, v4, v1
	v_mul_i32_i24_e32 v1, v5, v152
	v_mul_i32_i24_e32 v5, v8, v156
	;; [unrolled: 1-line block ×4, first 2 shown]
	v_mad_i32_i24 v1, v6, v144, v1
	v_mul_i32_i24_e32 v6, v141, v14
	v_mul_i32_i24_e32 v14, v147, v68
	;; [unrolled: 1-line block ×3, first 2 shown]
	s_delay_alu instid0(VALU_DEP_4)
	v_add3_u32 v1, v1, v2, v5
	v_mul_i32_i24_e32 v2, v3, v9
	v_mul_i32_i24_e32 v5, v140, v10
	;; [unrolled: 1-line block ×6, first 2 shown]
	v_add3_u32 v1, v1, v2, v5
	v_mul_i32_i24_e32 v2, v137, v77
	v_mul_i32_i24_e32 v5, v138, v79
	s_delay_alu instid0(VALU_DEP_3) | instskip(SKIP_1) | instid1(VALU_DEP_4)
	v_add3_u32 v1, v1, v6, v7
	v_mul_i32_i24_e32 v6, v139, v70
	v_mad_i32_i24 v2, v136, v78, v2
	v_mul_i32_i24_e32 v7, v126, v82
	s_delay_alu instid0(VALU_DEP_4) | instskip(SKIP_1) | instid1(VALU_DEP_4)
	v_add3_u32 v1, v1, v8, v9
	v_mul_i32_i24_e32 v8, v127, v71
	v_add3_u32 v2, v2, v5, v6
	v_mul_i32_i24_e32 v5, v124, v80
	v_mul_i32_i24_e32 v6, v125, v81
	v_add3_u32 v1, v1, v10, v14
	v_mul_i32_i24_e32 v9, v128, v83
	v_mul_i32_i24_e32 v10, v129, v84
	v_mul_i32_i24_e32 v14, v130, v85
	v_add3_u32 v2, v2, v5, v6
	v_add3_u32 v1, v1, v47, v48
	v_mul_i32_i24_e32 v47, v131, v72
	v_mul_i32_i24_e32 v48, v132, v86
	v_mul_i32_i24_e32 v5, v89, v123
	v_add3_u32 v2, v2, v7, v8
	;; [unrolled: 5-line block ×3, first 2 shown]
	v_mul_i32_i24_e32 v9, v97, v119
	v_mul_i32_i24_e32 v10, v98, v118
	;; [unrolled: 1-line block ×3, first 2 shown]
	v_mul_lo_u32 v1, v1, v153
	v_add3_u32 v2, v2, v14, v47
	v_mul_i32_i24_e32 v14, v100, v116
	v_mul_i32_i24_e32 v6, v90, v122
	s_delay_alu instid0(VALU_DEP_3) | instskip(NEXT) | instid1(VALU_DEP_3)
	v_add3_u32 v2, v2, v48, v66
	v_mad_i32_i24 v14, v99, v117, v14
	s_delay_alu instid0(VALU_DEP_2) | instskip(NEXT) | instid1(VALU_DEP_2)
	v_add3_u32 v2, v2, v67, v68
	v_add3_u32 v9, v14, v10, v9
	s_delay_alu instid0(VALU_DEP_2) | instskip(NEXT) | instid1(VALU_DEP_2)
	v_mad_co_u64_u32 v[1:2], null, v2, v115, v[1:2]
	v_add3_u32 v7, v9, v7, v8
	s_delay_alu instid0(VALU_DEP_1) | instskip(NEXT) | instid1(VALU_DEP_3)
	v_add3_u32 v5, v7, v6, v5
	v_cvt_f32_i32_e32 v1, v1
	s_delay_alu instid0(VALU_DEP_2) | instskip(NEXT) | instid1(VALU_DEP_1)
	v_cvt_f32_i32_e32 v2, v5
	v_mul_f32_e32 v2, v114, v2
	s_delay_alu instid0(VALU_DEP_1) | instskip(SKIP_1) | instid1(VALU_DEP_1)
	v_fma_mix_f32 v1, v113, v1, -v2 op_sel_hi:[1,0,0]
	s_wait_loadcnt 0x1
	v_fmac_f32_e32 v110, v4, v1
	s_wait_loadcnt 0x0
	v_or_b32_e32 v1, s17, v111
	s_delay_alu instid0(VALU_DEP_1)
	v_lshlrev_b32_e32 v2, 2, v1
	v_lshrrev_b32_e32 v1, 1, v1
	ds_load_b32 v47, v1 offset:30368
	ds_load_b128 v[66:69], v2 offset:16896
	ds_load_b128 v[106:109], v2 offset:16912
	s_wait_dscnt 0x1
	v_bfe_i32 v84, v67, 0, 8
	s_wait_dscnt 0x0
	v_ashrrev_i32_e32 v83, 24, v106
	v_ashrrev_i32_e32 v97, 24, v107
	v_bfe_i32 v75, v106, 16, 8
	v_bfe_i32 v96, v107, 16, 8
	v_ashrrev_i32_e32 v101, 24, v108
	v_ashrrev_i32_e32 v112, 24, v109
	v_add_nc_u32_e32 v4, v97, v83
	v_bfe_i32 v85, v67, 8, 8
	v_bfe_i32 v105, v67, 16, 8
	v_ashrrev_i32_e32 v76, 24, v67
	v_bfe_i32 v2, v106, 0, 8
	v_bfe_i32 v73, v107, 0, 8
	v_bfe_i32 v100, v108, 16, 8
	v_bfe_i32 v14, v109, 16, 8
	v_add3_u32 v67, v4, v101, v112
	v_add_nc_u32_e32 v4, v96, v75
	v_bfe_i32 v77, v68, 0, 8
	v_bfe_i32 v78, v68, 8, 8
	;; [unrolled: 1-line block ×3, first 2 shown]
	v_ashrrev_i32_e32 v80, 24, v68
	v_bfe_i32 v1, v106, 8, 8
	v_bfe_i32 v74, v107, 8, 8
	;; [unrolled: 1-line block ×4, first 2 shown]
	v_add3_u32 v68, v4, v100, v14
	v_add_nc_u32_e32 v4, v73, v2
	v_ashrrev_i32_e32 v91, 24, v66
	v_bfe_i32 v81, v69, 0, 8
	v_bfe_i32 v82, v69, 8, 8
	;; [unrolled: 1-line block ×3, first 2 shown]
	v_ashrrev_i32_e32 v87, 24, v69
	v_bfe_i32 v99, v108, 8, 8
	v_bfe_i32 v103, v109, 8, 8
	v_add3_u32 v69, v4, v98, v102
	v_add_nc_u32_e32 v4, v74, v1
	v_bfe_i32 v90, v66, 16, 8
	v_bfe_i32 v88, v66, 8, 8
	;; [unrolled: 1-line block ×3, first 2 shown]
	v_mul_i32_i24_e32 v6, v91, v43
	v_add3_u32 v70, v4, v99, v103
	v_add_nc_u32_e32 v4, v76, v91
	v_mul_i32_i24_e32 v5, v90, v41
	v_mul_i32_i24_e32 v7, v93, v76
	scratch_load_b32 v93, off, off offset:16 th:TH_LOAD_LU ; 4-byte Folded Reload
	v_mul_i32_i24_e32 v8, v94, v77
	v_add3_u32 v71, v4, v80, v87
	v_add_nc_u32_e32 v4, v105, v90
	scratch_load_b32 v94, off, off offset:20 th:TH_LOAD_LU ; 4-byte Folded Reload
	v_mul_i32_i24_e32 v0, v0, v85
	v_mul_i32_i24_e32 v9, v95, v78
	v_mul_i32_i24_e32 v10, v30, v79
	v_add3_u32 v72, v4, v79, v86
	v_add_nc_u32_e32 v4, v85, v88
	v_mul_i32_i24_e32 v30, v33, v80
	v_mul_i32_i24_e32 v33, v34, v81
	v_mul_i32_i24_e32 v34, v36, v82
	v_mul_i32_i24_e32 v20, v20, v103
	v_add3_u32 v48, v4, v78, v82
	v_add_nc_u32_e32 v4, v84, v89
	v_mul_i32_i24_e32 v36, v37, v86
	v_mul_i32_i24_e32 v37, v38, v87
	;; [unrolled: 1-line block ×3, first 2 shown]
	s_delay_alu instid0(VALU_DEP_4) | instskip(SKIP_1) | instid1(VALU_DEP_1)
	v_add3_u32 v66, v4, v77, v81
	v_mul_i32_i24_e32 v4, v89, v39
	v_mad_i32_i24 v4, v88, v61, v4
	s_delay_alu instid0(VALU_DEP_1) | instskip(SKIP_3) | instid1(VALU_DEP_1)
	v_add3_u32 v4, v4, v5, v6
	v_mul_i32_i24_e32 v6, v92, v105
	scratch_load_b32 v92, off, off offset:12 th:TH_LOAD_LU ; 4-byte Folded Reload
	v_mul_i32_i24_e32 v5, v65, v84
	v_add3_u32 v0, v4, v5, v0
	v_mul_i32_i24_e32 v4, v58, v2
	v_mul_i32_i24_e32 v5, v59, v75
	s_delay_alu instid0(VALU_DEP_3) | instskip(SKIP_1) | instid1(VALU_DEP_4)
	v_add3_u32 v0, v0, v6, v7
	v_mul_i32_i24_e32 v6, v60, v83
	v_mad_i32_i24 v4, v246, v1, v4
	v_mul_i32_i24_e32 v7, v249, v96
	s_delay_alu instid0(VALU_DEP_4) | instskip(SKIP_1) | instid1(VALU_DEP_4)
	v_add3_u32 v0, v0, v8, v9
	v_mul_i32_i24_e32 v8, v250, v97
	v_add3_u32 v4, v4, v5, v6
	v_mul_i32_i24_e32 v5, v247, v73
	v_mul_i32_i24_e32 v6, v248, v74
	v_add3_u32 v0, v0, v10, v30
	v_mul_i32_i24_e32 v9, v251, v98
	v_mul_i32_i24_e32 v10, v252, v99
	v_mul_i32_i24_e32 v30, v253, v100
	v_add3_u32 v4, v4, v5, v6
	v_add3_u32 v0, v0, v33, v34
	v_mul_i32_i24_e32 v33, v254, v101
	v_mul_i32_i24_e32 v34, v255, v102
	v_mul_i32_i24_e32 v5, v67, v50
	v_add3_u32 v4, v4, v7, v8
	;; [unrolled: 5-line block ×3, first 2 shown]
	v_mul_i32_i24_e32 v9, v71, v46
	v_mul_i32_i24_e32 v10, v72, v49
	;; [unrolled: 1-line block ×3, first 2 shown]
	v_mul_lo_u32 v0, v0, v245
	v_add3_u32 v4, v4, v30, v33
	v_mul_i32_i24_e32 v6, v68, v54
	v_mul_i32_i24_e32 v30, v237, v82
	s_delay_alu instid0(VALU_DEP_3) | instskip(SKIP_1) | instid1(VALU_DEP_2)
	v_add3_u32 v4, v4, v34, v20
	v_mul_i32_i24_e32 v20, v66, v45
	v_add3_u32 v4, v4, v36, v37
	s_delay_alu instid0(VALU_DEP_2) | instskip(SKIP_1) | instid1(VALU_DEP_3)
	v_mad_i32_i24 v20, v48, v52, v20
	v_mul_i32_i24_e32 v36, v221, v112
	v_mad_co_u64_u32 v[33:34], null, v4, v64, v[0:1]
	s_delay_alu instid0(VALU_DEP_3) | instskip(SKIP_3) | instid1(VALU_DEP_4)
	v_add3_u32 v9, v20, v10, v9
	v_mul_i32_i24_e32 v10, v234, v79
	v_mul_i32_i24_e32 v20, v236, v81
	;; [unrolled: 1-line block ×3, first 2 shown]
	v_add3_u32 v7, v9, v7, v8
	v_cvt_f32_i32_e32 v0, v33
	v_mul_i32_i24_e32 v8, v231, v77
	v_mul_i32_i24_e32 v9, v233, v78
	;; [unrolled: 1-line block ×3, first 2 shown]
	v_add3_u32 v5, v7, v6, v5
	v_mul_i32_i24_e32 v6, v229, v105
	v_mul_i32_i24_e32 v7, v230, v76
	s_delay_alu instid0(VALU_DEP_3) | instskip(SKIP_1) | instid1(VALU_DEP_2)
	v_cvt_f32_i32_e32 v4, v5
	v_mul_i32_i24_e32 v5, v91, v243
	v_mul_f32_e32 v4, v13, v4
	v_mul_i32_i24_e32 v13, v235, v80
	s_delay_alu instid0(VALU_DEP_2) | instskip(SKIP_2) | instid1(VALU_DEP_2)
	v_fma_mix_f32 v0, v244, v0, -v4 op_sel_hi:[1,0,0]
	v_mul_i32_i24_e32 v4, v90, v242
	s_wait_loadcnt 0x1
	v_fmac_f32_e32 v94, v47, v0
	v_mul_i32_i24_e32 v0, v89, v240
	s_delay_alu instid0(VALU_DEP_1) | instskip(NEXT) | instid1(VALU_DEP_1)
	v_mad_i32_i24 v0, v88, v232, v0
	v_add3_u32 v0, v0, v4, v5
	v_mul_i32_i24_e32 v4, v227, v84
	v_mul_i32_i24_e32 v5, v228, v85
	s_delay_alu instid0(VALU_DEP_1) | instskip(SKIP_2) | instid1(VALU_DEP_3)
	v_add3_u32 v0, v0, v4, v5
	v_mul_i32_i24_e32 v4, v223, v2
	v_mul_i32_i24_e32 v5, v225, v75
	v_add3_u32 v0, v0, v6, v7
	v_mul_i32_i24_e32 v6, v226, v83
	s_delay_alu instid0(VALU_DEP_4) | instskip(SKIP_1) | instid1(VALU_DEP_4)
	v_mad_i32_i24 v4, v212, v1, v4
	v_mul_i32_i24_e32 v7, v211, v96
	v_add3_u32 v0, v0, v8, v9
	v_mul_i32_i24_e32 v8, v213, v97
	s_delay_alu instid0(VALU_DEP_4)
	v_add3_u32 v4, v4, v5, v6
	v_mul_i32_i24_e32 v5, v209, v73
	v_mul_i32_i24_e32 v6, v210, v74
	v_add3_u32 v0, v0, v10, v13
	v_mul_i32_i24_e32 v9, v214, v98
	v_mul_i32_i24_e32 v10, v215, v99
	v_mul_i32_i24_e32 v13, v216, v100
	v_add3_u32 v4, v4, v5, v6
	v_add3_u32 v0, v0, v20, v30
	v_mul_i32_i24_e32 v20, v217, v101
	v_mul_i32_i24_e32 v30, v218, v102
	v_mul_i32_i24_e32 v5, v67, v208
	v_add3_u32 v4, v4, v7, v8
	;; [unrolled: 5-line block ×3, first 2 shown]
	v_mul_i32_i24_e32 v9, v71, v204
	v_mul_i32_i24_e32 v10, v72, v203
	;; [unrolled: 1-line block ×3, first 2 shown]
	v_mul_lo_u32 v0, v0, v241
	v_add3_u32 v4, v4, v13, v20
	v_mul_i32_i24_e32 v13, v66, v201
	v_mul_i32_i24_e32 v6, v68, v207
	;; [unrolled: 1-line block ×3, first 2 shown]
	s_delay_alu instid0(VALU_DEP_4) | instskip(NEXT) | instid1(VALU_DEP_4)
	v_add3_u32 v4, v4, v30, v33
	v_mad_i32_i24 v13, v48, v202, v13
	v_mul_i32_i24_e32 v30, v193, v82
	s_delay_alu instid0(VALU_DEP_3) | instskip(NEXT) | instid1(VALU_DEP_3)
	v_add3_u32 v4, v4, v34, v36
	v_add3_u32 v9, v13, v10, v9
	v_mul_i32_i24_e32 v10, v190, v79
	v_mul_i32_i24_e32 v13, v191, v80
	;; [unrolled: 1-line block ×3, first 2 shown]
	v_mad_co_u64_u32 v[33:34], null, v4, v222, v[0:1]
	v_add3_u32 v7, v9, v7, v8
	v_mul_i32_i24_e32 v8, v187, v77
	v_mul_i32_i24_e32 v9, v189, v78
	;; [unrolled: 1-line block ×3, first 2 shown]
	s_delay_alu instid0(VALU_DEP_4)
	v_add3_u32 v5, v7, v6, v5
	v_cvt_f32_i32_e32 v0, v33
	v_mul_i32_i24_e32 v6, v185, v105
	v_mul_i32_i24_e32 v7, v186, v76
	v_mul_i32_i24_e32 v33, v194, v86
	v_cvt_f32_i32_e32 v4, v5
	v_mul_i32_i24_e32 v5, v91, v200
	s_delay_alu instid0(VALU_DEP_2) | instskip(NEXT) | instid1(VALU_DEP_1)
	v_mul_f32_e32 v4, v224, v4
	v_fma_mix_f32 v0, v199, v0, -v4 op_sel_hi:[1,0,0]
	v_mul_i32_i24_e32 v4, v90, v198
	s_delay_alu instid0(VALU_DEP_2) | instskip(SKIP_1) | instid1(VALU_DEP_1)
	v_fmac_f32_e32 v93, v47, v0
	v_mul_i32_i24_e32 v0, v89, v196
	v_mad_i32_i24 v0, v88, v188, v0
	s_delay_alu instid0(VALU_DEP_1) | instskip(SKIP_2) | instid1(VALU_DEP_1)
	v_add3_u32 v0, v0, v4, v5
	v_mul_i32_i24_e32 v4, v183, v84
	v_mul_i32_i24_e32 v5, v184, v85
	v_add3_u32 v0, v0, v4, v5
	v_mul_i32_i24_e32 v4, v179, v2
	v_mul_i32_i24_e32 v5, v181, v75
	s_delay_alu instid0(VALU_DEP_3) | instskip(SKIP_1) | instid1(VALU_DEP_4)
	v_add3_u32 v0, v0, v6, v7
	v_mul_i32_i24_e32 v6, v182, v83
	v_mad_i32_i24 v4, v168, v1, v4
	v_mul_i32_i24_e32 v7, v167, v96
	s_delay_alu instid0(VALU_DEP_4) | instskip(SKIP_1) | instid1(VALU_DEP_4)
	v_add3_u32 v0, v0, v8, v9
	v_mul_i32_i24_e32 v8, v169, v97
	v_add3_u32 v4, v4, v5, v6
	v_mul_i32_i24_e32 v5, v165, v73
	v_mul_i32_i24_e32 v6, v166, v74
	v_add3_u32 v0, v0, v10, v13
	v_mul_i32_i24_e32 v9, v170, v98
	v_mul_i32_i24_e32 v10, v171, v99
	v_mul_i32_i24_e32 v13, v172, v100
	v_add3_u32 v4, v4, v5, v6
	v_add3_u32 v0, v0, v20, v30
	v_mul_i32_i24_e32 v20, v173, v101
	v_mul_i32_i24_e32 v30, v174, v102
	v_mul_i32_i24_e32 v5, v67, v164
	v_add3_u32 v4, v4, v7, v8
	;; [unrolled: 5-line block ×3, first 2 shown]
	v_mul_i32_i24_e32 v9, v71, v160
	v_mul_i32_i24_e32 v10, v72, v159
	;; [unrolled: 1-line block ×3, first 2 shown]
	v_mul_lo_u32 v0, v0, v197
	v_add3_u32 v4, v4, v13, v20
	v_mul_i32_i24_e32 v13, v66, v157
	v_mul_i32_i24_e32 v6, v68, v163
	;; [unrolled: 1-line block ×4, first 2 shown]
	v_add3_u32 v4, v4, v30, v33
	v_mad_i32_i24 v13, v48, v158, v13
	v_mul_i32_i24_e32 v30, v150, v86
	scratch_load_b32 v134, off, off offset:108 ; 4-byte Folded Reload
	v_add3_u32 v4, v4, v34, v36
	v_add3_u32 v9, v13, v10, v9
	v_mul_i32_i24_e32 v10, v147, v80
	v_mul_i32_i24_e32 v13, v148, v81
	scratch_load_b32 v80, off, off offset:96 ; 4-byte Folded Reload
	v_mad_co_u64_u32 v[33:34], null, v4, v178, v[0:1]
	v_add3_u32 v7, v9, v7, v8
	v_mul_i32_i24_e32 v8, v145, v78
	v_mul_i32_i24_e32 v9, v146, v79
	s_clause 0x1
	scratch_load_b32 v78, off, off offset:64
	scratch_load_b32 v79, off, off offset:92
	v_add3_u32 v5, v7, v6, v5
	v_cvt_f32_i32_e32 v0, v33
	v_mul_i32_i24_e32 v6, v142, v76
	v_mul_i32_i24_e32 v7, v143, v77
	;; [unrolled: 1-line block ×3, first 2 shown]
	v_cvt_f32_i32_e32 v4, v5
	v_mul_i32_i24_e32 v5, v91, v156
	s_clause 0x1
	scratch_load_b32 v76, off, off offset:56
	scratch_load_b32 v77, off, off offset:60
	v_mul_f32_e32 v4, v180, v4
	s_delay_alu instid0(VALU_DEP_1) | instskip(SKIP_2) | instid1(VALU_DEP_2)
	v_fma_mix_f32 v0, v155, v0, -v4 op_sel_hi:[1,0,0]
	v_mul_i32_i24_e32 v4, v90, v154
	s_wait_loadcnt 0x6
	v_fmac_f32_e32 v92, v47, v0
	v_mul_i32_i24_e32 v0, v89, v152
	s_delay_alu instid0(VALU_DEP_1) | instskip(NEXT) | instid1(VALU_DEP_1)
	v_mad_i32_i24 v0, v88, v144, v0
	v_add3_u32 v0, v0, v4, v5
	v_mul_i32_i24_e32 v4, v140, v85
	v_mul_i32_i24_e32 v5, v141, v105
	s_delay_alu instid0(VALU_DEP_2) | instskip(SKIP_1) | instid1(VALU_DEP_2)
	v_add3_u32 v0, v0, v3, v4
	v_mul_i32_i24_e32 v4, v139, v83
	v_add3_u32 v0, v0, v5, v6
	v_mul_i32_i24_e32 v5, v127, v97
	v_mul_i32_i24_e32 v6, v128, v98
	s_delay_alu instid0(VALU_DEP_3)
	v_add3_u32 v0, v0, v7, v8
	v_mul_i32_i24_e32 v7, v129, v99
	v_mul_i32_i24_e32 v8, v130, v100
	scratch_load_b32 v130, off, off offset:76 ; 4-byte Folded Reload
	v_add3_u32 v0, v0, v9, v10
	v_mul_i32_i24_e32 v9, v131, v101
	v_mul_i32_i24_e32 v10, v132, v102
	s_clause 0x1
	scratch_load_b32 v131, off, off offset:80
	scratch_load_b32 v132, off, off offset:84
	v_add3_u32 v0, v0, v13, v20
	v_mul_i32_i24_e32 v13, v133, v103
	v_mul_i32_i24_e32 v20, v135, v112
	s_clause 0x1
	scratch_load_b32 v133, off, off offset:88
	scratch_load_b32 v135, off, off offset:112
	v_add3_u32 v0, v0, v30, v33
	v_mul_i32_i24_e32 v30, v70, v121
	s_delay_alu instid0(VALU_DEP_2)
	v_mul_lo_u32 v3, v0, v153
	v_mul_i32_i24_e32 v0, v137, v2
	v_mul_i32_i24_e32 v2, v138, v75
	scratch_load_b32 v137, off, off offset:120 ; 4-byte Folded Reload
	v_mad_i32_i24 v0, v136, v1, v0
	v_mul_i32_i24_e32 v1, v124, v73
	s_clause 0x1
	scratch_load_b32 v136, off, off offset:116
	scratch_load_b32 v124, off, off offset:100
	v_add3_u32 v0, v0, v2, v4
	v_mul_i32_i24_e32 v2, v125, v74
	v_mul_i32_i24_e32 v4, v126, v96
	scratch_load_b32 v125, off, off offset:104 ; 4-byte Folded Reload
	v_add3_u32 v0, v0, v1, v2
	v_mul_i32_i24_e32 v1, v71, v119
	v_mul_i32_i24_e32 v2, v72, v118
	s_delay_alu instid0(VALU_DEP_3) | instskip(SKIP_1) | instid1(VALU_DEP_2)
	v_add3_u32 v0, v0, v4, v5
	v_mul_i32_i24_e32 v4, v66, v116
	v_add3_u32 v0, v0, v6, v7
	s_delay_alu instid0(VALU_DEP_2) | instskip(NEXT) | instid1(VALU_DEP_2)
	v_mad_i32_i24 v4, v48, v117, v4
	v_add3_u32 v0, v0, v8, v9
	s_delay_alu instid0(VALU_DEP_2) | instskip(NEXT) | instid1(VALU_DEP_2)
	v_add3_u32 v1, v4, v2, v1
	v_add3_u32 v0, v0, v10, v13
	v_mul_i32_i24_e32 v13, v67, v123
	scratch_load_b32 v123, off, off offset:72 ; 4-byte Folded Reload
	v_add3_u32 v0, v0, v14, v20
	v_mul_i32_i24_e32 v20, v68, v122
	s_clause 0x1
	scratch_load_b32 v122, off, off offset:68
	scratch_load_b32 v68, off, off offset:8 th:TH_LOAD_LU
	v_mul_i32_i24_e32 v14, v69, v120
	scratch_load_b32 v69, off, off offset:48 ; 4-byte Folded Reload
	v_add3_u32 v1, v1, v14, v30
	s_delay_alu instid0(VALU_DEP_1) | instskip(SKIP_1) | instid1(VALU_DEP_2)
	v_add3_u32 v13, v1, v20, v13
	v_mad_co_u64_u32 v[0:1], null, v0, v115, v[3:4]
	v_cvt_f32_i32_e32 v1, v13
	s_delay_alu instid0(VALU_DEP_2) | instskip(NEXT) | instid1(VALU_DEP_2)
	v_cvt_f32_i32_e32 v0, v0
	v_mul_f32_e32 v1, v114, v1
	s_delay_alu instid0(VALU_DEP_1) | instskip(SKIP_1) | instid1(VALU_DEP_1)
	v_fma_mix_f32 v0, v113, v0, -v1 op_sel_hi:[1,0,0]
	s_wait_loadcnt 0x1
	v_fmac_f32_e32 v68, v47, v0
	s_cbranch_scc1 .LBB127_12
; %bb.13:                               ;   in Loop: Header=BB127_8 Depth=2
	scratch_load_b32 v4, off, off offset:4  ; 4-byte Folded Reload
	s_wait_loadcnt 0x0
	s_wait_storecnt 0x0
	s_barrier_signal -1
	s_barrier_wait -1
	global_inv scope:SCOPE_SE
	s_clause 0x6
	scratch_load_b32 v5, off, off
	scratch_load_b32 v70, off, off offset:44
	scratch_load_b32 v71, off, off offset:36
	;; [unrolled: 1-line block ×6, first 2 shown]
	s_cmp_eq_u32 s12, 4
	s_cselect_b32 s13, -1, 0
	s_wait_alu 0xfffe
	s_and_b32 vcc_lo, exec_lo, s13
	s_wait_alu 0xfffe
	s_cbranch_vccz .LBB127_8
	s_branch .LBB127_5
.LBB127_14:
	s_clause 0x1
	scratch_load_b32 v1, off, off offset:212 th:TH_LOAD_LU
	scratch_load_b32 v2, off, off offset:132 th:TH_LOAD_LU
.LBB127_15:
	scratch_load_b32 v0, off, off offset:348 ; 4-byte Folded Reload
	s_mov_b32 s0, exec_lo
	s_wait_loadcnt 0x0
	v_cmpx_gt_u32_e64 s4, v0
	s_cbranch_execz .LBB127_66
; %bb.16:
	v_dual_mov_b32 v3, v0 :: v_dual_add_nc_u32 v0, s14, v2
	s_delay_alu instid0(VALU_DEP_1) | instskip(NEXT) | instid1(VALU_DEP_2)
	v_mul_lo_u32 v14, v3, s6
	v_cmp_gt_u32_e32 vcc_lo, s6, v0
	s_and_saveexec_b32 s1, vcc_lo
	s_cbranch_execz .LBB127_18
; %bb.17:
	s_delay_alu instid0(VALU_DEP_2) | instskip(NEXT) | instid1(VALU_DEP_1)
	v_dual_mov_b32 v3, 0 :: v_dual_add_nc_u32 v2, v0, v14
	v_lshlrev_b64_e32 v[2:3], 2, v[2:3]
	s_wait_kmcnt 0x0
	s_delay_alu instid0(VALU_DEP_1) | instskip(NEXT) | instid1(VALU_DEP_1)
	v_add_co_u32 v2, s0, s8, v2
	v_add_co_ci_u32_e64 v3, null, s9, v3, s0
	global_store_b32 v[2:3], v29, off
.LBB127_18:
	s_or_b32 exec_lo, exec_lo, s1
	v_add_nc_u32_e32 v2, 32, v0
	s_delay_alu instid0(VALU_DEP_1)
	v_cmp_gt_u32_e64 s0, s6, v2
	s_and_saveexec_b32 s2, s0
	s_cbranch_execz .LBB127_20
; %bb.19:
	v_dual_mov_b32 v34, 0 :: v_dual_add_nc_u32 v33, v2, v14
	s_delay_alu instid0(VALU_DEP_1) | instskip(SKIP_1) | instid1(VALU_DEP_1)
	v_lshlrev_b64_e32 v[33:34], 2, v[33:34]
	s_wait_kmcnt 0x0
	v_add_co_u32 v33, s1, s8, v33
	s_wait_alu 0xf1ff
	s_delay_alu instid0(VALU_DEP_2)
	v_add_co_ci_u32_e64 v34, null, s9, v34, s1
	global_store_b32 v[33:34], v15, off
.LBB127_20:
	s_wait_alu 0xfffe
	s_or_b32 exec_lo, exec_lo, s2
	v_add_nc_u32_e32 v3, 64, v0
	s_delay_alu instid0(VALU_DEP_1)
	v_cmp_gt_u32_e64 s1, s6, v3
	s_and_saveexec_b32 s3, s1
	s_cbranch_execz .LBB127_22
; %bb.21:
	v_dual_mov_b32 v34, 0 :: v_dual_add_nc_u32 v33, v3, v14
	s_delay_alu instid0(VALU_DEP_1) | instskip(SKIP_1) | instid1(VALU_DEP_1)
	v_lshlrev_b64_e32 v[33:34], 2, v[33:34]
	s_wait_kmcnt 0x0
	v_add_co_u32 v33, s2, s8, v33
	s_wait_alu 0xf1ff
	s_delay_alu instid0(VALU_DEP_2)
	v_add_co_ci_u32_e64 v34, null, s9, v34, s2
	global_store_b32 v[33:34], v16, off
.LBB127_22:
	s_wait_alu 0xfffe
	;; [unrolled: 18-line block ×3, first 2 shown]
	s_or_b32 exec_lo, exec_lo, s5
	v_add3_u32 v14, v1, s7, 8
	s_delay_alu instid0(VALU_DEP_1)
	v_cmp_gt_u32_e64 s3, s4, v14
	s_and_b32 exec_lo, exec_lo, s3
	s_cbranch_execz .LBB127_66
; %bb.25:
	v_mul_lo_u32 v14, v14, s6
	s_and_saveexec_b32 s5, vcc_lo
	s_cbranch_execnz .LBB127_67
; %bb.26:
	s_wait_alu 0xfffe
	s_or_b32 exec_lo, exec_lo, s5
	s_and_saveexec_b32 s5, s0
	s_cbranch_execnz .LBB127_68
.LBB127_27:
	s_wait_alu 0xfffe
	s_or_b32 exec_lo, exec_lo, s5
	s_and_saveexec_b32 s5, s1
	s_cbranch_execnz .LBB127_69
.LBB127_28:
	s_wait_alu 0xfffe
	s_or_b32 exec_lo, exec_lo, s5
	s_and_saveexec_b32 s5, s2
	s_cbranch_execz .LBB127_30
.LBB127_29:
	v_dual_mov_b32 v34, 0 :: v_dual_add_nc_u32 v33, v14, v13
	s_delay_alu instid0(VALU_DEP_1) | instskip(SKIP_1) | instid1(VALU_DEP_1)
	v_lshlrev_b64_e32 v[33:34], 2, v[33:34]
	s_wait_kmcnt 0x0
	v_add_co_u32 v33, s3, s8, v33
	s_wait_alu 0xf1ff
	s_delay_alu instid0(VALU_DEP_2)
	v_add_co_ci_u32_e64 v34, null, s9, v34, s3
	global_store_b32 v[33:34], v42, off
.LBB127_30:
	s_wait_alu 0xfffe
	s_or_b32 exec_lo, exec_lo, s5
	v_add3_u32 v14, v1, s7, 16
	s_delay_alu instid0(VALU_DEP_1)
	v_cmp_gt_u32_e64 s3, s4, v14
	s_and_b32 exec_lo, exec_lo, s3
	s_cbranch_execz .LBB127_66
; %bb.31:
	v_mul_lo_u32 v14, v14, s6
	s_and_saveexec_b32 s5, vcc_lo
	s_cbranch_execnz .LBB127_70
; %bb.32:
	s_wait_alu 0xfffe
	s_or_b32 exec_lo, exec_lo, s5
	s_and_saveexec_b32 s5, s0
	s_cbranch_execnz .LBB127_71
.LBB127_33:
	s_wait_alu 0xfffe
	s_or_b32 exec_lo, exec_lo, s5
	s_and_saveexec_b32 s5, s1
	s_cbranch_execnz .LBB127_72
.LBB127_34:
	s_wait_alu 0xfffe
	s_or_b32 exec_lo, exec_lo, s5
	s_and_saveexec_b32 s5, s2
	s_cbranch_execz .LBB127_36
.LBB127_35:
	v_dual_mov_b32 v30, 0 :: v_dual_add_nc_u32 v29, v14, v13
	s_delay_alu instid0(VALU_DEP_1) | instskip(SKIP_1) | instid1(VALU_DEP_1)
	v_lshlrev_b64_e32 v[29:30], 2, v[29:30]
	s_wait_kmcnt 0x0
	v_add_co_u32 v29, s3, s8, v29
	s_wait_alu 0xf1ff
	s_delay_alu instid0(VALU_DEP_2)
	v_add_co_ci_u32_e64 v30, null, s9, v30, s3
	global_store_b32 v[29:30], v31, off
.LBB127_36:
	s_wait_alu 0xfffe
	s_or_b32 exec_lo, exec_lo, s5
	v_add3_u32 v14, v1, s7, 24
	s_delay_alu instid0(VALU_DEP_1)
	v_cmp_gt_u32_e64 s3, s4, v14
	s_and_b32 exec_lo, exec_lo, s3
	s_cbranch_execz .LBB127_66
; %bb.37:
	v_mul_lo_u32 v14, v14, s6
	s_and_saveexec_b32 s5, vcc_lo
	s_cbranch_execnz .LBB127_73
; %bb.38:
	s_wait_alu 0xfffe
	s_or_b32 exec_lo, exec_lo, s5
	s_and_saveexec_b32 s5, s0
	s_cbranch_execnz .LBB127_74
.LBB127_39:
	s_wait_alu 0xfffe
	s_or_b32 exec_lo, exec_lo, s5
	s_and_saveexec_b32 s5, s1
	s_cbranch_execnz .LBB127_75
.LBB127_40:
	s_wait_alu 0xfffe
	s_or_b32 exec_lo, exec_lo, s5
	s_and_saveexec_b32 s5, s2
	s_cbranch_execz .LBB127_42
.LBB127_41:
	v_dual_mov_b32 v6, v24 :: v_dual_mov_b32 v7, v25
	v_dual_mov_b32 v25, 0 :: v_dual_add_nc_u32 v24, v14, v13
	s_delay_alu instid0(VALU_DEP_1) | instskip(SKIP_1) | instid1(VALU_DEP_1)
	v_lshlrev_b64_e32 v[24:25], 2, v[24:25]
	s_wait_kmcnt 0x0
	v_add_co_u32 v24, s3, s8, v24
	s_wait_alu 0xf1ff
	s_delay_alu instid0(VALU_DEP_2)
	v_add_co_ci_u32_e64 v25, null, s9, v25, s3
	global_store_b32 v[24:25], v7, off
	v_mov_b32_e32 v24, v6
.LBB127_42:
	s_wait_alu 0xfffe
	s_or_b32 exec_lo, exec_lo, s5
	v_add3_u32 v14, v1, s7, 32
	s_delay_alu instid0(VALU_DEP_1)
	v_cmp_gt_u32_e64 s3, s4, v14
	s_and_b32 exec_lo, exec_lo, s3
	s_cbranch_execz .LBB127_66
; %bb.43:
	v_mul_lo_u32 v14, v14, s6
	s_and_saveexec_b32 s5, vcc_lo
	s_cbranch_execnz .LBB127_76
; %bb.44:
	s_wait_alu 0xfffe
	s_or_b32 exec_lo, exec_lo, s5
	s_and_saveexec_b32 s5, s0
	s_cbranch_execnz .LBB127_77
.LBB127_45:
	s_wait_alu 0xfffe
	s_or_b32 exec_lo, exec_lo, s5
	s_and_saveexec_b32 s5, s1
	s_cbranch_execnz .LBB127_78
.LBB127_46:
	s_wait_alu 0xfffe
	s_or_b32 exec_lo, exec_lo, s5
	s_and_saveexec_b32 s5, s2
	s_cbranch_execz .LBB127_48
.LBB127_47:
	v_dual_mov_b32 v6, v19 :: v_dual_add_nc_u32 v19, v14, v13
	v_mov_b32_e32 v20, 0
	s_delay_alu instid0(VALU_DEP_1) | instskip(SKIP_1) | instid1(VALU_DEP_1)
	v_lshlrev_b64_e32 v[19:20], 2, v[19:20]
	s_wait_kmcnt 0x0
	v_add_co_u32 v19, s3, s8, v19
	s_wait_alu 0xf1ff
	s_delay_alu instid0(VALU_DEP_2)
	v_add_co_ci_u32_e64 v20, null, s9, v20, s3
	global_store_b32 v[19:20], v21, off
	v_mov_b32_e32 v19, v6
.LBB127_48:
	s_wait_alu 0xfffe
	s_or_b32 exec_lo, exec_lo, s5
	v_add3_u32 v14, v1, s7, 40
	s_delay_alu instid0(VALU_DEP_1)
	v_cmp_gt_u32_e64 s3, s4, v14
	s_and_b32 exec_lo, exec_lo, s3
	s_cbranch_execz .LBB127_66
; %bb.49:
	v_mul_lo_u32 v14, v14, s6
	s_and_saveexec_b32 s5, vcc_lo
	s_cbranch_execnz .LBB127_79
; %bb.50:
	s_wait_alu 0xfffe
	s_or_b32 exec_lo, exec_lo, s5
	s_and_saveexec_b32 s5, s0
	s_cbranch_execnz .LBB127_80
.LBB127_51:
	s_wait_alu 0xfffe
	s_or_b32 exec_lo, exec_lo, s5
	s_and_saveexec_b32 s5, s1
	s_cbranch_execnz .LBB127_81
.LBB127_52:
	s_wait_alu 0xfffe
	s_or_b32 exec_lo, exec_lo, s5
	s_and_saveexec_b32 s5, s2
	s_cbranch_execz .LBB127_54
.LBB127_53:
	v_dual_mov_b32 v15, 0 :: v_dual_add_nc_u32 v14, v14, v13
	s_delay_alu instid0(VALU_DEP_1) | instskip(SKIP_1) | instid1(VALU_DEP_1)
	v_lshlrev_b64_e32 v[14:15], 2, v[14:15]
	s_wait_kmcnt 0x0
	v_add_co_u32 v14, s3, s8, v14
	s_wait_alu 0xf1ff
	s_delay_alu instid0(VALU_DEP_2)
	v_add_co_ci_u32_e64 v15, null, s9, v15, s3
	global_store_b32 v[14:15], v12, off
.LBB127_54:
	s_wait_alu 0xfffe
	s_or_b32 exec_lo, exec_lo, s5
	v_add3_u32 v12, v1, s7, 48
	s_delay_alu instid0(VALU_DEP_1)
	v_cmp_gt_u32_e64 s3, s4, v12
	s_and_b32 exec_lo, exec_lo, s3
	s_cbranch_execz .LBB127_66
; %bb.55:
	v_mul_lo_u32 v12, v12, s6
	s_and_saveexec_b32 s5, vcc_lo
	s_cbranch_execnz .LBB127_82
; %bb.56:
	s_wait_alu 0xfffe
	s_or_b32 exec_lo, exec_lo, s5
	s_and_saveexec_b32 s5, s0
	s_cbranch_execnz .LBB127_83
.LBB127_57:
	s_wait_alu 0xfffe
	s_or_b32 exec_lo, exec_lo, s5
	s_and_saveexec_b32 s5, s1
	s_cbranch_execnz .LBB127_84
.LBB127_58:
	s_wait_alu 0xfffe
	s_or_b32 exec_lo, exec_lo, s5
	s_and_saveexec_b32 s5, s2
	s_cbranch_execz .LBB127_60
.LBB127_59:
	v_dual_mov_b32 v10, 0 :: v_dual_add_nc_u32 v9, v12, v13
	s_delay_alu instid0(VALU_DEP_1) | instskip(SKIP_1) | instid1(VALU_DEP_1)
	v_lshlrev_b64_e32 v[9:10], 2, v[9:10]
	s_wait_kmcnt 0x0
	v_add_co_u32 v9, s3, s8, v9
	s_wait_alu 0xf1ff
	s_delay_alu instid0(VALU_DEP_2)
	v_add_co_ci_u32_e64 v10, null, s9, v10, s3
	global_store_b32 v[9:10], v110, off
.LBB127_60:
	s_wait_alu 0xfffe
	s_or_b32 exec_lo, exec_lo, s5
	v_add3_u32 v1, v1, s7, 56
	s_delay_alu instid0(VALU_DEP_1)
	v_cmp_gt_u32_e64 s3, s4, v1
	s_and_b32 exec_lo, exec_lo, s3
	s_cbranch_execz .LBB127_66
; %bb.61:
	v_mul_lo_u32 v1, v1, s6
	s_and_saveexec_b32 s3, vcc_lo
	s_cbranch_execnz .LBB127_85
; %bb.62:
	s_wait_alu 0xfffe
	s_or_b32 exec_lo, exec_lo, s3
	s_and_saveexec_b32 s3, s0
	s_cbranch_execnz .LBB127_86
.LBB127_63:
	s_wait_alu 0xfffe
	s_or_b32 exec_lo, exec_lo, s3
	s_and_saveexec_b32 s0, s1
	s_cbranch_execnz .LBB127_87
.LBB127_64:
	s_wait_alu 0xfffe
	s_or_b32 exec_lo, exec_lo, s0
	s_delay_alu instid0(SALU_CYCLE_1)
	s_and_b32 exec_lo, exec_lo, s2
	s_cbranch_execz .LBB127_66
.LBB127_65:
	v_dual_mov_b32 v1, 0 :: v_dual_add_nc_u32 v0, v1, v13
	s_delay_alu instid0(VALU_DEP_1) | instskip(SKIP_1) | instid1(VALU_DEP_1)
	v_lshlrev_b64_e32 v[0:1], 2, v[0:1]
	s_wait_kmcnt 0x0
	v_add_co_u32 v0, vcc_lo, s8, v0
	s_wait_alu 0xfffd
	s_delay_alu instid0(VALU_DEP_2)
	v_add_co_ci_u32_e64 v1, null, s9, v1, vcc_lo
	global_store_b32 v[0:1], v68, off
.LBB127_66:
	s_nop 0
	s_sendmsg sendmsg(MSG_DEALLOC_VGPRS)
	s_endpgm
.LBB127_67:
	s_delay_alu instid0(VALU_DEP_1) | instskip(NEXT) | instid1(VALU_DEP_1)
	v_dual_mov_b32 v34, 0 :: v_dual_add_nc_u32 v33, v14, v0
	v_lshlrev_b64_e32 v[33:34], 2, v[33:34]
	s_wait_kmcnt 0x0
	s_delay_alu instid0(VALU_DEP_1) | instskip(SKIP_1) | instid1(VALU_DEP_2)
	v_add_co_u32 v33, s3, s8, v33
	s_wait_alu 0xf1ff
	v_add_co_ci_u32_e64 v34, null, s9, v34, s3
	global_store_b32 v[33:34], v57, off
	s_wait_alu 0xfffe
	s_or_b32 exec_lo, exec_lo, s5
	s_and_saveexec_b32 s5, s0
	s_cbranch_execz .LBB127_27
.LBB127_68:
	s_delay_alu instid0(VALU_DEP_1) | instskip(NEXT) | instid1(VALU_DEP_1)
	v_dual_mov_b32 v34, 0 :: v_dual_add_nc_u32 v33, v14, v2
	v_lshlrev_b64_e32 v[33:34], 2, v[33:34]
	s_wait_kmcnt 0x0
	s_delay_alu instid0(VALU_DEP_1) | instskip(SKIP_1) | instid1(VALU_DEP_2)
	v_add_co_u32 v33, s3, s8, v33
	s_wait_alu 0xf1ff
	v_add_co_ci_u32_e64 v34, null, s9, v34, s3
	global_store_b32 v[33:34], v51, off
	s_wait_alu 0xfffe
	s_or_b32 exec_lo, exec_lo, s5
	s_and_saveexec_b32 s5, s1
	s_cbranch_execz .LBB127_28
.LBB127_69:
	v_dual_mov_b32 v34, 0 :: v_dual_add_nc_u32 v33, v14, v3
	s_delay_alu instid0(VALU_DEP_1) | instskip(SKIP_1) | instid1(VALU_DEP_1)
	v_lshlrev_b64_e32 v[33:34], 2, v[33:34]
	s_wait_kmcnt 0x0
	v_add_co_u32 v33, s3, s8, v33
	s_wait_alu 0xf1ff
	s_delay_alu instid0(VALU_DEP_2)
	v_add_co_ci_u32_e64 v34, null, s9, v34, s3
	global_store_b32 v[33:34], v44, off
	s_wait_alu 0xfffe
	s_or_b32 exec_lo, exec_lo, s5
	s_and_saveexec_b32 s5, s2
	s_cbranch_execnz .LBB127_29
	s_branch .LBB127_30
.LBB127_70:
	s_delay_alu instid0(VALU_DEP_1) | instskip(NEXT) | instid1(VALU_DEP_1)
	v_dual_mov_b32 v34, 0 :: v_dual_add_nc_u32 v33, v14, v0
	v_lshlrev_b64_e32 v[33:34], 2, v[33:34]
	s_wait_kmcnt 0x0
	s_delay_alu instid0(VALU_DEP_1) | instskip(SKIP_1) | instid1(VALU_DEP_2)
	v_add_co_u32 v33, s3, s8, v33
	s_wait_alu 0xf1ff
	v_add_co_ci_u32_e64 v34, null, s9, v34, s3
	global_store_b32 v[33:34], v40, off
	s_wait_alu 0xfffe
	s_or_b32 exec_lo, exec_lo, s5
	s_and_saveexec_b32 s5, s0
	s_cbranch_execz .LBB127_33
.LBB127_71:
	v_dual_mov_b32 v6, v32 :: v_dual_mov_b32 v33, 0
	v_add_nc_u32_e32 v32, v14, v2
	s_delay_alu instid0(VALU_DEP_1) | instskip(SKIP_1) | instid1(VALU_DEP_1)
	v_lshlrev_b64_e32 v[32:33], 2, v[32:33]
	s_wait_kmcnt 0x0
	v_add_co_u32 v32, s3, s8, v32
	s_wait_alu 0xf1ff
	s_delay_alu instid0(VALU_DEP_2)
	v_add_co_ci_u32_e64 v33, null, s9, v33, s3
	global_store_b32 v[32:33], v35, off
	v_mov_b32_e32 v32, v6
	s_wait_alu 0xfffe
	s_or_b32 exec_lo, exec_lo, s5
	s_and_saveexec_b32 s5, s1
	s_cbranch_execz .LBB127_34
.LBB127_72:
	v_add_nc_u32_e32 v30, v14, v3
	v_dual_mov_b32 v6, v31 :: v_dual_mov_b32 v31, 0
	s_delay_alu instid0(VALU_DEP_1) | instskip(SKIP_1) | instid1(VALU_DEP_1)
	v_lshlrev_b64_e32 v[30:31], 2, v[30:31]
	s_wait_kmcnt 0x0
	v_add_co_u32 v30, s3, s8, v30
	s_wait_alu 0xf1ff
	s_delay_alu instid0(VALU_DEP_2)
	v_add_co_ci_u32_e64 v31, null, s9, v31, s3
	global_store_b32 v[30:31], v32, off
	v_mov_b32_e32 v31, v6
	s_wait_alu 0xfffe
	s_or_b32 exec_lo, exec_lo, s5
	s_and_saveexec_b32 s5, s2
	s_cbranch_execnz .LBB127_35
	s_branch .LBB127_36
.LBB127_73:
	s_delay_alu instid0(VALU_DEP_1) | instskip(SKIP_1) | instid1(VALU_DEP_1)
	v_dual_mov_b32 v6, v27 :: v_dual_add_nc_u32 v27, v14, v0
	v_dual_mov_b32 v7, v28 :: v_dual_mov_b32 v28, 0
	v_lshlrev_b64_e32 v[27:28], 2, v[27:28]
	s_wait_kmcnt 0x0
	s_delay_alu instid0(VALU_DEP_1) | instskip(SKIP_1) | instid1(VALU_DEP_2)
	v_add_co_u32 v27, s3, s8, v27
	s_wait_alu 0xf1ff
	v_add_co_ci_u32_e64 v28, null, s9, v28, s3
	global_store_b32 v[27:28], v7, off
	v_mov_b32_e32 v27, v6
	s_wait_alu 0xfffe
	s_or_b32 exec_lo, exec_lo, s5
	s_and_saveexec_b32 s5, s0
	s_cbranch_execz .LBB127_39
.LBB127_74:
	v_dual_mov_b32 v6, v26 :: v_dual_mov_b32 v7, v27
	v_dual_mov_b32 v27, 0 :: v_dual_add_nc_u32 v26, v14, v2
	s_delay_alu instid0(VALU_DEP_1) | instskip(SKIP_1) | instid1(VALU_DEP_1)
	v_lshlrev_b64_e32 v[26:27], 2, v[26:27]
	s_wait_kmcnt 0x0
	v_add_co_u32 v26, s3, s8, v26
	s_wait_alu 0xf1ff
	s_delay_alu instid0(VALU_DEP_2)
	v_add_co_ci_u32_e64 v27, null, s9, v27, s3
	global_store_b32 v[26:27], v7, off
	v_mov_b32_e32 v26, v6
	s_wait_alu 0xfffe
	s_or_b32 exec_lo, exec_lo, s5
	s_and_saveexec_b32 s5, s1
	s_cbranch_execz .LBB127_40
.LBB127_75:
	v_dual_mov_b32 v6, v25 :: v_dual_add_nc_u32 v25, v14, v3
	v_dual_mov_b32 v7, v26 :: v_dual_mov_b32 v26, 0
	s_delay_alu instid0(VALU_DEP_1) | instskip(SKIP_1) | instid1(VALU_DEP_1)
	v_lshlrev_b64_e32 v[25:26], 2, v[25:26]
	s_wait_kmcnt 0x0
	v_add_co_u32 v25, s3, s8, v25
	s_wait_alu 0xf1ff
	s_delay_alu instid0(VALU_DEP_2)
	v_add_co_ci_u32_e64 v26, null, s9, v26, s3
	global_store_b32 v[25:26], v7, off
	v_mov_b32_e32 v25, v6
	s_wait_alu 0xfffe
	s_or_b32 exec_lo, exec_lo, s5
	s_and_saveexec_b32 s5, s2
	s_cbranch_execnz .LBB127_41
	s_branch .LBB127_42
.LBB127_76:
	s_delay_alu instid0(VALU_DEP_1) | instskip(SKIP_1) | instid1(VALU_DEP_1)
	v_dual_mov_b32 v6, v23 :: v_dual_add_nc_u32 v23, v14, v0
	v_dual_mov_b32 v7, v24 :: v_dual_mov_b32 v24, 0
	v_lshlrev_b64_e32 v[23:24], 2, v[23:24]
	s_wait_kmcnt 0x0
	s_delay_alu instid0(VALU_DEP_1) | instskip(SKIP_1) | instid1(VALU_DEP_2)
	v_add_co_u32 v23, s3, s8, v23
	s_wait_alu 0xf1ff
	v_add_co_ci_u32_e64 v24, null, s9, v24, s3
	global_store_b32 v[23:24], v7, off
	v_mov_b32_e32 v23, v6
	s_wait_alu 0xfffe
	s_or_b32 exec_lo, exec_lo, s5
	s_and_saveexec_b32 s5, s0
	s_cbranch_execz .LBB127_45
.LBB127_77:
	v_dual_mov_b32 v6, v22 :: v_dual_mov_b32 v7, v23
	v_dual_mov_b32 v23, 0 :: v_dual_add_nc_u32 v22, v14, v2
	s_delay_alu instid0(VALU_DEP_1) | instskip(SKIP_1) | instid1(VALU_DEP_1)
	v_lshlrev_b64_e32 v[22:23], 2, v[22:23]
	s_wait_kmcnt 0x0
	v_add_co_u32 v22, s3, s8, v22
	s_wait_alu 0xf1ff
	s_delay_alu instid0(VALU_DEP_2)
	v_add_co_ci_u32_e64 v23, null, s9, v23, s3
	global_store_b32 v[22:23], v7, off
	v_mov_b32_e32 v22, v6
	s_wait_alu 0xfffe
	s_or_b32 exec_lo, exec_lo, s5
	s_and_saveexec_b32 s5, s1
	s_cbranch_execz .LBB127_46
.LBB127_78:
	v_add_nc_u32_e32 v20, v14, v3
	v_dual_mov_b32 v6, v21 :: v_dual_mov_b32 v21, 0
	s_delay_alu instid0(VALU_DEP_1) | instskip(SKIP_1) | instid1(VALU_DEP_1)
	v_lshlrev_b64_e32 v[20:21], 2, v[20:21]
	s_wait_kmcnt 0x0
	v_add_co_u32 v20, s3, s8, v20
	s_wait_alu 0xf1ff
	s_delay_alu instid0(VALU_DEP_2)
	v_add_co_ci_u32_e64 v21, null, s9, v21, s3
	global_store_b32 v[20:21], v22, off
	v_mov_b32_e32 v21, v6
	s_wait_alu 0xfffe
	s_or_b32 exec_lo, exec_lo, s5
	s_and_saveexec_b32 s5, s2
	s_cbranch_execnz .LBB127_47
	s_branch .LBB127_48
.LBB127_79:
	v_dual_mov_b32 v6, v18 :: v_dual_mov_b32 v7, v19
	s_delay_alu instid0(VALU_DEP_2) | instskip(NEXT) | instid1(VALU_DEP_1)
	v_dual_mov_b32 v19, 0 :: v_dual_add_nc_u32 v18, v14, v0
	v_lshlrev_b64_e32 v[18:19], 2, v[18:19]
	s_wait_kmcnt 0x0
	s_delay_alu instid0(VALU_DEP_1) | instskip(SKIP_1) | instid1(VALU_DEP_2)
	v_add_co_u32 v18, s3, s8, v18
	s_wait_alu 0xf1ff
	v_add_co_ci_u32_e64 v19, null, s9, v19, s3
	global_store_b32 v[18:19], v7, off
	v_mov_b32_e32 v18, v6
	s_wait_alu 0xfffe
	s_or_b32 exec_lo, exec_lo, s5
	s_and_saveexec_b32 s5, s0
	s_cbranch_execz .LBB127_51
.LBB127_80:
	s_delay_alu instid0(VALU_DEP_1) | instskip(SKIP_1) | instid1(VALU_DEP_1)
	v_dual_mov_b32 v6, v17 :: v_dual_add_nc_u32 v17, v14, v2
	v_dual_mov_b32 v7, v18 :: v_dual_mov_b32 v18, 0
	v_lshlrev_b64_e32 v[17:18], 2, v[17:18]
	s_wait_kmcnt 0x0
	s_delay_alu instid0(VALU_DEP_1) | instskip(SKIP_1) | instid1(VALU_DEP_2)
	v_add_co_u32 v17, s3, s8, v17
	s_wait_alu 0xf1ff
	v_add_co_ci_u32_e64 v18, null, s9, v18, s3
	global_store_b32 v[17:18], v7, off
	v_mov_b32_e32 v17, v6
	s_wait_alu 0xfffe
	s_or_b32 exec_lo, exec_lo, s5
	s_and_saveexec_b32 s5, s1
	s_cbranch_execz .LBB127_52
.LBB127_81:
	v_add_nc_u32_e32 v16, v14, v3
	v_dual_mov_b32 v6, v17 :: v_dual_mov_b32 v17, 0
	s_delay_alu instid0(VALU_DEP_1) | instskip(SKIP_1) | instid1(VALU_DEP_1)
	v_lshlrev_b64_e32 v[16:17], 2, v[16:17]
	s_wait_kmcnt 0x0
	v_add_co_u32 v16, s3, s8, v16
	s_wait_alu 0xf1ff
	s_delay_alu instid0(VALU_DEP_2)
	v_add_co_ci_u32_e64 v17, null, s9, v17, s3
	global_store_b32 v[16:17], v6, off
	s_wait_alu 0xfffe
	s_or_b32 exec_lo, exec_lo, s5
	s_and_saveexec_b32 s5, s2
	s_cbranch_execnz .LBB127_53
	s_branch .LBB127_54
.LBB127_82:
	s_delay_alu instid0(VALU_DEP_1) | instskip(NEXT) | instid1(VALU_DEP_1)
	v_dual_mov_b32 v15, 0 :: v_dual_add_nc_u32 v14, v12, v0
	v_lshlrev_b64_e32 v[14:15], 2, v[14:15]
	s_wait_kmcnt 0x0
	s_delay_alu instid0(VALU_DEP_1) | instskip(SKIP_1) | instid1(VALU_DEP_2)
	v_add_co_u32 v14, s3, s8, v14
	s_wait_alu 0xf1ff
	v_add_co_ci_u32_e64 v15, null, s9, v15, s3
	global_store_b32 v[14:15], v5, off
	s_wait_alu 0xfffe
	s_or_b32 exec_lo, exec_lo, s5
	s_and_saveexec_b32 s5, s0
	s_cbranch_execz .LBB127_57
.LBB127_83:
	s_delay_alu instid0(VALU_DEP_1) | instskip(NEXT) | instid1(VALU_DEP_1)
	v_dual_mov_b32 v15, 0 :: v_dual_add_nc_u32 v14, v12, v2
	v_lshlrev_b64_e32 v[14:15], 2, v[14:15]
	s_wait_kmcnt 0x0
	s_delay_alu instid0(VALU_DEP_1) | instskip(SKIP_1) | instid1(VALU_DEP_2)
	v_add_co_u32 v14, s3, s8, v14
	s_wait_alu 0xf1ff
	v_add_co_ci_u32_e64 v15, null, s9, v15, s3
	global_store_b32 v[14:15], v4, off
	s_wait_alu 0xfffe
	s_or_b32 exec_lo, exec_lo, s5
	s_and_saveexec_b32 s5, s1
	s_cbranch_execz .LBB127_58
.LBB127_84:
	v_add_nc_u32_e32 v10, v12, v3
	v_dual_mov_b32 v4, v11 :: v_dual_mov_b32 v11, 0
	s_delay_alu instid0(VALU_DEP_1) | instskip(SKIP_1) | instid1(VALU_DEP_1)
	v_lshlrev_b64_e32 v[10:11], 2, v[10:11]
	s_wait_kmcnt 0x0
	v_add_co_u32 v10, s3, s8, v10
	s_wait_alu 0xf1ff
	s_delay_alu instid0(VALU_DEP_2)
	v_add_co_ci_u32_e64 v11, null, s9, v11, s3
	global_store_b32 v[10:11], v4, off
	s_wait_alu 0xfffe
	s_or_b32 exec_lo, exec_lo, s5
	s_and_saveexec_b32 s5, s2
	s_cbranch_execnz .LBB127_59
	s_branch .LBB127_60
.LBB127_85:
	s_delay_alu instid0(VALU_DEP_1) | instskip(NEXT) | instid1(VALU_DEP_1)
	v_dual_mov_b32 v9, 0 :: v_dual_add_nc_u32 v8, v1, v0
	v_lshlrev_b64_e32 v[8:9], 2, v[8:9]
	s_wait_kmcnt 0x0
	s_delay_alu instid0(VALU_DEP_1) | instskip(SKIP_1) | instid1(VALU_DEP_2)
	v_add_co_u32 v8, vcc_lo, s8, v8
	s_wait_alu 0xfffd
	v_add_co_ci_u32_e64 v9, null, s9, v9, vcc_lo
	global_store_b32 v[8:9], v94, off
	s_wait_alu 0xfffe
	s_or_b32 exec_lo, exec_lo, s3
	s_and_saveexec_b32 s3, s0
	s_cbranch_execz .LBB127_63
.LBB127_86:
	s_delay_alu instid0(VALU_DEP_1) | instskip(NEXT) | instid1(VALU_DEP_1)
	v_dual_mov_b32 v8, 0 :: v_dual_add_nc_u32 v7, v1, v2
	v_lshlrev_b64_e32 v[7:8], 2, v[7:8]
	s_wait_kmcnt 0x0
	s_delay_alu instid0(VALU_DEP_1) | instskip(SKIP_1) | instid1(VALU_DEP_2)
	v_add_co_u32 v7, vcc_lo, s8, v7
	s_wait_alu 0xfffd
	v_add_co_ci_u32_e64 v8, null, s9, v8, vcc_lo
	global_store_b32 v[7:8], v93, off
	s_wait_alu 0xfffe
	s_or_b32 exec_lo, exec_lo, s3
	s_and_saveexec_b32 s0, s1
	s_cbranch_execz .LBB127_64
.LBB127_87:
	v_dual_mov_b32 v3, 0 :: v_dual_add_nc_u32 v2, v1, v3
	s_delay_alu instid0(VALU_DEP_1) | instskip(SKIP_1) | instid1(VALU_DEP_1)
	v_lshlrev_b64_e32 v[2:3], 2, v[2:3]
	s_wait_kmcnt 0x0
	v_add_co_u32 v2, vcc_lo, s8, v2
	s_wait_alu 0xfffd
	s_delay_alu instid0(VALU_DEP_2) | instskip(SKIP_3) | instid1(SALU_CYCLE_1)
	v_add_co_ci_u32_e64 v3, null, s9, v3, vcc_lo
	global_store_b32 v[2:3], v92, off
	s_wait_alu 0xfffe
	s_or_b32 exec_lo, exec_lo, s0
	s_and_b32 exec_lo, exec_lo, s2
	s_cbranch_execnz .LBB127_65
	s_branch .LBB127_66
	.section	.rodata,"a",@progbits
	.p2align	6, 0x0
	.amdhsa_kernel _ZL12mul_mat_q2_KIfLb0EEvPKvS1_PT_iiiii
		.amdhsa_group_segment_fixed_size 31392
		.amdhsa_private_segment_fixed_size 356
		.amdhsa_kernarg_size 44
		.amdhsa_user_sgpr_count 2
		.amdhsa_user_sgpr_dispatch_ptr 0
		.amdhsa_user_sgpr_queue_ptr 0
		.amdhsa_user_sgpr_kernarg_segment_ptr 1
		.amdhsa_user_sgpr_dispatch_id 0
		.amdhsa_user_sgpr_private_segment_size 0
		.amdhsa_wavefront_size32 1
		.amdhsa_uses_dynamic_stack 0
		.amdhsa_enable_private_segment 1
		.amdhsa_system_sgpr_workgroup_id_x 1
		.amdhsa_system_sgpr_workgroup_id_y 1
		.amdhsa_system_sgpr_workgroup_id_z 0
		.amdhsa_system_sgpr_workgroup_info 0
		.amdhsa_system_vgpr_workitem_id 1
		.amdhsa_next_free_vgpr 256
		.amdhsa_next_free_sgpr 22
		.amdhsa_reserve_vcc 1
		.amdhsa_float_round_mode_32 0
		.amdhsa_float_round_mode_16_64 0
		.amdhsa_float_denorm_mode_32 3
		.amdhsa_float_denorm_mode_16_64 3
		.amdhsa_fp16_overflow 0
		.amdhsa_workgroup_processor_mode 1
		.amdhsa_memory_ordered 1
		.amdhsa_forward_progress 1
		.amdhsa_inst_pref_size 255
		.amdhsa_round_robin_scheduling 0
		.amdhsa_exception_fp_ieee_invalid_op 0
		.amdhsa_exception_fp_denorm_src 0
		.amdhsa_exception_fp_ieee_div_zero 0
		.amdhsa_exception_fp_ieee_overflow 0
		.amdhsa_exception_fp_ieee_underflow 0
		.amdhsa_exception_fp_ieee_inexact 0
		.amdhsa_exception_int_div_zero 0
	.end_amdhsa_kernel
	.section	.text._ZL12mul_mat_q2_KIfLb0EEvPKvS1_PT_iiiii,"axG",@progbits,_ZL12mul_mat_q2_KIfLb0EEvPKvS1_PT_iiiii,comdat
.Lfunc_end127:
	.size	_ZL12mul_mat_q2_KIfLb0EEvPKvS1_PT_iiiii, .Lfunc_end127-_ZL12mul_mat_q2_KIfLb0EEvPKvS1_PT_iiiii
                                        ; -- End function
	.set _ZL12mul_mat_q2_KIfLb0EEvPKvS1_PT_iiiii.num_vgpr, 256
	.set _ZL12mul_mat_q2_KIfLb0EEvPKvS1_PT_iiiii.num_agpr, 0
	.set _ZL12mul_mat_q2_KIfLb0EEvPKvS1_PT_iiiii.numbered_sgpr, 22
	.set _ZL12mul_mat_q2_KIfLb0EEvPKvS1_PT_iiiii.num_named_barrier, 0
	.set _ZL12mul_mat_q2_KIfLb0EEvPKvS1_PT_iiiii.private_seg_size, 356
	.set _ZL12mul_mat_q2_KIfLb0EEvPKvS1_PT_iiiii.uses_vcc, 1
	.set _ZL12mul_mat_q2_KIfLb0EEvPKvS1_PT_iiiii.uses_flat_scratch, 1
	.set _ZL12mul_mat_q2_KIfLb0EEvPKvS1_PT_iiiii.has_dyn_sized_stack, 0
	.set _ZL12mul_mat_q2_KIfLb0EEvPKvS1_PT_iiiii.has_recursion, 0
	.set _ZL12mul_mat_q2_KIfLb0EEvPKvS1_PT_iiiii.has_indirect_call, 0
	.section	.AMDGPU.csdata,"",@progbits
; Kernel info:
; codeLenInByte = 45048
; TotalNumSgprs: 24
; NumVgprs: 256
; ScratchSize: 356
; MemoryBound: 0
; FloatMode: 240
; IeeeMode: 1
; LDSByteSize: 31392 bytes/workgroup (compile time only)
; SGPRBlocks: 0
; VGPRBlocks: 31
; NumSGPRsForWavesPerEU: 24
; NumVGPRsForWavesPerEU: 256
; Occupancy: 5
; WaveLimiterHint : 0
; COMPUTE_PGM_RSRC2:SCRATCH_EN: 1
; COMPUTE_PGM_RSRC2:USER_SGPR: 2
; COMPUTE_PGM_RSRC2:TRAP_HANDLER: 0
; COMPUTE_PGM_RSRC2:TGID_X_EN: 1
; COMPUTE_PGM_RSRC2:TGID_Y_EN: 1
; COMPUTE_PGM_RSRC2:TGID_Z_EN: 0
; COMPUTE_PGM_RSRC2:TIDIG_COMP_CNT: 1
	.section	.text._ZL12mul_mat_q2_KIfLb1EEvPKvS1_PT_iiiii,"axG",@progbits,_ZL12mul_mat_q2_KIfLb1EEvPKvS1_PT_iiiii,comdat
	.globl	_ZL12mul_mat_q2_KIfLb1EEvPKvS1_PT_iiiii ; -- Begin function _ZL12mul_mat_q2_KIfLb1EEvPKvS1_PT_iiiii
	.p2align	8
	.type	_ZL12mul_mat_q2_KIfLb1EEvPKvS1_PT_iiiii,@function
_ZL12mul_mat_q2_KIfLb1EEvPKvS1_PT_iiiii: ; @_ZL12mul_mat_q2_KIfLb1EEvPKvS1_PT_iiiii
; %bb.0:
	s_clause 0x1
	s_load_b128 s[4:7], s[0:1], 0x18
	s_load_b32 s12, s[0:1], 0x28
	v_bfe_u32 v1, v0, 10, 10
	v_and_b32_e32 v33, 0x3ff, v0
	s_lshl_b32 s13, ttmp7, 6
	scratch_store_b32 off, v1, off offset:480 ; 4-byte Folded Spill
	s_wait_kmcnt 0x0
	s_cmp_gt_i32 s4, 0xff
	s_cbranch_scc1 .LBB128_2
; %bb.1:
	v_bfe_u32 v1, v0, 10, 10
	v_and_b32_e32 v2, 0x3ff, v0
	s_mov_b32 s2, 0
	s_delay_alu instid0(VALU_DEP_2)
	v_add_nc_u32_e32 v3, s13, v1
	s_branch .LBB128_3
.LBB128_2:
	s_mov_b32 s2, -1
                                        ; implicit-def: $vgpr1
                                        ; implicit-def: $vgpr2
                                        ; implicit-def: $vgpr3
.LBB128_3:
	s_load_b64 s[8:9], s[0:1], 0x10
	v_dual_mov_b32 v20, 0 :: v_dual_mov_b32 v29, 0
	v_dual_mov_b32 v122, 0 :: v_dual_mov_b32 v43, 0
	;; [unrolled: 1-line block ×15, first 2 shown]
	v_mov_b32_e32 v59, 0
	v_mov_b32_e32 v71, 0
	s_and_not1_b32 vcc_lo, exec_lo, s2
	s_lshl_b32 s14, ttmp9, 7
	s_cbranch_vccnz .LBB128_15
; %bb.4:
	v_dual_mov_b32 v124, 0 :: v_dual_lshlrev_b32 v1, 2, v33
	v_bfe_u32 v36, v0, 10, 10
	v_bfe_u32 v3, v0, 4, 6
	s_not_b32 s16, s14
	s_ashr_i32 s10, s4, 31
	s_add_co_i32 s5, s5, s16
	s_lshr_b32 s10, s10, 24
	v_min_i32_e32 v2, s5, v36
	s_clause 0x1
	scratch_store_b32 off, v3, off offset:136
	scratch_store_b32 off, v33, off offset:144
	v_dual_mov_b32 v64, 0 :: v_dual_and_b32 v3, 60, v1
	s_add_co_i32 s4, s4, s10
	v_mad_co_u64_u32 v[4:5], null, 0x84, v2, v[1:2]
	s_wait_alu 0xfffe
	s_ashr_i32 s15, s4, 8
	scratch_store_b32 off, v3, off offset:224 ; 4-byte Folded Spill
	v_mul_lo_u32 v3, v2, s15
	v_dual_mov_b32 v71, 0 :: v_dual_add_nc_u32 v20, 8, v36
	v_dual_mov_b32 v66, 0 :: v_dual_add_nc_u32 v15, s13, v36
	v_add_nc_u32_e32 v21, 16, v36
	scratch_store_b64 off, v[4:5], off offset:232 ; 8-byte Folded Spill
	v_dual_mov_b32 v59, 0 :: v_dual_add_nc_u32 v22, 24, v36
	s_clause 0x1
	scratch_store_b32 off, v3, off offset:228
	scratch_store_b32 off, v15, off offset:484
	v_min_i32_e32 v3, s5, v20
	v_min_i32_e32 v2, s5, v21
	v_dual_mov_b32 v62, 0 :: v_dual_add_nc_u32 v23, 32, v36
	v_dual_mov_b32 v39, 0 :: v_dual_add_nc_u32 v24, 40, v36
	s_delay_alu instid0(VALU_DEP_4)
	v_mul_lo_u32 v4, v3, s15
	v_dual_mov_b32 v56, 0 :: v_dual_add_nc_u32 v25, 48, v36
	v_add_nc_u32_e32 v26, 56, v36
	s_ashr_i32 s11, s7, 31
	v_dual_mov_b32 v67, 0 :: v_dual_add_nc_u32 v18, 0x68, v36
	s_lshr_b32 s4, s11, 27
	scratch_store_b32 off, v4, off offset:240 ; 4-byte Folded Spill
	v_mad_co_u64_u32 v[3:4], null, 0x84, v3, v[1:2]
	s_wait_alu 0xfffe
	s_add_co_i32 s4, s7, s4
	s_add_co_i32 s7, s6, -1
	v_dual_mov_b32 v47, 0 :: v_dual_add_nc_u32 v8, 16, v15
	v_dual_mov_b32 v61, 0 :: v_dual_add_nc_u32 v10, 24, v15
	scratch_store_b64 off, v[3:4], off offset:244 ; 8-byte Folded Spill
	v_mul_lo_u32 v3, v2, s15
	v_mad_co_u64_u32 v[4:5], null, 0x84, v2, v[1:2]
	v_dual_mov_b32 v51, 0 :: v_dual_add_nc_u32 v12, 32, v15
	v_dual_mov_b32 v37, 0 :: v_dual_add_nc_u32 v14, 40, v15
	v_add_nc_u32_e32 v17, 48, v15
	scratch_store_b32 off, v3, off offset:252 ; 4-byte Folded Spill
	v_min_i32_e32 v3, s5, v22
	v_dual_mov_b32 v74, 0 :: v_dual_add_nc_u32 v19, 56, v15
	v_min_i32_e32 v29, s5, v18
	v_cvt_f64_u32_e32 v[8:9], v8
	s_delay_alu instid0(VALU_DEP_4)
	v_mul_lo_u32 v2, v3, s15
	scratch_store_b64 off, v[4:5], off offset:256 ; 8-byte Folded Spill
	v_cvt_f64_u32_e32 v[10:11], v10
	v_cvt_f64_u32_e32 v[12:13], v12
	v_cvt_f64_u32_e32 v[18:19], v19
	v_add_nc_u32_e32 v30, 0x70, v36
	v_bfe_u32 v55, v0, 2, 8
	s_wait_alu 0xfffe
	s_ashr_i32 s4, s4, 5
	scratch_store_b32 off, v2, off offset:264 ; 4-byte Folded Spill
	v_min_i32_e32 v2, s5, v23
	v_lshlrev_b32_e32 v58, 5, v20
	s_load_b128 s[0:3], s[0:1], 0x0
	v_lshlrev_b32_e32 v57, 5, v36
	s_mul_i32 s10, s15, s14
	v_mad_co_u64_u32 v[3:4], null, 0x84, v3, v[1:2]
	s_ashr_i32 s11, s10, 31
	v_lshlrev_b32_e32 v68, 5, v22
	v_lshlrev_b32_e32 v69, 5, v23
	s_mul_u64 s[10:11], s[10:11], 0x54
	v_lshlrev_b32_e32 v70, 5, v24
	v_lshlrev_b32_e32 v72, 5, v25
	scratch_store_b64 off, v[3:4], off offset:268 ; 8-byte Folded Spill
	v_mul_lo_u32 v4, v2, s15
	v_min_i32_e32 v3, s5, v24
	v_dual_mov_b32 v38, 0 :: v_dual_mov_b32 v147, 0
	v_mov_b32_e32 v123, 0
	v_dual_mov_b32 v65, 0 :: v_dual_mov_b32 v60, 0
	v_mov_b32_e32 v122, 0
	scratch_store_b32 off, v4, off offset:276 ; 4-byte Folded Spill
	v_mad_co_u64_u32 v[4:5], null, 0x84, v2, v[1:2]
	v_mul_lo_u32 v2, v3, s15
	s_wait_kmcnt 0x0
	s_add_nc_u64 s[0:1], s[0:1], s[10:11]
	v_mov_b32_e32 v43, 0
	s_clause 0x1
	scratch_store_b64 off, v[4:5], off offset:280
	scratch_store_b32 off, v2, off offset:288
	v_min_i32_e32 v2, s5, v25
	s_delay_alu instid0(VALU_DEP_1)
	v_mad_co_u64_u32 v[3:4], null, 0x84, v3, v[1:2]
	v_mad_co_u64_u32 v[5:6], null, 0x84, v2, v[1:2]
	scratch_store_b64 off, v[3:4], off offset:292 ; 8-byte Folded Spill
	v_mul_lo_u32 v4, v2, s15
	v_add_nc_u32_e32 v3, 64, v36
	scratch_store_b64 off, v[5:6], off offset:304 ; 8-byte Folded Spill
	v_min_i32_e32 v2, s5, v3
	v_add_nc_u32_e32 v3, 0x48, v36
	scratch_store_b32 off, v4, off offset:300 ; 4-byte Folded Spill
	v_min_i32_e32 v4, s5, v26
	v_min_i32_e32 v3, s5, v3
	s_delay_alu instid0(VALU_DEP_2)
	v_mul_lo_u32 v5, v4, s15
	scratch_store_b32 off, v5, off offset:312 ; 4-byte Folded Spill
	v_mad_co_u64_u32 v[4:5], null, 0x84, v4, v[1:2]
	scratch_store_b64 off, v[4:5], off offset:316 ; 8-byte Folded Spill
	v_mul_lo_u32 v4, v2, s15
	v_mad_co_u64_u32 v[5:6], null, 0x84, v2, v[1:2]
	v_add_nc_u32_e32 v2, 0x58, v36
	s_clause 0x1
	scratch_store_b32 off, v4, off offset:324
	scratch_store_b64 off, v[5:6], off offset:328
	v_mul_lo_u32 v5, v3, s15
	v_add_nc_u32_e32 v4, 0x50, v36
	s_delay_alu instid0(VALU_DEP_1)
	v_min_i32_e32 v4, s5, v4
	scratch_store_b32 off, v5, off offset:336 ; 4-byte Folded Spill
	v_mad_co_u64_u32 v[5:6], null, 0x84, v3, v[1:2]
	v_min_i32_e32 v2, s5, v2
	v_add_nc_u32_e32 v3, 0x60, v36
	scratch_store_b64 off, v[5:6], off offset:340 ; 8-byte Folded Spill
	v_mul_lo_u32 v5, v4, s15
	v_min_i32_e32 v27, s5, v3
	v_bfe_u32 v3, v0, 1, 9
	v_add_nc_u32_e32 v6, 8, v15
	s_delay_alu instid0(VALU_DEP_2)
	v_lshl_add_u32 v16, v36, 4, v3
	scratch_store_b32 off, v5, off offset:348 ; 4-byte Folded Spill
	v_mad_co_u64_u32 v[4:5], null, 0x84, v4, v[1:2]
	v_cvt_f64_u32_e32 v[6:7], v6
	v_and_b32_e32 v28, 0x7f, v16
	v_cvt_f64_u32_e32 v[16:17], v17
	scratch_store_b64 off, v[4:5], off offset:352 ; 8-byte Folded Spill
	v_mul_lo_u32 v4, v2, s15
	v_min_i32_e32 v28, s5, v28
	scratch_store_b32 off, v4, off offset:360 ; 4-byte Folded Spill
	v_mad_co_u64_u32 v[4:5], null, 0x84, v2, v[1:2]
	v_mul_lo_u32 v2, v27, s15
	scratch_store_b64 off, v[4:5], off offset:364 ; 8-byte Folded Spill
	v_cvt_f64_u32_e32 v[4:5], v15
	scratch_store_b32 off, v2, off offset:372 ; 4-byte Folded Spill
	v_cvt_f64_i32_e32 v[2:3], s7
	v_cvt_f64_u32_e32 v[14:15], v14
	s_delay_alu instid0(VALU_DEP_2)
	v_mad_co_u64_u32 v[31:32], null, 0x84, v27, v[1:2]
	v_mul_lo_u32 v27, v29, s15
	v_mad_co_u64_u32 v[34:35], null, 0x84, v29, v[1:2]
	v_min_num_f64_e32 v[4:5], v[4:5], v[2:3]
	v_min_num_f64_e32 v[6:7], v[6:7], v[2:3]
	;; [unrolled: 1-line block ×3, first 2 shown]
	scratch_store_b64 off, v[31:32], off offset:376 ; 8-byte Folded Spill
	v_ashrrev_i32_e32 v31, 31, v28
	scratch_store_b32 off, v27, off offset:384 ; 4-byte Folded Spill
	v_min_i32_e32 v27, s5, v30
	v_add_nc_u32_e32 v30, 0x78, v36
	v_min_num_f64_e32 v[10:11], v[10:11], v[2:3]
	v_min_num_f64_e32 v[12:13], v[12:13], v[2:3]
	;; [unrolled: 1-line block ×3, first 2 shown]
	v_mul_lo_u32 v29, v27, s15
	scratch_store_b64 off, v[34:35], off offset:388 ; 8-byte Folded Spill
	v_mad_co_u64_u32 v[34:35], null, 0x84, v27, v[1:2]
	v_min_num_f64_e32 v[16:17], v[16:17], v[2:3]
	scratch_store_b32 off, v29, off offset:396 ; 4-byte Folded Spill
	v_min_i32_e32 v29, s5, v30
	v_lshrrev_b32_e32 v30, 28, v31
	v_bfe_u32 v31, v0, 3, 7
	s_delay_alu instid0(VALU_DEP_3)
	v_mul_lo_u32 v27, v29, s15
	scratch_store_b64 off, v[34:35], off offset:400 ; 8-byte Folded Spill
	v_and_b32_e32 v34, 12, v1
	scratch_store_b32 off, v27, off offset:408 ; 4-byte Folded Spill
	v_add_nc_u32_e32 v27, v28, v30
	v_lshl_add_u32 v30, v36, 2, v31
	v_mad_co_u64_u32 v[31:32], null, 0x84, v29, v[1:2]
	v_min_num_f64_e32 v[2:3], v[18:19], v[2:3]
	s_delay_alu instid0(VALU_DEP_4) | instskip(NEXT) | instid1(VALU_DEP_4)
	v_ashrrev_i32_e32 v27, 4, v27
	v_add_nc_u32_e32 v33, 32, v30
	v_and_b32_e32 v18, 7, v0
	v_min_i32_e32 v29, s5, v30
	v_cvt_i32_f64_e32 v4, v[4:5]
	scratch_store_b64 off, v[31:32], off offset:412 ; 8-byte Folded Spill
	v_mul_lo_u32 v31, v28, s15
	v_and_b32_e32 v32, 1, v0
	v_lshlrev_b32_e32 v27, 2, v27
	v_cmp_lt_u32_e32 vcc_lo, 3, v18
	v_cvt_i32_f64_e32 v10, v[10:11]
	v_cvt_i32_f64_e32 v11, v[12:13]
	scratch_store_b32 off, v32, off offset:420 ; 4-byte Folded Spill
	v_lshlrev_b32_e32 v32, 2, v32
	scratch_store_b32 off, v31, off offset:424 ; 4-byte Folded Spill
	v_cvt_i32_f64_e32 v12, v[14:15]
	v_ashrrev_i32_e32 v31, 31, v29
	v_cvt_i32_f64_e32 v6, v[6:7]
	v_add3_u32 v19, v27, v32, 0x7280
	v_min_i32_e32 v27, s5, v33
	v_add_nc_u32_e32 v33, 64, v30
	v_add_nc_u32_e32 v30, 0x60, v30
	v_cndmask_b32_e64 v32, 0, 1, vcc_lo
	v_cvt_i32_f64_e32 v8, v[8:9]
	v_cvt_i32_f64_e32 v13, v[16:17]
	v_min_i32_e32 v33, s5, v33
	v_min_i32_e32 v30, s5, v30
	v_lshrrev_b32_e32 v31, 30, v31
	v_lshlrev_b32_e32 v18, 2, v18
	v_lshlrev_b32_e32 v28, 3, v28
	v_ashrrev_i32_e32 v35, 31, v33
	v_ashrrev_i32_e32 v7, 31, v30
	v_mul_lo_u32 v15, v33, s15
	scratch_store_b32 off, v32, off offset:428 ; 4-byte Folded Spill
	v_ashrrev_i32_e32 v32, 31, v27
	v_lshrrev_b32_e32 v5, 30, v35
	v_lshrrev_b32_e32 v7, 30, v7
	v_cvt_i32_f64_e32 v3, v[2:3]
	v_add_nc_u32_e32 v31, v29, v31
	v_lshrrev_b32_e32 v32, 30, v32
	v_add_nc_u32_e32 v5, v33, v5
	v_add_nc_u32_e32 v2, v30, v7
	v_lshl_add_u32 v7, v36, 3, v55
	v_mul_lo_u32 v17, v30, s15
	v_add_nc_u32_e32 v32, v27, v32
	v_and_b32_e32 v31, -4, v31
	v_and_b32_e32 v5, -4, v5
	scratch_store_b32 off, v15, off offset:444 ; 4-byte Folded Spill
	v_and_b32_e32 v15, -4, v2
	v_and_b32_e32 v32, -4, v32
	v_and_b32_e32 v7, 63, v7
	v_and_b32_e32 v2, 3, v0
	v_add3_u32 v31, v31, v18, 0x6200
	v_add3_u32 v5, v5, v18, 0x6200
	;; [unrolled: 1-line block ×3, first 2 shown]
	scratch_store_b32 off, v17, off offset:448 ; 4-byte Folded Spill
	v_add3_u32 v15, v15, v18, 0x6200
	v_or_b32_e32 v17, s13, v7
	v_lshlrev_b32_e32 v18, 2, v2
	v_lshlrev_b32_e32 v16, 5, v33
	v_and_b32_e32 v1, 28, v1
	v_lshlrev_b32_e32 v14, 5, v27
	v_min_i32_e32 v17, s7, v17
	v_lshl_or_b32 v7, v7, 4, v18
	v_and_b32_e32 v0, 31, v0
	s_mov_b32 s5, 0
	s_delay_alu instid0(VALU_DEP_1)
	v_lshl_or_b32 v0, v0, 2, 0x4200
	v_mad_co_u64_u32 v[17:18], null, v17, s4, v[2:3]
	v_add_nc_u32_e32 v2, 0x76a0, v7
	v_mul_lo_u32 v7, s4, v10
	v_mul_lo_u32 v10, s4, v12
	;; [unrolled: 1-line block ×3, first 2 shown]
	s_clause 0x1
	scratch_store_b32 off, v2, off offset:148
	scratch_store_b64 off, v[17:18], off offset:452
	v_mul_lo_u32 v2, s4, v4
	v_mul_lo_u32 v4, s4, v6
	;; [unrolled: 1-line block ×3, first 2 shown]
	s_clause 0x3
	scratch_store_b32 off, v7, off offset:164
	scratch_store_b32 off, v10, off offset:172
	;; [unrolled: 1-line block ×4, first 2 shown]
	v_mul_lo_u32 v8, s4, v11
	v_mul_lo_u32 v11, s4, v13
	s_clause 0x2
	scratch_load_b32 v3, off, off offset:144
	scratch_load_b32 v13, off, off offset:144
	;; [unrolled: 1-line block ×3, first 2 shown]
	s_clause 0x3
	scratch_store_b32 off, v2, off offset:152
	scratch_store_b32 off, v4, off offset:156
	;; [unrolled: 1-line block ×4, first 2 shown]
	v_lshlrev_b32_e32 v4, 7, v20
	scratch_load_b32 v20, off, off offset:144 ; 4-byte Folded Reload
	v_mul_lo_u32 v34, v29, s15
	v_lshlrev_b32_e32 v29, 5, v29
	v_lshlrev_b32_e32 v2, 7, v36
	;; [unrolled: 1-line block ×4, first 2 shown]
	v_dual_mov_b32 v23, 0 :: v_dual_lshlrev_b32 v10, 7, v24
	s_wait_loadcnt 0x3
	v_dual_mov_b32 v22, 0 :: v_dual_add_nc_u32 v3, 32, v3
	s_wait_loadcnt 0x2
	v_add_nc_u32_e32 v13, 64, v13
	s_wait_loadcnt 0x1
	v_add_nc_u32_e32 v17, 0x60, v17
	v_lshrrev_b32_e32 v18, 2, v3
	s_delay_alu instid0(VALU_DEP_3) | instskip(NEXT) | instid1(VALU_DEP_3)
	v_lshrrev_b32_e32 v33, 4, v13
	v_lshrrev_b32_e32 v35, 2, v17
	;; [unrolled: 1-line block ×4, first 2 shown]
	v_lshlrev_b32_e32 v126, 5, v3
	v_lshlrev_b32_e32 v153, 2, v33
	v_dual_mov_b32 v35, 0 :: v_dual_lshlrev_b32 v158, 2, v35
	v_lshlrev_b32_e32 v12, 7, v26
	v_lshlrev_b32_e32 v125, 5, v26
	s_wait_loadcnt 0x0
	v_mul_u32_u24_e32 v26, 0x84, v20
	s_clause 0x1
	scratch_load_b32 v20, off, off offset:144
	scratch_load_b32 v33, off, off offset:144
	v_lshlrev_b32_e32 v128, 3, v3
	v_lshlrev_b32_e32 v148, 5, v13
	;; [unrolled: 1-line block ×7, first 2 shown]
	v_dual_mov_b32 v32, 0 :: v_dual_lshlrev_b32 v159, 2, v36
	s_wait_loadcnt 0x1
	v_dual_mov_b32 v36, 0 :: v_dual_lshlrev_b32 v73, 5, v20
	scratch_load_b32 v20, off, off offset:144 ; 4-byte Folded Reload
	s_wait_loadcnt 0x0
	v_lshlrev_b32_e32 v75, 3, v20
	v_add_co_u32 v20, s4, s2, v1
	v_add_nc_u32_e32 v1, v19, v28
	scratch_store_b32 off, v34, off offset:436 ; 4-byte Folded Spill
	v_mul_lo_u32 v34, v27, s15
	v_dual_mov_b32 v28, 0 :: v_dual_lshlrev_b32 v27, 5, v30
	scratch_store_b32 off, v1, off offset:460 ; 4-byte Folded Spill
	v_add_nc_u32_e32 v1, v31, v29
	v_lshlrev_b32_e32 v6, 7, v21
	v_lshlrev_b32_e32 v63, 5, v21
	s_wait_alu 0xf1ff
	v_add_co_ci_u32_e64 v21, null, s3, 0, s4
	scratch_store_b32 off, v1, off offset:464 ; 4-byte Folded Spill
	v_add_nc_u32_e32 v1, v9, v14
	scratch_store_b32 off, v11, off offset:176 ; 4-byte Folded Spill
	v_lshlrev_b32_e32 v11, 7, v25
	v_lshrrev_b32_e32 v30, 4, v3
	v_mov_b32_e32 v29, 0
	scratch_store_b32 off, v1, off offset:468 ; 4-byte Folded Spill
	v_add_nc_u32_e32 v1, v5, v16
	s_wait_alu 0xfffe
	s_mov_b32 s4, s5
	v_lshlrev_b32_e32 v137, 2, v30
	scratch_store_b32 off, v1, off offset:472 ; 4-byte Folded Spill
	v_add_nc_u32_e32 v1, v15, v27
	v_mov_b32_e32 v27, 0
	scratch_store_b32 off, v1, off offset:476 ; 4-byte Folded Spill
	v_add_nc_u32_e32 v1, v0, v2
	s_clause 0x1
	scratch_store_b64 off, v[20:21], off offset:184
	scratch_store_b32 off, v34, off offset:440
	v_dual_mov_b32 v34, 0 :: v_dual_mov_b32 v21, 0
	scratch_store_b32 off, v1, off offset:192 ; 4-byte Folded Spill
	v_dual_mov_b32 v20, 0 :: v_dual_add_nc_u32 v1, v0, v4
	scratch_store_b32 off, v1, off offset:196 ; 4-byte Folded Spill
	v_add_nc_u32_e32 v1, v0, v6
	scratch_store_b32 off, v1, off offset:200 ; 4-byte Folded Spill
	v_add_nc_u32_e32 v1, v0, v7
	;; [unrolled: 2-line block ×5, first 2 shown]
	v_add_nc_u32_e32 v0, v0, v12
	s_clause 0x19
	scratch_store_b32 off, v1, off offset:216
	scratch_store_b32 off, v0, off offset:220
	;; [unrolled: 1-line block ×26, first 2 shown]
	s_branch .LBB128_6
.LBB128_5:                              ;   in Loop: Header=BB128_6 Depth=1
	s_add_co_i32 s4, s4, 2
	s_wait_alu 0xfffe
	s_cmp_ge_i32 s4, s15
	s_cbranch_scc1 .LBB128_14
.LBB128_6:                              ; =>This Loop Header: Depth=1
                                        ;     Child Loop BB128_8 Depth 2
                                        ;       Child Loop BB128_10 Depth 3
                                        ;       Child Loop BB128_12 Depth 3
	s_clause 0xa
	scratch_load_b32 v0, off, off offset:136
	scratch_load_b32 v2, off, off offset:228
	;; [unrolled: 1-line block ×11, first 2 shown]
	s_wait_alu 0xfffe
	s_mul_u64 s[10:11], s[4:5], 0x54
	s_lshl_b32 s7, s4, 3
	s_wait_alu 0xfffe
	s_add_nc_u64 s[10:11], s[0:1], s[10:11]
	s_wait_loadcnt 0xa
	s_wait_alu 0xfffe
	v_mad_co_u64_u32 v[0:1], null, 0x54, v0, s[10:11]
	s_wait_loadcnt 0x9
	s_delay_alu instid0(VALU_DEP_1)
	v_mad_co_i64_i32 v[2:3], null, 0x54, v2, v[0:1]
	s_wait_loadcnt 0x8
	v_mad_co_i64_i32 v[4:5], null, 0x54, v4, v[0:1]
	s_wait_loadcnt 0x7
	;; [unrolled: 2-line block ×4, first 2 shown]
	v_add_co_u32 v2, vcc_lo, v2, v24
	v_mad_co_i64_i32 v[10:11], null, 0x54, v10, v[0:1]
	s_wait_alu 0xfffd
	v_add_co_ci_u32_e64 v3, null, 0, v3, vcc_lo
	v_add_co_u32 v4, vcc_lo, v4, v24
	v_mad_co_i64_i32 v[12:13], null, 0x54, v12, v[0:1]
	s_wait_alu 0xfffd
	v_add_co_ci_u32_e64 v5, null, 0, v5, vcc_lo
	v_add_co_u32 v6, vcc_lo, v6, v24
	s_wait_loadcnt 0x2
	v_mad_co_i64_i32 v[14:15], null, 0x54, v14, v[0:1]
	s_wait_alu 0xfffd
	v_add_co_ci_u32_e64 v7, null, 0, v7, vcc_lo
	v_add_co_u32 v8, vcc_lo, v8, v24
	s_wait_loadcnt 0x1
	;; [unrolled: 5-line block ×3, first 2 shown]
	v_mad_co_i64_i32 v[18:19], null, 0x54, v18, v[0:1]
	s_wait_alu 0xfffd
	v_add_co_ci_u32_e64 v11, null, 0, v11, vcc_lo
	v_add_co_u32 v12, vcc_lo, v12, v24
	s_wait_alu 0xfffd
	v_add_co_ci_u32_e64 v13, null, 0, v13, vcc_lo
	v_add_co_u32 v14, vcc_lo, v14, v24
	s_wait_alu 0xfffd
	v_add_co_ci_u32_e64 v15, null, 0, v15, vcc_lo
	v_add_co_u32 v16, vcc_lo, v16, v24
	s_wait_alu 0xfffd
	v_add_co_ci_u32_e64 v17, null, 0, v17, vcc_lo
	s_clause 0x7
	global_load_b32 v42, v[2:3], off offset:16
	global_load_b32 v46, v[4:5], off offset:16
	;; [unrolled: 1-line block ×8, first 2 shown]
	scratch_load_b32 v2, off, off offset:336 ; 4-byte Folded Reload
	v_add_co_u32 v4, vcc_lo, v18, v24
	s_clause 0x6
	scratch_load_b32 v6, off, off offset:348
	scratch_load_b32 v8, off, off offset:360
	scratch_load_b32 v10, off, off offset:372
	scratch_load_b32 v12, off, off offset:384
	scratch_load_b32 v14, off, off offset:396
	scratch_load_b32 v16, off, off offset:428
	scratch_load_b32 v18, off, off offset:408
	s_wait_alu 0xfffd
	v_add_co_ci_u32_e64 v5, null, 0, v19, vcc_lo
	scratch_load_b32 v25, off, off offset:432 ; 4-byte Folded Reload
	s_wait_loadcnt 0x8
	v_mad_co_i64_i32 v[2:3], null, 0x54, v2, v[0:1]
	s_wait_loadcnt 0x7
	v_mad_co_i64_i32 v[6:7], null, 0x54, v6, v[0:1]
	;; [unrolled: 2-line block ×7, first 2 shown]
	scratch_load_b32 v18, off, off offset:424 ; 4-byte Folded Reload
	v_add_co_u32 v2, vcc_lo, v2, v24
	s_wait_alu 0xfffd
	v_add_co_ci_u32_e64 v3, null, 0, v3, vcc_lo
	v_add_co_u32 v6, vcc_lo, v6, v24
	s_wait_alu 0xfffd
	v_add_co_ci_u32_e64 v7, null, 0, v7, vcc_lo
	v_add_co_u32 v8, vcc_lo, v8, v24
	v_mad_co_u64_u32 v[16:17], null, 0x54, v16, s[10:11]
	s_wait_alu 0xfffd
	v_add_co_ci_u32_e64 v9, null, 0, v9, vcc_lo
	v_add_co_u32 v10, vcc_lo, v10, v24
	s_wait_alu 0xfffd
	v_add_co_ci_u32_e64 v11, null, 0, v11, vcc_lo
	v_add_co_u32 v12, vcc_lo, v12, v24
	;; [unrolled: 3-line block ×3, first 2 shown]
	s_wait_alu 0xfffd
	v_add_co_ci_u32_e64 v15, null, 0, v15, vcc_lo
	s_wait_loadcnt 0x1
	v_add_co_u32 v16, vcc_lo, v16, v25
	s_wait_alu 0xfffd
	v_add_co_ci_u32_e64 v17, null, 0, v17, vcc_lo
	v_add_co_u32 v0, vcc_lo, v0, v24
	scratch_load_b32 v24, off, off offset:420 ; 4-byte Folded Reload
	s_wait_alu 0xfffd
	v_add_co_ci_u32_e64 v1, null, 0, v1, vcc_lo
	s_wait_loadcnt 0x1
	v_mad_co_i64_i32 v[18:19], null, 0x54, v18, s[10:11]
	s_mov_b32 s10, 0
	s_wait_loadcnt 0x0
	v_mad_co_u64_u32 v[18:19], null, 0x54, v24, v[18:19]
	scratch_load_b32 v24, off, off offset:436 ; 4-byte Folded Reload
	s_wait_loadcnt 0x0
	v_mad_co_i64_i32 v[30:31], null, 0x54, v24, v[16:17]
	scratch_load_b32 v24, off, off offset:440 ; 4-byte Folded Reload
	s_wait_loadcnt 0x0
	v_mad_co_i64_i32 v[40:41], null, 0x54, v24, v[16:17]
	;; [unrolled: 3-line block ×4, first 2 shown]
	s_clause 0xc
	global_load_b32 v4, v[4:5], off offset:16
	global_load_b32 v2, v[2:3], off offset:16
	;; [unrolled: 1-line block ×9, first 2 shown]
	global_load_b32 v9, v[30:31], off
	global_load_b32 v10, v[40:41], off
	;; [unrolled: 1-line block ×4, first 2 shown]
	scratch_load_b64 v[13:14], off, off offset:452 ; 8-byte Folded Reload
	s_wait_loadcnt 0x0
	v_add_nc_u32_e32 v13, s7, v13
	scratch_store_b32 off, v13, off offset:140 ; 4-byte Folded Spill
	scratch_load_b64 v[13:14], off, off offset:232 ; 8-byte Folded Reload
	s_wait_loadcnt 0x0
	ds_store_b32 v13, v42
	scratch_load_b64 v[13:14], off, off offset:244 ; 8-byte Folded Reload
	s_wait_loadcnt 0x0
	ds_store_b32 v13, v46
	;; [unrolled: 3-line block ×16, first 2 shown]
	scratch_load_b32 v0, off, off offset:460 ; 4-byte Folded Reload
	s_wait_loadcnt 0x0
	ds_store_b32 v0, v1
	scratch_load_b32 v0, off, off offset:464 ; 4-byte Folded Reload
	s_wait_loadcnt 0x0
	ds_store_b32 v0, v9
	;; [unrolled: 3-line block ×5, first 2 shown]
	s_branch .LBB128_8
.LBB128_7:                              ;   in Loop: Header=BB128_8 Depth=2
                                        ; implicit-def: $sgpr10
	s_wait_alu 0xfffe
	s_and_b32 vcc_lo, exec_lo, s11
	s_wait_alu 0xfffe
	s_cbranch_vccnz .LBB128_5
.LBB128_8:                              ;   Parent Loop BB128_6 Depth=1
                                        ; =>  This Loop Header: Depth=2
                                        ;       Child Loop BB128_10 Depth 3
                                        ;       Child Loop BB128_12 Depth 3
	s_wait_alu 0xfffe
	s_lshr_b32 s11, s10, 1
	s_wait_alu 0xfffe
	s_or_b32 s11, s11, s4
	s_wait_alu 0xfffe
	s_cmp_lt_i32 s11, s15
	s_mov_b32 s11, -1
	s_cbranch_scc0 .LBB128_7
; %bb.9:                                ;   in Loop: Header=BB128_8 Depth=2
	s_clause 0x2
	scratch_load_b32 v1, off, off offset:140
	scratch_load_b32 v2, off, off offset:156
	scratch_load_b64 v[17:18], off, off offset:184
	s_wait_loadcnt 0x3
	v_lshl_add_u32 v0, s10, 5, v33
	s_or_b32 s16, s10, 1
	s_lshl_b32 s17, s10, 3
	s_wait_alu 0xfffe
	s_lshl_b32 s11, s16, 3
	scratch_load_b32 v3, off, off offset:160 ; 4-byte Folded Reload
	v_lshrrev_b32_e32 v0, 3, v0
	s_delay_alu instid0(VALU_DEP_1)
	v_add_nc_u32_e32 v0, s7, v0
	s_wait_loadcnt 0x3
	v_lshl_add_u32 v8, s10, 2, v1
	scratch_load_b32 v1, off, off offset:152 ; 4-byte Folded Reload
	s_wait_loadcnt 0x3
	v_add_nc_u32_e32 v2, v0, v2
	v_mad_co_u64_u32 v[8:9], null, v8, 36, s[2:3]
	s_wait_loadcnt 0x1
	v_add_nc_u32_e32 v4, v0, v3
	scratch_load_b32 v3, off, off offset:164 ; 4-byte Folded Reload
	v_mad_co_i64_i32 v[4:5], null, v4, 36, v[17:18]
	s_wait_loadcnt 0x1
	v_add_nc_u32_e32 v1, v0, v1
	s_wait_loadcnt 0x0
	v_add_nc_u32_e32 v6, v0, v3
	scratch_load_b32 v3, off, off offset:168 ; 4-byte Folded Reload
	v_mad_co_i64_i32 v[6:7], null, v6, 36, v[17:18]
	s_wait_loadcnt 0x0
	v_add_nc_u32_e32 v12, v0, v3
	scratch_load_b32 v3, off, off offset:172 ; 4-byte Folded Reload
	v_mad_co_i64_i32 v[12:13], null, v12, 36, v[17:18]
	;; [unrolled: 4-line block ×3, first 2 shown]
	s_wait_loadcnt 0x0
	v_add_nc_u32_e32 v16, v0, v3
	scratch_load_b32 v3, off, off offset:180 ; 4-byte Folded Reload
	s_wait_loadcnt 0x0
	v_add_nc_u32_e32 v10, v0, v3
	v_mad_co_i64_i32 v[0:1], null, v1, 36, v[17:18]
	v_mad_co_i64_i32 v[2:3], null, v2, 36, v[17:18]
	s_delay_alu instid0(VALU_DEP_3)
	v_mad_co_i64_i32 v[10:11], null, v10, 36, v[17:18]
	v_mad_co_i64_i32 v[16:17], null, v16, 36, v[17:18]
	s_clause 0x8
	global_load_b32 v8, v[8:9], off
	global_load_b32 v9, v[10:11], off offset:4
	global_load_b32 v0, v[0:1], off offset:4
	;; [unrolled: 1-line block ×8, first 2 shown]
	s_wait_loadcnt 0x8
	v_cvt_f32_f16_e32 v7, v8
	scratch_load_b32 v8, off, off offset:220 ; 4-byte Folded Reload
	s_wait_loadcnt 0x0
	ds_store_b32 v8, v9
	scratch_load_b32 v8, off, off offset:192 ; 4-byte Folded Reload
	s_wait_loadcnt 0x0
	ds_store_b32 v8, v0
	;; [unrolled: 3-line block ×9, first 2 shown]
	s_wait_storecnt_dscnt 0x0
	s_barrier_signal -1
	s_barrier_wait -1
	global_inv scope:SCOPE_SE
.LBB128_10:                             ;   Parent Loop BB128_6 Depth=1
                                        ;     Parent Loop BB128_8 Depth=2
                                        ; =>    This Inner Loop Header: Depth=3
	s_clause 0x5
	scratch_store_b32 off, v123, off offset:20
	scratch_store_b32 off, v122, off offset:16
	;; [unrolled: 1-line block ×5, first 2 shown]
	scratch_store_b32 off, v20, off
	scratch_load_b32 v2, off, off offset:132 ; 4-byte Folded Reload
	s_and_b32 s20, s17, 0x3ffffff8
	s_and_b32 s21, s17, 0x7ffffffe
	s_wait_alu 0xfffe
	v_lshl_add_u32 v19, s20, 2, v26
	s_add_co_i32 s20, s21, 0x6200
	s_lshl_b32 s18, s17, 2
	s_and_b32 s19, s17, 6
	s_wait_alu 0xfffe
	s_and_b32 s18, s18, 24
	s_lshr_b32 s21, s17, 2
	s_wait_alu 0xfffe
	v_or_b32_e32 v0, s18, v57
	s_and_b32 s21, s21, 0x3ffffffc
	s_add_co_i32 s17, s17, 2
	s_wait_alu 0xfffe
	s_addk_co_i32 s21, 0x7280
	s_cmp_lt_u32 s17, s11
	v_lshlrev_b32_e32 v17, 2, v0
	v_lshrrev_b32_e32 v0, 1, v0
	ds_load_b32 v18, v0 offset:30368
	ds_load_2addr_b32 v[0:1], v19 offset1:1
	s_wait_dscnt 0x0
	v_ashrrev_i32_e32 v3, s19, v0
	v_ashrrev_i32_e32 v4, s19, v1
	ds_load_2addr_b32 v[0:1], v19 offset0:2 offset1:3
	v_and_b32_e32 v76, 3, v3
	v_bfe_u32 v50, v3, 8, 2
	v_bfe_u32 v77, v3, 16, 2
	;; [unrolled: 1-line block ×3, first 2 shown]
	v_and_b32_e32 v52, 3, v4
	v_bfe_u32 v53, v4, 8, 2
	v_bfe_u32 v54, v4, 16, 2
	;; [unrolled: 1-line block ×3, first 2 shown]
	s_wait_dscnt 0x0
	v_ashrrev_i32_e32 v5, s19, v0
	v_ashrrev_i32_e32 v6, s19, v1
	ds_load_2addr_b32 v[0:1], v19 offset0:4 offset1:5
	v_and_b32_e32 v57, 3, v5
	v_bfe_u32 v58, v5, 8, 2
	v_bfe_u32 v63, v5, 16, 2
	;; [unrolled: 1-line block ×3, first 2 shown]
	v_and_b32_e32 v69, 3, v6
	v_bfe_u32 v70, v6, 8, 2
	s_wait_dscnt 0x0
	v_ashrrev_i32_e32 v7, s19, v0
	v_ashrrev_i32_e32 v8, s19, v1
	ds_load_2addr_b32 v[0:1], v19 offset0:6 offset1:7
	v_and_b32_e32 v45, 3, v7
	v_bfe_u32 v48, v7, 16, 2
	v_bfe_u32 v49, v7, 24, 2
	v_and_b32_e32 v5, 3, v8
	s_wait_dscnt 0x0
	v_ashrrev_i32_e32 v0, s19, v0
	v_ashrrev_i32_e32 v1, s19, v1
	s_delay_alu instid0(VALU_DEP_2) | instskip(NEXT) | instid1(VALU_DEP_2)
	v_bfe_u32 v12, v0, 24, 2
	v_and_b32_e32 v13, 3, v1
	v_bfe_u32 v14, v1, 8, 2
	v_bfe_u32 v15, v1, 16, 2
	;; [unrolled: 1-line block ×3, first 2 shown]
	s_wait_loadcnt 0x0
	v_lshlrev_b32_e32 v2, 2, v2
	scratch_store_b32 off, v2, off offset:124 ; 4-byte Folded Spill
	v_add3_u32 v9, s20, v2, v73
	scratch_load_b32 v2, off, off offset:136 ; 4-byte Folded Reload
	v_bfe_u32 v73, v6, 16, 2
	s_wait_loadcnt 0x0
	v_lshlrev_b32_e32 v2, 2, v2
	scratch_store_b32 off, v2, off offset:128 ; 4-byte Folded Spill
	s_wait_alu 0xfffe
	v_add3_u32 v2, s21, v2, v75
	v_bfe_u32 v75, v6, 24, 2
	ds_load_b32 v2, v2
	ds_load_u16 v9, v9
	ds_load_b128 v[86:89], v17 offset:16896
	ds_load_b128 v[90:93], v17 offset:16912
	v_bfe_u32 v6, v8, 8, 2
	s_wait_dscnt 0x1
	v_bfe_i32 v95, v86, 0, 8
	v_lshrrev_b16 v10, 8, v9
	v_bfe_u32 v11, v9, 4, 4
	v_and_b32_e32 v3, 15, v9
	v_and_b32_e32 v9, 3, v0
	s_wait_dscnt 0x0
	v_ashrrev_i32_e32 v31, 24, v90
	v_and_b32_e32 v42, 0xffff, v10
	v_mul_lo_u32 v30, 0x1010101, v11
	v_bfe_u32 v10, v0, 8, 2
	v_bfe_u32 v11, v0, 16, 2
	v_lshrrev_b16 v0, 8, v90
	v_ashrrev_i32_e32 v82, 24, v91
	v_bfe_i32 v96, v86, 16, 8
	v_bfe_i32 v98, v87, 0, 8
	;; [unrolled: 1-line block ×4, first 2 shown]
	v_lshrrev_b16 v0, 8, v91
	v_bfe_i32 v102, v92, 0, 8
	v_bfe_i32 v103, v92, 8, 8
	;; [unrolled: 1-line block ×3, first 2 shown]
	v_ashrrev_i32_e32 v92, 24, v92
	v_bfe_i32 v85, v0, 0, 8
	v_lshrrev_b16 v0, 8, v88
	v_bfe_i32 v113, v93, 0, 8
	v_bfe_i32 v114, v93, 8, 8
	;; [unrolled: 1-line block ×3, first 2 shown]
	v_ashrrev_i32_e32 v93, 24, v93
	v_add_nc_u32_e32 v46, v82, v31
	v_ashrrev_i32_e32 v94, 24, v86
	v_bfe_i32 v79, v90, 16, 8
	v_bfe_i32 v83, v90, 0, 8
	;; [unrolled: 1-line block ×3, first 2 shown]
	v_ashrrev_i32_e32 v97, 24, v87
	v_bfe_i32 v100, v86, 8, 8
	v_bfe_i32 v101, v0, 0, 8
	;; [unrolled: 1-line block ×4, first 2 shown]
	v_lshrrev_b16 v0, 8, v89
	v_bfe_i32 v116, v89, 16, 8
	v_bfe_i32 v117, v89, 0, 8
	v_add_nc_u32_e32 v72, v99, v96
	v_add_nc_u32_e32 v80, v98, v95
	v_add3_u32 v121, v46, v92, v93
	v_mul_i32_i24_e32 v46, v52, v98
	v_bfe_i32 v84, v91, 16, 8
	v_bfe_i32 v91, v91, 0, 8
	v_ashrrev_i32_e32 v88, 24, v88
	v_bfe_i32 v107, v0, 0, 8
	v_ashrrev_i32_e32 v89, 24, v89
	v_add_nc_u32_e32 v0, v100, v90
	v_add_nc_u32_e32 v81, v97, v94
	v_add3_u32 v119, v80, v106, v117
	v_add3_u32 v120, v72, v105, v116
	v_mul_i32_i24_e32 v72, v54, v99
	v_mul_i32_i24_e32 v80, v55, v97
	v_mad_i32_i24 v46, v53, v90, v46
	v_add_nc_u32_e32 v1, v91, v83
	v_add_nc_u32_e32 v17, v85, v40
	v_add3_u32 v118, v81, v88, v89
	v_add3_u32 v122, v0, v101, v107
	v_mul_i32_i24_e32 v0, v95, v76
	v_mul_i32_i24_e32 v81, v57, v106
	v_add3_u32 v46, v46, v72, v80
	v_add_nc_u32_e32 v41, v84, v79
	v_add3_u32 v131, v17, v103, v114
	v_add3_u32 v132, v1, v102, v113
	v_mul_i32_i24_e32 v1, v100, v50
	v_mul_i32_i24_e32 v17, v96, v77
	v_add3_u32 v0, v46, v81, v0
	v_add3_u32 v127, v41, v104, v115
	v_mul_i32_i24_e32 v41, v94, v78
	v_mul_i32_i24_e32 v86, v58, v101
	v_lshrrev_b32_e32 v4, 4, v42
	v_add3_u32 v0, v0, v1, v17
	v_mul_i32_i24_e32 v87, v63, v105
	v_mul_i32_i24_e32 v108, v68, v88
	v_lshrrev_b16 v1, 8, v30
	v_mul_lo_u32 v44, 0x1010101, v4
	v_add3_u32 v0, v0, v41, v86
	v_bfe_u32 v4, v7, 8, 2
	v_mul_i32_i24_e32 v109, v69, v117
	v_mul_i32_i24_e32 v110, v70, v107
	v_bfe_i32 v81, v1, 0, 8
	v_add3_u32 v0, v0, v87, v108
	v_mul_i32_i24_e32 v1, v45, v83
	v_lshrrev_b32_e32 v80, 24, v44
	v_lshrrev_b32_e32 v41, 24, v30
	v_bfe_i32 v17, v30, 0, 8
	v_add3_u32 v0, v0, v109, v110
	v_bfe_i32 v72, v30, 16, 8
	v_bfe_i32 v109, v44, 16, 8
	;; [unrolled: 1-line block ×4, first 2 shown]
	v_mul_i32_i24_e32 v30, v48, v79
	v_mul_i32_i24_e32 v44, v49, v31
	v_mad_i32_i24 v1, v4, v40, v1
	v_bfe_u32 v7, v8, 16, 2
	v_bfe_u32 v8, v8, 24, 2
	v_mul_i32_i24_e32 v111, v73, v116
	v_mul_i32_i24_e32 v112, v75, v89
	v_add3_u32 v1, v1, v30, v44
	v_mul_i32_i24_e32 v30, v5, v91
	v_mul_i32_i24_e32 v44, v6, v85
	;; [unrolled: 1-line block ×4, first 2 shown]
	v_add3_u32 v0, v0, v111, v112
	v_mul_i32_i24_e32 v87, v9, v102
	v_add3_u32 v1, v1, v30, v44
	v_mul_i32_i24_e32 v111, v10, v103
	v_mul_i32_i24_e32 v112, v11, v104
	v_mul_i32_i24_e32 v130, v12, v92
	v_mul_i32_i24_e32 v133, v13, v113
	v_add3_u32 v1, v1, v46, v86
	v_mul_i32_i24_e32 v134, v14, v114
	v_mul_i32_i24_e32 v135, v15, v115
	v_mul_i32_i24_e32 v136, v16, v93
	v_mul_i32_i24_e32 v30, v122, v81
	v_add3_u32 v1, v1, v87, v111
	v_mul_i32_i24_e32 v87, v121, v80
	v_mul_i32_i24_e32 v44, v132, v110
	v_mul_i32_i24_e32 v46, v131, v108
	v_mul_i32_i24_e32 v86, v127, v109
	v_add3_u32 v1, v1, v112, v130
	v_mad_i32_i24 v87, v118, v41, v87
	v_mul_lo_u32 v0, v0, v3
	v_and_b32_e32 v111, 15, v42
	v_mad_i32_i24 v86, v120, v72, v86
	v_add3_u32 v1, v1, v133, v134
	v_mad_i32_i24 v44, v119, v17, v44
	v_add3_u32 v30, v30, v46, v87
	s_delay_alu instid0(VALU_DEP_3) | instskip(NEXT) | instid1(VALU_DEP_2)
	v_add3_u32 v1, v1, v135, v136
	v_add3_u32 v30, v44, v86, v30
	s_delay_alu instid0(VALU_DEP_2) | instskip(SKIP_1) | instid1(VALU_DEP_1)
	v_mad_co_u64_u32 v[0:1], null, v1, v111, v[0:1]
	v_lshrrev_b32_e32 v1, 16, v2
	v_cvt_f32_f16_e32 v112, v1
	s_delay_alu instid0(VALU_DEP_4) | instskip(NEXT) | instid1(VALU_DEP_4)
	v_cvt_f32_i32_e32 v1, v30
	v_cvt_f32_i32_e32 v0, v0
	v_add3_u32 v30, s21, v137, v128
	s_delay_alu instid0(VALU_DEP_3) | instskip(NEXT) | instid1(VALU_DEP_1)
	v_mul_f32_e32 v1, v112, v1
	v_fma_mix_f32 v0, v2, v0, -v1 op_sel_hi:[1,0,0]
	s_delay_alu instid0(VALU_DEP_1)
	v_fmac_f32_e32 v124, v18, v0
	v_add_nc_u32_e32 v0, 0x1080, v19
	ds_load_2addr_b32 v[0:1], v0 offset1:1
	s_wait_dscnt 0x0
	v_ashrrev_i32_e32 v42, s19, v0
	v_add_nc_u32_e32 v0, 0x1088, v19
	v_ashrrev_i32_e32 v44, s19, v1
	s_delay_alu instid0(VALU_DEP_3)
	v_and_b32_e32 v250, 3, v42
	ds_load_2addr_b32 v[0:1], v0 offset1:1
	v_and_b32_e32 v239, 3, v44
	v_bfe_u32 v240, v44, 8, 2
	v_bfe_u32 v241, v44, 16, 2
	v_bfe_u32 v243, v44, 24, 2
	v_mul_i32_i24_e32 v136, v95, v250
	v_mul_i32_i24_e32 v139, v239, v98
	v_bfe_u32 v242, v42, 8, 2
	v_mul_i32_i24_e32 v140, v241, v99
	v_mul_i32_i24_e32 v44, v243, v97
	v_bfe_u32 v253, v42, 16, 2
	v_mad_i32_i24 v139, v240, v90, v139
	v_mul_i32_i24_e32 v137, v100, v242
	v_bfe_u32 v254, v42, 24, 2
	s_delay_alu instid0(VALU_DEP_4) | instskip(NEXT) | instid1(VALU_DEP_4)
	v_mul_i32_i24_e32 v138, v96, v253
	v_add3_u32 v44, v139, v140, v44
	s_delay_alu instid0(VALU_DEP_3) | instskip(SKIP_4) | instid1(VALU_DEP_3)
	v_mul_i32_i24_e32 v42, v94, v254
	s_wait_dscnt 0x0
	v_ashrrev_i32_e32 v86, s19, v0
	v_add_nc_u32_e32 v0, 0x1090, v19
	v_ashrrev_i32_e32 v87, s19, v1
	v_and_b32_e32 v244, 3, v86
	ds_load_2addr_b32 v[0:1], v0 offset1:1
	v_bfe_u32 v245, v86, 8, 2
	v_bfe_u32 v246, v86, 16, 2
	;; [unrolled: 1-line block ×3, first 2 shown]
	v_mul_i32_i24_e32 v141, v244, v106
	v_and_b32_e32 v248, 3, v87
	v_mul_i32_i24_e32 v142, v245, v101
	v_mul_i32_i24_e32 v143, v246, v105
	;; [unrolled: 1-line block ×3, first 2 shown]
	v_add3_u32 v44, v44, v141, v136
	v_bfe_u32 v249, v87, 8, 2
	v_mul_i32_i24_e32 v144, v248, v117
	v_bfe_u32 v251, v87, 16, 2
	v_bfe_u32 v252, v87, 24, 2
	v_add3_u32 v44, v44, v137, v138
	v_mul_i32_i24_e32 v145, v249, v107
	s_delay_alu instid0(VALU_DEP_4) | instskip(NEXT) | instid1(VALU_DEP_4)
	v_mul_i32_i24_e32 v146, v251, v116
	v_mul_i32_i24_e32 v87, v252, v89
	s_delay_alu instid0(VALU_DEP_4)
	v_add3_u32 v42, v44, v42, v142
	s_wait_dscnt 0x0
	v_ashrrev_i32_e32 v130, s19, v0
	v_add_nc_u32_e32 v0, 0x1098, v19
	v_ashrrev_i32_e32 v133, s19, v1
	v_add3_u32 v42, v42, v143, v86
	s_delay_alu instid0(VALU_DEP_4)
	v_and_b32_e32 v230, 3, v130
	ds_load_2addr_b32 v[0:1], v0 offset1:1
	v_bfe_u32 v222, v130, 8, 2
	v_bfe_u32 v233, v130, 16, 2
	v_add3_u32 v42, v42, v144, v145
	v_bfe_u32 v235, v130, 24, 2
	v_and_b32_e32 v221, 3, v133
	v_bfe_u32 v223, v133, 8, 2
	v_mul_i32_i24_e32 v86, v233, v79
	v_add3_u32 v42, v42, v146, v87
	v_mul_i32_i24_e32 v87, v235, v31
	v_bfe_u32 v224, v133, 16, 2
	v_bfe_u32 v225, v133, 24, 2
	s_delay_alu instid0(VALU_DEP_2) | instskip(NEXT) | instid1(VALU_DEP_2)
	v_mul_i32_i24_e32 v130, v224, v84
	v_mul_i32_i24_e32 v133, v225, v82
	s_wait_dscnt 0x0
	v_ashrrev_i32_e32 v134, s19, v0
	v_add3_u32 v0, s20, v129, v126
	ds_load_b32 v200, v30
	ds_load_u16 v0, v0
	v_and_b32_e32 v226, 3, v134
	v_bfe_u32 v227, v134, 8, 2
	v_ashrrev_i32_e32 v1, s19, v1
	v_bfe_u32 v228, v134, 16, 2
	v_bfe_u32 v229, v134, 24, 2
	s_delay_alu instid0(VALU_DEP_4) | instskip(NEXT) | instid1(VALU_DEP_4)
	v_mul_i32_i24_e32 v136, v227, v103
	v_and_b32_e32 v231, 3, v1
	s_delay_alu instid0(VALU_DEP_4) | instskip(NEXT) | instid1(VALU_DEP_4)
	v_mul_i32_i24_e32 v137, v228, v104
	v_mul_i32_i24_e32 v134, v229, v92
	v_bfe_u32 v232, v1, 8, 2
	v_bfe_u32 v234, v1, 16, 2
	v_mul_i32_i24_e32 v138, v231, v113
	v_bfe_u32 v236, v1, 24, 2
	s_delay_alu instid0(VALU_DEP_4) | instskip(NEXT) | instid1(VALU_DEP_4)
	v_mul_i32_i24_e32 v139, v232, v114
	v_mul_i32_i24_e32 v140, v234, v115
	s_delay_alu instid0(VALU_DEP_3) | instskip(SKIP_4) | instid1(VALU_DEP_2)
	v_mul_i32_i24_e32 v1, v236, v93
	s_wait_dscnt 0x0
	v_lshrrev_b16 v135, 8, v0
	v_and_b32_e32 v255, 15, v0
	v_bfe_u32 v30, v0, 4, 4
	v_mul_lo_u32 v0, v42, v255
	s_delay_alu instid0(VALU_DEP_4) | instskip(NEXT) | instid1(VALU_DEP_3)
	v_and_b32_e32 v42, 0xffff, v135
	v_mul_lo_u32 v30, 0x1010101, v30
	v_mul_i32_i24_e32 v135, v226, v102
	s_delay_alu instid0(VALU_DEP_3) | instskip(SKIP_1) | instid1(VALU_DEP_4)
	v_lshrrev_b32_e32 v44, 4, v42
	v_and_b32_e32 v237, 15, v42
	v_bfe_i32 v201, v30, 0, 8
	s_delay_alu instid0(VALU_DEP_3) | instskip(SKIP_3) | instid1(VALU_DEP_4)
	v_mul_lo_u32 v44, 0x1010101, v44
	v_bfe_i32 v202, v30, 8, 8
	v_bfe_i32 v46, v30, 16, 8
	v_lshrrev_b32_e32 v30, 24, v30
	v_bfe_i32 v217, v44, 0, 8
	v_bfe_i32 v218, v44, 8, 8
	;; [unrolled: 1-line block ×3, first 2 shown]
	v_lshrrev_b32_e32 v220, 24, v44
	v_mul_i32_i24_e32 v44, v230, v83
	s_delay_alu instid0(VALU_DEP_1) | instskip(NEXT) | instid1(VALU_DEP_1)
	v_mad_i32_i24 v44, v222, v40, v44
	v_add3_u32 v44, v44, v86, v87
	v_mul_i32_i24_e32 v86, v221, v91
	v_mul_i32_i24_e32 v87, v223, v85
	s_delay_alu instid0(VALU_DEP_1) | instskip(SKIP_2) | instid1(VALU_DEP_3)
	v_add3_u32 v44, v44, v86, v87
	v_mul_i32_i24_e32 v87, v132, v217
	v_mul_i32_i24_e32 v86, v127, v219
	v_add3_u32 v44, v44, v130, v133
	v_mul_i32_i24_e32 v133, v118, v30
	v_mul_i32_i24_e32 v130, v131, v218
	s_delay_alu instid0(VALU_DEP_3) | instskip(SKIP_1) | instid1(VALU_DEP_2)
	v_add3_u32 v44, v44, v135, v136
	v_mul_i32_i24_e32 v135, v119, v201
	v_add3_u32 v44, v44, v137, v134
	v_mul_i32_i24_e32 v134, v120, v46
	s_delay_alu instid0(VALU_DEP_3) | instskip(NEXT) | instid1(VALU_DEP_3)
	v_mad_i32_i24 v135, v122, v202, v135
	v_add3_u32 v44, v44, v138, v139
	s_delay_alu instid0(VALU_DEP_2) | instskip(NEXT) | instid1(VALU_DEP_2)
	v_add3_u32 v133, v135, v134, v133
	v_add3_u32 v1, v44, v140, v1
	v_mul_i32_i24_e32 v44, v121, v220
	s_delay_alu instid0(VALU_DEP_3) | instskip(NEXT) | instid1(VALU_DEP_3)
	v_add3_u32 v87, v133, v87, v130
	v_mad_co_u64_u32 v[0:1], null, v1, v237, v[0:1]
	s_delay_alu instid0(VALU_DEP_2) | instskip(SKIP_1) | instid1(VALU_DEP_1)
	v_add3_u32 v44, v87, v86, v44
	v_lshrrev_b32_e32 v1, 16, v200
	v_cvt_f32_f16_e64 v238, v1
	s_delay_alu instid0(VALU_DEP_3) | instskip(SKIP_1) | instid1(VALU_DEP_2)
	v_cvt_f32_i32_e32 v1, v44
	v_cvt_f32_i32_e32 v0, v0
	v_mul_f32_e32 v1, v238, v1
	s_delay_alu instid0(VALU_DEP_1) | instskip(NEXT) | instid1(VALU_DEP_1)
	v_fma_mix_f32 v0, v200, v0, -v1 op_sel_hi:[1,0,0]
	v_dual_fmac_f32 v147, v18, v0 :: v_dual_add_nc_u32 v0, 0x2100, v19
	scratch_store_b32 off, v147, off offset:24 ; 4-byte Folded Spill
	ds_load_2addr_b32 v[0:1], v0 offset1:1
	s_wait_dscnt 0x0
	v_ashrrev_i32_e32 v42, s19, v0
	v_add_nc_u32_e32 v0, 0x2108, v19
	v_ashrrev_i32_e32 v86, s19, v1
	s_delay_alu instid0(VALU_DEP_3)
	v_and_b32_e32 v211, 3, v42
	ds_load_2addr_b32 v[0:1], v0 offset1:1
	v_bfe_u32 v203, v42, 8, 2
	v_bfe_u32 v214, v42, 16, 2
	;; [unrolled: 1-line block ×6, first 2 shown]
	v_mul_i32_i24_e32 v139, v95, v211
	v_mul_i32_i24_e32 v140, v100, v203
	;; [unrolled: 1-line block ×5, first 2 shown]
	s_wait_dscnt 0x0
	v_ashrrev_i32_e32 v87, s19, v0
	v_add_nc_u32_e32 v0, 0x2110, v19
	v_ashrrev_i32_e32 v130, s19, v1
	s_delay_alu instid0(VALU_DEP_3)
	v_and_b32_e32 v205, 3, v87
	ds_load_2addr_b32 v[0:1], v0 offset1:1
	v_bfe_u32 v206, v87, 8, 2
	v_bfe_u32 v207, v87, 16, 2
	;; [unrolled: 1-line block ×3, first 2 shown]
	v_mul_i32_i24_e32 v145, v205, v106
	v_and_b32_e32 v209, 3, v130
	v_mul_i32_i24_e32 v146, v206, v101
	v_mul_i32_i24_e32 v147, v207, v105
	;; [unrolled: 1-line block ×3, first 2 shown]
	v_bfe_u32 v210, v130, 8, 2
	v_bfe_u32 v212, v130, 16, 2
	;; [unrolled: 1-line block ×3, first 2 shown]
	s_delay_alu instid0(VALU_DEP_1) | instskip(SKIP_4) | instid1(VALU_DEP_3)
	v_mul_i32_i24_e32 v130, v213, v89
	s_wait_dscnt 0x0
	v_ashrrev_i32_e32 v133, s19, v0
	v_add_nc_u32_e32 v0, 0x2118, v19
	v_ashrrev_i32_e32 v134, s19, v1
	v_and_b32_e32 v191, 3, v133
	ds_load_2addr_b32 v[0:1], v0 offset1:1
	v_bfe_u32 v183, v133, 8, 2
	v_bfe_u32 v194, v133, 16, 2
	;; [unrolled: 1-line block ×3, first 2 shown]
	v_and_b32_e32 v182, 3, v134
	v_bfe_u32 v184, v134, 8, 2
	v_bfe_u32 v185, v134, 16, 2
	;; [unrolled: 1-line block ×3, first 2 shown]
	v_mul_i32_i24_e32 v133, v196, v31
	s_delay_alu instid0(VALU_DEP_2)
	v_mul_i32_i24_e32 v134, v186, v82
	s_wait_dscnt 0x0
	v_ashrrev_i32_e32 v135, s19, v0
	v_add3_u32 v0, s21, v153, v149
	v_ashrrev_i32_e32 v136, s19, v1
	v_add3_u32 v1, s20, v150, v148
	ds_load_b32 v0, v0
	ds_load_u16 v137, v1
	v_mul_i32_i24_e32 v148, v209, v117
	v_mul_i32_i24_e32 v149, v210, v107
	v_mul_i32_i24_e32 v150, v212, v116
	v_and_b32_e32 v187, 3, v135
	v_bfe_u32 v188, v135, 8, 2
	v_bfe_u32 v189, v135, 16, 2
	;; [unrolled: 1-line block ×3, first 2 shown]
	v_and_b32_e32 v192, 3, v136
	v_bfe_u32 v193, v136, 8, 2
	v_bfe_u32 v195, v136, 16, 2
	;; [unrolled: 1-line block ×3, first 2 shown]
	v_mul_i32_i24_e32 v135, v190, v92
	s_delay_alu instid0(VALU_DEP_2)
	v_mul_i32_i24_e32 v136, v197, v93
	s_wait_dscnt 0x0
	v_bfe_u32 v1, v137, 4, 4
	v_lshrrev_b16 v138, 8, v137
	v_and_b32_e32 v216, 15, v137
	v_mul_i32_i24_e32 v137, v194, v79
	s_delay_alu instid0(VALU_DEP_4) | instskip(NEXT) | instid1(VALU_DEP_1)
	v_mul_lo_u32 v1, 0x1010101, v1
	v_bfe_i32 v154, v1, 0, 8
	v_bfe_i32 v155, v1, 8, 8
	;; [unrolled: 1-line block ×3, first 2 shown]
	v_lshrrev_b32_e32 v157, 24, v1
	v_and_b32_e32 v1, 3, v86
	v_mul_i32_i24_e32 v86, v204, v97
	s_delay_alu instid0(VALU_DEP_2) | instskip(NEXT) | instid1(VALU_DEP_1)
	v_mul_i32_i24_e32 v143, v1, v98
	v_mad_i32_i24 v143, v42, v90, v143
	s_delay_alu instid0(VALU_DEP_1) | instskip(SKIP_2) | instid1(VALU_DEP_3)
	v_add3_u32 v86, v143, v144, v86
	v_mul_i32_i24_e32 v143, v193, v114
	v_mul_i32_i24_e32 v144, v195, v115
	v_add3_u32 v86, v86, v145, v139
	v_mul_i32_i24_e32 v139, v187, v102
	s_delay_alu instid0(VALU_DEP_2) | instskip(SKIP_2) | instid1(VALU_DEP_3)
	v_add3_u32 v86, v86, v140, v141
	v_mul_i32_i24_e32 v140, v188, v103
	v_mul_i32_i24_e32 v141, v189, v104
	v_add3_u32 v86, v86, v142, v146
	v_mul_i32_i24_e32 v142, v192, v113
	s_delay_alu instid0(VALU_DEP_2) | instskip(SKIP_2) | instid1(VALU_DEP_3)
	v_add3_u32 v86, v86, v147, v87
	v_and_b32_e32 v87, 0xffff, v138
	v_mul_i32_i24_e32 v138, v185, v84
	v_add3_u32 v86, v86, v148, v149
	s_delay_alu instid0(VALU_DEP_3) | instskip(NEXT) | instid1(VALU_DEP_2)
	v_and_b32_e32 v198, 15, v87
	v_add3_u32 v86, v86, v150, v130
	v_lshrrev_b32_e32 v130, 4, v87
                                        ; kill: def $vgpr87 killed $sgpr0 killed $exec
	s_delay_alu instid0(VALU_DEP_2) | instskip(NEXT) | instid1(VALU_DEP_2)
	v_mul_lo_u32 v86, v86, v216
	v_mul_lo_u32 v130, 0x1010101, v130
	s_delay_alu instid0(VALU_DEP_1) | instskip(SKIP_4) | instid1(VALU_DEP_1)
	v_bfe_i32 v178, v130, 0, 8
	v_bfe_i32 v179, v130, 8, 8
	;; [unrolled: 1-line block ×3, first 2 shown]
	v_lshrrev_b32_e32 v181, 24, v130
	v_mul_i32_i24_e32 v130, v191, v83
	v_mad_i32_i24 v130, v183, v40, v130
	s_delay_alu instid0(VALU_DEP_1) | instskip(SKIP_2) | instid1(VALU_DEP_1)
	v_add3_u32 v130, v130, v137, v133
	v_mul_i32_i24_e32 v133, v182, v91
	v_mul_i32_i24_e32 v137, v184, v85
	v_add3_u32 v130, v130, v133, v137
	v_mul_i32_i24_e32 v137, v118, v157
	v_mul_i32_i24_e32 v133, v121, v181
	s_delay_alu instid0(VALU_DEP_3) | instskip(SKIP_2) | instid1(VALU_DEP_3)
	v_add3_u32 v130, v130, v138, v134
	v_mul_i32_i24_e32 v138, v120, v156
	v_mul_i32_i24_e32 v134, v127, v180
	v_add3_u32 v130, v130, v139, v140
	v_mul_i32_i24_e32 v139, v119, v154
	s_delay_alu instid0(VALU_DEP_2) | instskip(NEXT) | instid1(VALU_DEP_2)
	v_add3_u32 v130, v130, v141, v135
	v_mad_i32_i24 v139, v122, v155, v139
	v_mul_i32_i24_e32 v135, v132, v178
	s_delay_alu instid0(VALU_DEP_3) | instskip(NEXT) | instid1(VALU_DEP_3)
	v_add3_u32 v130, v130, v142, v143
	v_add3_u32 v137, v139, v138, v137
	s_delay_alu instid0(VALU_DEP_2) | instskip(SKIP_1) | instid1(VALU_DEP_2)
	v_add3_u32 v130, v130, v144, v136
	v_mul_i32_i24_e32 v136, v131, v179
	v_mad_co_u64_u32 v[86:87], null, v130, v198, v[86:87]
	s_delay_alu instid0(VALU_DEP_2) | instskip(SKIP_2) | instid1(VALU_DEP_3)
	v_add3_u32 v135, v137, v135, v136
	v_lshrrev_b32_e32 v87, 16, v0
	v_add3_u32 v130, s21, v159, v152
	v_add3_u32 v133, v135, v134, v133
	s_delay_alu instid0(VALU_DEP_3) | instskip(SKIP_1) | instid1(VALU_DEP_3)
	v_cvt_f32_f16_e64 v199, v87
	v_cvt_f32_i32_e32 v86, v86
	v_cvt_f32_i32_e32 v87, v133
	s_delay_alu instid0(VALU_DEP_1) | instskip(NEXT) | instid1(VALU_DEP_1)
	v_mul_f32_e32 v87, v199, v87
	v_fma_mix_f32 v86, v0, v86, -v87 op_sel_hi:[1,0,0]
	s_delay_alu instid0(VALU_DEP_1)
	v_dual_fmac_f32 v47, v18, v86 :: v_dual_add_nc_u32 v86, 0x3180, v19
	scratch_store_b32 off, v47, off offset:120 ; 4-byte Folded Spill
	ds_load_2addr_b32 v[86:87], v86 offset1:1
	v_mov_b32_e32 v47, v124
	s_wait_dscnt 0x0
	v_ashrrev_i32_e32 v137, s19, v86
	v_add_nc_u32_e32 v86, 0x3188, v19
	v_ashrrev_i32_e32 v138, s19, v87
	s_delay_alu instid0(VALU_DEP_3)
	v_and_b32_e32 v172, 3, v137
	ds_load_2addr_b32 v[86:87], v86 offset1:1
	v_bfe_u32 v159, v138, 8, 2
	v_bfe_u32 v160, v138, 16, 2
	;; [unrolled: 1-line block ×3, first 2 shown]
	v_mul_i32_i24_e32 v95, v95, v172
	v_bfe_u32 v161, v137, 8, 2
	v_bfe_u32 v175, v137, 16, 2
	v_mul_i32_i24_e32 v99, v160, v99
	v_mul_i32_i24_e32 v97, v162, v97
	v_bfe_u32 v176, v137, 24, 2
	v_mul_i32_i24_e32 v100, v100, v161
	v_mul_i32_i24_e32 v96, v96, v175
	s_delay_alu instid0(VALU_DEP_3)
	v_mul_i32_i24_e32 v94, v94, v176
	s_wait_dscnt 0x0
	v_ashrrev_i32_e32 v139, s19, v86
	v_add_nc_u32_e32 v86, 0x3190, v19
	v_ashrrev_i32_e32 v140, s19, v87
	v_add_nc_u32_e32 v19, 0x3198, v19
	s_delay_alu instid0(VALU_DEP_4)
	v_and_b32_e32 v164, 3, v139
	ds_load_2addr_b32 v[86:87], v86 offset1:1
	v_bfe_u32 v165, v139, 8, 2
	v_bfe_u32 v167, v139, 16, 2
	;; [unrolled: 1-line block ×3, first 2 shown]
	v_mul_i32_i24_e32 v106, v164, v106
	v_and_b32_e32 v170, 3, v140
	v_mul_i32_i24_e32 v101, v165, v101
	v_mul_i32_i24_e32 v105, v167, v105
	v_mul_i32_i24_e32 v88, v169, v88
	v_bfe_u32 v171, v140, 8, 2
	v_mul_i32_i24_e32 v117, v170, v117
	v_bfe_u32 v173, v140, 16, 2
	v_bfe_u32 v174, v140, 24, 2
	s_delay_alu instid0(VALU_DEP_4) | instskip(NEXT) | instid1(VALU_DEP_3)
	v_mul_i32_i24_e32 v107, v171, v107
	v_mul_i32_i24_e32 v116, v173, v116
	s_delay_alu instid0(VALU_DEP_3)
	v_mul_i32_i24_e32 v89, v174, v89
	s_wait_dscnt 0x0
	v_ashrrev_i32_e32 v141, s19, v86
	v_ashrrev_i32_e32 v144, s19, v87
	ds_load_2addr_b32 v[86:87], v19 offset1:1
	v_add3_u32 v19, s20, v158, v151
	v_and_b32_e32 v158, 3, v138
	ds_load_b32 v130, v130
	ds_load_u16 v19, v19
	v_and_b32_e32 v163, 3, v141
	v_mul_i32_i24_e32 v98, v158, v98
	v_bfe_u32 v153, v141, 8, 2
	v_bfe_u32 v166, v141, 16, 2
	;; [unrolled: 1-line block ×3, first 2 shown]
	v_mul_i32_i24_e32 v83, v163, v83
	v_mad_i32_i24 v90, v159, v90, v98
	v_and_b32_e32 v141, 3, v144
	v_mul_i32_i24_e32 v79, v166, v79
	v_mul_i32_i24_e32 v31, v168, v31
	v_mad_i32_i24 v40, v153, v40, v83
	v_add3_u32 v90, v90, v99, v97
	v_bfe_u32 v143, v144, 16, 2
	s_wait_dscnt 0x2
	v_ashrrev_i32_e32 v86, s19, v86
	v_add3_u32 v31, v40, v79, v31
	v_add3_u32 v90, v90, v106, v95
	v_mul_i32_i24_e32 v40, v141, v91
	v_mul_i32_i24_e32 v83, v143, v84
	s_wait_dscnt 0x0
	v_lshrrev_b16 v142, 8, v19
	v_and_b32_e32 v177, 15, v19
	v_add3_u32 v90, v90, v100, v96
	v_bfe_u32 v133, v19, 4, 4
	v_and_b32_e32 v145, 3, v86
	v_bfe_u32 v146, v86, 8, 2
	v_bfe_u32 v147, v86, 16, 2
	v_add3_u32 v90, v90, v94, v101
	v_mul_lo_u32 v136, 0x1010101, v133
	v_mul_i32_i24_e32 v84, v145, v102
	v_bfe_u32 v148, v86, 24, 2
	v_ashrrev_i32_e32 v87, s19, v87
	v_add3_u32 v88, v90, v105, v88
	s_delay_alu instid0(VALU_DEP_3) | instskip(SKIP_1) | instid1(VALU_DEP_3)
	v_mul_i32_i24_e32 v86, v148, v92
	v_bfe_i32 v133, v136, 0, 8
	v_add3_u32 v88, v88, v117, v107
	v_bfe_i32 v134, v136, 8, 8
	v_bfe_i32 v135, v136, 16, 8
	v_lshrrev_b32_e32 v136, 24, v136
	v_and_b32_e32 v149, 3, v87
	v_add3_u32 v88, v88, v116, v89
	v_bfe_u32 v150, v87, 8, 2
	v_bfe_u32 v151, v87, 16, 2
	;; [unrolled: 1-line block ×3, first 2 shown]
	v_mul_i32_i24_e32 v90, v149, v113
	v_mul_lo_u32 v19, v88, v177
	v_and_b32_e32 v88, 0xffff, v142
	v_bfe_u32 v142, v144, 8, 2
	v_bfe_u32 v144, v144, 24, 2
	v_mul_i32_i24_e32 v91, v150, v114
	v_mul_i32_i24_e32 v92, v151, v115
	v_lshrrev_b32_e32 v89, 4, v88
	v_mul_i32_i24_e32 v79, v142, v85
	v_mul_i32_i24_e32 v82, v144, v82
	;; [unrolled: 1-line block ×4, first 2 shown]
	v_mul_lo_u32 v89, 0x1010101, v89
	v_add3_u32 v31, v31, v40, v79
	s_delay_alu instid0(VALU_DEP_1) | instskip(NEXT) | instid1(VALU_DEP_3)
	v_add3_u32 v31, v31, v83, v82
	v_bfe_i32 v137, v89, 0, 8
	v_bfe_i32 v138, v89, 8, 8
	;; [unrolled: 1-line block ×3, first 2 shown]
	v_lshrrev_b32_e32 v140, 24, v89
	v_mul_i32_i24_e32 v89, v147, v104
	v_add3_u32 v31, v31, v84, v85
	v_mul_i32_i24_e32 v84, v118, v136
	v_mul_i32_i24_e32 v85, v120, v135
	;; [unrolled: 1-line block ×4, first 2 shown]
	v_add3_u32 v31, v31, v89, v86
	v_mul_i32_i24_e32 v86, v119, v133
	v_mul_i32_i24_e32 v40, v121, v140
	;; [unrolled: 1-line block ×3, first 2 shown]
	v_and_b32_e32 v132, 15, v88
	v_add3_u32 v31, v31, v90, v91
	v_mad_i32_i24 v86, v122, v134, v86
	s_delay_alu instid0(VALU_DEP_2) | instskip(NEXT) | instid1(VALU_DEP_2)
	v_add3_u32 v31, v31, v92, v87
	v_add3_u32 v84, v86, v85, v84
	s_delay_alu instid0(VALU_DEP_1) | instskip(NEXT) | instid1(VALU_DEP_1)
	v_add3_u32 v82, v84, v82, v83
	v_add3_u32 v40, v82, v79, v40
	s_delay_alu instid0(VALU_DEP_4) | instskip(SKIP_1) | instid1(VALU_DEP_3)
	v_mad_co_u64_u32 v[82:83], null, v31, v132, v[19:20]
	v_lshrrev_b32_e32 v19, 16, v130
	v_cvt_f32_i32_e32 v31, v40
	s_delay_alu instid0(VALU_DEP_2) | instskip(NEXT) | instid1(VALU_DEP_4)
	v_cvt_f32_f16_e64 v131, v19
	v_cvt_f32_i32_e32 v19, v82
	s_delay_alu instid0(VALU_DEP_2) | instskip(NEXT) | instid1(VALU_DEP_1)
	v_mul_f32_e32 v31, v131, v31
	v_fma_mix_f32 v19, v130, v19, -v31 op_sel_hi:[1,0,0]
	s_delay_alu instid0(VALU_DEP_1) | instskip(SKIP_3) | instid1(VALU_DEP_1)
	v_fmac_f32_e32 v74, v18, v19
	scratch_load_b32 v18, off, off offset:48 ; 4-byte Folded Reload
	s_wait_loadcnt 0x0
	v_or_b32_e32 v18, s18, v18
	v_lshlrev_b32_e32 v19, 2, v18
	v_lshrrev_b32_e32 v18, 1, v18
	ds_load_b32 v31, v18 offset:30368
	ds_load_b128 v[82:85], v19 offset:16896
	ds_load_b128 v[86:89], v19 offset:16912
	s_wait_dscnt 0x1
	v_ashrrev_i32_e32 v40, 24, v82
	s_wait_dscnt 0x0
	v_lshrrev_b16 v18, 8, v86
	v_bfe_i32 v79, v82, 0, 8
	v_bfe_i32 v90, v82, 16, 8
	;; [unrolled: 1-line block ×5, first 2 shown]
	v_lshrrev_b16 v18, 8, v87
	v_ashrrev_i32_e32 v91, 24, v86
	v_bfe_i32 v92, v86, 16, 8
	v_bfe_i32 v86, v86, 0, 8
	v_ashrrev_i32_e32 v97, 24, v87
	v_bfe_i32 v99, v18, 0, 8
	v_lshrrev_b16 v18, 8, v84
	v_bfe_i32 v98, v87, 16, 8
	v_bfe_i32 v87, v87, 0, 8
	;; [unrolled: 1-line block ×5, first 2 shown]
	v_lshrrev_b16 v18, 8, v85
	v_add_nc_u32_e32 v19, v87, v86
	v_bfe_i32 v96, v83, 0, 8
	v_mul_i32_i24_e32 v124, v40, v78
	v_ashrrev_i32_e32 v95, 24, v83
	v_bfe_i32 v106, v18, 0, 8
	v_add_nc_u32_e32 v18, v82, v94
	v_add3_u32 v127, v19, v101, v107
	v_mul_i32_i24_e32 v19, v90, v77
	v_bfe_i32 v83, v83, 16, 8
	v_bfe_i32 v105, v84, 0, 8
	v_add3_u32 v123, v18, v100, v106
	v_mul_i32_i24_e32 v18, v79, v76
	v_mul_i32_i24_e32 v126, v55, v95
	;; [unrolled: 1-line block ×3, first 2 shown]
	v_bfe_i32 v104, v84, 16, 8
	v_ashrrev_i32_e32 v84, 24, v84
	v_mad_i32_i24 v18, v82, v50, v18
	v_mul_i32_i24_e32 v128, v57, v105
	v_mul_i32_i24_e32 v129, v58, v100
	;; [unrolled: 1-line block ×4, first 2 shown]
	v_add3_u32 v18, v18, v19, v124
	v_mul_i32_i24_e32 v19, v52, v96
	v_mul_i32_i24_e32 v124, v53, v94
	v_bfe_i32 v116, v85, 0, 8
	v_bfe_i32 v115, v85, 16, 8
	v_ashrrev_i32_e32 v85, 24, v85
	v_mul_i32_i24_e32 v23, v70, v106
	v_add3_u32 v18, v18, v19, v124
	v_mul_i32_i24_e32 v19, v45, v86
	v_mul_i32_i24_e32 v22, v69, v116
	v_bfe_i32 v102, v88, 8, 8
	v_mul_i32_i24_e32 v24, v73, v115
	v_add3_u32 v18, v18, v125, v126
	v_mad_i32_i24 v19, v4, v93, v19
	v_mul_i32_i24_e32 v25, v75, v85
	v_bfe_i32 v103, v88, 16, 8
	v_ashrrev_i32_e32 v88, 24, v88
	v_add3_u32 v18, v18, v128, v129
	v_bfe_i32 v113, v89, 8, 8
	v_bfe_i32 v114, v89, 16, 8
	v_ashrrev_i32_e32 v89, 24, v89
	v_add_nc_u32_e32 v119, v97, v91
	v_add3_u32 v18, v18, v20, v21
	v_mul_i32_i24_e32 v20, v48, v92
	v_mul_i32_i24_e32 v21, v49, v91
	v_add_nc_u32_e32 v117, v99, v93
	v_add_nc_u32_e32 v118, v98, v92
	v_add3_u32 v18, v18, v22, v23
	v_mul_i32_i24_e32 v22, v7, v98
	v_add3_u32 v19, v19, v20, v21
	v_mul_i32_i24_e32 v20, v5, v87
	v_mul_i32_i24_e32 v21, v6, v99
	;; [unrolled: 1-line block ×3, first 2 shown]
	v_add3_u32 v18, v18, v24, v25
	v_mul_i32_i24_e32 v24, v9, v101
	v_mul_i32_i24_e32 v25, v10, v102
	v_add3_u32 v19, v19, v20, v21
	v_add_nc_u32_e32 v122, v95, v40
	v_add3_u32 v119, v119, v88, v89
	v_mul_i32_i24_e32 v124, v11, v103
	v_mul_i32_i24_e32 v125, v12, v88
	v_add3_u32 v19, v19, v22, v23
	v_add_nc_u32_e32 v120, v83, v90
	v_add_nc_u32_e32 v121, v96, v79
	v_add3_u32 v122, v122, v84, v85
	v_add3_u32 v118, v118, v103, v114
	;; [unrolled: 1-line block ×4, first 2 shown]
	v_mul_i32_i24_e32 v24, v119, v80
	v_mul_i32_i24_e32 v126, v13, v107
	;; [unrolled: 1-line block ×3, first 2 shown]
	v_add3_u32 v19, v19, v124, v125
	v_add3_u32 v121, v121, v105, v116
	;; [unrolled: 1-line block ×3, first 2 shown]
	v_mul_i32_i24_e32 v20, v123, v81
	v_mul_i32_i24_e32 v21, v127, v110
	;; [unrolled: 1-line block ×4, first 2 shown]
	v_mad_i32_i24 v24, v122, v41, v24
	v_mul_i32_i24_e32 v129, v15, v114
	v_mul_i32_i24_e32 v26, v16, v89
	v_add3_u32 v19, v19, v126, v128
	v_mul_lo_u32 v18, v18, v3
	v_mad_i32_i24 v23, v120, v72, v23
	v_mad_i32_i24 v21, v121, v17, v21
	v_add3_u32 v20, v20, v22, v24
	v_add3_u32 v19, v19, v129, v26
	v_mul_i32_i24_e32 v22, v243, v95
	v_mul_i32_i24_e32 v24, v245, v100
	v_mul_i32_i24_e32 v25, v246, v104
	v_add3_u32 v20, v21, v23, v20
	v_mad_co_u64_u32 v[18:19], null, v19, v111, v[18:19]
	v_mul_i32_i24_e32 v21, v241, v83
	v_mul_i32_i24_e32 v23, v244, v105
	s_delay_alu instid0(VALU_DEP_4)
	v_cvt_f32_i32_e32 v19, v20
	v_mul_i32_i24_e32 v20, v40, v254
	v_mul_i32_i24_e32 v26, v247, v84
	;; [unrolled: 1-line block ×3, first 2 shown]
	v_cvt_f32_i32_e32 v18, v18
	v_mul_f32_e32 v19, v112, v19
	v_mul_i32_i24_e32 v125, v249, v106
	v_mul_i32_i24_e32 v126, v251, v115
	;; [unrolled: 1-line block ×4, first 2 shown]
	v_fma_mix_f32 v18, v2, v18, -v19 op_sel_hi:[1,0,0]
	v_mul_i32_i24_e32 v19, v90, v253
	s_delay_alu instid0(VALU_DEP_2) | instskip(SKIP_1) | instid1(VALU_DEP_1)
	v_fmac_f32_e32 v71, v31, v18
	v_mul_i32_i24_e32 v18, v79, v250
	v_mad_i32_i24 v18, v82, v242, v18
	s_delay_alu instid0(VALU_DEP_1) | instskip(SKIP_2) | instid1(VALU_DEP_1)
	v_add3_u32 v18, v18, v19, v20
	v_mul_i32_i24_e32 v19, v239, v96
	v_mul_i32_i24_e32 v20, v240, v94
	v_add3_u32 v18, v18, v19, v20
	v_mul_i32_i24_e32 v19, v230, v86
	v_mul_i32_i24_e32 v20, v233, v92
	s_delay_alu instid0(VALU_DEP_3) | instskip(SKIP_1) | instid1(VALU_DEP_4)
	v_add3_u32 v18, v18, v21, v22
	v_mul_i32_i24_e32 v21, v235, v91
	v_mad_i32_i24 v19, v222, v93, v19
	v_mul_i32_i24_e32 v22, v224, v98
	s_delay_alu instid0(VALU_DEP_4) | instskip(SKIP_1) | instid1(VALU_DEP_4)
	v_add3_u32 v18, v18, v23, v24
	v_mul_i32_i24_e32 v23, v225, v97
	v_add3_u32 v19, v19, v20, v21
	v_mul_i32_i24_e32 v20, v221, v87
	v_mul_i32_i24_e32 v21, v223, v99
	v_add3_u32 v18, v18, v25, v26
	v_mul_i32_i24_e32 v24, v226, v101
	v_mul_i32_i24_e32 v25, v227, v102
	v_mul_i32_i24_e32 v26, v228, v103
	v_add3_u32 v19, v19, v20, v21
	v_add3_u32 v18, v18, v124, v125
	v_mul_i32_i24_e32 v124, v229, v88
	v_mul_i32_i24_e32 v125, v231, v107
	v_mul_i32_i24_e32 v20, v119, v220
	v_add3_u32 v19, v19, v22, v23
	;; [unrolled: 5-line block ×3, first 2 shown]
	v_mul_i32_i24_e32 v24, v122, v30
	v_mul_i32_i24_e32 v25, v120, v46
	;; [unrolled: 1-line block ×3, first 2 shown]
	v_mul_lo_u32 v18, v18, v255
	v_add3_u32 v19, v19, v26, v124
	v_mul_i32_i24_e32 v26, v121, v201
	v_mul_i32_i24_e32 v21, v118, v219
	v_mul_i32_i24_e32 v124, v209, v116
	s_delay_alu instid0(VALU_DEP_4) | instskip(NEXT) | instid1(VALU_DEP_4)
	v_add3_u32 v19, v19, v125, v126
	v_mad_i32_i24 v26, v123, v202, v26
	v_mul_i32_i24_e32 v125, v210, v106
	v_mul_i32_i24_e32 v126, v212, v115
	s_delay_alu instid0(VALU_DEP_4) | instskip(NEXT) | instid1(VALU_DEP_4)
	v_add3_u32 v19, v19, v128, v129
	v_add3_u32 v24, v26, v25, v24
	v_mul_i32_i24_e32 v25, v207, v104
	v_mul_i32_i24_e32 v26, v208, v84
	;; [unrolled: 1-line block ×3, first 2 shown]
	v_mad_co_u64_u32 v[18:19], null, v19, v237, v[18:19]
	v_add3_u32 v22, v24, v22, v23
	v_mul_i32_i24_e32 v23, v205, v105
	v_mul_i32_i24_e32 v24, v206, v100
	;; [unrolled: 1-line block ×3, first 2 shown]
	s_delay_alu instid0(VALU_DEP_4) | instskip(SKIP_3) | instid1(VALU_DEP_4)
	v_add3_u32 v20, v22, v21, v20
	v_cvt_f32_i32_e32 v18, v18
	v_mul_i32_i24_e32 v21, v44, v83
	v_mul_i32_i24_e32 v22, v204, v95
	v_cvt_f32_i32_e32 v19, v20
	v_mul_i32_i24_e32 v20, v40, v215
	s_delay_alu instid0(VALU_DEP_2) | instskip(NEXT) | instid1(VALU_DEP_1)
	v_mul_f32_e32 v19, v238, v19
	v_fma_mix_f32 v18, v200, v18, -v19 op_sel_hi:[1,0,0]
	v_mul_i32_i24_e32 v19, v90, v214
	s_delay_alu instid0(VALU_DEP_2) | instskip(SKIP_1) | instid1(VALU_DEP_1)
	v_fmac_f32_e32 v67, v31, v18
	v_mul_i32_i24_e32 v18, v79, v211
	v_mad_i32_i24 v18, v82, v203, v18
	s_delay_alu instid0(VALU_DEP_1) | instskip(SKIP_2) | instid1(VALU_DEP_1)
	v_add3_u32 v18, v18, v19, v20
	v_mul_i32_i24_e32 v19, v1, v96
	v_mul_i32_i24_e32 v20, v42, v94
	v_add3_u32 v18, v18, v19, v20
	v_mul_i32_i24_e32 v19, v191, v86
	v_mul_i32_i24_e32 v20, v194, v92
	s_delay_alu instid0(VALU_DEP_3) | instskip(SKIP_1) | instid1(VALU_DEP_4)
	v_add3_u32 v18, v18, v21, v22
	v_mul_i32_i24_e32 v21, v196, v91
	v_mad_i32_i24 v19, v183, v93, v19
	v_mul_i32_i24_e32 v22, v185, v98
	s_delay_alu instid0(VALU_DEP_4) | instskip(SKIP_1) | instid1(VALU_DEP_4)
	v_add3_u32 v18, v18, v23, v24
	v_mul_i32_i24_e32 v23, v186, v97
	v_add3_u32 v19, v19, v20, v21
	v_mul_i32_i24_e32 v20, v182, v87
	v_mul_i32_i24_e32 v21, v184, v99
	v_add3_u32 v18, v18, v25, v26
	v_mul_i32_i24_e32 v24, v187, v101
	v_mul_i32_i24_e32 v25, v188, v102
	v_mul_i32_i24_e32 v26, v189, v103
	v_add3_u32 v19, v19, v20, v21
	v_add3_u32 v18, v18, v124, v125
	v_mul_i32_i24_e32 v124, v190, v88
	v_mul_i32_i24_e32 v125, v192, v107
	v_mul_i32_i24_e32 v20, v119, v181
	v_add3_u32 v19, v19, v22, v23
	;; [unrolled: 5-line block ×3, first 2 shown]
	v_mul_i32_i24_e32 v24, v122, v157
	v_mul_i32_i24_e32 v25, v120, v156
	;; [unrolled: 1-line block ×3, first 2 shown]
	v_mul_lo_u32 v18, v18, v216
	v_add3_u32 v19, v19, v26, v124
	v_mul_i32_i24_e32 v26, v121, v154
	v_mul_i32_i24_e32 v21, v118, v180
	s_delay_alu instid0(VALU_DEP_3) | instskip(NEXT) | instid1(VALU_DEP_3)
	v_add3_u32 v19, v19, v125, v126
	v_mad_i32_i24 v26, v123, v155, v26
	s_delay_alu instid0(VALU_DEP_2) | instskip(NEXT) | instid1(VALU_DEP_2)
	v_add3_u32 v19, v19, v128, v129
	v_add3_u32 v24, v26, v25, v24
	v_mul_i32_i24_e32 v25, v167, v104
	v_mul_i32_i24_e32 v26, v169, v84
	;; [unrolled: 1-line block ×3, first 2 shown]
	v_mad_co_u64_u32 v[18:19], null, v19, v198, v[18:19]
	v_add3_u32 v22, v24, v22, v23
	v_mul_i32_i24_e32 v23, v164, v105
	v_mul_i32_i24_e32 v24, v165, v100
	s_delay_alu instid0(VALU_DEP_3)
	v_add3_u32 v20, v22, v21, v20
	v_cvt_f32_i32_e32 v18, v18
	v_mul_i32_i24_e32 v21, v160, v83
	v_mul_i32_i24_e32 v22, v162, v95
	;; [unrolled: 1-line block ×3, first 2 shown]
	v_cvt_f32_i32_e32 v19, v20
	v_mul_i32_i24_e32 v20, v40, v176
	v_mul_i32_i24_e32 v40, v170, v116
	s_delay_alu instid0(VALU_DEP_3) | instskip(NEXT) | instid1(VALU_DEP_1)
	v_mul_f32_e32 v19, v199, v19
	v_fma_mix_f32 v18, v0, v18, -v19 op_sel_hi:[1,0,0]
	v_mul_i32_i24_e32 v19, v90, v175
	s_delay_alu instid0(VALU_DEP_2) | instskip(SKIP_2) | instid1(VALU_DEP_2)
	v_fmac_f32_e32 v66, v31, v18
	v_mul_i32_i24_e32 v18, v79, v172
	v_mul_i32_i24_e32 v79, v171, v106
	v_mad_i32_i24 v18, v82, v161, v18
	v_mul_i32_i24_e32 v82, v173, v115
	s_delay_alu instid0(VALU_DEP_2) | instskip(SKIP_2) | instid1(VALU_DEP_1)
	v_add3_u32 v18, v18, v19, v20
	v_mul_i32_i24_e32 v19, v158, v96
	v_mul_i32_i24_e32 v20, v159, v94
	v_add3_u32 v18, v18, v19, v20
	v_mul_i32_i24_e32 v19, v163, v86
	v_mul_i32_i24_e32 v20, v166, v92
	s_delay_alu instid0(VALU_DEP_3) | instskip(SKIP_1) | instid1(VALU_DEP_4)
	v_add3_u32 v18, v18, v21, v22
	v_mul_i32_i24_e32 v21, v168, v91
	v_mad_i32_i24 v19, v153, v93, v19
	v_mul_i32_i24_e32 v22, v143, v98
	s_delay_alu instid0(VALU_DEP_4) | instskip(SKIP_1) | instid1(VALU_DEP_4)
	v_add3_u32 v18, v18, v23, v24
	v_mul_i32_i24_e32 v23, v144, v97
	v_add3_u32 v19, v19, v20, v21
	v_mul_i32_i24_e32 v20, v141, v87
	v_mul_i32_i24_e32 v21, v142, v99
	v_add3_u32 v18, v18, v25, v26
	v_mul_i32_i24_e32 v24, v145, v101
	v_mul_i32_i24_e32 v25, v146, v102
	v_mul_i32_i24_e32 v26, v147, v103
	v_add3_u32 v19, v19, v20, v21
	v_add3_u32 v18, v18, v40, v79
	v_mul_i32_i24_e32 v40, v148, v88
	v_mul_i32_i24_e32 v79, v149, v107
	v_mul_i32_i24_e32 v20, v119, v140
	v_add3_u32 v19, v19, v22, v23
	;; [unrolled: 5-line block ×3, first 2 shown]
	v_mul_i32_i24_e32 v24, v122, v136
	v_mul_i32_i24_e32 v25, v120, v135
	;; [unrolled: 1-line block ×3, first 2 shown]
	v_mul_lo_u32 v18, v18, v177
	v_add3_u32 v19, v19, v26, v40
	v_mul_i32_i24_e32 v26, v121, v133
	v_mul_i32_i24_e32 v21, v118, v139
	s_delay_alu instid0(VALU_DEP_3) | instskip(NEXT) | instid1(VALU_DEP_3)
	v_add3_u32 v19, v19, v79, v82
	v_mad_i32_i24 v26, v123, v134, v26
	s_delay_alu instid0(VALU_DEP_2) | instskip(NEXT) | instid1(VALU_DEP_2)
	v_add3_u32 v19, v19, v83, v84
	v_add3_u32 v24, v26, v25, v24
	s_delay_alu instid0(VALU_DEP_2) | instskip(NEXT) | instid1(VALU_DEP_2)
	v_mad_co_u64_u32 v[18:19], null, v19, v132, v[18:19]
	v_add3_u32 v22, v24, v22, v23
	s_delay_alu instid0(VALU_DEP_1) | instskip(NEXT) | instid1(VALU_DEP_3)
	v_add3_u32 v20, v22, v21, v20
	v_cvt_f32_i32_e32 v18, v18
	s_delay_alu instid0(VALU_DEP_2) | instskip(NEXT) | instid1(VALU_DEP_1)
	v_cvt_f32_i32_e32 v19, v20
	v_mul_f32_e32 v19, v131, v19
	s_delay_alu instid0(VALU_DEP_1) | instskip(NEXT) | instid1(VALU_DEP_1)
	v_fma_mix_f32 v18, v130, v18, -v19 op_sel_hi:[1,0,0]
	v_fmac_f32_e32 v65, v31, v18
	scratch_load_b32 v18, off, off offset:40 ; 4-byte Folded Reload
	s_wait_loadcnt 0x0
	v_or_b32_e32 v18, s18, v18
	s_delay_alu instid0(VALU_DEP_1)
	v_lshlrev_b32_e32 v19, 2, v18
	v_lshrrev_b32_e32 v18, 1, v18
	ds_load_b32 v20, v18 offset:30368
	ds_load_b128 v[82:85], v19 offset:16896
	ds_load_b128 v[86:89], v19 offset:16912
	s_wait_dscnt 0x1
	v_ashrrev_i32_e32 v21, 24, v82
	s_wait_dscnt 0x0
	v_lshrrev_b16 v18, 8, v86
	v_bfe_i32 v22, v82, 0, 8
	v_bfe_i32 v23, v82, 16, 8
	;; [unrolled: 1-line block ×5, first 2 shown]
	v_lshrrev_b16 v18, 8, v87
	v_bfe_i32 v31, v86, 0, 8
	v_ashrrev_i32_e32 v90, 24, v87
	v_bfe_i32 v91, v87, 16, 8
	v_bfe_i32 v87, v87, 0, 8
	;; [unrolled: 1-line block ×3, first 2 shown]
	v_lshrrev_b16 v18, 8, v84
	v_bfe_i32 v94, v88, 0, 8
	v_bfe_i32 v100, v89, 0, 8
	v_add_nc_u32_e32 v19, v87, v31
	v_ashrrev_i32_e32 v24, 24, v86
	v_bfe_i32 v93, v18, 0, 8
	v_lshrrev_b16 v18, 8, v85
	v_bfe_i32 v25, v86, 16, 8
	v_bfe_i32 v86, v83, 0, 8
	v_add3_u32 v116, v19, v94, v100
	v_mul_i32_i24_e32 v19, v23, v77
	v_bfe_i32 v99, v18, 0, 8
	v_add_nc_u32_e32 v18, v82, v40
	v_mul_i32_i24_e32 v118, v21, v78
	v_ashrrev_i32_e32 v79, 24, v83
	v_bfe_i32 v83, v83, 16, 8
	v_bfe_i32 v98, v84, 0, 8
	v_add3_u32 v117, v18, v93, v99
	v_mul_i32_i24_e32 v18, v22, v76
	v_mul_i32_i24_e32 v120, v55, v79
	;; [unrolled: 1-line block ×3, first 2 shown]
	v_bfe_i32 v97, v84, 16, 8
	v_ashrrev_i32_e32 v84, 24, v84
	v_mad_i32_i24 v18, v82, v50, v18
	v_mul_i32_i24_e32 v121, v57, v98
	v_mul_i32_i24_e32 v122, v58, v93
	v_bfe_i32 v95, v88, 8, 8
	v_bfe_i32 v104, v85, 0, 8
	v_add3_u32 v18, v18, v19, v118
	v_mul_i32_i24_e32 v19, v52, v86
	v_mul_i32_i24_e32 v118, v53, v40
	;; [unrolled: 1-line block ×4, first 2 shown]
	v_bfe_i32 v96, v88, 16, 8
	v_ashrrev_i32_e32 v88, 24, v88
	v_add3_u32 v18, v18, v19, v118
	v_mul_i32_i24_e32 v19, v45, v31
	v_mul_i32_i24_e32 v118, v48, v25
	v_bfe_i32 v101, v89, 8, 8
	v_bfe_i32 v102, v89, 16, 8
	v_add3_u32 v18, v18, v119, v120
	v_mul_i32_i24_e32 v119, v49, v24
	v_mad_i32_i24 v19, v4, v26, v19
	v_mul_i32_i24_e32 v120, v7, v91
	v_ashrrev_i32_e32 v89, 24, v89
	v_add3_u32 v18, v18, v121, v122
	v_mul_i32_i24_e32 v121, v8, v90
	v_add3_u32 v19, v19, v118, v119
	v_mul_i32_i24_e32 v118, v5, v87
	v_mul_i32_i24_e32 v119, v6, v92
	v_add_nc_u32_e32 v107, v90, v24
	v_bfe_i32 v103, v85, 16, 8
	v_ashrrev_i32_e32 v85, 24, v85
	v_mul_i32_i24_e32 v125, v69, v104
	v_add3_u32 v19, v19, v118, v119
	v_mul_i32_i24_e32 v126, v70, v99
	v_add3_u32 v18, v18, v123, v124
	v_mul_i32_i24_e32 v122, v9, v94
	v_mul_i32_i24_e32 v123, v10, v95
	v_add3_u32 v19, v19, v120, v121
	v_add_nc_u32_e32 v105, v92, v26
	v_add_nc_u32_e32 v106, v91, v25
	;; [unrolled: 1-line block ×3, first 2 shown]
	v_add3_u32 v107, v107, v88, v89
	v_mul_i32_i24_e32 v127, v73, v103
	v_mul_i32_i24_e32 v128, v75, v85
	v_add3_u32 v18, v18, v125, v126
	v_mul_i32_i24_e32 v124, v11, v96
	v_mul_i32_i24_e32 v125, v12, v88
	v_add3_u32 v19, v19, v122, v123
	v_add_nc_u32_e32 v113, v83, v23
	v_add_nc_u32_e32 v114, v86, v22
	v_add3_u32 v115, v115, v84, v85
	v_add3_u32 v106, v106, v96, v102
	;; [unrolled: 1-line block ×3, first 2 shown]
	v_mul_i32_i24_e32 v122, v107, v80
	v_add3_u32 v18, v18, v127, v128
	v_mul_i32_i24_e32 v126, v13, v100
	v_mul_i32_i24_e32 v127, v14, v101
	v_add3_u32 v19, v19, v124, v125
	v_add3_u32 v114, v114, v98, v104
	;; [unrolled: 1-line block ×3, first 2 shown]
	v_mul_i32_i24_e32 v118, v117, v81
	v_mul_i32_i24_e32 v119, v116, v110
	;; [unrolled: 1-line block ×4, first 2 shown]
	v_mad_i32_i24 v122, v115, v41, v122
	v_mul_i32_i24_e32 v128, v15, v102
	v_mul_i32_i24_e32 v129, v16, v89
	v_add3_u32 v19, v19, v126, v127
	v_mul_lo_u32 v18, v18, v3
	v_mad_i32_i24 v121, v113, v72, v121
	v_mad_i32_i24 v119, v114, v17, v119
	v_add3_u32 v118, v118, v120, v122
	v_add3_u32 v19, v19, v128, v129
	v_mul_i32_i24_e32 v120, v243, v79
	v_mul_i32_i24_e32 v122, v245, v93
	;; [unrolled: 1-line block ×3, first 2 shown]
	v_add3_u32 v118, v119, v121, v118
	v_mad_co_u64_u32 v[18:19], null, v19, v111, v[18:19]
	v_mul_i32_i24_e32 v119, v241, v83
	v_mul_i32_i24_e32 v121, v244, v98
	s_delay_alu instid0(VALU_DEP_4)
	v_cvt_f32_i32_e32 v19, v118
	v_mul_i32_i24_e32 v118, v21, v254
	v_mul_i32_i24_e32 v124, v247, v84
	;; [unrolled: 1-line block ×3, first 2 shown]
	v_cvt_f32_i32_e32 v18, v18
	v_mul_f32_e32 v19, v112, v19
	v_mul_i32_i24_e32 v126, v249, v99
	v_mul_i32_i24_e32 v127, v251, v103
	;; [unrolled: 1-line block ×4, first 2 shown]
	v_fma_mix_f32 v18, v2, v18, -v19 op_sel_hi:[1,0,0]
	v_mul_i32_i24_e32 v19, v23, v253
	s_delay_alu instid0(VALU_DEP_2) | instskip(SKIP_1) | instid1(VALU_DEP_1)
	v_fmac_f32_e32 v64, v20, v18
	v_mul_i32_i24_e32 v18, v22, v250
	v_mad_i32_i24 v18, v82, v242, v18
	s_delay_alu instid0(VALU_DEP_1) | instskip(SKIP_2) | instid1(VALU_DEP_1)
	v_add3_u32 v18, v18, v19, v118
	v_mul_i32_i24_e32 v19, v239, v86
	v_mul_i32_i24_e32 v118, v240, v40
	v_add3_u32 v18, v18, v19, v118
	v_mul_i32_i24_e32 v19, v230, v31
	v_mul_i32_i24_e32 v118, v233, v25
	s_delay_alu instid0(VALU_DEP_3) | instskip(SKIP_1) | instid1(VALU_DEP_4)
	v_add3_u32 v18, v18, v119, v120
	v_mul_i32_i24_e32 v119, v235, v24
	v_mad_i32_i24 v19, v222, v26, v19
	v_mul_i32_i24_e32 v120, v224, v91
	s_delay_alu instid0(VALU_DEP_4) | instskip(SKIP_1) | instid1(VALU_DEP_4)
	v_add3_u32 v18, v18, v121, v122
	v_mul_i32_i24_e32 v121, v225, v90
	v_add3_u32 v19, v19, v118, v119
	v_mul_i32_i24_e32 v118, v221, v87
	v_mul_i32_i24_e32 v119, v223, v92
	v_add3_u32 v18, v18, v123, v124
	v_mul_i32_i24_e32 v122, v226, v94
	v_mul_i32_i24_e32 v123, v227, v95
	v_mul_i32_i24_e32 v124, v228, v96
	v_add3_u32 v19, v19, v118, v119
	v_add3_u32 v18, v18, v125, v126
	v_mul_i32_i24_e32 v125, v229, v88
	v_mul_i32_i24_e32 v126, v231, v100
	v_mul_i32_i24_e32 v118, v107, v220
	v_add3_u32 v19, v19, v120, v121
	v_add3_u32 v18, v18, v127, v128
	v_mul_i32_i24_e32 v127, v232, v101
	v_mul_i32_i24_e32 v120, v116, v217
	v_mul_i32_i24_e32 v121, v105, v218
	v_add3_u32 v19, v19, v122, v123
	v_mul_i32_i24_e32 v122, v115, v30
	v_mul_i32_i24_e32 v123, v113, v46
	;; [unrolled: 1-line block ×3, first 2 shown]
	v_mul_lo_u32 v18, v18, v255
	v_add3_u32 v19, v19, v124, v125
	v_mul_i32_i24_e32 v124, v114, v201
	v_mul_i32_i24_e32 v119, v106, v219
	;; [unrolled: 1-line block ×3, first 2 shown]
	s_delay_alu instid0(VALU_DEP_4) | instskip(NEXT) | instid1(VALU_DEP_4)
	v_add3_u32 v19, v19, v126, v127
	v_mad_i32_i24 v124, v117, v202, v124
	v_mul_i32_i24_e32 v126, v210, v99
	v_mul_i32_i24_e32 v127, v212, v103
	s_delay_alu instid0(VALU_DEP_4) | instskip(NEXT) | instid1(VALU_DEP_4)
	v_add3_u32 v19, v19, v128, v129
	v_add3_u32 v122, v124, v123, v122
	v_mul_i32_i24_e32 v123, v207, v97
	v_mul_i32_i24_e32 v124, v208, v84
	v_mul_i32_i24_e32 v128, v213, v85
	v_mad_co_u64_u32 v[18:19], null, v19, v237, v[18:19]
	v_add3_u32 v120, v122, v120, v121
	v_mul_i32_i24_e32 v121, v205, v98
	v_mul_i32_i24_e32 v122, v206, v93
	;; [unrolled: 1-line block ×4, first 2 shown]
	v_add3_u32 v118, v120, v119, v118
	v_cvt_f32_i32_e32 v18, v18
	v_mul_i32_i24_e32 v119, v44, v83
	v_mul_i32_i24_e32 v120, v204, v79
	s_delay_alu instid0(VALU_DEP_4) | instskip(SKIP_2) | instid1(VALU_DEP_3)
	v_cvt_f32_i32_e32 v19, v118
	v_mul_i32_i24_e32 v118, v21, v215
	v_mul_i32_i24_e32 v21, v21, v176
	v_mul_f32_e32 v19, v238, v19
	s_delay_alu instid0(VALU_DEP_1) | instskip(SKIP_1) | instid1(VALU_DEP_2)
	v_fma_mix_f32 v18, v200, v18, -v19 op_sel_hi:[1,0,0]
	v_mul_i32_i24_e32 v19, v23, v214
	v_fmac_f32_e32 v62, v20, v18
	v_mul_i32_i24_e32 v18, v22, v211
	s_delay_alu instid0(VALU_DEP_1) | instskip(NEXT) | instid1(VALU_DEP_1)
	v_mad_i32_i24 v18, v82, v203, v18
	v_add3_u32 v18, v18, v19, v118
	v_mul_i32_i24_e32 v19, v1, v86
	v_mul_i32_i24_e32 v118, v42, v40
	s_delay_alu instid0(VALU_DEP_1) | instskip(SKIP_2) | instid1(VALU_DEP_3)
	v_add3_u32 v18, v18, v19, v118
	v_mul_i32_i24_e32 v19, v191, v31
	v_mul_i32_i24_e32 v118, v194, v25
	v_add3_u32 v18, v18, v119, v120
	v_mul_i32_i24_e32 v119, v196, v24
	s_delay_alu instid0(VALU_DEP_4) | instskip(SKIP_1) | instid1(VALU_DEP_4)
	v_mad_i32_i24 v19, v183, v26, v19
	v_mul_i32_i24_e32 v120, v185, v91
	v_add3_u32 v18, v18, v121, v122
	v_mul_i32_i24_e32 v121, v186, v90
	s_delay_alu instid0(VALU_DEP_4)
	v_add3_u32 v19, v19, v118, v119
	v_mul_i32_i24_e32 v118, v182, v87
	v_mul_i32_i24_e32 v119, v184, v92
	v_add3_u32 v18, v18, v123, v124
	v_mul_i32_i24_e32 v122, v187, v94
	v_mul_i32_i24_e32 v123, v188, v95
	v_mul_i32_i24_e32 v124, v189, v96
	v_add3_u32 v19, v19, v118, v119
	v_add3_u32 v18, v18, v125, v126
	v_mul_i32_i24_e32 v125, v190, v88
	v_mul_i32_i24_e32 v126, v192, v100
	v_mul_i32_i24_e32 v118, v107, v181
	v_add3_u32 v19, v19, v120, v121
	;; [unrolled: 5-line block ×3, first 2 shown]
	v_mul_i32_i24_e32 v122, v115, v157
	v_mul_i32_i24_e32 v123, v113, v156
	;; [unrolled: 1-line block ×3, first 2 shown]
	v_mul_lo_u32 v18, v18, v216
	v_add3_u32 v19, v19, v124, v125
	v_mul_i32_i24_e32 v124, v114, v154
	v_mul_i32_i24_e32 v119, v106, v180
	s_delay_alu instid0(VALU_DEP_3) | instskip(NEXT) | instid1(VALU_DEP_3)
	v_add3_u32 v19, v19, v126, v127
	v_mad_i32_i24 v124, v117, v155, v124
	s_delay_alu instid0(VALU_DEP_2) | instskip(NEXT) | instid1(VALU_DEP_2)
	v_add3_u32 v19, v19, v128, v129
	v_add3_u32 v122, v124, v123, v122
	s_delay_alu instid0(VALU_DEP_2) | instskip(NEXT) | instid1(VALU_DEP_2)
	v_mad_co_u64_u32 v[18:19], null, v19, v198, v[18:19]
	v_add3_u32 v120, v122, v120, v121
	s_delay_alu instid0(VALU_DEP_1) | instskip(NEXT) | instid1(VALU_DEP_3)
	v_add3_u32 v118, v120, v119, v118
	v_cvt_f32_i32_e32 v18, v18
	s_delay_alu instid0(VALU_DEP_2) | instskip(NEXT) | instid1(VALU_DEP_1)
	v_cvt_f32_i32_e32 v19, v118
	v_mul_f32_e32 v19, v199, v19
	s_delay_alu instid0(VALU_DEP_1)
	v_fma_mix_f32 v18, v0, v18, -v19 op_sel_hi:[1,0,0]
	v_mul_i32_i24_e32 v19, v23, v175
	v_mul_i32_i24_e32 v23, v162, v79
	;; [unrolled: 1-line block ×4, first 2 shown]
	v_fmac_f32_e32 v61, v20, v18
	v_mul_i32_i24_e32 v18, v22, v172
	v_mul_i32_i24_e32 v22, v160, v83
	;; [unrolled: 1-line block ×4, first 2 shown]
	s_delay_alu instid0(VALU_DEP_4) | instskip(SKIP_1) | instid1(VALU_DEP_2)
	v_mad_i32_i24 v18, v82, v161, v18
	v_mul_i32_i24_e32 v82, v167, v97
	v_add3_u32 v18, v18, v19, v21
	v_mul_i32_i24_e32 v19, v158, v86
	v_mul_i32_i24_e32 v21, v159, v40
	;; [unrolled: 1-line block ×4, first 2 shown]
	s_delay_alu instid0(VALU_DEP_3)
	v_add3_u32 v18, v18, v19, v21
	v_mul_i32_i24_e32 v19, v163, v31
	v_mul_i32_i24_e32 v21, v166, v25
	;; [unrolled: 1-line block ×4, first 2 shown]
	v_add3_u32 v18, v18, v22, v23
	v_mul_i32_i24_e32 v22, v168, v24
	v_mad_i32_i24 v19, v153, v26, v19
	v_mul_i32_i24_e32 v23, v143, v91
	v_mul_i32_i24_e32 v24, v144, v90
	;; [unrolled: 1-line block ×3, first 2 shown]
	v_add3_u32 v18, v18, v40, v79
	v_add3_u32 v19, v19, v21, v22
	v_mul_i32_i24_e32 v21, v141, v87
	v_mul_i32_i24_e32 v22, v142, v92
	;; [unrolled: 1-line block ×3, first 2 shown]
	v_add3_u32 v18, v18, v82, v83
	v_mul_i32_i24_e32 v79, v149, v100
	v_mul_i32_i24_e32 v82, v150, v101
	v_add3_u32 v19, v19, v21, v22
	v_mul_i32_i24_e32 v83, v151, v102
	v_add3_u32 v18, v18, v84, v86
	v_mul_i32_i24_e32 v84, v152, v89
	v_mul_i32_i24_e32 v21, v107, v140
	v_add3_u32 v19, v19, v23, v24
	v_mul_i32_i24_e32 v23, v116, v137
	;; [unrolled: 5-line block ×3, first 2 shown]
	v_mul_i32_i24_e32 v26, v113, v135
	v_mul_lo_u32 v18, v18, v177
	s_delay_alu instid0(VALU_DEP_4) | instskip(SKIP_1) | instid1(VALU_DEP_2)
	v_add3_u32 v19, v19, v31, v40
	v_mul_i32_i24_e32 v31, v114, v133
	v_add3_u32 v19, v19, v79, v82
	s_delay_alu instid0(VALU_DEP_2) | instskip(NEXT) | instid1(VALU_DEP_2)
	v_mad_i32_i24 v31, v117, v134, v31
	v_add3_u32 v19, v19, v83, v84
	s_delay_alu instid0(VALU_DEP_2) | instskip(NEXT) | instid1(VALU_DEP_2)
	v_add3_u32 v25, v31, v26, v25
	v_mad_co_u64_u32 v[18:19], null, v19, v132, v[18:19]
	s_delay_alu instid0(VALU_DEP_2) | instskip(NEXT) | instid1(VALU_DEP_1)
	v_add3_u32 v23, v25, v23, v24
	v_add3_u32 v21, v23, v22, v21
	s_delay_alu instid0(VALU_DEP_3) | instskip(NEXT) | instid1(VALU_DEP_2)
	v_cvt_f32_i32_e32 v18, v18
	v_cvt_f32_i32_e32 v19, v21
	s_delay_alu instid0(VALU_DEP_1) | instskip(NEXT) | instid1(VALU_DEP_1)
	v_mul_f32_e32 v19, v131, v19
	v_fma_mix_f32 v18, v130, v18, -v19 op_sel_hi:[1,0,0]
	s_delay_alu instid0(VALU_DEP_1) | instskip(SKIP_3) | instid1(VALU_DEP_1)
	v_fmac_f32_e32 v60, v20, v18
	scratch_load_b32 v18, off, off offset:44 ; 4-byte Folded Reload
	s_wait_loadcnt 0x0
	v_or_b32_e32 v18, s18, v18
	v_lshlrev_b32_e32 v19, 2, v18
	v_lshrrev_b32_e32 v18, 1, v18
	ds_load_b32 v20, v18 offset:30368
	ds_load_b128 v[82:85], v19 offset:16896
	ds_load_b128 v[86:89], v19 offset:16912
	s_wait_dscnt 0x1
	v_ashrrev_i32_e32 v24, 24, v82
	s_wait_dscnt 0x0
	v_bfe_i32 v93, v86, 0, 8
	v_bfe_i32 v94, v86, 8, 8
	v_bfe_i32 v95, v86, 16, 8
	v_ashrrev_i32_e32 v86, 24, v86
	v_bfe_i32 v96, v87, 0, 8
	v_bfe_i32 v97, v87, 8, 8
	v_bfe_i32 v98, v87, 16, 8
	v_ashrrev_i32_e32 v87, 24, v87
	;; [unrolled: 4-line block ×4, first 2 shown]
	v_add_nc_u32_e32 v18, v87, v86
	v_ashrrev_i32_e32 v40, 24, v83
	v_bfe_i32 v21, v82, 0, 8
	v_bfe_i32 v22, v82, 8, 8
	v_bfe_i32 v23, v82, 16, 8
	v_add3_u32 v105, v18, v88, v89
	v_add_nc_u32_e32 v18, v98, v95
	v_bfe_i32 v25, v83, 0, 8
	v_bfe_i32 v26, v83, 8, 8
	;; [unrolled: 1-line block ×4, first 2 shown]
	v_add3_u32 v106, v18, v101, v104
	v_add_nc_u32_e32 v18, v96, v93
	v_bfe_i32 v82, v84, 8, 8
	v_bfe_i32 v83, v84, 16, 8
	v_ashrrev_i32_e32 v84, 24, v84
	v_bfe_i32 v90, v85, 0, 8
	v_add3_u32 v107, v18, v99, v102
	v_add_nc_u32_e32 v18, v97, v94
	v_bfe_i32 v91, v85, 8, 8
	v_bfe_i32 v92, v85, 16, 8
	v_ashrrev_i32_e32 v85, 24, v85
	v_mul_i32_i24_e32 v19, v23, v77
	v_add3_u32 v113, v18, v100, v103
	v_add_nc_u32_e32 v18, v40, v24
	v_mul_i32_i24_e32 v118, v24, v78
	v_mul_i32_i24_e32 v119, v54, v31
	v_mul_i32_i24_e32 v120, v55, v40
	v_mul_i32_i24_e32 v121, v57, v79
	v_add3_u32 v114, v18, v84, v85
	v_add_nc_u32_e32 v18, v31, v23
	v_mul_i32_i24_e32 v122, v58, v82
	v_mul_i32_i24_e32 v123, v63, v83
	v_mul_i32_i24_e32 v124, v68, v84
	;; [unrolled: 6-line block ×3, first 2 shown]
	v_mul_i32_i24_e32 v129, v16, v89
	v_add3_u32 v116, v18, v82, v91
	v_add_nc_u32_e32 v18, v25, v21
	s_delay_alu instid0(VALU_DEP_1) | instskip(SKIP_1) | instid1(VALU_DEP_1)
	v_add3_u32 v117, v18, v79, v90
	v_mul_i32_i24_e32 v18, v21, v76
	v_mad_i32_i24 v18, v22, v50, v18
	s_delay_alu instid0(VALU_DEP_1) | instskip(SKIP_2) | instid1(VALU_DEP_1)
	v_add3_u32 v18, v18, v19, v118
	v_mul_i32_i24_e32 v19, v52, v25
	v_mul_i32_i24_e32 v118, v53, v26
	v_add3_u32 v18, v18, v19, v118
	v_mul_i32_i24_e32 v19, v45, v93
	v_mul_i32_i24_e32 v118, v48, v95
	s_delay_alu instid0(VALU_DEP_3) | instskip(SKIP_1) | instid1(VALU_DEP_4)
	v_add3_u32 v18, v18, v119, v120
	v_mul_i32_i24_e32 v119, v49, v86
	v_mad_i32_i24 v19, v4, v94, v19
	v_mul_i32_i24_e32 v120, v7, v98
	s_delay_alu instid0(VALU_DEP_4) | instskip(SKIP_1) | instid1(VALU_DEP_4)
	v_add3_u32 v18, v18, v121, v122
	v_mul_i32_i24_e32 v121, v8, v87
	v_add3_u32 v19, v19, v118, v119
	v_mul_i32_i24_e32 v118, v5, v96
	v_mul_i32_i24_e32 v119, v6, v97
	v_add3_u32 v18, v18, v123, v124
	v_mul_i32_i24_e32 v122, v9, v99
	v_mul_i32_i24_e32 v123, v10, v100
	v_mul_i32_i24_e32 v124, v11, v101
	v_add3_u32 v19, v19, v118, v119
	v_add3_u32 v18, v18, v125, v126
	v_mul_i32_i24_e32 v125, v12, v88
	v_mul_i32_i24_e32 v126, v13, v102
	v_mul_i32_i24_e32 v118, v105, v80
	v_add3_u32 v19, v19, v120, v121
	;; [unrolled: 5-line block ×3, first 2 shown]
	v_mul_i32_i24_e32 v122, v114, v41
	v_mul_i32_i24_e32 v123, v115, v72
	;; [unrolled: 1-line block ×3, first 2 shown]
	v_mul_lo_u32 v18, v18, v3
	v_add3_u32 v19, v19, v124, v125
	v_mul_i32_i24_e32 v124, v117, v17
	v_mul_i32_i24_e32 v119, v106, v109
	;; [unrolled: 1-line block ×3, first 2 shown]
	s_delay_alu instid0(VALU_DEP_4) | instskip(NEXT) | instid1(VALU_DEP_4)
	v_add3_u32 v19, v19, v126, v127
	v_mad_i32_i24 v124, v116, v81, v124
	v_mul_i32_i24_e32 v126, v249, v91
	v_mul_i32_i24_e32 v127, v251, v92
	s_delay_alu instid0(VALU_DEP_4) | instskip(NEXT) | instid1(VALU_DEP_4)
	v_add3_u32 v19, v19, v128, v129
	v_add3_u32 v122, v124, v123, v122
	v_mul_i32_i24_e32 v123, v246, v83
	v_mul_i32_i24_e32 v124, v247, v84
	;; [unrolled: 1-line block ×3, first 2 shown]
	v_mad_co_u64_u32 v[18:19], null, v19, v111, v[18:19]
	v_add3_u32 v120, v122, v120, v121
	v_mul_i32_i24_e32 v121, v244, v79
	v_mul_i32_i24_e32 v122, v245, v82
	;; [unrolled: 1-line block ×3, first 2 shown]
	s_delay_alu instid0(VALU_DEP_4) | instskip(SKIP_3) | instid1(VALU_DEP_4)
	v_add3_u32 v118, v120, v119, v118
	v_cvt_f32_i32_e32 v18, v18
	v_mul_i32_i24_e32 v119, v241, v31
	v_mul_i32_i24_e32 v120, v243, v40
	v_cvt_f32_i32_e32 v19, v118
	v_mul_i32_i24_e32 v118, v24, v254
	s_delay_alu instid0(VALU_DEP_2) | instskip(NEXT) | instid1(VALU_DEP_1)
	v_mul_f32_e32 v19, v112, v19
	v_fma_mix_f32 v18, v2, v18, -v19 op_sel_hi:[1,0,0]
	v_mul_i32_i24_e32 v19, v23, v253
	s_delay_alu instid0(VALU_DEP_2) | instskip(SKIP_1) | instid1(VALU_DEP_1)
	v_fmac_f32_e32 v59, v20, v18
	v_mul_i32_i24_e32 v18, v21, v250
	v_mad_i32_i24 v18, v22, v242, v18
	s_delay_alu instid0(VALU_DEP_1) | instskip(SKIP_2) | instid1(VALU_DEP_1)
	v_add3_u32 v18, v18, v19, v118
	v_mul_i32_i24_e32 v19, v239, v25
	v_mul_i32_i24_e32 v118, v240, v26
	v_add3_u32 v18, v18, v19, v118
	v_mul_i32_i24_e32 v19, v230, v93
	v_mul_i32_i24_e32 v118, v233, v95
	s_delay_alu instid0(VALU_DEP_3) | instskip(SKIP_1) | instid1(VALU_DEP_4)
	v_add3_u32 v18, v18, v119, v120
	v_mul_i32_i24_e32 v119, v235, v86
	v_mad_i32_i24 v19, v222, v94, v19
	v_mul_i32_i24_e32 v120, v224, v98
	s_delay_alu instid0(VALU_DEP_4) | instskip(SKIP_1) | instid1(VALU_DEP_4)
	v_add3_u32 v18, v18, v121, v122
	v_mul_i32_i24_e32 v121, v225, v87
	v_add3_u32 v19, v19, v118, v119
	v_mul_i32_i24_e32 v118, v221, v96
	v_mul_i32_i24_e32 v119, v223, v97
	v_add3_u32 v18, v18, v123, v124
	v_mul_i32_i24_e32 v122, v226, v99
	v_mul_i32_i24_e32 v123, v227, v100
	v_mul_i32_i24_e32 v124, v228, v101
	v_add3_u32 v19, v19, v118, v119
	v_add3_u32 v18, v18, v125, v126
	v_mul_i32_i24_e32 v125, v229, v88
	v_mul_i32_i24_e32 v126, v231, v102
	v_mul_i32_i24_e32 v118, v105, v220
	v_add3_u32 v19, v19, v120, v121
	;; [unrolled: 5-line block ×3, first 2 shown]
	v_mul_i32_i24_e32 v122, v114, v30
	v_mul_i32_i24_e32 v123, v115, v46
	;; [unrolled: 1-line block ×3, first 2 shown]
	v_mul_lo_u32 v18, v18, v255
	v_add3_u32 v19, v19, v124, v125
	v_mul_i32_i24_e32 v124, v117, v201
	v_mul_i32_i24_e32 v119, v106, v219
	;; [unrolled: 1-line block ×3, first 2 shown]
	s_delay_alu instid0(VALU_DEP_4) | instskip(NEXT) | instid1(VALU_DEP_4)
	v_add3_u32 v19, v19, v126, v127
	v_mad_i32_i24 v124, v116, v202, v124
	v_mul_i32_i24_e32 v126, v210, v91
	v_mul_i32_i24_e32 v127, v212, v92
	s_delay_alu instid0(VALU_DEP_4) | instskip(NEXT) | instid1(VALU_DEP_4)
	v_add3_u32 v19, v19, v128, v129
	v_add3_u32 v122, v124, v123, v122
	v_mul_i32_i24_e32 v123, v207, v83
	v_mul_i32_i24_e32 v124, v208, v84
	;; [unrolled: 1-line block ×3, first 2 shown]
	v_mad_co_u64_u32 v[18:19], null, v19, v237, v[18:19]
	v_add3_u32 v120, v122, v120, v121
	v_mul_i32_i24_e32 v121, v205, v79
	v_mul_i32_i24_e32 v122, v206, v82
	;; [unrolled: 1-line block ×3, first 2 shown]
	s_delay_alu instid0(VALU_DEP_4) | instskip(SKIP_3) | instid1(VALU_DEP_4)
	v_add3_u32 v118, v120, v119, v118
	v_cvt_f32_i32_e32 v18, v18
	v_mul_i32_i24_e32 v119, v44, v31
	v_mul_i32_i24_e32 v120, v204, v40
	v_cvt_f32_i32_e32 v19, v118
	v_mul_i32_i24_e32 v118, v24, v215
	s_delay_alu instid0(VALU_DEP_2) | instskip(NEXT) | instid1(VALU_DEP_1)
	v_mul_f32_e32 v19, v238, v19
	v_fma_mix_f32 v18, v200, v18, -v19 op_sel_hi:[1,0,0]
	v_mul_i32_i24_e32 v19, v23, v214
	s_delay_alu instid0(VALU_DEP_2) | instskip(SKIP_1) | instid1(VALU_DEP_1)
	v_fmac_f32_e32 v56, v20, v18
	v_mul_i32_i24_e32 v18, v21, v211
	v_mad_i32_i24 v18, v22, v203, v18
	s_delay_alu instid0(VALU_DEP_1) | instskip(SKIP_2) | instid1(VALU_DEP_1)
	v_add3_u32 v18, v18, v19, v118
	v_mul_i32_i24_e32 v19, v1, v25
	v_mul_i32_i24_e32 v118, v42, v26
	v_add3_u32 v18, v18, v19, v118
	v_mul_i32_i24_e32 v19, v191, v93
	v_mul_i32_i24_e32 v118, v194, v95
	s_delay_alu instid0(VALU_DEP_3) | instskip(SKIP_1) | instid1(VALU_DEP_4)
	v_add3_u32 v18, v18, v119, v120
	v_mul_i32_i24_e32 v119, v196, v86
	v_mad_i32_i24 v19, v183, v94, v19
	v_mul_i32_i24_e32 v120, v185, v98
	s_delay_alu instid0(VALU_DEP_4) | instskip(SKIP_1) | instid1(VALU_DEP_4)
	v_add3_u32 v18, v18, v121, v122
	v_mul_i32_i24_e32 v121, v186, v87
	v_add3_u32 v19, v19, v118, v119
	v_mul_i32_i24_e32 v118, v182, v96
	v_mul_i32_i24_e32 v119, v184, v97
	v_add3_u32 v18, v18, v123, v124
	v_mul_i32_i24_e32 v122, v187, v99
	v_mul_i32_i24_e32 v123, v188, v100
	v_mul_i32_i24_e32 v124, v189, v101
	v_add3_u32 v19, v19, v118, v119
	v_add3_u32 v18, v18, v125, v126
	v_mul_i32_i24_e32 v125, v190, v88
	v_mul_i32_i24_e32 v126, v192, v102
	v_mul_i32_i24_e32 v118, v105, v181
	v_add3_u32 v19, v19, v120, v121
	;; [unrolled: 5-line block ×3, first 2 shown]
	v_mul_i32_i24_e32 v122, v114, v157
	v_mul_i32_i24_e32 v123, v115, v156
	;; [unrolled: 1-line block ×3, first 2 shown]
	v_mul_lo_u32 v18, v18, v216
	v_add3_u32 v19, v19, v124, v125
	v_mul_i32_i24_e32 v124, v117, v154
	v_mul_i32_i24_e32 v119, v106, v180
	s_delay_alu instid0(VALU_DEP_3) | instskip(NEXT) | instid1(VALU_DEP_3)
	v_add3_u32 v19, v19, v126, v127
	v_mad_i32_i24 v124, v116, v155, v124
	s_delay_alu instid0(VALU_DEP_2) | instskip(NEXT) | instid1(VALU_DEP_2)
	v_add3_u32 v19, v19, v128, v129
	v_add3_u32 v122, v124, v123, v122
	s_delay_alu instid0(VALU_DEP_2) | instskip(NEXT) | instid1(VALU_DEP_2)
	v_mad_co_u64_u32 v[18:19], null, v19, v198, v[18:19]
	v_add3_u32 v120, v122, v120, v121
	s_delay_alu instid0(VALU_DEP_1) | instskip(NEXT) | instid1(VALU_DEP_3)
	v_add3_u32 v118, v120, v119, v118
	v_cvt_f32_i32_e32 v18, v18
	s_delay_alu instid0(VALU_DEP_2) | instskip(NEXT) | instid1(VALU_DEP_1)
	v_cvt_f32_i32_e32 v19, v118
	v_mul_f32_e32 v19, v199, v19
	s_delay_alu instid0(VALU_DEP_1) | instskip(SKIP_3) | instid1(VALU_DEP_4)
	v_fma_mix_f32 v18, v0, v18, -v19 op_sel_hi:[1,0,0]
	v_mul_i32_i24_e32 v19, v23, v175
	v_mul_i32_i24_e32 v23, v162, v40
	;; [unrolled: 1-line block ×3, first 2 shown]
	v_fmac_f32_e32 v51, v20, v18
	v_mul_i32_i24_e32 v18, v21, v172
	v_mul_i32_i24_e32 v21, v24, v176
	;; [unrolled: 1-line block ×4, first 2 shown]
	s_delay_alu instid0(VALU_DEP_4) | instskip(SKIP_3) | instid1(VALU_DEP_4)
	v_mad_i32_i24 v18, v22, v161, v18
	v_mul_i32_i24_e32 v22, v160, v31
	v_mul_i32_i24_e32 v31, v169, v84
	;; [unrolled: 1-line block ×3, first 2 shown]
	v_add3_u32 v18, v18, v19, v21
	v_mul_i32_i24_e32 v19, v158, v25
	v_mul_i32_i24_e32 v21, v159, v26
	v_mul_i32_i24_e32 v25, v165, v82
	v_mul_i32_i24_e32 v26, v167, v83
	v_mul_i32_i24_e32 v82, v173, v92
	v_mul_i32_i24_e32 v83, v174, v85
	v_add3_u32 v18, v18, v19, v21
	v_mul_i32_i24_e32 v19, v163, v93
	v_mul_i32_i24_e32 v21, v166, v95
	s_delay_alu instid0(VALU_DEP_3) | instskip(SKIP_1) | instid1(VALU_DEP_4)
	v_add3_u32 v18, v18, v22, v23
	v_mul_i32_i24_e32 v22, v168, v86
	v_mad_i32_i24 v19, v153, v94, v19
	v_mul_i32_i24_e32 v23, v143, v98
	s_delay_alu instid0(VALU_DEP_4) | instskip(SKIP_1) | instid1(VALU_DEP_4)
	v_add3_u32 v18, v18, v24, v25
	v_mul_i32_i24_e32 v24, v144, v87
	v_add3_u32 v19, v19, v21, v22
	v_mul_i32_i24_e32 v21, v141, v96
	v_mul_i32_i24_e32 v22, v142, v97
	v_add3_u32 v18, v18, v26, v31
	v_mul_i32_i24_e32 v25, v145, v99
	v_mul_i32_i24_e32 v26, v146, v100
	v_mul_i32_i24_e32 v31, v147, v101
	v_add3_u32 v19, v19, v21, v22
	v_add3_u32 v18, v18, v40, v79
	v_mul_i32_i24_e32 v40, v148, v88
	v_mul_i32_i24_e32 v79, v149, v102
	v_mul_i32_i24_e32 v21, v105, v140
	v_add3_u32 v19, v19, v23, v24
	;; [unrolled: 5-line block ×3, first 2 shown]
	v_mul_i32_i24_e32 v25, v114, v136
	v_mul_i32_i24_e32 v26, v115, v135
	;; [unrolled: 1-line block ×3, first 2 shown]
	v_mul_lo_u32 v18, v18, v177
	v_add3_u32 v19, v19, v31, v40
	v_mul_i32_i24_e32 v31, v117, v133
	v_mul_i32_i24_e32 v22, v106, v139
	s_delay_alu instid0(VALU_DEP_3) | instskip(NEXT) | instid1(VALU_DEP_3)
	v_add3_u32 v19, v19, v79, v82
	v_mad_i32_i24 v31, v116, v134, v31
	s_delay_alu instid0(VALU_DEP_2) | instskip(NEXT) | instid1(VALU_DEP_2)
	v_add3_u32 v19, v19, v83, v84
	v_add3_u32 v25, v31, v26, v25
	s_delay_alu instid0(VALU_DEP_2) | instskip(NEXT) | instid1(VALU_DEP_2)
	v_mad_co_u64_u32 v[18:19], null, v19, v132, v[18:19]
	v_add3_u32 v23, v25, v23, v24
	s_delay_alu instid0(VALU_DEP_1) | instskip(NEXT) | instid1(VALU_DEP_3)
	v_add3_u32 v21, v23, v22, v21
	v_cvt_f32_i32_e32 v18, v18
	s_delay_alu instid0(VALU_DEP_2) | instskip(NEXT) | instid1(VALU_DEP_1)
	v_cvt_f32_i32_e32 v19, v21
	v_mul_f32_e32 v19, v131, v19
	s_delay_alu instid0(VALU_DEP_1) | instskip(NEXT) | instid1(VALU_DEP_1)
	v_fma_mix_f32 v18, v130, v18, -v19 op_sel_hi:[1,0,0]
	v_fmac_f32_e32 v43, v20, v18
	scratch_load_b32 v18, off, off offset:32 ; 4-byte Folded Reload
	s_wait_loadcnt 0x0
	v_or_b32_e32 v18, s18, v18
	s_delay_alu instid0(VALU_DEP_1)
	v_lshlrev_b32_e32 v19, 2, v18
	v_lshrrev_b32_e32 v18, 1, v18
	ds_load_b32 v20, v18 offset:30368
	ds_load_b128 v[82:85], v19 offset:16896
	ds_load_b128 v[86:89], v19 offset:16912
	s_wait_dscnt 0x1
	v_ashrrev_i32_e32 v24, 24, v82
	s_wait_dscnt 0x0
	v_bfe_i32 v93, v86, 0, 8
	v_bfe_i32 v94, v86, 8, 8
	v_bfe_i32 v95, v86, 16, 8
	v_ashrrev_i32_e32 v86, 24, v86
	v_bfe_i32 v96, v87, 0, 8
	v_bfe_i32 v97, v87, 8, 8
	v_bfe_i32 v98, v87, 16, 8
	v_ashrrev_i32_e32 v87, 24, v87
	;; [unrolled: 4-line block ×4, first 2 shown]
	v_add_nc_u32_e32 v18, v87, v86
	v_ashrrev_i32_e32 v40, 24, v83
	v_bfe_i32 v21, v82, 0, 8
	v_bfe_i32 v22, v82, 8, 8
	;; [unrolled: 1-line block ×3, first 2 shown]
	v_add3_u32 v105, v18, v88, v89
	v_add_nc_u32_e32 v18, v98, v95
	v_bfe_i32 v25, v83, 0, 8
	v_bfe_i32 v26, v83, 8, 8
	;; [unrolled: 1-line block ×4, first 2 shown]
	v_add3_u32 v106, v18, v101, v104
	v_add_nc_u32_e32 v18, v96, v93
	v_bfe_i32 v82, v84, 8, 8
	v_bfe_i32 v83, v84, 16, 8
	v_ashrrev_i32_e32 v84, 24, v84
	v_bfe_i32 v90, v85, 0, 8
	v_add3_u32 v107, v18, v99, v102
	v_add_nc_u32_e32 v18, v97, v94
	v_bfe_i32 v91, v85, 8, 8
	v_bfe_i32 v92, v85, 16, 8
	v_ashrrev_i32_e32 v85, 24, v85
	v_mul_i32_i24_e32 v19, v23, v77
	v_add3_u32 v113, v18, v100, v103
	v_add_nc_u32_e32 v18, v40, v24
	v_mul_i32_i24_e32 v118, v24, v78
	v_mul_i32_i24_e32 v119, v54, v31
	v_mul_i32_i24_e32 v120, v55, v40
	v_mul_i32_i24_e32 v121, v57, v79
	v_add3_u32 v114, v18, v84, v85
	v_add_nc_u32_e32 v18, v31, v23
	v_mul_i32_i24_e32 v122, v58, v82
	v_mul_i32_i24_e32 v123, v63, v83
	v_mul_i32_i24_e32 v124, v68, v84
	;; [unrolled: 6-line block ×3, first 2 shown]
	v_mul_i32_i24_e32 v129, v16, v89
	v_add3_u32 v116, v18, v82, v91
	v_add_nc_u32_e32 v18, v25, v21
	s_delay_alu instid0(VALU_DEP_1) | instskip(SKIP_1) | instid1(VALU_DEP_1)
	v_add3_u32 v117, v18, v79, v90
	v_mul_i32_i24_e32 v18, v21, v76
	v_mad_i32_i24 v18, v22, v50, v18
	s_delay_alu instid0(VALU_DEP_1) | instskip(SKIP_2) | instid1(VALU_DEP_1)
	v_add3_u32 v18, v18, v19, v118
	v_mul_i32_i24_e32 v19, v52, v25
	v_mul_i32_i24_e32 v118, v53, v26
	v_add3_u32 v18, v18, v19, v118
	v_mul_i32_i24_e32 v19, v45, v93
	v_mul_i32_i24_e32 v118, v48, v95
	s_delay_alu instid0(VALU_DEP_3) | instskip(SKIP_1) | instid1(VALU_DEP_4)
	v_add3_u32 v18, v18, v119, v120
	v_mul_i32_i24_e32 v119, v49, v86
	v_mad_i32_i24 v19, v4, v94, v19
	v_mul_i32_i24_e32 v120, v7, v98
	s_delay_alu instid0(VALU_DEP_4) | instskip(SKIP_1) | instid1(VALU_DEP_4)
	v_add3_u32 v18, v18, v121, v122
	v_mul_i32_i24_e32 v121, v8, v87
	v_add3_u32 v19, v19, v118, v119
	v_mul_i32_i24_e32 v118, v5, v96
	v_mul_i32_i24_e32 v119, v6, v97
	v_add3_u32 v18, v18, v123, v124
	v_mul_i32_i24_e32 v122, v9, v99
	v_mul_i32_i24_e32 v123, v10, v100
	v_mul_i32_i24_e32 v124, v11, v101
	v_add3_u32 v19, v19, v118, v119
	v_add3_u32 v18, v18, v125, v126
	v_mul_i32_i24_e32 v125, v12, v88
	v_mul_i32_i24_e32 v126, v13, v102
	v_mul_i32_i24_e32 v118, v105, v80
	v_add3_u32 v19, v19, v120, v121
	;; [unrolled: 5-line block ×3, first 2 shown]
	v_mul_i32_i24_e32 v122, v114, v41
	v_mul_i32_i24_e32 v123, v115, v72
	;; [unrolled: 1-line block ×3, first 2 shown]
	v_mul_lo_u32 v18, v18, v3
	v_add3_u32 v19, v19, v124, v125
	v_mul_i32_i24_e32 v124, v117, v17
	v_mul_i32_i24_e32 v119, v106, v109
	;; [unrolled: 1-line block ×3, first 2 shown]
	s_delay_alu instid0(VALU_DEP_4) | instskip(NEXT) | instid1(VALU_DEP_4)
	v_add3_u32 v19, v19, v126, v127
	v_mad_i32_i24 v124, v116, v81, v124
	v_mul_i32_i24_e32 v126, v249, v91
	v_mul_i32_i24_e32 v127, v251, v92
	s_delay_alu instid0(VALU_DEP_4) | instskip(NEXT) | instid1(VALU_DEP_4)
	v_add3_u32 v19, v19, v128, v129
	v_add3_u32 v122, v124, v123, v122
	v_mul_i32_i24_e32 v123, v246, v83
	v_mul_i32_i24_e32 v124, v247, v84
	;; [unrolled: 1-line block ×3, first 2 shown]
	v_mad_co_u64_u32 v[18:19], null, v19, v111, v[18:19]
	v_add3_u32 v120, v122, v120, v121
	v_mul_i32_i24_e32 v121, v244, v79
	v_mul_i32_i24_e32 v122, v245, v82
	v_mul_i32_i24_e32 v129, v236, v89
	s_delay_alu instid0(VALU_DEP_4) | instskip(SKIP_3) | instid1(VALU_DEP_4)
	v_add3_u32 v118, v120, v119, v118
	v_cvt_f32_i32_e32 v18, v18
	v_mul_i32_i24_e32 v119, v241, v31
	v_mul_i32_i24_e32 v120, v243, v40
	v_cvt_f32_i32_e32 v19, v118
	v_mul_i32_i24_e32 v118, v24, v254
	s_delay_alu instid0(VALU_DEP_2) | instskip(NEXT) | instid1(VALU_DEP_1)
	v_mul_f32_e32 v19, v112, v19
	v_fma_mix_f32 v18, v2, v18, -v19 op_sel_hi:[1,0,0]
	v_mul_i32_i24_e32 v19, v23, v253
	s_delay_alu instid0(VALU_DEP_2) | instskip(SKIP_1) | instid1(VALU_DEP_1)
	v_fmac_f32_e32 v39, v20, v18
	v_mul_i32_i24_e32 v18, v21, v250
	v_mad_i32_i24 v18, v22, v242, v18
	s_delay_alu instid0(VALU_DEP_1) | instskip(SKIP_2) | instid1(VALU_DEP_1)
	v_add3_u32 v18, v18, v19, v118
	v_mul_i32_i24_e32 v19, v239, v25
	v_mul_i32_i24_e32 v118, v240, v26
	v_add3_u32 v18, v18, v19, v118
	v_mul_i32_i24_e32 v19, v230, v93
	v_mul_i32_i24_e32 v118, v233, v95
	s_delay_alu instid0(VALU_DEP_3) | instskip(SKIP_1) | instid1(VALU_DEP_4)
	v_add3_u32 v18, v18, v119, v120
	v_mul_i32_i24_e32 v119, v235, v86
	v_mad_i32_i24 v19, v222, v94, v19
	v_mul_i32_i24_e32 v120, v224, v98
	s_delay_alu instid0(VALU_DEP_4) | instskip(SKIP_1) | instid1(VALU_DEP_4)
	v_add3_u32 v18, v18, v121, v122
	v_mul_i32_i24_e32 v121, v225, v87
	v_add3_u32 v19, v19, v118, v119
	v_mul_i32_i24_e32 v118, v221, v96
	v_mul_i32_i24_e32 v119, v223, v97
	v_add3_u32 v18, v18, v123, v124
	v_mul_i32_i24_e32 v122, v226, v99
	v_mul_i32_i24_e32 v123, v227, v100
	v_mul_i32_i24_e32 v124, v228, v101
	v_add3_u32 v19, v19, v118, v119
	v_add3_u32 v18, v18, v125, v126
	v_mul_i32_i24_e32 v125, v229, v88
	v_mul_i32_i24_e32 v126, v231, v102
	v_mul_i32_i24_e32 v118, v105, v220
	v_add3_u32 v19, v19, v120, v121
	;; [unrolled: 5-line block ×3, first 2 shown]
	v_mul_i32_i24_e32 v122, v114, v30
	v_mul_i32_i24_e32 v123, v115, v46
	;; [unrolled: 1-line block ×3, first 2 shown]
	v_mul_lo_u32 v18, v18, v255
	v_add3_u32 v19, v19, v124, v125
	v_mul_i32_i24_e32 v124, v117, v201
	v_mul_i32_i24_e32 v119, v106, v219
	;; [unrolled: 1-line block ×3, first 2 shown]
	s_delay_alu instid0(VALU_DEP_4) | instskip(NEXT) | instid1(VALU_DEP_4)
	v_add3_u32 v19, v19, v126, v127
	v_mad_i32_i24 v124, v116, v202, v124
	v_mul_i32_i24_e32 v126, v210, v91
	v_mul_i32_i24_e32 v127, v212, v92
	s_delay_alu instid0(VALU_DEP_4) | instskip(NEXT) | instid1(VALU_DEP_4)
	v_add3_u32 v19, v19, v128, v129
	v_add3_u32 v122, v124, v123, v122
	v_mul_i32_i24_e32 v123, v207, v83
	v_mul_i32_i24_e32 v124, v208, v84
	;; [unrolled: 1-line block ×3, first 2 shown]
	v_mad_co_u64_u32 v[18:19], null, v19, v237, v[18:19]
	v_add3_u32 v120, v122, v120, v121
	v_mul_i32_i24_e32 v121, v205, v79
	v_mul_i32_i24_e32 v122, v206, v82
	v_mul_i32_i24_e32 v129, v197, v89
	s_delay_alu instid0(VALU_DEP_4) | instskip(SKIP_3) | instid1(VALU_DEP_4)
	v_add3_u32 v118, v120, v119, v118
	v_cvt_f32_i32_e32 v18, v18
	v_mul_i32_i24_e32 v119, v44, v31
	v_mul_i32_i24_e32 v120, v204, v40
	v_cvt_f32_i32_e32 v19, v118
	v_mul_i32_i24_e32 v118, v24, v215
	s_delay_alu instid0(VALU_DEP_2) | instskip(NEXT) | instid1(VALU_DEP_1)
	v_mul_f32_e32 v19, v238, v19
	v_fma_mix_f32 v18, v200, v18, -v19 op_sel_hi:[1,0,0]
	v_mul_i32_i24_e32 v19, v23, v214
	s_delay_alu instid0(VALU_DEP_2) | instskip(SKIP_1) | instid1(VALU_DEP_1)
	v_fmac_f32_e32 v38, v20, v18
	v_mul_i32_i24_e32 v18, v21, v211
	v_mad_i32_i24 v18, v22, v203, v18
	s_delay_alu instid0(VALU_DEP_1) | instskip(SKIP_2) | instid1(VALU_DEP_1)
	v_add3_u32 v18, v18, v19, v118
	v_mul_i32_i24_e32 v19, v1, v25
	v_mul_i32_i24_e32 v118, v42, v26
	v_add3_u32 v18, v18, v19, v118
	v_mul_i32_i24_e32 v19, v191, v93
	v_mul_i32_i24_e32 v118, v194, v95
	s_delay_alu instid0(VALU_DEP_3) | instskip(SKIP_1) | instid1(VALU_DEP_4)
	v_add3_u32 v18, v18, v119, v120
	v_mul_i32_i24_e32 v119, v196, v86
	v_mad_i32_i24 v19, v183, v94, v19
	v_mul_i32_i24_e32 v120, v185, v98
	s_delay_alu instid0(VALU_DEP_4) | instskip(SKIP_1) | instid1(VALU_DEP_4)
	v_add3_u32 v18, v18, v121, v122
	v_mul_i32_i24_e32 v121, v186, v87
	v_add3_u32 v19, v19, v118, v119
	v_mul_i32_i24_e32 v118, v182, v96
	v_mul_i32_i24_e32 v119, v184, v97
	v_add3_u32 v18, v18, v123, v124
	v_mul_i32_i24_e32 v122, v187, v99
	v_mul_i32_i24_e32 v123, v188, v100
	v_mul_i32_i24_e32 v124, v189, v101
	v_add3_u32 v19, v19, v118, v119
	v_add3_u32 v18, v18, v125, v126
	v_mul_i32_i24_e32 v125, v190, v88
	v_mul_i32_i24_e32 v126, v192, v102
	v_mul_i32_i24_e32 v118, v105, v181
	v_add3_u32 v19, v19, v120, v121
	;; [unrolled: 5-line block ×3, first 2 shown]
	v_mul_i32_i24_e32 v122, v114, v157
	v_mul_i32_i24_e32 v123, v115, v156
	;; [unrolled: 1-line block ×3, first 2 shown]
	v_mul_lo_u32 v18, v18, v216
	v_add3_u32 v19, v19, v124, v125
	v_mul_i32_i24_e32 v124, v117, v154
	v_mul_i32_i24_e32 v119, v106, v180
	s_delay_alu instid0(VALU_DEP_3) | instskip(NEXT) | instid1(VALU_DEP_3)
	v_add3_u32 v19, v19, v126, v127
	v_mad_i32_i24 v124, v116, v155, v124
	s_delay_alu instid0(VALU_DEP_2) | instskip(NEXT) | instid1(VALU_DEP_2)
	v_add3_u32 v19, v19, v128, v129
	v_add3_u32 v122, v124, v123, v122
	s_delay_alu instid0(VALU_DEP_2) | instskip(NEXT) | instid1(VALU_DEP_2)
	v_mad_co_u64_u32 v[18:19], null, v19, v198, v[18:19]
	v_add3_u32 v120, v122, v120, v121
	s_delay_alu instid0(VALU_DEP_1) | instskip(NEXT) | instid1(VALU_DEP_3)
	v_add3_u32 v118, v120, v119, v118
	v_cvt_f32_i32_e32 v18, v18
	s_delay_alu instid0(VALU_DEP_2) | instskip(NEXT) | instid1(VALU_DEP_1)
	v_cvt_f32_i32_e32 v19, v118
	v_mul_f32_e32 v19, v199, v19
	s_delay_alu instid0(VALU_DEP_1) | instskip(SKIP_3) | instid1(VALU_DEP_4)
	v_fma_mix_f32 v18, v0, v18, -v19 op_sel_hi:[1,0,0]
	v_mul_i32_i24_e32 v19, v23, v175
	v_mul_i32_i24_e32 v23, v162, v40
	;; [unrolled: 1-line block ×3, first 2 shown]
	v_fmac_f32_e32 v37, v20, v18
	v_mul_i32_i24_e32 v18, v21, v172
	v_mul_i32_i24_e32 v21, v24, v176
	;; [unrolled: 1-line block ×4, first 2 shown]
	s_delay_alu instid0(VALU_DEP_4) | instskip(SKIP_3) | instid1(VALU_DEP_4)
	v_mad_i32_i24 v18, v22, v161, v18
	v_mul_i32_i24_e32 v22, v160, v31
	v_mul_i32_i24_e32 v31, v169, v84
	;; [unrolled: 1-line block ×3, first 2 shown]
	v_add3_u32 v18, v18, v19, v21
	v_mul_i32_i24_e32 v19, v158, v25
	v_mul_i32_i24_e32 v21, v159, v26
	;; [unrolled: 1-line block ×6, first 2 shown]
	v_add3_u32 v18, v18, v19, v21
	v_mul_i32_i24_e32 v19, v163, v93
	v_mul_i32_i24_e32 v21, v166, v95
	s_delay_alu instid0(VALU_DEP_3) | instskip(SKIP_1) | instid1(VALU_DEP_4)
	v_add3_u32 v18, v18, v22, v23
	v_mul_i32_i24_e32 v22, v168, v86
	v_mad_i32_i24 v19, v153, v94, v19
	v_mul_i32_i24_e32 v23, v143, v98
	s_delay_alu instid0(VALU_DEP_4) | instskip(SKIP_1) | instid1(VALU_DEP_4)
	v_add3_u32 v18, v18, v24, v25
	v_mul_i32_i24_e32 v24, v144, v87
	v_add3_u32 v19, v19, v21, v22
	v_mul_i32_i24_e32 v21, v141, v96
	v_mul_i32_i24_e32 v22, v142, v97
	v_add3_u32 v18, v18, v26, v31
	v_mul_i32_i24_e32 v25, v145, v99
	v_mul_i32_i24_e32 v26, v146, v100
	v_mul_i32_i24_e32 v31, v147, v101
	v_add3_u32 v19, v19, v21, v22
	v_add3_u32 v18, v18, v40, v79
	v_mul_i32_i24_e32 v40, v148, v88
	v_mul_i32_i24_e32 v79, v149, v102
	v_mul_i32_i24_e32 v21, v105, v140
	v_add3_u32 v19, v19, v23, v24
	;; [unrolled: 5-line block ×3, first 2 shown]
	v_mul_i32_i24_e32 v25, v114, v136
	v_mul_i32_i24_e32 v26, v115, v135
	;; [unrolled: 1-line block ×3, first 2 shown]
	v_mul_lo_u32 v18, v18, v177
	v_add3_u32 v19, v19, v31, v40
	v_mul_i32_i24_e32 v31, v117, v133
	v_mul_i32_i24_e32 v22, v106, v139
	s_delay_alu instid0(VALU_DEP_3) | instskip(NEXT) | instid1(VALU_DEP_3)
	v_add3_u32 v19, v19, v79, v82
	v_mad_i32_i24 v31, v116, v134, v31
	s_delay_alu instid0(VALU_DEP_2) | instskip(NEXT) | instid1(VALU_DEP_2)
	v_add3_u32 v19, v19, v83, v84
	v_add3_u32 v25, v31, v26, v25
	s_delay_alu instid0(VALU_DEP_2) | instskip(NEXT) | instid1(VALU_DEP_2)
	v_mad_co_u64_u32 v[18:19], null, v19, v132, v[18:19]
	v_add3_u32 v23, v25, v23, v24
	s_delay_alu instid0(VALU_DEP_1) | instskip(NEXT) | instid1(VALU_DEP_3)
	v_add3_u32 v21, v23, v22, v21
	v_cvt_f32_i32_e32 v18, v18
	s_delay_alu instid0(VALU_DEP_2) | instskip(NEXT) | instid1(VALU_DEP_1)
	v_cvt_f32_i32_e32 v19, v21
	v_mul_f32_e32 v19, v131, v19
	s_delay_alu instid0(VALU_DEP_1) | instskip(NEXT) | instid1(VALU_DEP_1)
	v_fma_mix_f32 v18, v130, v18, -v19 op_sel_hi:[1,0,0]
	v_fmac_f32_e32 v36, v20, v18
	scratch_load_b32 v18, off, off offset:36 ; 4-byte Folded Reload
	s_wait_loadcnt 0x0
	v_or_b32_e32 v18, s18, v18
	s_delay_alu instid0(VALU_DEP_1)
	v_lshlrev_b32_e32 v19, 2, v18
	v_lshrrev_b32_e32 v18, 1, v18
	ds_load_b32 v20, v18 offset:30368
	ds_load_b128 v[82:85], v19 offset:16896
	ds_load_b128 v[86:89], v19 offset:16912
	s_wait_dscnt 0x1
	v_ashrrev_i32_e32 v24, 24, v82
	s_wait_dscnt 0x0
	v_bfe_i32 v93, v86, 0, 8
	v_bfe_i32 v94, v86, 8, 8
	v_bfe_i32 v95, v86, 16, 8
	v_ashrrev_i32_e32 v86, 24, v86
	v_bfe_i32 v96, v87, 0, 8
	v_bfe_i32 v97, v87, 8, 8
	v_bfe_i32 v98, v87, 16, 8
	v_ashrrev_i32_e32 v87, 24, v87
	;; [unrolled: 4-line block ×4, first 2 shown]
	v_add_nc_u32_e32 v18, v87, v86
	v_ashrrev_i32_e32 v40, 24, v83
	v_bfe_i32 v21, v82, 0, 8
	v_bfe_i32 v22, v82, 8, 8
	;; [unrolled: 1-line block ×3, first 2 shown]
	v_add3_u32 v105, v18, v88, v89
	v_add_nc_u32_e32 v18, v98, v95
	v_bfe_i32 v25, v83, 0, 8
	v_bfe_i32 v26, v83, 8, 8
	v_bfe_i32 v31, v83, 16, 8
	v_bfe_i32 v79, v84, 0, 8
	v_add3_u32 v106, v18, v101, v104
	v_add_nc_u32_e32 v18, v96, v93
	v_bfe_i32 v82, v84, 8, 8
	v_bfe_i32 v83, v84, 16, 8
	v_ashrrev_i32_e32 v84, 24, v84
	v_bfe_i32 v90, v85, 0, 8
	v_add3_u32 v107, v18, v99, v102
	v_add_nc_u32_e32 v18, v97, v94
	v_bfe_i32 v91, v85, 8, 8
	v_bfe_i32 v92, v85, 16, 8
	v_ashrrev_i32_e32 v85, 24, v85
	v_mul_i32_i24_e32 v19, v23, v77
	v_add3_u32 v113, v18, v100, v103
	v_add_nc_u32_e32 v18, v40, v24
	v_mul_i32_i24_e32 v118, v24, v78
	v_mul_i32_i24_e32 v119, v54, v31
	v_mul_i32_i24_e32 v120, v55, v40
	v_mul_i32_i24_e32 v121, v57, v79
	v_add3_u32 v114, v18, v84, v85
	v_add_nc_u32_e32 v18, v31, v23
	v_mul_i32_i24_e32 v122, v58, v82
	v_mul_i32_i24_e32 v123, v63, v83
	v_mul_i32_i24_e32 v124, v68, v84
	v_mul_i32_i24_e32 v125, v69, v90
	v_add3_u32 v115, v18, v83, v92
	v_add_nc_u32_e32 v18, v26, v22
	v_mul_i32_i24_e32 v126, v70, v91
	v_mul_i32_i24_e32 v127, v73, v92
	v_mul_i32_i24_e32 v128, v75, v85
	v_mul_i32_i24_e32 v129, v16, v89
	v_add3_u32 v116, v18, v82, v91
	v_add_nc_u32_e32 v18, v25, v21
	s_delay_alu instid0(VALU_DEP_1) | instskip(SKIP_1) | instid1(VALU_DEP_1)
	v_add3_u32 v117, v18, v79, v90
	v_mul_i32_i24_e32 v18, v21, v76
	v_mad_i32_i24 v18, v22, v50, v18
	s_delay_alu instid0(VALU_DEP_1) | instskip(SKIP_2) | instid1(VALU_DEP_1)
	v_add3_u32 v18, v18, v19, v118
	v_mul_i32_i24_e32 v19, v52, v25
	v_mul_i32_i24_e32 v118, v53, v26
	v_add3_u32 v18, v18, v19, v118
	v_mul_i32_i24_e32 v19, v45, v93
	v_mul_i32_i24_e32 v118, v48, v95
	s_delay_alu instid0(VALU_DEP_3) | instskip(SKIP_1) | instid1(VALU_DEP_4)
	v_add3_u32 v18, v18, v119, v120
	v_mul_i32_i24_e32 v119, v49, v86
	v_mad_i32_i24 v19, v4, v94, v19
	v_mul_i32_i24_e32 v120, v7, v98
	s_delay_alu instid0(VALU_DEP_4) | instskip(SKIP_1) | instid1(VALU_DEP_4)
	v_add3_u32 v18, v18, v121, v122
	v_mul_i32_i24_e32 v121, v8, v87
	v_add3_u32 v19, v19, v118, v119
	v_mul_i32_i24_e32 v118, v5, v96
	v_mul_i32_i24_e32 v119, v6, v97
	v_add3_u32 v18, v18, v123, v124
	v_mul_i32_i24_e32 v122, v9, v99
	v_mul_i32_i24_e32 v123, v10, v100
	v_mul_i32_i24_e32 v124, v11, v101
	v_add3_u32 v19, v19, v118, v119
	v_add3_u32 v18, v18, v125, v126
	v_mul_i32_i24_e32 v125, v12, v88
	v_mul_i32_i24_e32 v126, v13, v102
	v_mul_i32_i24_e32 v118, v105, v80
	v_add3_u32 v19, v19, v120, v121
	;; [unrolled: 5-line block ×3, first 2 shown]
	v_mul_i32_i24_e32 v122, v114, v41
	v_mul_i32_i24_e32 v123, v115, v72
	;; [unrolled: 1-line block ×3, first 2 shown]
	v_mul_lo_u32 v18, v18, v3
	v_add3_u32 v19, v19, v124, v125
	v_mul_i32_i24_e32 v124, v117, v17
	v_mul_i32_i24_e32 v119, v106, v109
	;; [unrolled: 1-line block ×3, first 2 shown]
	s_delay_alu instid0(VALU_DEP_4) | instskip(NEXT) | instid1(VALU_DEP_4)
	v_add3_u32 v19, v19, v126, v127
	v_mad_i32_i24 v124, v116, v81, v124
	v_mul_i32_i24_e32 v126, v249, v91
	v_mul_i32_i24_e32 v127, v251, v92
	s_delay_alu instid0(VALU_DEP_4) | instskip(NEXT) | instid1(VALU_DEP_4)
	v_add3_u32 v19, v19, v128, v129
	v_add3_u32 v122, v124, v123, v122
	v_mul_i32_i24_e32 v123, v246, v83
	v_mul_i32_i24_e32 v124, v247, v84
	v_mul_i32_i24_e32 v128, v252, v85
	v_mad_co_u64_u32 v[18:19], null, v19, v111, v[18:19]
	v_add3_u32 v120, v122, v120, v121
	v_mul_i32_i24_e32 v121, v244, v79
	v_mul_i32_i24_e32 v122, v245, v82
	;; [unrolled: 1-line block ×3, first 2 shown]
	s_delay_alu instid0(VALU_DEP_4) | instskip(SKIP_3) | instid1(VALU_DEP_4)
	v_add3_u32 v118, v120, v119, v118
	v_cvt_f32_i32_e32 v18, v18
	v_mul_i32_i24_e32 v119, v241, v31
	v_mul_i32_i24_e32 v120, v243, v40
	v_cvt_f32_i32_e32 v19, v118
	v_mul_i32_i24_e32 v118, v24, v254
	s_delay_alu instid0(VALU_DEP_2) | instskip(NEXT) | instid1(VALU_DEP_1)
	v_mul_f32_e32 v19, v112, v19
	v_fma_mix_f32 v18, v2, v18, -v19 op_sel_hi:[1,0,0]
	v_mul_i32_i24_e32 v19, v23, v253
	s_delay_alu instid0(VALU_DEP_2) | instskip(SKIP_1) | instid1(VALU_DEP_1)
	v_fmac_f32_e32 v35, v20, v18
	v_mul_i32_i24_e32 v18, v21, v250
	v_mad_i32_i24 v18, v22, v242, v18
	s_delay_alu instid0(VALU_DEP_1) | instskip(SKIP_2) | instid1(VALU_DEP_1)
	v_add3_u32 v18, v18, v19, v118
	v_mul_i32_i24_e32 v19, v239, v25
	v_mul_i32_i24_e32 v118, v240, v26
	v_add3_u32 v18, v18, v19, v118
	v_mul_i32_i24_e32 v19, v230, v93
	v_mul_i32_i24_e32 v118, v233, v95
	s_delay_alu instid0(VALU_DEP_3) | instskip(SKIP_1) | instid1(VALU_DEP_4)
	v_add3_u32 v18, v18, v119, v120
	v_mul_i32_i24_e32 v119, v235, v86
	v_mad_i32_i24 v19, v222, v94, v19
	v_mul_i32_i24_e32 v120, v224, v98
	s_delay_alu instid0(VALU_DEP_4) | instskip(SKIP_1) | instid1(VALU_DEP_4)
	v_add3_u32 v18, v18, v121, v122
	v_mul_i32_i24_e32 v121, v225, v87
	v_add3_u32 v19, v19, v118, v119
	v_mul_i32_i24_e32 v118, v221, v96
	v_mul_i32_i24_e32 v119, v223, v97
	v_add3_u32 v18, v18, v123, v124
	v_mul_i32_i24_e32 v122, v226, v99
	v_mul_i32_i24_e32 v123, v227, v100
	v_mul_i32_i24_e32 v124, v228, v101
	v_add3_u32 v19, v19, v118, v119
	v_add3_u32 v18, v18, v125, v126
	v_mul_i32_i24_e32 v125, v229, v88
	v_mul_i32_i24_e32 v126, v231, v102
	v_mul_i32_i24_e32 v118, v105, v220
	v_add3_u32 v19, v19, v120, v121
	;; [unrolled: 5-line block ×3, first 2 shown]
	v_mul_i32_i24_e32 v122, v114, v30
	v_mul_i32_i24_e32 v123, v115, v46
	;; [unrolled: 1-line block ×3, first 2 shown]
	v_mul_lo_u32 v18, v18, v255
	v_add3_u32 v19, v19, v124, v125
	v_mul_i32_i24_e32 v124, v117, v201
	v_mul_i32_i24_e32 v119, v106, v219
	;; [unrolled: 1-line block ×3, first 2 shown]
	s_delay_alu instid0(VALU_DEP_4) | instskip(NEXT) | instid1(VALU_DEP_4)
	v_add3_u32 v19, v19, v126, v127
	v_mad_i32_i24 v124, v116, v202, v124
	v_mul_i32_i24_e32 v126, v210, v91
	v_mul_i32_i24_e32 v127, v212, v92
	s_delay_alu instid0(VALU_DEP_4) | instskip(NEXT) | instid1(VALU_DEP_4)
	v_add3_u32 v19, v19, v128, v129
	v_add3_u32 v122, v124, v123, v122
	v_mul_i32_i24_e32 v123, v207, v83
	v_mul_i32_i24_e32 v124, v208, v84
	;; [unrolled: 1-line block ×3, first 2 shown]
	v_mad_co_u64_u32 v[18:19], null, v19, v237, v[18:19]
	v_add3_u32 v120, v122, v120, v121
	v_mul_i32_i24_e32 v121, v205, v79
	v_mul_i32_i24_e32 v122, v206, v82
	;; [unrolled: 1-line block ×3, first 2 shown]
	s_delay_alu instid0(VALU_DEP_4) | instskip(SKIP_3) | instid1(VALU_DEP_4)
	v_add3_u32 v118, v120, v119, v118
	v_cvt_f32_i32_e32 v18, v18
	v_mul_i32_i24_e32 v119, v44, v31
	v_mul_i32_i24_e32 v120, v204, v40
	v_cvt_f32_i32_e32 v19, v118
	v_mul_i32_i24_e32 v118, v24, v215
	s_delay_alu instid0(VALU_DEP_2) | instskip(NEXT) | instid1(VALU_DEP_1)
	v_mul_f32_e32 v19, v238, v19
	v_fma_mix_f32 v18, v200, v18, -v19 op_sel_hi:[1,0,0]
	v_mul_i32_i24_e32 v19, v23, v214
	s_delay_alu instid0(VALU_DEP_2) | instskip(SKIP_1) | instid1(VALU_DEP_1)
	v_fmac_f32_e32 v34, v20, v18
	v_mul_i32_i24_e32 v18, v21, v211
	v_mad_i32_i24 v18, v22, v203, v18
	s_delay_alu instid0(VALU_DEP_1) | instskip(SKIP_2) | instid1(VALU_DEP_1)
	v_add3_u32 v18, v18, v19, v118
	v_mul_i32_i24_e32 v19, v1, v25
	v_mul_i32_i24_e32 v118, v42, v26
	v_add3_u32 v18, v18, v19, v118
	v_mul_i32_i24_e32 v19, v191, v93
	v_mul_i32_i24_e32 v118, v194, v95
	s_delay_alu instid0(VALU_DEP_3) | instskip(SKIP_1) | instid1(VALU_DEP_4)
	v_add3_u32 v18, v18, v119, v120
	v_mul_i32_i24_e32 v119, v196, v86
	v_mad_i32_i24 v19, v183, v94, v19
	v_mul_i32_i24_e32 v120, v185, v98
	s_delay_alu instid0(VALU_DEP_4) | instskip(SKIP_1) | instid1(VALU_DEP_4)
	v_add3_u32 v18, v18, v121, v122
	v_mul_i32_i24_e32 v121, v186, v87
	v_add3_u32 v19, v19, v118, v119
	v_mul_i32_i24_e32 v118, v182, v96
	v_mul_i32_i24_e32 v119, v184, v97
	v_add3_u32 v18, v18, v123, v124
	v_mul_i32_i24_e32 v122, v187, v99
	v_mul_i32_i24_e32 v123, v188, v100
	v_mul_i32_i24_e32 v124, v189, v101
	v_add3_u32 v19, v19, v118, v119
	v_add3_u32 v18, v18, v125, v126
	v_mul_i32_i24_e32 v125, v190, v88
	v_mul_i32_i24_e32 v126, v192, v102
	v_mul_i32_i24_e32 v118, v105, v181
	v_add3_u32 v19, v19, v120, v121
	;; [unrolled: 5-line block ×3, first 2 shown]
	v_mul_i32_i24_e32 v122, v114, v157
	v_mul_i32_i24_e32 v123, v115, v156
	;; [unrolled: 1-line block ×3, first 2 shown]
	v_mul_lo_u32 v18, v18, v216
	v_add3_u32 v19, v19, v124, v125
	v_mul_i32_i24_e32 v124, v117, v154
	v_mul_i32_i24_e32 v119, v106, v180
	s_delay_alu instid0(VALU_DEP_3) | instskip(NEXT) | instid1(VALU_DEP_3)
	v_add3_u32 v19, v19, v126, v127
	v_mad_i32_i24 v124, v116, v155, v124
	s_delay_alu instid0(VALU_DEP_2) | instskip(NEXT) | instid1(VALU_DEP_2)
	v_add3_u32 v19, v19, v128, v129
	v_add3_u32 v122, v124, v123, v122
	s_delay_alu instid0(VALU_DEP_2) | instskip(NEXT) | instid1(VALU_DEP_2)
	v_mad_co_u64_u32 v[18:19], null, v19, v198, v[18:19]
	v_add3_u32 v120, v122, v120, v121
	s_delay_alu instid0(VALU_DEP_1) | instskip(NEXT) | instid1(VALU_DEP_3)
	v_add3_u32 v118, v120, v119, v118
	v_cvt_f32_i32_e32 v18, v18
	s_delay_alu instid0(VALU_DEP_2) | instskip(NEXT) | instid1(VALU_DEP_1)
	v_cvt_f32_i32_e32 v19, v118
	v_mul_f32_e32 v19, v199, v19
	s_delay_alu instid0(VALU_DEP_1) | instskip(SKIP_3) | instid1(VALU_DEP_4)
	v_fma_mix_f32 v18, v0, v18, -v19 op_sel_hi:[1,0,0]
	v_mul_i32_i24_e32 v19, v23, v175
	v_mul_i32_i24_e32 v23, v162, v40
	;; [unrolled: 1-line block ×3, first 2 shown]
	v_fmac_f32_e32 v32, v20, v18
	v_mul_i32_i24_e32 v18, v21, v172
	v_mul_i32_i24_e32 v21, v24, v176
	;; [unrolled: 1-line block ×4, first 2 shown]
	s_delay_alu instid0(VALU_DEP_4) | instskip(SKIP_3) | instid1(VALU_DEP_4)
	v_mad_i32_i24 v18, v22, v161, v18
	v_mul_i32_i24_e32 v22, v160, v31
	v_mul_i32_i24_e32 v31, v169, v84
	;; [unrolled: 1-line block ×3, first 2 shown]
	v_add3_u32 v18, v18, v19, v21
	v_mul_i32_i24_e32 v19, v158, v25
	v_mul_i32_i24_e32 v21, v159, v26
	;; [unrolled: 1-line block ×6, first 2 shown]
	v_add3_u32 v18, v18, v19, v21
	v_mul_i32_i24_e32 v19, v163, v93
	v_mul_i32_i24_e32 v21, v166, v95
	s_delay_alu instid0(VALU_DEP_3) | instskip(SKIP_1) | instid1(VALU_DEP_4)
	v_add3_u32 v18, v18, v22, v23
	v_mul_i32_i24_e32 v22, v168, v86
	v_mad_i32_i24 v19, v153, v94, v19
	v_mul_i32_i24_e32 v23, v143, v98
	s_delay_alu instid0(VALU_DEP_4) | instskip(SKIP_1) | instid1(VALU_DEP_4)
	v_add3_u32 v18, v18, v24, v25
	v_mul_i32_i24_e32 v24, v144, v87
	v_add3_u32 v19, v19, v21, v22
	v_mul_i32_i24_e32 v21, v141, v96
	v_mul_i32_i24_e32 v22, v142, v97
	v_add3_u32 v18, v18, v26, v31
	v_mul_i32_i24_e32 v25, v145, v99
	v_mul_i32_i24_e32 v26, v146, v100
	v_mul_i32_i24_e32 v31, v147, v101
	v_add3_u32 v19, v19, v21, v22
	v_add3_u32 v18, v18, v40, v79
	v_mul_i32_i24_e32 v40, v148, v88
	v_mul_i32_i24_e32 v79, v149, v102
	v_mul_i32_i24_e32 v21, v105, v140
	v_add3_u32 v19, v19, v23, v24
	;; [unrolled: 5-line block ×3, first 2 shown]
	v_mul_i32_i24_e32 v25, v114, v136
	v_mul_i32_i24_e32 v26, v115, v135
	;; [unrolled: 1-line block ×3, first 2 shown]
	v_mul_lo_u32 v18, v18, v177
	v_add3_u32 v19, v19, v31, v40
	v_mul_i32_i24_e32 v31, v117, v133
	v_mul_i32_i24_e32 v22, v106, v139
	s_delay_alu instid0(VALU_DEP_3) | instskip(NEXT) | instid1(VALU_DEP_3)
	v_add3_u32 v19, v19, v79, v82
	v_mad_i32_i24 v31, v116, v134, v31
	s_delay_alu instid0(VALU_DEP_2) | instskip(NEXT) | instid1(VALU_DEP_2)
	v_add3_u32 v19, v19, v83, v84
	v_add3_u32 v25, v31, v26, v25
	s_delay_alu instid0(VALU_DEP_2) | instskip(NEXT) | instid1(VALU_DEP_2)
	v_mad_co_u64_u32 v[18:19], null, v19, v132, v[18:19]
	v_add3_u32 v23, v25, v23, v24
	s_delay_alu instid0(VALU_DEP_1) | instskip(NEXT) | instid1(VALU_DEP_3)
	v_add3_u32 v21, v23, v22, v21
	v_cvt_f32_i32_e32 v18, v18
	s_delay_alu instid0(VALU_DEP_2) | instskip(NEXT) | instid1(VALU_DEP_1)
	v_cvt_f32_i32_e32 v19, v21
	v_mul_f32_e32 v19, v131, v19
	s_delay_alu instid0(VALU_DEP_1) | instskip(NEXT) | instid1(VALU_DEP_1)
	v_fma_mix_f32 v18, v130, v18, -v19 op_sel_hi:[1,0,0]
	v_fmac_f32_e32 v29, v20, v18
	scratch_load_b32 v18, off, off offset:28 ; 4-byte Folded Reload
	s_wait_loadcnt 0x0
	v_or_b32_e32 v18, s18, v18
	s_delay_alu instid0(VALU_DEP_1)
	v_lshlrev_b32_e32 v19, 2, v18
	v_lshrrev_b32_e32 v18, 1, v18
	ds_load_b32 v20, v18 offset:30368
	ds_load_b128 v[82:85], v19 offset:16896
	ds_load_b128 v[86:89], v19 offset:16912
	s_wait_dscnt 0x1
	v_ashrrev_i32_e32 v24, 24, v82
	s_wait_dscnt 0x0
	v_bfe_i32 v93, v86, 0, 8
	v_bfe_i32 v94, v86, 8, 8
	v_bfe_i32 v95, v86, 16, 8
	v_ashrrev_i32_e32 v86, 24, v86
	v_bfe_i32 v96, v87, 0, 8
	v_bfe_i32 v97, v87, 8, 8
	v_bfe_i32 v98, v87, 16, 8
	v_ashrrev_i32_e32 v87, 24, v87
	;; [unrolled: 4-line block ×4, first 2 shown]
	v_add_nc_u32_e32 v18, v87, v86
	v_ashrrev_i32_e32 v40, 24, v83
	v_bfe_i32 v21, v82, 0, 8
	v_bfe_i32 v22, v82, 8, 8
	;; [unrolled: 1-line block ×3, first 2 shown]
	v_add3_u32 v105, v18, v88, v89
	v_add_nc_u32_e32 v18, v98, v95
	v_bfe_i32 v25, v83, 0, 8
	v_bfe_i32 v26, v83, 8, 8
	;; [unrolled: 1-line block ×4, first 2 shown]
	v_add3_u32 v106, v18, v101, v104
	v_add_nc_u32_e32 v18, v96, v93
	v_bfe_i32 v82, v84, 8, 8
	v_bfe_i32 v83, v84, 16, 8
	v_ashrrev_i32_e32 v84, 24, v84
	v_bfe_i32 v90, v85, 0, 8
	v_add3_u32 v107, v18, v99, v102
	v_add_nc_u32_e32 v18, v97, v94
	v_bfe_i32 v91, v85, 8, 8
	v_bfe_i32 v92, v85, 16, 8
	v_ashrrev_i32_e32 v85, 24, v85
	v_mul_i32_i24_e32 v19, v23, v77
	v_add3_u32 v113, v18, v100, v103
	v_add_nc_u32_e32 v18, v40, v24
	v_mul_i32_i24_e32 v118, v24, v78
	v_mul_i32_i24_e32 v119, v54, v31
	v_mul_i32_i24_e32 v120, v55, v40
	v_mul_i32_i24_e32 v121, v57, v79
	v_add3_u32 v114, v18, v84, v85
	v_add_nc_u32_e32 v18, v31, v23
	v_mul_i32_i24_e32 v122, v58, v82
	v_mul_i32_i24_e32 v123, v63, v83
	v_mul_i32_i24_e32 v124, v68, v84
	;; [unrolled: 6-line block ×3, first 2 shown]
	v_mul_i32_i24_e32 v129, v16, v89
	v_add3_u32 v116, v18, v82, v91
	v_add_nc_u32_e32 v18, v25, v21
	s_delay_alu instid0(VALU_DEP_1) | instskip(SKIP_1) | instid1(VALU_DEP_1)
	v_add3_u32 v117, v18, v79, v90
	v_mul_i32_i24_e32 v18, v21, v76
	v_mad_i32_i24 v18, v22, v50, v18
	s_delay_alu instid0(VALU_DEP_1) | instskip(SKIP_2) | instid1(VALU_DEP_1)
	v_add3_u32 v18, v18, v19, v118
	v_mul_i32_i24_e32 v19, v52, v25
	v_mul_i32_i24_e32 v118, v53, v26
	v_add3_u32 v18, v18, v19, v118
	v_mul_i32_i24_e32 v19, v45, v93
	v_mul_i32_i24_e32 v118, v48, v95
	s_delay_alu instid0(VALU_DEP_3) | instskip(SKIP_1) | instid1(VALU_DEP_4)
	v_add3_u32 v18, v18, v119, v120
	v_mul_i32_i24_e32 v119, v49, v86
	v_mad_i32_i24 v19, v4, v94, v19
	v_mul_i32_i24_e32 v120, v7, v98
	s_delay_alu instid0(VALU_DEP_4) | instskip(SKIP_1) | instid1(VALU_DEP_4)
	v_add3_u32 v18, v18, v121, v122
	v_mul_i32_i24_e32 v121, v8, v87
	v_add3_u32 v19, v19, v118, v119
	v_mul_i32_i24_e32 v118, v5, v96
	v_mul_i32_i24_e32 v119, v6, v97
	v_add3_u32 v18, v18, v123, v124
	v_mul_i32_i24_e32 v122, v9, v99
	v_mul_i32_i24_e32 v123, v10, v100
	v_mul_i32_i24_e32 v124, v11, v101
	v_add3_u32 v19, v19, v118, v119
	v_add3_u32 v18, v18, v125, v126
	v_mul_i32_i24_e32 v125, v12, v88
	v_mul_i32_i24_e32 v126, v13, v102
	v_mul_i32_i24_e32 v118, v105, v80
	v_add3_u32 v19, v19, v120, v121
	;; [unrolled: 5-line block ×3, first 2 shown]
	v_mul_i32_i24_e32 v122, v114, v41
	v_mul_i32_i24_e32 v123, v115, v72
	;; [unrolled: 1-line block ×3, first 2 shown]
	v_mul_lo_u32 v18, v18, v3
	v_add3_u32 v19, v19, v124, v125
	v_mul_i32_i24_e32 v124, v117, v17
	v_mul_i32_i24_e32 v119, v106, v109
	v_mul_i32_i24_e32 v125, v248, v90
	s_delay_alu instid0(VALU_DEP_4) | instskip(NEXT) | instid1(VALU_DEP_4)
	v_add3_u32 v19, v19, v126, v127
	v_mad_i32_i24 v124, v116, v81, v124
	v_mul_i32_i24_e32 v126, v249, v91
	v_mul_i32_i24_e32 v127, v251, v92
	s_delay_alu instid0(VALU_DEP_4) | instskip(NEXT) | instid1(VALU_DEP_4)
	v_add3_u32 v19, v19, v128, v129
	v_add3_u32 v122, v124, v123, v122
	v_mul_i32_i24_e32 v123, v246, v83
	v_mul_i32_i24_e32 v124, v247, v84
	;; [unrolled: 1-line block ×3, first 2 shown]
	v_mad_co_u64_u32 v[18:19], null, v19, v111, v[18:19]
	v_add3_u32 v120, v122, v120, v121
	v_mul_i32_i24_e32 v121, v244, v79
	v_mul_i32_i24_e32 v122, v245, v82
	;; [unrolled: 1-line block ×3, first 2 shown]
	s_delay_alu instid0(VALU_DEP_4) | instskip(SKIP_3) | instid1(VALU_DEP_4)
	v_add3_u32 v118, v120, v119, v118
	v_cvt_f32_i32_e32 v18, v18
	v_mul_i32_i24_e32 v119, v241, v31
	v_mul_i32_i24_e32 v120, v243, v40
	v_cvt_f32_i32_e32 v19, v118
	v_mul_i32_i24_e32 v118, v24, v254
	s_delay_alu instid0(VALU_DEP_2) | instskip(NEXT) | instid1(VALU_DEP_1)
	v_mul_f32_e32 v19, v112, v19
	v_fma_mix_f32 v18, v2, v18, -v19 op_sel_hi:[1,0,0]
	v_mul_i32_i24_e32 v19, v23, v253
	s_delay_alu instid0(VALU_DEP_2) | instskip(SKIP_1) | instid1(VALU_DEP_1)
	v_fmac_f32_e32 v28, v20, v18
	v_mul_i32_i24_e32 v18, v21, v250
	v_mad_i32_i24 v18, v22, v242, v18
	s_delay_alu instid0(VALU_DEP_1) | instskip(SKIP_2) | instid1(VALU_DEP_1)
	v_add3_u32 v18, v18, v19, v118
	v_mul_i32_i24_e32 v19, v239, v25
	v_mul_i32_i24_e32 v118, v240, v26
	v_add3_u32 v18, v18, v19, v118
	v_mul_i32_i24_e32 v19, v230, v93
	v_mul_i32_i24_e32 v118, v233, v95
	s_delay_alu instid0(VALU_DEP_3) | instskip(SKIP_1) | instid1(VALU_DEP_4)
	v_add3_u32 v18, v18, v119, v120
	v_mul_i32_i24_e32 v119, v235, v86
	v_mad_i32_i24 v19, v222, v94, v19
	v_mul_i32_i24_e32 v120, v224, v98
	s_delay_alu instid0(VALU_DEP_4) | instskip(SKIP_1) | instid1(VALU_DEP_4)
	v_add3_u32 v18, v18, v121, v122
	v_mul_i32_i24_e32 v121, v225, v87
	v_add3_u32 v19, v19, v118, v119
	v_mul_i32_i24_e32 v118, v221, v96
	v_mul_i32_i24_e32 v119, v223, v97
	v_add3_u32 v18, v18, v123, v124
	v_mul_i32_i24_e32 v122, v226, v99
	v_mul_i32_i24_e32 v123, v227, v100
	v_mul_i32_i24_e32 v124, v228, v101
	v_add3_u32 v19, v19, v118, v119
	v_add3_u32 v18, v18, v125, v126
	v_mul_i32_i24_e32 v125, v229, v88
	v_mul_i32_i24_e32 v126, v231, v102
	v_mul_i32_i24_e32 v118, v105, v220
	v_add3_u32 v19, v19, v120, v121
	;; [unrolled: 5-line block ×3, first 2 shown]
	v_mul_i32_i24_e32 v122, v114, v30
	v_mul_i32_i24_e32 v123, v115, v46
	;; [unrolled: 1-line block ×3, first 2 shown]
	v_mul_lo_u32 v18, v18, v255
	v_add3_u32 v19, v19, v124, v125
	v_mul_i32_i24_e32 v124, v117, v201
	v_mul_i32_i24_e32 v119, v106, v219
	;; [unrolled: 1-line block ×3, first 2 shown]
	s_delay_alu instid0(VALU_DEP_4) | instskip(NEXT) | instid1(VALU_DEP_4)
	v_add3_u32 v19, v19, v126, v127
	v_mad_i32_i24 v124, v116, v202, v124
	v_mul_i32_i24_e32 v126, v210, v91
	v_mul_i32_i24_e32 v127, v212, v92
	s_delay_alu instid0(VALU_DEP_4) | instskip(NEXT) | instid1(VALU_DEP_4)
	v_add3_u32 v19, v19, v128, v129
	v_add3_u32 v122, v124, v123, v122
	v_mul_i32_i24_e32 v123, v207, v83
	v_mul_i32_i24_e32 v124, v208, v84
	;; [unrolled: 1-line block ×3, first 2 shown]
	v_mad_co_u64_u32 v[18:19], null, v19, v237, v[18:19]
	v_add3_u32 v120, v122, v120, v121
	v_mul_i32_i24_e32 v121, v205, v79
	v_mul_i32_i24_e32 v122, v206, v82
	;; [unrolled: 1-line block ×3, first 2 shown]
	s_delay_alu instid0(VALU_DEP_4) | instskip(SKIP_3) | instid1(VALU_DEP_4)
	v_add3_u32 v118, v120, v119, v118
	v_cvt_f32_i32_e32 v18, v18
	v_mul_i32_i24_e32 v119, v44, v31
	v_mul_i32_i24_e32 v120, v204, v40
	v_cvt_f32_i32_e32 v19, v118
	v_mul_i32_i24_e32 v118, v24, v215
	s_delay_alu instid0(VALU_DEP_2) | instskip(NEXT) | instid1(VALU_DEP_1)
	v_mul_f32_e32 v19, v238, v19
	v_fma_mix_f32 v18, v200, v18, -v19 op_sel_hi:[1,0,0]
	v_mul_i32_i24_e32 v19, v23, v214
	s_delay_alu instid0(VALU_DEP_2) | instskip(SKIP_1) | instid1(VALU_DEP_1)
	v_fmac_f32_e32 v27, v20, v18
	v_mul_i32_i24_e32 v18, v21, v211
	v_mad_i32_i24 v18, v22, v203, v18
	s_delay_alu instid0(VALU_DEP_1) | instskip(SKIP_2) | instid1(VALU_DEP_1)
	v_add3_u32 v18, v18, v19, v118
	v_mul_i32_i24_e32 v19, v1, v25
	v_mul_i32_i24_e32 v118, v42, v26
	v_add3_u32 v18, v18, v19, v118
	v_mul_i32_i24_e32 v19, v191, v93
	v_mul_i32_i24_e32 v118, v194, v95
	s_delay_alu instid0(VALU_DEP_3) | instskip(SKIP_1) | instid1(VALU_DEP_4)
	v_add3_u32 v18, v18, v119, v120
	v_mul_i32_i24_e32 v119, v196, v86
	v_mad_i32_i24 v19, v183, v94, v19
	v_mul_i32_i24_e32 v120, v185, v98
	s_delay_alu instid0(VALU_DEP_4) | instskip(SKIP_1) | instid1(VALU_DEP_4)
	v_add3_u32 v18, v18, v121, v122
	v_mul_i32_i24_e32 v121, v186, v87
	v_add3_u32 v19, v19, v118, v119
	v_mul_i32_i24_e32 v118, v182, v96
	v_mul_i32_i24_e32 v119, v184, v97
	v_add3_u32 v18, v18, v123, v124
	v_mul_i32_i24_e32 v122, v187, v99
	v_mul_i32_i24_e32 v123, v188, v100
	v_mul_i32_i24_e32 v124, v189, v101
	v_add3_u32 v19, v19, v118, v119
	v_add3_u32 v18, v18, v125, v126
	v_mul_i32_i24_e32 v125, v190, v88
	v_mul_i32_i24_e32 v126, v192, v102
	v_mul_i32_i24_e32 v118, v105, v181
	v_add3_u32 v19, v19, v120, v121
	;; [unrolled: 5-line block ×3, first 2 shown]
	v_mul_i32_i24_e32 v122, v114, v157
	v_mul_i32_i24_e32 v123, v115, v156
	;; [unrolled: 1-line block ×3, first 2 shown]
	v_mul_lo_u32 v18, v18, v216
	v_add3_u32 v19, v19, v124, v125
	v_mul_i32_i24_e32 v124, v117, v154
	scratch_load_b32 v125, off, off offset:56 ; 4-byte Folded Reload
	v_mul_i32_i24_e32 v119, v106, v180
	v_add3_u32 v19, v19, v126, v127
	v_mad_i32_i24 v124, v116, v155, v124
	scratch_load_b32 v126, off, off offset:72 ; 4-byte Folded Reload
	v_add3_u32 v19, v19, v128, v129
	s_clause 0x1
	scratch_load_b32 v129, off, off offset:96
	scratch_load_b32 v128, off, off offset:76
	v_add3_u32 v122, v124, v123, v122
	scratch_load_b32 v123, off, off offset:20 th:TH_LOAD_LU ; 4-byte Folded Reload
	v_mov_b32_e32 v124, v47
	v_mad_co_u64_u32 v[18:19], null, v19, v198, v[18:19]
	v_add3_u32 v120, v122, v120, v121
	scratch_load_b32 v122, off, off offset:16 th:TH_LOAD_LU ; 4-byte Folded Reload
	v_add3_u32 v118, v120, v119, v118
	v_cvt_f32_i32_e32 v18, v18
	s_delay_alu instid0(VALU_DEP_2) | instskip(NEXT) | instid1(VALU_DEP_1)
	v_cvt_f32_i32_e32 v19, v118
	v_mul_f32_e32 v19, v199, v19
	s_delay_alu instid0(VALU_DEP_1)
	v_fma_mix_f32 v18, v0, v18, -v19 op_sel_hi:[1,0,0]
	v_mul_i32_i24_e32 v19, v23, v175
	v_mul_i32_i24_e32 v23, v162, v40
	;; [unrolled: 1-line block ×3, first 2 shown]
	s_wait_loadcnt 0x1
	v_fmac_f32_e32 v123, v20, v18
	v_mul_i32_i24_e32 v18, v21, v172
	v_mul_i32_i24_e32 v21, v24, v176
	;; [unrolled: 1-line block ×4, first 2 shown]
	s_delay_alu instid0(VALU_DEP_4) | instskip(SKIP_3) | instid1(VALU_DEP_4)
	v_mad_i32_i24 v18, v22, v161, v18
	v_mul_i32_i24_e32 v22, v160, v31
	v_mul_i32_i24_e32 v31, v169, v84
	;; [unrolled: 1-line block ×3, first 2 shown]
	v_add3_u32 v18, v18, v19, v21
	v_mul_i32_i24_e32 v19, v158, v25
	v_mul_i32_i24_e32 v21, v159, v26
	;; [unrolled: 1-line block ×6, first 2 shown]
	v_add3_u32 v18, v18, v19, v21
	v_mul_i32_i24_e32 v19, v163, v93
	v_mul_i32_i24_e32 v21, v166, v95
	s_delay_alu instid0(VALU_DEP_3) | instskip(SKIP_1) | instid1(VALU_DEP_4)
	v_add3_u32 v18, v18, v22, v23
	v_mul_i32_i24_e32 v22, v168, v86
	v_mad_i32_i24 v19, v153, v94, v19
	v_mul_i32_i24_e32 v23, v143, v98
	s_delay_alu instid0(VALU_DEP_4) | instskip(SKIP_1) | instid1(VALU_DEP_4)
	v_add3_u32 v18, v18, v24, v25
	v_mul_i32_i24_e32 v24, v144, v87
	v_add3_u32 v19, v19, v21, v22
	v_mul_i32_i24_e32 v21, v141, v96
	v_mul_i32_i24_e32 v22, v142, v97
	v_add3_u32 v18, v18, v26, v31
	v_mul_i32_i24_e32 v25, v145, v99
	v_mul_i32_i24_e32 v26, v146, v100
	v_mul_i32_i24_e32 v31, v147, v101
	v_add3_u32 v19, v19, v21, v22
	v_add3_u32 v18, v18, v40, v79
	v_mul_i32_i24_e32 v40, v148, v88
	v_mul_i32_i24_e32 v79, v149, v102
	v_mul_i32_i24_e32 v21, v105, v140
	v_add3_u32 v19, v19, v23, v24
	;; [unrolled: 5-line block ×3, first 2 shown]
	v_mul_i32_i24_e32 v25, v114, v136
	v_mul_i32_i24_e32 v26, v115, v135
	;; [unrolled: 1-line block ×3, first 2 shown]
	v_mul_lo_u32 v18, v18, v177
	v_add3_u32 v19, v19, v31, v40
	v_mul_i32_i24_e32 v31, v117, v133
	v_mul_i32_i24_e32 v22, v106, v139
	s_delay_alu instid0(VALU_DEP_3) | instskip(NEXT) | instid1(VALU_DEP_3)
	v_add3_u32 v19, v19, v79, v82
	v_mad_i32_i24 v31, v116, v134, v31
	s_delay_alu instid0(VALU_DEP_2) | instskip(NEXT) | instid1(VALU_DEP_2)
	v_add3_u32 v19, v19, v83, v84
	v_add3_u32 v25, v31, v26, v25
	s_delay_alu instid0(VALU_DEP_2) | instskip(NEXT) | instid1(VALU_DEP_2)
	v_mad_co_u64_u32 v[18:19], null, v19, v132, v[18:19]
	v_add3_u32 v23, v25, v23, v24
	s_delay_alu instid0(VALU_DEP_1) | instskip(NEXT) | instid1(VALU_DEP_3)
	v_add3_u32 v21, v23, v22, v21
	v_cvt_f32_i32_e32 v18, v18
	s_delay_alu instid0(VALU_DEP_2) | instskip(NEXT) | instid1(VALU_DEP_1)
	v_cvt_f32_i32_e32 v19, v21
	v_mul_f32_e32 v19, v131, v19
	s_delay_alu instid0(VALU_DEP_1) | instskip(SKIP_1) | instid1(VALU_DEP_1)
	v_fma_mix_f32 v18, v130, v18, -v19 op_sel_hi:[1,0,0]
	s_wait_loadcnt 0x0
	v_fmac_f32_e32 v122, v20, v18
	v_or_b32_e32 v18, s18, v125
	s_delay_alu instid0(VALU_DEP_1)
	v_lshlrev_b32_e32 v19, 2, v18
	v_lshrrev_b32_e32 v18, 1, v18
	ds_load_b32 v82, v18 offset:30368
	ds_load_b128 v[83:86], v19 offset:16896
	ds_load_b128 v[87:90], v19 offset:16912
	s_wait_dscnt 0x1
	v_bfe_i32 v94, v85, 0, 8
	s_wait_dscnt 0x0
	v_ashrrev_i32_e32 v99, 24, v87
	v_ashrrev_i32_e32 v116, 24, v88
	v_bfe_i32 v91, v87, 16, 8
	v_bfe_i32 v115, v88, 16, 8
	v_ashrrev_i32_e32 v120, 24, v89
	v_ashrrev_i32_e32 v19, 24, v90
	v_add_nc_u32_e32 v20, v116, v99
	v_bfe_i32 v95, v85, 8, 8
	v_bfe_i32 v96, v85, 16, 8
	v_ashrrev_i32_e32 v97, 24, v85
	v_bfe_i32 v79, v87, 0, 8
	v_bfe_i32 v113, v88, 0, 8
	;; [unrolled: 1-line block ×4, first 2 shown]
	v_add3_u32 v85, v20, v120, v19
	v_add_nc_u32_e32 v20, v115, v91
	v_bfe_i32 v98, v86, 0, 8
	v_bfe_i32 v102, v86, 8, 8
	;; [unrolled: 1-line block ×3, first 2 shown]
	v_ashrrev_i32_e32 v104, 24, v86
	v_bfe_i32 v40, v87, 8, 8
	v_bfe_i32 v114, v88, 8, 8
	;; [unrolled: 1-line block ×4, first 2 shown]
	v_add3_u32 v86, v20, v119, v18
	v_add_nc_u32_e32 v20, v113, v79
	v_ashrrev_i32_e32 v121, 24, v83
	v_ashrrev_i32_e32 v93, 24, v84
	v_bfe_i32 v118, v89, 8, 8
	v_bfe_i32 v127, v90, 8, 8
	v_add3_u32 v87, v20, v117, v31
	v_add_nc_u32_e32 v20, v114, v40
	v_bfe_i32 v107, v83, 16, 8
	v_bfe_i32 v92, v84, 16, 8
	;; [unrolled: 1-line block ×4, first 2 shown]
	v_add3_u32 v88, v20, v118, v127
	v_add_nc_u32_e32 v20, v93, v121
	v_bfe_i32 v106, v83, 0, 8
	v_bfe_i32 v100, v84, 0, 8
	v_mul_i32_i24_e32 v21, v107, v77
	v_mul_i32_i24_e32 v22, v121, v78
	v_add3_u32 v89, v20, v97, v104
	v_add_nc_u32_e32 v20, v92, v107
	v_mul_i32_i24_e32 v23, v54, v92
	v_mul_i32_i24_e32 v24, v55, v93
	;; [unrolled: 1-line block ×4, first 2 shown]
	v_add3_u32 v90, v20, v96, v103
	v_add_nc_u32_e32 v20, v101, v105
	v_mul_i32_i24_e32 v54, v70, v102
	v_mul_i32_i24_e32 v55, v73, v103
	;; [unrolled: 1-line block ×3, first 2 shown]
	s_clause 0x1
	scratch_load_b32 v73, off, off offset:64
	scratch_load_b32 v75, off, off offset:68
	v_add3_u32 v83, v20, v95, v102
	v_add_nc_u32_e32 v20, v100, v106
	v_mul_i32_i24_e32 v5, v5, v113
	v_mul_i32_i24_e32 v6, v6, v114
	;; [unrolled: 1-line block ×4, first 2 shown]
	v_add3_u32 v84, v20, v94, v98
	v_mul_i32_i24_e32 v20, v106, v76
	v_mul_i32_i24_e32 v9, v9, v117
	;; [unrolled: 1-line block ×5, first 2 shown]
	v_mad_i32_i24 v20, v105, v50, v20
	v_mul_i32_i24_e32 v50, v63, v96
	v_mul_i32_i24_e32 v13, v13, v31
	;; [unrolled: 1-line block ×4, first 2 shown]
	v_add3_u32 v20, v20, v21, v22
	v_mul_i32_i24_e32 v21, v52, v100
	v_mul_i32_i24_e32 v22, v53, v101
	;; [unrolled: 1-line block ×6, first 2 shown]
	v_add3_u32 v20, v20, v21, v22
	v_mul_i32_i24_e32 v21, v48, v91
	v_mul_i32_i24_e32 v22, v49, v99
	s_delay_alu instid0(VALU_DEP_3) | instskip(SKIP_4) | instid1(VALU_DEP_1)
	v_add3_u32 v20, v20, v23, v24
	scratch_load_b32 v23, off, off offset:12 th:TH_LOAD_LU ; 4-byte Folded Reload
	v_add3_u32 v20, v20, v25, v26
	scratch_load_b32 v26, off, off offset:60 ; 4-byte Folded Reload
	v_add3_u32 v20, v20, v50, v52
	v_add3_u32 v20, v20, v53, v54
	s_delay_alu instid0(VALU_DEP_1) | instskip(SKIP_3) | instid1(VALU_DEP_1)
	v_add3_u32 v20, v20, v55, v57
	scratch_load_b32 v57, off, off offset:52 ; 4-byte Folded Reload
	v_mul_lo_u32 v3, v20, v3
	v_mul_i32_i24_e32 v20, v45, v79
	v_mad_i32_i24 v4, v4, v40, v20
	scratch_load_b32 v20, off, off th:TH_LOAD_LU ; 4-byte Folded Reload
	v_add3_u32 v4, v4, v21, v22
	s_clause 0x1
	scratch_load_b32 v22, off, off offset:8 th:TH_LOAD_LU
	scratch_load_b32 v21, off, off offset:4 th:TH_LOAD_LU
	v_add3_u32 v4, v4, v5, v6
	v_mul_i32_i24_e32 v5, v85, v80
	v_mul_i32_i24_e32 v6, v86, v109
	s_delay_alu instid0(VALU_DEP_3) | instskip(SKIP_2) | instid1(VALU_DEP_3)
	v_add3_u32 v4, v4, v7, v8
	v_mul_i32_i24_e32 v7, v87, v110
	v_mul_i32_i24_e32 v8, v88, v108
	v_add3_u32 v4, v4, v9, v10
	v_mul_i32_i24_e32 v9, v89, v41
	v_mul_i32_i24_e32 v10, v90, v72
	s_delay_alu instid0(VALU_DEP_3) | instskip(SKIP_2) | instid1(VALU_DEP_3)
	v_add3_u32 v4, v4, v11, v12
	v_mul_i32_i24_e32 v11, v84, v17
	v_mul_i32_i24_e32 v12, v249, v102
	v_add3_u32 v4, v4, v13, v14
	s_delay_alu instid0(VALU_DEP_3) | instskip(SKIP_2) | instid1(VALU_DEP_4)
	v_mad_i32_i24 v11, v83, v81, v11
	v_mul_i32_i24_e32 v13, v251, v103
	v_mul_i32_i24_e32 v14, v252, v104
	v_add3_u32 v4, v4, v15, v16
	s_delay_alu instid0(VALU_DEP_4)
	v_add3_u32 v9, v11, v10, v9
	v_mul_i32_i24_e32 v10, v247, v97
	v_mul_i32_i24_e32 v11, v248, v98
	;; [unrolled: 1-line block ×3, first 2 shown]
	v_mad_co_u64_u32 v[3:4], null, v4, v111, v[3:4]
	v_add3_u32 v7, v9, v7, v8
	v_mul_i32_i24_e32 v8, v245, v95
	v_mul_i32_i24_e32 v9, v246, v96
	s_delay_alu instid0(VALU_DEP_3) | instskip(SKIP_3) | instid1(VALU_DEP_4)
	v_add3_u32 v5, v7, v6, v5
	v_cvt_f32_i32_e32 v3, v3
	v_mul_i32_i24_e32 v6, v243, v93
	v_mul_i32_i24_e32 v7, v244, v94
	v_cvt_f32_i32_e32 v4, v5
	v_mul_i32_i24_e32 v5, v241, v92
	s_delay_alu instid0(VALU_DEP_2) | instskip(NEXT) | instid1(VALU_DEP_1)
	v_mul_f32_e32 v4, v112, v4
	v_fma_mix_f32 v2, v2, v3, -v4 op_sel_hi:[1,0,0]
	v_mul_i32_i24_e32 v3, v107, v253
	v_mul_i32_i24_e32 v4, v121, v254
	s_wait_loadcnt 0x5
	s_delay_alu instid0(VALU_DEP_3) | instskip(SKIP_1) | instid1(VALU_DEP_1)
	v_fmac_f32_e32 v23, v82, v2
	v_mul_i32_i24_e32 v2, v106, v250
	v_mad_i32_i24 v2, v105, v242, v2
	s_delay_alu instid0(VALU_DEP_1) | instskip(SKIP_2) | instid1(VALU_DEP_1)
	v_add3_u32 v2, v2, v3, v4
	v_mul_i32_i24_e32 v3, v239, v100
	v_mul_i32_i24_e32 v4, v240, v101
	v_add3_u32 v2, v2, v3, v4
	v_mul_i32_i24_e32 v3, v230, v79
	v_mul_i32_i24_e32 v4, v233, v91
	s_delay_alu instid0(VALU_DEP_3) | instskip(SKIP_1) | instid1(VALU_DEP_4)
	v_add3_u32 v2, v2, v5, v6
	v_mul_i32_i24_e32 v5, v235, v99
	v_mad_i32_i24 v3, v222, v40, v3
	v_mul_i32_i24_e32 v6, v224, v115
	s_delay_alu instid0(VALU_DEP_4) | instskip(SKIP_1) | instid1(VALU_DEP_4)
	v_add3_u32 v2, v2, v7, v8
	v_mul_i32_i24_e32 v7, v225, v116
	v_add3_u32 v3, v3, v4, v5
	v_mul_i32_i24_e32 v4, v221, v113
	v_mul_i32_i24_e32 v5, v223, v114
	v_add3_u32 v2, v2, v9, v10
	v_mul_i32_i24_e32 v8, v226, v117
	v_mul_i32_i24_e32 v9, v227, v118
	v_mul_i32_i24_e32 v10, v228, v119
	v_add3_u32 v3, v3, v4, v5
	v_add3_u32 v2, v2, v11, v12
	v_mul_i32_i24_e32 v11, v229, v120
	v_mul_i32_i24_e32 v12, v231, v31
	v_mul_i32_i24_e32 v4, v85, v220
	v_add3_u32 v3, v3, v6, v7
	;; [unrolled: 5-line block ×3, first 2 shown]
	v_mul_i32_i24_e32 v8, v89, v30
	v_mul_i32_i24_e32 v9, v90, v46
	;; [unrolled: 1-line block ×3, first 2 shown]
	v_mul_lo_u32 v2, v2, v255
	v_add3_u32 v3, v3, v10, v11
	v_mul_i32_i24_e32 v10, v84, v201
	v_mul_i32_i24_e32 v5, v86, v219
	;; [unrolled: 1-line block ×3, first 2 shown]
	s_delay_alu instid0(VALU_DEP_4) | instskip(NEXT) | instid1(VALU_DEP_4)
	v_add3_u32 v3, v3, v12, v13
	v_mad_i32_i24 v10, v83, v202, v10
	v_mul_i32_i24_e32 v12, v212, v103
	v_mul_i32_i24_e32 v13, v213, v104
	s_delay_alu instid0(VALU_DEP_4) | instskip(NEXT) | instid1(VALU_DEP_4)
	v_add3_u32 v3, v3, v14, v15
	v_add3_u32 v8, v10, v9, v8
	v_mul_i32_i24_e32 v9, v208, v97
	v_mul_i32_i24_e32 v10, v209, v98
	;; [unrolled: 1-line block ×3, first 2 shown]
	v_mad_co_u64_u32 v[2:3], null, v3, v237, v[2:3]
	v_add3_u32 v6, v8, v6, v7
	v_mul_i32_i24_e32 v7, v206, v95
	v_mul_i32_i24_e32 v8, v207, v96
	s_delay_alu instid0(VALU_DEP_3) | instskip(SKIP_3) | instid1(VALU_DEP_4)
	v_add3_u32 v4, v6, v5, v4
	v_cvt_f32_i32_e32 v2, v2
	v_mul_i32_i24_e32 v5, v204, v93
	v_mul_i32_i24_e32 v6, v205, v94
	v_cvt_f32_i32_e32 v3, v4
	v_mul_i32_i24_e32 v4, v121, v215
	s_delay_alu instid0(VALU_DEP_2) | instskip(NEXT) | instid1(VALU_DEP_1)
	v_mul_f32_e32 v3, v238, v3
	v_fma_mix_f32 v2, v200, v2, -v3 op_sel_hi:[1,0,0]
	v_mul_i32_i24_e32 v3, v107, v214
	s_wait_loadcnt 0x1
	s_delay_alu instid0(VALU_DEP_2) | instskip(SKIP_1) | instid1(VALU_DEP_1)
	v_fmac_f32_e32 v22, v82, v2
	v_mul_i32_i24_e32 v2, v106, v211
	v_mad_i32_i24 v2, v105, v203, v2
	s_delay_alu instid0(VALU_DEP_1) | instskip(SKIP_2) | instid1(VALU_DEP_2)
	v_add3_u32 v2, v2, v3, v4
	v_mul_i32_i24_e32 v3, v42, v101
	v_mul_i32_i24_e32 v4, v44, v92
	v_add3_u32 v1, v2, v1, v3
	v_mul_i32_i24_e32 v2, v191, v79
	v_mul_i32_i24_e32 v3, v194, v91
	s_delay_alu instid0(VALU_DEP_3) | instskip(SKIP_1) | instid1(VALU_DEP_4)
	v_add3_u32 v1, v1, v4, v5
	v_mul_i32_i24_e32 v4, v196, v99
	v_mad_i32_i24 v2, v183, v40, v2
	v_mul_i32_i24_e32 v5, v185, v115
	s_delay_alu instid0(VALU_DEP_4) | instskip(SKIP_1) | instid1(VALU_DEP_4)
	v_add3_u32 v1, v1, v6, v7
	v_mul_i32_i24_e32 v6, v186, v116
	v_add3_u32 v2, v2, v3, v4
	v_mul_i32_i24_e32 v3, v182, v113
	v_mul_i32_i24_e32 v4, v184, v114
	v_add3_u32 v1, v1, v8, v9
	v_mul_i32_i24_e32 v7, v187, v117
	v_mul_i32_i24_e32 v8, v188, v118
	v_mul_i32_i24_e32 v9, v189, v119
	v_add3_u32 v2, v2, v3, v4
	v_add3_u32 v1, v1, v10, v11
	v_mul_i32_i24_e32 v10, v190, v120
	v_mul_i32_i24_e32 v11, v192, v31
	v_mul_i32_i24_e32 v3, v85, v181
	v_add3_u32 v2, v2, v5, v6
	v_add3_u32 v1, v1, v12, v13
	v_mul_i32_i24_e32 v12, v193, v127
	v_mul_i32_i24_e32 v5, v87, v178
	v_mul_i32_i24_e32 v6, v88, v179
	v_add3_u32 v2, v2, v7, v8
	v_mul_i32_i24_e32 v7, v89, v157
	v_mul_i32_i24_e32 v8, v90, v156
	;; [unrolled: 1-line block ×3, first 2 shown]
	v_mul_lo_u32 v1, v1, v216
	v_add3_u32 v2, v2, v9, v10
	v_mul_i32_i24_e32 v9, v84, v154
	v_mul_i32_i24_e32 v4, v86, v180
	;; [unrolled: 1-line block ×3, first 2 shown]
	s_delay_alu instid0(VALU_DEP_4) | instskip(NEXT) | instid1(VALU_DEP_4)
	v_add3_u32 v2, v2, v11, v12
	v_mad_i32_i24 v9, v83, v155, v9
	v_mul_i32_i24_e32 v11, v173, v103
	v_mul_i32_i24_e32 v12, v174, v104
	s_delay_alu instid0(VALU_DEP_4) | instskip(NEXT) | instid1(VALU_DEP_4)
	v_add3_u32 v2, v2, v13, v14
	v_add3_u32 v7, v9, v8, v7
	v_mul_i32_i24_e32 v8, v169, v97
	v_mul_i32_i24_e32 v9, v170, v98
	;; [unrolled: 1-line block ×3, first 2 shown]
	v_mad_co_u64_u32 v[1:2], null, v2, v198, v[1:2]
	v_add3_u32 v5, v7, v5, v6
	v_mul_i32_i24_e32 v6, v165, v95
	v_mul_i32_i24_e32 v7, v167, v96
	s_delay_alu instid0(VALU_DEP_3) | instskip(SKIP_3) | instid1(VALU_DEP_4)
	v_add3_u32 v3, v5, v4, v3
	v_cvt_f32_i32_e32 v1, v1
	v_mul_i32_i24_e32 v4, v162, v93
	v_mul_i32_i24_e32 v5, v164, v94
	v_cvt_f32_i32_e32 v2, v3
	v_mul_i32_i24_e32 v3, v160, v92
	s_delay_alu instid0(VALU_DEP_2) | instskip(NEXT) | instid1(VALU_DEP_1)
	v_mul_f32_e32 v2, v199, v2
	v_fma_mix_f32 v0, v0, v1, -v2 op_sel_hi:[1,0,0]
	v_mul_i32_i24_e32 v1, v107, v175
	v_mul_i32_i24_e32 v2, v121, v176
	s_wait_loadcnt 0x0
	s_delay_alu instid0(VALU_DEP_3) | instskip(SKIP_1) | instid1(VALU_DEP_1)
	v_fmac_f32_e32 v21, v82, v0
	v_mul_i32_i24_e32 v0, v106, v172
	v_mad_i32_i24 v0, v105, v161, v0
	s_delay_alu instid0(VALU_DEP_1)
	v_add3_u32 v0, v0, v1, v2
	v_mul_i32_i24_e32 v1, v158, v100
	v_mul_i32_i24_e32 v2, v159, v101
	s_clause 0x1
	scratch_load_b32 v158, off, off offset:112
	scratch_load_b32 v159, off, off offset:116
	v_add3_u32 v0, v0, v1, v2
	v_mul_i32_i24_e32 v1, v163, v79
	v_mul_i32_i24_e32 v2, v166, v91
	s_delay_alu instid0(VALU_DEP_3) | instskip(SKIP_1) | instid1(VALU_DEP_4)
	v_add3_u32 v0, v0, v3, v4
	v_mul_i32_i24_e32 v3, v168, v99
	v_mad_i32_i24 v1, v153, v40, v1
	v_mul_i32_i24_e32 v4, v143, v115
	scratch_load_b32 v153, off, off offset:108 ; 4-byte Folded Reload
	v_add3_u32 v0, v0, v5, v6
	v_mul_i32_i24_e32 v5, v144, v116
	v_add3_u32 v1, v1, v2, v3
	v_mul_i32_i24_e32 v2, v141, v113
	v_mul_i32_i24_e32 v3, v142, v114
	v_add3_u32 v0, v0, v7, v8
	v_mul_i32_i24_e32 v8, v147, v119
	scratch_load_b32 v147, off, off offset:24 ; 4-byte Folded Reload
	v_mul_i32_i24_e32 v6, v145, v117
	v_add3_u32 v1, v1, v2, v3
	v_add3_u32 v0, v0, v9, v10
	v_mul_i32_i24_e32 v9, v148, v120
	scratch_load_b32 v148, off, off offset:80 ; 4-byte Folded Reload
	v_mul_i32_i24_e32 v10, v149, v31
	scratch_load_b32 v149, off, off offset:84 ; 4-byte Folded Reload
	v_add3_u32 v0, v0, v11, v12
	v_mul_i32_i24_e32 v11, v150, v127
	scratch_load_b32 v150, off, off offset:104 ; 4-byte Folded Reload
	v_mul_i32_i24_e32 v12, v151, v18
	s_clause 0x2
	scratch_load_b32 v151, off, off offset:88
	scratch_load_b32 v47, off, off offset:120
	;; [unrolled: 1-line block ×3, first 2 shown]
	v_add3_u32 v1, v1, v4, v5
	v_mul_i32_i24_e32 v4, v87, v137
	scratch_load_b32 v137, off, off offset:100 ; 4-byte Folded Reload
	v_mul_i32_i24_e32 v7, v146, v118
	v_mul_i32_i24_e32 v5, v88, v138
	v_mul_lo_u32 v0, v0, v177
	v_mul_i32_i24_e32 v2, v85, v140
	v_mul_i32_i24_e32 v3, v86, v139
	v_add3_u32 v1, v1, v6, v7
	v_mul_i32_i24_e32 v6, v89, v136
	v_mul_i32_i24_e32 v7, v90, v135
	s_delay_alu instid0(VALU_DEP_3) | instskip(SKIP_1) | instid1(VALU_DEP_2)
	v_add3_u32 v1, v1, v8, v9
	v_mul_i32_i24_e32 v8, v84, v133
	v_add3_u32 v1, v1, v10, v11
	s_delay_alu instid0(VALU_DEP_2) | instskip(NEXT) | instid1(VALU_DEP_2)
	v_mad_i32_i24 v8, v83, v134, v8
	v_add3_u32 v1, v1, v12, v13
	s_delay_alu instid0(VALU_DEP_2) | instskip(NEXT) | instid1(VALU_DEP_2)
	v_add3_u32 v6, v8, v7, v6
	v_mad_co_u64_u32 v[0:1], null, v1, v132, v[0:1]
	s_delay_alu instid0(VALU_DEP_2) | instskip(NEXT) | instid1(VALU_DEP_1)
	v_add3_u32 v4, v6, v4, v5
	v_add3_u32 v2, v4, v3, v2
	s_delay_alu instid0(VALU_DEP_3) | instskip(NEXT) | instid1(VALU_DEP_2)
	v_cvt_f32_i32_e32 v0, v0
	v_cvt_f32_i32_e32 v1, v2
	s_delay_alu instid0(VALU_DEP_1) | instskip(NEXT) | instid1(VALU_DEP_1)
	v_mul_f32_e32 v1, v131, v1
	v_fma_mix_f32 v0, v130, v0, -v1 op_sel_hi:[1,0,0]
	s_delay_alu instid0(VALU_DEP_1)
	v_fmac_f32_e32 v20, v82, v0
	s_cbranch_scc1 .LBB128_10
; %bb.11:                               ;   in Loop: Header=BB128_8 Depth=2
	scratch_load_b32 v0, off, off offset:144 ; 4-byte Folded Reload
	s_wait_loadcnt 0x0
	s_wait_storecnt 0x0
	s_barrier_signal -1
	s_barrier_wait -1
	global_inv scope:SCOPE_SE
	s_add_co_i32 s10, s10, 2
	s_clause 0x3
	scratch_load_b32 v1, off, off offset:156
	scratch_load_b32 v10, off, off offset:172
	;; [unrolled: 1-line block ×3, first 2 shown]
	scratch_load_b64 v[17:18], off, off offset:184
	v_lshl_add_u32 v0, s16, 5, v0
	s_delay_alu instid0(VALU_DEP_1) | instskip(NEXT) | instid1(VALU_DEP_1)
	v_lshrrev_b32_e32 v0, 3, v0
	v_add_nc_u32_e32 v8, s7, v0
	scratch_load_b32 v0, off, off offset:140 ; 4-byte Folded Reload
	s_wait_loadcnt 0x4
	v_add_nc_u32_e32 v2, v8, v1
	scratch_load_b32 v1, off, off offset:160 ; 4-byte Folded Reload
	s_wait_loadcnt 0x4
	v_add_nc_u32_e32 v14, v8, v10
	scratch_load_b32 v10, off, off offset:180 ; 4-byte Folded Reload
	s_wait_loadcnt 0x4
	v_add_nc_u32_e32 v16, v8, v11
	s_wait_loadcnt 0x3
	v_mad_co_i64_i32 v[2:3], null, v2, 36, v[17:18]
	v_mad_co_i64_i32 v[14:15], null, v14, 36, v[17:18]
	s_wait_loadcnt 0x2
	v_lshl_add_u32 v9, s16, 2, v0
	scratch_load_b32 v0, off, off offset:152 ; 4-byte Folded Reload
	s_wait_alu 0xfffe
	s_lshl_b32 s16, s10, 3
	s_wait_loadcnt 0x2
	v_add_nc_u32_e32 v4, v8, v1
	scratch_load_b32 v1, off, off offset:164 ; 4-byte Folded Reload
	s_wait_loadcnt 0x2
	v_add_nc_u32_e32 v10, v8, v10
	v_mad_co_i64_i32 v[4:5], null, v4, 36, v[17:18]
	s_delay_alu instid0(VALU_DEP_2)
	v_mad_co_i64_i32 v[10:11], null, v10, 36, v[17:18]
	s_wait_loadcnt 0x1
	v_add_nc_u32_e32 v0, v8, v0
	s_wait_loadcnt 0x0
	v_add_nc_u32_e32 v6, v8, v1
	scratch_load_b32 v1, off, off offset:168 ; 4-byte Folded Reload
	v_mad_co_i64_i32 v[6:7], null, v6, 36, v[17:18]
	s_wait_loadcnt 0x0
	v_add_nc_u32_e32 v12, v8, v1
	v_mad_co_u64_u32 v[8:9], null, v9, 36, s[2:3]
	v_mad_co_i64_i32 v[0:1], null, v0, 36, v[17:18]
	s_delay_alu instid0(VALU_DEP_3)
	v_mad_co_i64_i32 v[12:13], null, v12, 36, v[17:18]
	v_mad_co_i64_i32 v[16:17], null, v16, 36, v[17:18]
	s_clause 0x8
	global_load_b32 v8, v[8:9], off
	global_load_b32 v9, v[10:11], off offset:4
	global_load_b32 v0, v[0:1], off offset:4
	;; [unrolled: 1-line block ×8, first 2 shown]
	s_wait_loadcnt 0x8
	v_cvt_f32_f16_e32 v7, v8
	scratch_load_b32 v8, off, off offset:220 ; 4-byte Folded Reload
	s_wait_loadcnt 0x0
	ds_store_b32 v8, v9
	scratch_load_b32 v8, off, off offset:192 ; 4-byte Folded Reload
	s_wait_loadcnt 0x0
	ds_store_b32 v8, v0
	;; [unrolled: 3-line block ×9, first 2 shown]
	s_wait_dscnt 0x0
	s_barrier_signal -1
	s_barrier_wait -1
	global_inv scope:SCOPE_SE
.LBB128_12:                             ;   Parent Loop BB128_6 Depth=1
                                        ;     Parent Loop BB128_8 Depth=2
                                        ; =>    This Inner Loop Header: Depth=3
	s_clause 0x5
	scratch_store_b32 off, v123, off offset:20
	scratch_store_b32 off, v122, off offset:16
	;; [unrolled: 1-line block ×5, first 2 shown]
	scratch_store_b32 off, v20, off
	scratch_load_b32 v2, off, off offset:124 ; 4-byte Folded Reload
	s_and_b32 s19, s11, 0x3ffffff8
	s_and_b32 s20, s11, 0x7ffffffe
	s_wait_loadcnt 0x1
	s_wait_alu 0xfffe
	v_lshl_add_u32 v19, s19, 2, v26
	s_add_co_i32 s19, s20, 0x6200
	s_lshl_b32 s17, s11, 2
	s_and_b32 s18, s11, 6
	s_wait_alu 0xfffe
	s_and_b32 s17, s17, 24
	s_lshr_b32 s20, s11, 2
	s_wait_alu 0xfffe
	v_or_b32_e32 v0, s17, v57
	s_and_b32 s20, s20, 0x3ffffffc
	s_add_co_i32 s11, s11, 2
	s_wait_alu 0xfffe
	s_addk_co_i32 s20, 0x7280
	s_cmp_lt_u32 s11, s16
	v_lshlrev_b32_e32 v17, 2, v0
	v_lshrrev_b32_e32 v0, 1, v0
	ds_load_b32 v18, v0 offset:30368
	ds_load_2addr_b32 v[0:1], v19 offset1:1
	s_wait_dscnt 0x0
	v_ashrrev_i32_e32 v3, s18, v0
	v_ashrrev_i32_e32 v4, s18, v1
	ds_load_2addr_b32 v[0:1], v19 offset0:2 offset1:3
	v_and_b32_e32 v76, 3, v3
	v_bfe_u32 v77, v3, 16, 2
	v_bfe_u32 v78, v3, 24, 2
	v_and_b32_e32 v58, 3, v4
	v_bfe_u32 v12, v4, 8, 2
	v_bfe_u32 v63, v4, 16, 2
	;; [unrolled: 1-line block ×3, first 2 shown]
	s_wait_dscnt 0x0
	v_ashrrev_i32_e32 v5, s18, v0
	v_ashrrev_i32_e32 v6, s18, v1
	ds_load_2addr_b32 v[0:1], v19 offset0:4 offset1:5
	v_and_b32_e32 v68, 3, v5
	v_and_b32_e32 v70, 3, v6
	v_bfe_u32 v16, v6, 8, 2
	v_bfe_u32 v14, v5, 8, 2
	;; [unrolled: 1-line block ×4, first 2 shown]
	s_wait_dscnt 0x0
	v_ashrrev_i32_e32 v7, s18, v0
	v_ashrrev_i32_e32 v8, s18, v1
	ds_load_2addr_b32 v[0:1], v19 offset0:6 offset1:7
	v_and_b32_e32 v55, 3, v7
	v_bfe_u32 v57, v7, 24, 2
	v_and_b32_e32 v48, 3, v8
	v_bfe_u32 v4, v8, 8, 2
	v_bfe_u32 v49, v8, 16, 2
	;; [unrolled: 1-line block ×3, first 2 shown]
	s_wait_dscnt 0x0
	v_ashrrev_i32_e32 v0, s18, v0
	v_ashrrev_i32_e32 v1, s18, v1
	s_delay_alu instid0(VALU_DEP_2) | instskip(SKIP_1) | instid1(VALU_DEP_3)
	v_and_b32_e32 v50, 3, v0
	v_bfe_u32 v52, v0, 16, 2
	v_and_b32_e32 v53, 3, v1
	v_bfe_u32 v8, v1, 8, 2
	v_bfe_u32 v54, v1, 16, 2
	s_wait_loadcnt 0x0
	v_add3_u32 v9, s19, v2, v73
	scratch_load_b32 v2, off, off offset:128 ; 4-byte Folded Reload
	v_bfe_u32 v73, v6, 16, 2
	s_wait_loadcnt 0x0
	s_wait_alu 0xfffe
	v_add3_u32 v2, s20, v2, v75
	v_bfe_u32 v75, v6, 24, 2
	v_bfe_u32 v6, v0, 8, 2
	ds_load_b32 v2, v2
	ds_load_u16 v9, v9
	ds_load_b128 v[86:89], v17 offset:16896
	ds_load_b128 v[90:93], v17 offset:16912
	s_wait_dscnt 0x1
	v_bfe_i32 v24, v86, 0, 8
	v_lshrrev_b16 v10, 8, v9
	v_bfe_u32 v11, v9, 4, 4
	s_wait_dscnt 0x0
	v_ashrrev_i32_e32 v31, 24, v90
	v_ashrrev_i32_e32 v82, 24, v91
	v_bfe_i32 v25, v86, 16, 8
	v_and_b32_e32 v21, 0xffff, v10
	v_mul_lo_u32 v20, 0x1010101, v11
	v_bfe_u32 v11, v3, 8, 2
	v_bfe_u32 v10, v7, 16, 2
	v_bfe_i32 v94, v87, 0, 8
	v_lshrrev_b32_e32 v3, 4, v21
	v_bfe_i32 v95, v87, 16, 8
	v_bfe_i32 v98, v92, 0, 8
	;; [unrolled: 1-line block ×4, first 2 shown]
	v_mul_lo_u32 v22, 0x1010101, v3
	v_bfe_u32 v3, v7, 8, 2
	v_bfe_u32 v7, v0, 24, 2
	v_lshrrev_b16 v0, 8, v90
	v_ashrrev_i32_e32 v92, 24, v92
	v_bfe_i32 v104, v93, 0, 8
	v_bfe_i32 v105, v93, 8, 8
	;; [unrolled: 1-line block ×4, first 2 shown]
	v_lshrrev_b16 v0, 8, v91
	v_ashrrev_i32_e32 v93, 24, v93
	v_add_nc_u32_e32 v41, v82, v31
	v_ashrrev_i32_e32 v23, 24, v86
	v_bfe_i32 v79, v90, 16, 8
	v_bfe_i32 v85, v0, 0, 8
	v_lshrrev_b16 v0, 8, v88
	v_bfe_i32 v83, v90, 0, 8
	v_bfe_i32 v26, v87, 8, 8
	v_ashrrev_i32_e32 v90, 24, v87
	v_bfe_i32 v96, v86, 8, 8
	v_bfe_i32 v97, v0, 0, 8
	v_bfe_i32 v101, v88, 16, 8
	v_bfe_i32 v102, v88, 0, 8
	v_lshrrev_b16 v0, 8, v89
	v_bfe_i32 v107, v89, 16, 8
	v_bfe_i32 v113, v89, 0, 8
	v_add_nc_u32_e32 v42, v95, v25
	v_add_nc_u32_e32 v44, v94, v24
	v_add3_u32 v117, v41, v92, v93
	v_mul_i32_i24_e32 v41, v58, v94
	v_bfe_i32 v84, v91, 16, 8
	v_bfe_i32 v91, v91, 0, 8
	v_ashrrev_i32_e32 v88, 24, v88
	v_bfe_i32 v103, v0, 0, 8
	v_ashrrev_i32_e32 v89, 24, v89
	v_add_nc_u32_e32 v0, v96, v26
	v_add_nc_u32_e32 v46, v90, v23
	v_add3_u32 v115, v44, v102, v113
	v_add3_u32 v116, v42, v101, v107
	v_mul_i32_i24_e32 v42, v63, v95
	v_mul_i32_i24_e32 v44, v13, v90
	v_mad_i32_i24 v41, v12, v26, v41
	v_and_b32_e32 v45, 15, v9
	v_bfe_u32 v9, v1, 24, 2
	v_add_nc_u32_e32 v1, v91, v83
	v_add_nc_u32_e32 v17, v85, v40
	v_add3_u32 v114, v46, v88, v89
	v_add3_u32 v121, v0, v97, v103
	v_mul_i32_i24_e32 v0, v24, v76
	v_mul_i32_i24_e32 v46, v68, v102
	v_add3_u32 v41, v41, v42, v44
	v_add_nc_u32_e32 v30, v84, v79
	v_add3_u32 v119, v17, v99, v105
	v_add3_u32 v120, v1, v98, v104
	v_mul_i32_i24_e32 v1, v96, v11
	v_mul_i32_i24_e32 v17, v25, v77
	v_add3_u32 v0, v41, v46, v0
	v_add3_u32 v118, v30, v100, v106
	v_mul_i32_i24_e32 v30, v23, v78
	v_mul_i32_i24_e32 v72, v14, v97
	;; [unrolled: 1-line block ×3, first 2 shown]
	v_add3_u32 v0, v0, v1, v17
	v_mul_i32_i24_e32 v81, v15, v88
	v_mul_i32_i24_e32 v86, v70, v113
	;; [unrolled: 1-line block ×4, first 2 shown]
	v_add3_u32 v0, v0, v30, v72
	v_mul_i32_i24_e32 v109, v75, v89
	v_lshrrev_b16 v1, 8, v20
	v_bfe_i32 v17, v20, 16, 8
	v_bfe_i32 v111, v22, 16, 8
	v_add3_u32 v0, v0, v80, v81
	v_lshrrev_b32_e32 v81, 24, v20
	v_bfe_i32 v80, v20, 0, 8
	v_bfe_i32 v110, v22, 8, 8
	;; [unrolled: 1-line block ×3, first 2 shown]
	v_add3_u32 v0, v0, v86, v87
	v_mul_i32_i24_e32 v20, v10, v79
	v_mul_i32_i24_e32 v30, v49, v84
	;; [unrolled: 1-line block ×4, first 2 shown]
	v_add3_u32 v0, v0, v108, v109
	v_bfe_i32 v109, v1, 0, 8
	v_mul_i32_i24_e32 v1, v55, v83
	v_lshrrev_b32_e32 v108, 24, v22
	v_mul_i32_i24_e32 v22, v57, v31
	v_mul_i32_i24_e32 v44, v6, v99
	v_mul_i32_i24_e32 v46, v52, v100
	v_mad_i32_i24 v1, v3, v40, v1
	v_mul_i32_i24_e32 v72, v7, v92
	v_mul_i32_i24_e32 v86, v53, v104
	v_mul_i32_i24_e32 v87, v8, v105
	v_mul_i32_i24_e32 v122, v54, v106
	v_add3_u32 v1, v1, v20, v22
	v_mul_i32_i24_e32 v20, v48, v91
	v_mul_i32_i24_e32 v22, v4, v85
	;; [unrolled: 1-line block ×3, first 2 shown]
	v_mul_lo_u32 v0, v0, v45
	s_delay_alu instid0(VALU_DEP_3) | instskip(SKIP_2) | instid1(VALU_DEP_3)
	v_add3_u32 v1, v1, v20, v22
	v_mul_i32_i24_e32 v20, v121, v109
	v_mul_i32_i24_e32 v22, v120, v112
	v_add3_u32 v1, v1, v30, v41
	v_mul_i32_i24_e32 v30, v119, v110
	v_mul_i32_i24_e32 v41, v118, v111
	s_delay_alu instid0(VALU_DEP_4) | instskip(NEXT) | instid1(VALU_DEP_4)
	v_mad_i32_i24 v22, v115, v80, v22
	v_add3_u32 v1, v1, v42, v44
	v_mul_i32_i24_e32 v42, v117, v108
	s_delay_alu instid0(VALU_DEP_4) | instskip(NEXT) | instid1(VALU_DEP_3)
	v_mad_i32_i24 v41, v116, v17, v41
	v_add3_u32 v1, v1, v46, v72
	s_delay_alu instid0(VALU_DEP_3) | instskip(SKIP_1) | instid1(VALU_DEP_3)
	v_mad_i32_i24 v42, v114, v81, v42
	v_and_b32_e32 v72, 15, v21
	v_add3_u32 v1, v1, v86, v87
	s_delay_alu instid0(VALU_DEP_3) | instskip(NEXT) | instid1(VALU_DEP_2)
	v_add3_u32 v20, v20, v30, v42
	v_add3_u32 v1, v1, v122, v123
	s_delay_alu instid0(VALU_DEP_2) | instskip(NEXT) | instid1(VALU_DEP_2)
	v_add3_u32 v20, v22, v41, v20
	v_mad_co_u64_u32 v[0:1], null, v1, v72, v[0:1]
	v_lshrrev_b32_e32 v1, 16, v2
	s_delay_alu instid0(VALU_DEP_1) | instskip(NEXT) | instid1(VALU_DEP_4)
	v_cvt_f32_f16_e32 v41, v1
	v_cvt_f32_i32_e32 v1, v20
	s_delay_alu instid0(VALU_DEP_4) | instskip(NEXT) | instid1(VALU_DEP_2)
	v_cvt_f32_i32_e32 v0, v0
	v_mul_f32_e32 v1, v41, v1
	s_delay_alu instid0(VALU_DEP_1) | instskip(NEXT) | instid1(VALU_DEP_1)
	v_fma_mix_f32 v0, v2, v0, -v1 op_sel_hi:[1,0,0]
	v_fmac_f32_e32 v124, v18, v0
	s_delay_alu instid0(VALU_DEP_1)
	v_dual_mov_b32 v33, v124 :: v_dual_add_nc_u32 v0, 0x1080, v19
	ds_load_2addr_b32 v[0:1], v0 offset1:1
	s_wait_dscnt 0x0
	v_ashrrev_i32_e32 v20, s18, v0
	v_add_nc_u32_e32 v0, 0x1088, v19
	v_ashrrev_i32_e32 v21, s18, v1
	s_delay_alu instid0(VALU_DEP_3)
	v_and_b32_e32 v255, 3, v20
	ds_load_2addr_b32 v[0:1], v0 offset1:1
	v_and_b32_e32 v244, 3, v21
	v_bfe_u32 v245, v21, 8, 2
	v_bfe_u32 v246, v21, 16, 2
	;; [unrolled: 1-line block ×3, first 2 shown]
	v_mul_i32_i24_e32 v44, v24, v255
	v_mul_i32_i24_e32 v127, v244, v94
	v_bfe_u32 v247, v20, 8, 2
	v_bfe_u32 v42, v20, 16, 2
	v_mul_i32_i24_e32 v21, v248, v90
	s_delay_alu instid0(VALU_DEP_4) | instskip(NEXT) | instid1(VALU_DEP_4)
	v_mad_i32_i24 v127, v245, v26, v127
	v_mul_i32_i24_e32 v125, v96, v247
	s_wait_dscnt 0x0
	v_ashrrev_i32_e32 v22, s18, v0
	v_add_nc_u32_e32 v0, 0x1090, v19
	v_ashrrev_i32_e32 v30, s18, v1
	s_delay_alu instid0(VALU_DEP_3)
	v_and_b32_e32 v249, 3, v22
	ds_load_2addr_b32 v[0:1], v0 offset1:1
	v_bfe_u32 v250, v22, 8, 2
	v_bfe_u32 v251, v22, 16, 2
	;; [unrolled: 1-line block ×3, first 2 shown]
	v_and_b32_e32 v253, 3, v30
	v_bfe_u32 v254, v30, 8, 2
	v_mul_i32_i24_e32 v130, v250, v97
	v_mul_i32_i24_e32 v131, v251, v101
	;; [unrolled: 1-line block ×5, first 2 shown]
	v_bfe_u32 v46, v30, 16, 2
	v_bfe_u32 v30, v30, 24, 2
	s_delay_alu instid0(VALU_DEP_2) | instskip(NEXT) | instid1(VALU_DEP_2)
	v_mul_i32_i24_e32 v134, v46, v107
	v_mul_i32_i24_e32 v135, v30, v89
	s_wait_dscnt 0x0
	v_ashrrev_i32_e32 v86, s18, v0
	v_add_nc_u32_e32 v0, 0x1098, v19
	v_ashrrev_i32_e32 v87, s18, v1
	s_delay_alu instid0(VALU_DEP_3)
	v_and_b32_e32 v235, 3, v86
	ds_load_2addr_b32 v[0:1], v0 offset1:1
	v_bfe_u32 v227, v86, 8, 2
	v_bfe_u32 v238, v86, 16, 2
	;; [unrolled: 1-line block ×3, first 2 shown]
	v_and_b32_e32 v226, 3, v87
	v_bfe_u32 v228, v87, 8, 2
	v_bfe_u32 v229, v87, 16, 2
	;; [unrolled: 1-line block ×3, first 2 shown]
	v_mul_i32_i24_e32 v86, v240, v31
	s_delay_alu instid0(VALU_DEP_2)
	v_mul_i32_i24_e32 v87, v230, v82
	s_wait_dscnt 0x0
	v_ashrrev_i32_e32 v123, s18, v1
	v_add3_u32 v1, s20, v137, v128
	v_ashrrev_i32_e32 v122, s18, v0
	v_add3_u32 v0, s19, v129, v126
	ds_load_b32 v200, v1
	ds_load_u16 v0, v0
	v_mul_i32_i24_e32 v128, v246, v95
	v_mul_i32_i24_e32 v129, v249, v102
	v_mul_i32_i24_e32 v126, v25, v42
	v_and_b32_e32 v231, 3, v122
	v_bfe_u32 v232, v122, 8, 2
	v_add3_u32 v21, v127, v128, v21
	v_bfe_u32 v233, v122, 16, 2
	v_bfe_u32 v234, v122, 24, 2
	v_and_b32_e32 v236, 3, v123
	v_bfe_u32 v237, v123, 8, 2
	v_add3_u32 v21, v21, v129, v44
	v_mul_i32_i24_e32 v127, v233, v100
	v_mul_i32_i24_e32 v122, v234, v92
	;; [unrolled: 1-line block ×4, first 2 shown]
	v_add3_u32 v21, v21, v125, v126
	v_mul_i32_i24_e32 v125, v231, v98
	v_mul_i32_i24_e32 v126, v232, v99
	v_bfe_u32 v239, v123, 16, 2
	s_wait_dscnt 0x0
	v_bfe_u32 v1, v0, 4, 4
	v_lshrrev_b16 v124, 8, v0
	v_and_b32_e32 v44, 15, v0
	v_bfe_u32 v241, v123, 24, 2
	s_delay_alu instid0(VALU_DEP_4) | instskip(NEXT) | instid1(VALU_DEP_2)
	v_mul_lo_u32 v1, 0x1010101, v1
	v_mul_i32_i24_e32 v123, v241, v93
	s_delay_alu instid0(VALU_DEP_2) | instskip(SKIP_4) | instid1(VALU_DEP_1)
	v_bfe_i32 v201, v1, 0, 8
	v_bfe_i32 v202, v1, 8, 8
	;; [unrolled: 1-line block ×3, first 2 shown]
	v_lshrrev_b32_e32 v204, 24, v1
	v_bfe_u32 v1, v20, 24, 2
	v_mul_i32_i24_e32 v20, v23, v1
	s_delay_alu instid0(VALU_DEP_1) | instskip(SKIP_1) | instid1(VALU_DEP_2)
	v_add3_u32 v20, v21, v20, v130
	v_mul_i32_i24_e32 v130, v239, v106
	v_add3_u32 v20, v20, v131, v22
	v_mul_i32_i24_e32 v22, v238, v79
	s_delay_alu instid0(VALU_DEP_2) | instskip(NEXT) | instid1(VALU_DEP_1)
	v_add3_u32 v20, v20, v132, v133
	v_add3_u32 v20, v20, v134, v135
	s_delay_alu instid0(VALU_DEP_1) | instskip(SKIP_2) | instid1(VALU_DEP_2)
	v_mul_lo_u32 v0, v20, v44
	v_and_b32_e32 v20, 0xffff, v124
	v_mul_i32_i24_e32 v124, v229, v84
	v_lshrrev_b32_e32 v21, 4, v20
	v_and_b32_e32 v242, 15, v20
	s_delay_alu instid0(VALU_DEP_2) | instskip(NEXT) | instid1(VALU_DEP_1)
	v_mul_lo_u32 v21, 0x1010101, v21
	v_bfe_i32 v222, v21, 0, 8
	v_bfe_i32 v223, v21, 8, 8
	;; [unrolled: 1-line block ×3, first 2 shown]
	v_lshrrev_b32_e32 v225, 24, v21
	v_mul_i32_i24_e32 v21, v235, v83
	s_delay_alu instid0(VALU_DEP_1) | instskip(NEXT) | instid1(VALU_DEP_1)
	v_mad_i32_i24 v21, v227, v40, v21
	v_add3_u32 v21, v21, v22, v86
	v_mul_i32_i24_e32 v22, v226, v91
	v_mul_i32_i24_e32 v86, v228, v85
	s_delay_alu instid0(VALU_DEP_1) | instskip(SKIP_2) | instid1(VALU_DEP_3)
	v_add3_u32 v21, v21, v22, v86
	v_mul_i32_i24_e32 v22, v117, v225
	v_mul_i32_i24_e32 v86, v118, v224
	v_add3_u32 v21, v21, v124, v87
	v_mul_i32_i24_e32 v124, v116, v203
	v_mul_i32_i24_e32 v87, v120, v222
	s_delay_alu instid0(VALU_DEP_3) | instskip(SKIP_1) | instid1(VALU_DEP_2)
	v_add3_u32 v21, v21, v125, v126
	v_mul_i32_i24_e32 v125, v115, v201
	v_add3_u32 v21, v21, v127, v122
	s_delay_alu instid0(VALU_DEP_2) | instskip(SKIP_1) | instid1(VALU_DEP_3)
	v_mad_i32_i24 v125, v121, v202, v125
	v_mul_i32_i24_e32 v122, v119, v223
	v_add3_u32 v21, v21, v128, v129
	s_delay_alu instid0(VALU_DEP_1) | instskip(SKIP_1) | instid1(VALU_DEP_1)
	v_add3_u32 v21, v21, v130, v123
	v_mul_i32_i24_e32 v123, v114, v204
	v_add3_u32 v123, v125, v124, v123
	s_delay_alu instid0(VALU_DEP_1) | instskip(NEXT) | instid1(VALU_DEP_1)
	v_add3_u32 v87, v123, v87, v122
	v_add3_u32 v22, v87, v86, v22
	v_mad_co_u64_u32 v[86:87], null, v21, v242, v[0:1]
	v_lshrrev_b32_e32 v0, 16, v200
	s_delay_alu instid0(VALU_DEP_3) | instskip(NEXT) | instid1(VALU_DEP_2)
	v_cvt_f32_i32_e32 v20, v22
	v_cvt_f32_f16_e64 v243, v0
	s_delay_alu instid0(VALU_DEP_4) | instskip(NEXT) | instid1(VALU_DEP_2)
	v_cvt_f32_i32_e32 v0, v86
	v_mul_f32_e32 v20, v243, v20
	s_delay_alu instid0(VALU_DEP_1) | instskip(NEXT) | instid1(VALU_DEP_1)
	v_fma_mix_f32 v0, v200, v0, -v20 op_sel_hi:[1,0,0]
	v_dual_fmac_f32 v147, v18, v0 :: v_dual_add_nc_u32 v0, 0x2100, v19
	scratch_store_b32 off, v147, off offset:24 ; 4-byte Folded Spill
	ds_load_2addr_b32 v[86:87], v0 offset1:1
	v_add_nc_u32_e32 v0, 0x2108, v19
	s_wait_dscnt 0x0
	v_ashrrev_i32_e32 v20, s18, v86
	v_ashrrev_i32_e32 v21, s18, v87
	ds_load_2addr_b32 v[86:87], v0 offset1:1
	v_add_nc_u32_e32 v0, 0x2110, v19
	v_and_b32_e32 v216, 3, v20
	v_and_b32_e32 v205, 3, v21
	v_bfe_u32 v206, v21, 8, 2
	v_bfe_u32 v207, v21, 16, 2
	;; [unrolled: 1-line block ×4, first 2 shown]
	v_mul_i32_i24_e32 v130, v205, v94
	v_bfe_u32 v219, v20, 16, 2
	v_mul_i32_i24_e32 v131, v207, v95
	v_mul_i32_i24_e32 v21, v209, v90
	;; [unrolled: 1-line block ×3, first 2 shown]
	v_mad_i32_i24 v130, v206, v26, v130
	v_mul_i32_i24_e32 v129, v25, v219
	v_bfe_u32 v220, v20, 24, 2
	s_delay_alu instid0(VALU_DEP_3)
	v_add3_u32 v21, v130, v131, v21
	s_wait_dscnt 0x0
	v_ashrrev_i32_e32 v22, s18, v86
	v_ashrrev_i32_e32 v122, s18, v87
	ds_load_2addr_b32 v[86:87], v0 offset1:1
	v_add_nc_u32_e32 v0, 0x2118, v19
	v_mul_i32_i24_e32 v20, v23, v220
	v_and_b32_e32 v210, 3, v22
	v_bfe_u32 v211, v22, 8, 2
	v_bfe_u32 v212, v22, 16, 2
	;; [unrolled: 1-line block ×3, first 2 shown]
	v_and_b32_e32 v214, 3, v122
	v_mul_i32_i24_e32 v132, v210, v102
	v_mul_i32_i24_e32 v133, v211, v97
	;; [unrolled: 1-line block ×4, first 2 shown]
	v_bfe_u32 v215, v122, 8, 2
	v_mul_i32_i24_e32 v135, v214, v113
	v_bfe_u32 v217, v122, 16, 2
	v_bfe_u32 v218, v122, 24, 2
	s_delay_alu instid0(VALU_DEP_4) | instskip(NEXT) | instid1(VALU_DEP_3)
	v_mul_i32_i24_e32 v136, v215, v103
	v_mul_i32_i24_e32 v137, v217, v107
	s_wait_dscnt 0x0
	v_ashrrev_i32_e32 v123, s18, v86
	v_ashrrev_i32_e32 v124, s18, v87
	ds_load_2addr_b32 v[86:87], v0 offset1:1
	v_add3_u32 v0, s20, v153, v149
	v_mul_i32_i24_e32 v122, v218, v89
	v_and_b32_e32 v191, 3, v123
	v_bfe_u32 v183, v123, 8, 2
	v_bfe_u32 v194, v123, 16, 2
	;; [unrolled: 1-line block ×3, first 2 shown]
	v_and_b32_e32 v182, 3, v124
	v_bfe_u32 v184, v124, 8, 2
	v_bfe_u32 v185, v124, 16, 2
	;; [unrolled: 1-line block ×3, first 2 shown]
	s_delay_alu instid0(VALU_DEP_2) | instskip(NEXT) | instid1(VALU_DEP_2)
	v_mul_i32_i24_e32 v123, v185, v84
	v_mul_i32_i24_e32 v124, v186, v82
	s_wait_dscnt 0x0
	v_ashrrev_i32_e32 v125, s18, v86
	v_add3_u32 v86, s19, v150, v148
	ds_load_b32 v0, v0
	ds_load_u16 v86, v86
	v_and_b32_e32 v187, 3, v125
	v_bfe_u32 v188, v125, 8, 2
	v_ashrrev_i32_e32 v87, s18, v87
	v_bfe_u32 v189, v125, 16, 2
	v_bfe_u32 v190, v125, 24, 2
	s_delay_alu instid0(VALU_DEP_3) | instskip(SKIP_1) | instid1(VALU_DEP_3)
	v_and_b32_e32 v192, 3, v87
	v_bfe_u32 v193, v87, 8, 2
	v_mul_i32_i24_e32 v125, v190, v92
	v_bfe_u32 v195, v87, 16, 2
	v_bfe_u32 v197, v87, 24, 2
	s_delay_alu instid0(VALU_DEP_4) | instskip(NEXT) | instid1(VALU_DEP_3)
	v_mul_i32_i24_e32 v130, v193, v105
	v_mul_i32_i24_e32 v131, v195, v106
	s_delay_alu instid0(VALU_DEP_3) | instskip(SKIP_4) | instid1(VALU_DEP_3)
	v_mul_i32_i24_e32 v87, v197, v93
	s_wait_dscnt 0x0
	v_bfe_u32 v127, v86, 4, 4
	v_lshrrev_b16 v126, 8, v86
	v_and_b32_e32 v221, 15, v86
	v_mul_lo_u32 v127, 0x1010101, v127
	s_delay_alu instid0(VALU_DEP_1) | instskip(SKIP_4) | instid1(VALU_DEP_1)
	v_bfe_i32 v154, v127, 0, 8
	v_bfe_i32 v155, v127, 8, 8
	;; [unrolled: 1-line block ×3, first 2 shown]
	v_lshrrev_b32_e32 v157, 24, v127
	v_mul_i32_i24_e32 v127, v24, v216
	v_add3_u32 v21, v21, v132, v127
	v_mul_i32_i24_e32 v127, v188, v99
	s_delay_alu instid0(VALU_DEP_2) | instskip(SKIP_2) | instid1(VALU_DEP_3)
	v_add3_u32 v21, v21, v128, v129
	v_mul_i32_i24_e32 v128, v189, v100
	v_mul_i32_i24_e32 v129, v192, v104
	v_add3_u32 v20, v21, v20, v133
	s_delay_alu instid0(VALU_DEP_1) | instskip(SKIP_1) | instid1(VALU_DEP_2)
	v_add3_u32 v20, v20, v134, v22
	v_mul_i32_i24_e32 v22, v194, v79
	v_add3_u32 v20, v20, v135, v136
	s_delay_alu instid0(VALU_DEP_1) | instskip(SKIP_1) | instid1(VALU_DEP_2)
	v_add3_u32 v20, v20, v137, v122
	v_mul_i32_i24_e32 v122, v196, v31
	v_mul_lo_u32 v86, v20, v221
	v_and_b32_e32 v20, 0xffff, v126
	v_mul_i32_i24_e32 v126, v187, v98
	s_delay_alu instid0(VALU_DEP_2) | instskip(SKIP_2) | instid1(VALU_DEP_3)
	v_lshrrev_b32_e32 v21, 4, v20
	v_and_b32_e32 v198, 15, v20
	v_lshrrev_b32_e32 v20, 16, v0
	v_mul_lo_u32 v21, 0x1010101, v21
	s_delay_alu instid0(VALU_DEP_2) | instskip(NEXT) | instid1(VALU_DEP_2)
	v_cvt_f32_f16_e64 v199, v20
	v_bfe_i32 v178, v21, 0, 8
	v_bfe_i32 v179, v21, 8, 8
	;; [unrolled: 1-line block ×3, first 2 shown]
	v_lshrrev_b32_e32 v181, 24, v21
	v_mul_i32_i24_e32 v21, v191, v83
	s_delay_alu instid0(VALU_DEP_1) | instskip(NEXT) | instid1(VALU_DEP_1)
	v_mad_i32_i24 v21, v183, v40, v21
	v_add3_u32 v21, v21, v22, v122
	v_mul_i32_i24_e32 v22, v182, v91
	v_mul_i32_i24_e32 v122, v184, v85
	s_delay_alu instid0(VALU_DEP_1) | instskip(SKIP_2) | instid1(VALU_DEP_3)
	v_add3_u32 v21, v21, v22, v122
	v_mul_i32_i24_e32 v122, v120, v178
	v_mul_i32_i24_e32 v22, v117, v181
	v_add3_u32 v21, v21, v123, v124
	v_mul_i32_i24_e32 v124, v114, v157
	v_mul_i32_i24_e32 v123, v119, v179
	s_delay_alu instid0(VALU_DEP_3) | instskip(SKIP_1) | instid1(VALU_DEP_2)
	v_add3_u32 v21, v21, v126, v127
	v_mul_i32_i24_e32 v126, v115, v154
	v_add3_u32 v21, v21, v128, v125
	v_mul_i32_i24_e32 v125, v116, v156
	s_delay_alu instid0(VALU_DEP_3) | instskip(NEXT) | instid1(VALU_DEP_3)
	v_mad_i32_i24 v126, v121, v155, v126
	v_add3_u32 v21, v21, v129, v130
	s_delay_alu instid0(VALU_DEP_2) | instskip(SKIP_1) | instid1(VALU_DEP_3)
	v_add3_u32 v124, v126, v125, v124
	v_add3_u32 v125, s20, v159, v152
	;; [unrolled: 1-line block ×3, first 2 shown]
	v_mul_i32_i24_e32 v87, v118, v180
	s_delay_alu instid0(VALU_DEP_4) | instskip(NEXT) | instid1(VALU_DEP_1)
	v_add3_u32 v122, v124, v122, v123
	v_add3_u32 v22, v122, v87, v22
	s_delay_alu instid0(VALU_DEP_4) | instskip(NEXT) | instid1(VALU_DEP_2)
	v_mad_co_u64_u32 v[86:87], null, v21, v198, v[86:87]
	v_cvt_f32_i32_e32 v21, v22
	v_add_nc_u32_e32 v22, 0x3188, v19
	s_delay_alu instid0(VALU_DEP_3) | instskip(NEXT) | instid1(VALU_DEP_3)
	v_cvt_f32_i32_e32 v20, v86
	v_mul_f32_e32 v21, v199, v21
	s_delay_alu instid0(VALU_DEP_1) | instskip(NEXT) | instid1(VALU_DEP_1)
	v_fma_mix_f32 v20, v0, v20, -v21 op_sel_hi:[1,0,0]
	v_dual_fmac_f32 v47, v18, v20 :: v_dual_add_nc_u32 v20, 0x3180, v19
	ds_load_2addr_b32 v[86:87], v20 offset1:1
	s_wait_dscnt 0x0
	v_ashrrev_i32_e32 v20, s18, v86
	v_ashrrev_i32_e32 v21, s18, v87
	ds_load_2addr_b32 v[86:87], v22 offset1:1
	v_bfe_u32 v176, v20, 24, 2
	v_and_b32_e32 v172, 3, v20
	v_bfe_u32 v161, v20, 8, 2
	v_bfe_u32 v175, v20, 16, 2
	;; [unrolled: 1-line block ×3, first 2 shown]
	v_mul_i32_i24_e32 v20, v23, v176
	v_bfe_u32 v160, v21, 16, 2
	v_bfe_u32 v162, v21, 24, 2
	v_mul_i32_i24_e32 v24, v24, v172
	v_mul_i32_i24_e32 v96, v96, v161
	;; [unrolled: 1-line block ×3, first 2 shown]
	s_wait_dscnt 0x0
	v_ashrrev_i32_e32 v22, s18, v86
	v_add_nc_u32_e32 v86, 0x3190, v19
	v_ashrrev_i32_e32 v122, s18, v87
	v_add_nc_u32_e32 v19, 0x3198, v19
	s_delay_alu instid0(VALU_DEP_4)
	v_and_b32_e32 v164, 3, v22
	ds_load_2addr_b32 v[86:87], v86 offset1:1
	v_bfe_u32 v165, v22, 8, 2
	v_bfe_u32 v167, v22, 16, 2
	;; [unrolled: 1-line block ×3, first 2 shown]
	v_and_b32_e32 v170, 3, v122
	v_bfe_u32 v171, v122, 8, 2
	v_bfe_u32 v173, v122, 16, 2
	;; [unrolled: 1-line block ×3, first 2 shown]
	v_mul_i32_i24_e32 v22, v169, v88
	v_mul_i32_i24_e32 v88, v170, v113
	s_delay_alu instid0(VALU_DEP_3)
	v_mul_i32_i24_e32 v89, v174, v89
	s_wait_dscnt 0x0
	v_ashrrev_i32_e32 v123, s18, v86
	v_ashrrev_i32_e32 v124, s18, v87
	ds_load_2addr_b32 v[86:87], v19 offset1:1
	v_add3_u32 v19, s19, v158, v151
	v_and_b32_e32 v158, 3, v21
	v_mul_i32_i24_e32 v21, v162, v90
	v_mul_i32_i24_e32 v90, v164, v102
	ds_load_b32 v130, v125
	ds_load_u16 v19, v19
	v_mul_i32_i24_e32 v102, v173, v107
	v_mul_i32_i24_e32 v23, v158, v94
	;; [unrolled: 1-line block ×6, first 2 shown]
	v_mad_i32_i24 v23, v159, v26, v23
	v_and_b32_e32 v163, 3, v123
	v_bfe_u32 v153, v123, 8, 2
	v_bfe_u32 v166, v123, 16, 2
	v_bfe_u32 v168, v123, 24, 2
	v_add3_u32 v21, v23, v94, v21
	v_and_b32_e32 v141, 3, v124
	v_bfe_u32 v142, v124, 8, 2
	s_wait_dscnt 0x2
	v_ashrrev_i32_e32 v86, s18, v86
	v_mul_i32_i24_e32 v23, v168, v31
	v_add3_u32 v21, v21, v90, v24
	v_bfe_u32 v143, v124, 16, 2
	v_bfe_u32 v144, v124, 24, 2
	s_wait_dscnt 0x0
	v_lshrrev_b16 v125, 8, v19
	v_and_b32_e32 v177, 15, v19
	v_add3_u32 v21, v21, v96, v25
	v_bfe_u32 v126, v19, 4, 4
	v_mul_i32_i24_e32 v24, v143, v84
	v_mul_i32_i24_e32 v25, v144, v82
	v_and_b32_e32 v145, 3, v86
	v_add3_u32 v20, v21, v20, v95
	v_bfe_u32 v146, v86, 8, 2
	v_mul_lo_u32 v126, 0x1010101, v126
	v_bfe_u32 v147, v86, 16, 2
	v_mul_i32_i24_e32 v26, v145, v98
	v_add3_u32 v20, v20, v97, v22
	v_mul_i32_i24_e32 v22, v166, v79
	v_mul_i32_i24_e32 v31, v146, v99
	v_bfe_u32 v148, v86, 24, 2
	v_ashrrev_i32_e32 v87, s18, v87
	v_add3_u32 v20, v20, v88, v101
	v_bfe_i32 v133, v126, 0, 8
	v_bfe_i32 v134, v126, 8, 8
	v_mul_i32_i24_e32 v79, v148, v92
	v_bfe_i32 v135, v126, 16, 8
	v_add3_u32 v20, v20, v102, v89
	v_lshrrev_b32_e32 v136, 24, v126
	v_and_b32_e32 v149, 3, v87
	v_bfe_u32 v150, v87, 8, 2
	v_bfe_u32 v151, v87, 16, 2
	v_mul_lo_u32 v19, v20, v177
	v_and_b32_e32 v20, 0xffff, v125
	v_mul_i32_i24_e32 v82, v149, v104
	v_bfe_u32 v152, v87, 24, 2
	v_mul_i32_i24_e32 v84, v151, v106
	s_delay_alu instid0(VALU_DEP_4) | instskip(SKIP_1) | instid1(VALU_DEP_2)
	v_lshrrev_b32_e32 v21, 4, v20
	v_and_b32_e32 v132, 15, v20
                                        ; kill: def $vgpr20 killed $sgpr0 killed $exec
	v_mul_lo_u32 v21, 0x1010101, v21
	s_delay_alu instid0(VALU_DEP_1)
	v_bfe_i32 v137, v21, 0, 8
	v_bfe_i32 v138, v21, 8, 8
	;; [unrolled: 1-line block ×3, first 2 shown]
	v_lshrrev_b32_e32 v140, 24, v21
	v_mul_i32_i24_e32 v21, v163, v83
	v_mul_i32_i24_e32 v83, v150, v105
	s_delay_alu instid0(VALU_DEP_2) | instskip(SKIP_1) | instid1(VALU_DEP_2)
	v_mad_i32_i24 v21, v153, v40, v21
	v_mul_i32_i24_e32 v40, v147, v100
	v_add3_u32 v21, v21, v22, v23
	v_mul_i32_i24_e32 v22, v141, v91
	v_mul_i32_i24_e32 v23, v142, v85
	;; [unrolled: 1-line block ×3, first 2 shown]
	s_delay_alu instid0(VALU_DEP_2) | instskip(SKIP_2) | instid1(VALU_DEP_3)
	v_add3_u32 v21, v21, v22, v23
	v_mul_i32_i24_e32 v22, v117, v140
	v_mul_i32_i24_e32 v23, v118, v139
	v_add3_u32 v21, v21, v24, v25
	v_mul_i32_i24_e32 v24, v120, v137
	v_mul_i32_i24_e32 v25, v119, v138
	s_delay_alu instid0(VALU_DEP_3) | instskip(SKIP_2) | instid1(VALU_DEP_3)
	v_add3_u32 v21, v21, v26, v31
	v_mul_i32_i24_e32 v26, v114, v136
	v_mul_i32_i24_e32 v31, v116, v135
	v_add3_u32 v21, v21, v40, v79
	v_mul_i32_i24_e32 v40, v115, v133
	s_delay_alu instid0(VALU_DEP_2) | instskip(NEXT) | instid1(VALU_DEP_2)
	v_add3_u32 v21, v21, v82, v83
	v_mad_i32_i24 v40, v121, v134, v40
	s_delay_alu instid0(VALU_DEP_2) | instskip(NEXT) | instid1(VALU_DEP_2)
	v_add3_u32 v21, v21, v84, v85
	v_add3_u32 v26, v40, v31, v26
	s_delay_alu instid0(VALU_DEP_2) | instskip(NEXT) | instid1(VALU_DEP_2)
	v_mad_co_u64_u32 v[82:83], null, v21, v132, v[19:20]
	v_add3_u32 v24, v26, v24, v25
	v_lshrrev_b32_e32 v19, 16, v130
	s_delay_alu instid0(VALU_DEP_2) | instskip(NEXT) | instid1(VALU_DEP_2)
	v_add3_u32 v22, v24, v23, v22
	v_cvt_f32_f16_e64 v131, v19
	v_cvt_f32_i32_e32 v19, v82
	s_delay_alu instid0(VALU_DEP_3) | instskip(NEXT) | instid1(VALU_DEP_1)
	v_cvt_f32_i32_e32 v20, v22
	v_mul_f32_e32 v20, v131, v20
	s_delay_alu instid0(VALU_DEP_1) | instskip(NEXT) | instid1(VALU_DEP_1)
	v_fma_mix_f32 v19, v130, v19, -v20 op_sel_hi:[1,0,0]
	v_fmac_f32_e32 v74, v18, v19
	scratch_load_b32 v18, off, off offset:48 ; 4-byte Folded Reload
	s_wait_loadcnt 0x0
	v_or_b32_e32 v18, s17, v18
	s_delay_alu instid0(VALU_DEP_1)
	v_lshlrev_b32_e32 v19, 2, v18
	v_lshrrev_b32_e32 v18, 1, v18
	ds_load_b32 v20, v18 offset:30368
	ds_load_b128 v[82:85], v19 offset:16896
	ds_load_b128 v[86:89], v19 offset:16912
	s_wait_dscnt 0x1
	v_ashrrev_i32_e32 v21, 24, v82
	s_wait_dscnt 0x0
	v_lshrrev_b16 v18, 8, v86
	v_bfe_i32 v22, v82, 0, 8
	v_bfe_i32 v23, v82, 16, 8
	;; [unrolled: 1-line block ×5, first 2 shown]
	v_lshrrev_b16 v18, 8, v87
	v_bfe_i32 v31, v86, 0, 8
	v_ashrrev_i32_e32 v90, 24, v87
	v_bfe_i32 v91, v87, 16, 8
	v_bfe_i32 v87, v87, 0, 8
	;; [unrolled: 1-line block ×3, first 2 shown]
	v_lshrrev_b16 v18, 8, v84
	v_bfe_i32 v94, v88, 0, 8
	v_bfe_i32 v100, v89, 0, 8
	v_add_nc_u32_e32 v19, v87, v31
	v_ashrrev_i32_e32 v24, 24, v86
	v_bfe_i32 v93, v18, 0, 8
	v_lshrrev_b16 v18, 8, v85
	v_bfe_i32 v25, v86, 16, 8
	v_bfe_i32 v86, v83, 0, 8
	v_add3_u32 v116, v19, v94, v100
	v_mul_i32_i24_e32 v19, v23, v77
	v_bfe_i32 v99, v18, 0, 8
	v_add_nc_u32_e32 v18, v82, v40
	v_mul_i32_i24_e32 v118, v21, v78
	v_ashrrev_i32_e32 v79, 24, v83
	v_bfe_i32 v83, v83, 16, 8
	v_bfe_i32 v98, v84, 0, 8
	v_add3_u32 v117, v18, v93, v99
	v_mul_i32_i24_e32 v18, v22, v76
	v_mul_i32_i24_e32 v120, v13, v79
	;; [unrolled: 1-line block ×3, first 2 shown]
	v_bfe_i32 v97, v84, 16, 8
	v_ashrrev_i32_e32 v84, 24, v84
	v_mad_i32_i24 v18, v82, v11, v18
	v_mul_i32_i24_e32 v121, v68, v98
	v_mul_i32_i24_e32 v122, v14, v93
	v_bfe_i32 v95, v88, 8, 8
	v_bfe_i32 v104, v85, 0, 8
	v_add3_u32 v18, v18, v19, v118
	v_mul_i32_i24_e32 v19, v58, v86
	v_mul_i32_i24_e32 v118, v12, v40
	;; [unrolled: 1-line block ×4, first 2 shown]
	v_bfe_i32 v96, v88, 16, 8
	v_ashrrev_i32_e32 v88, 24, v88
	v_add3_u32 v18, v18, v19, v118
	v_mul_i32_i24_e32 v19, v55, v31
	v_mul_i32_i24_e32 v118, v10, v25
	v_bfe_i32 v101, v89, 8, 8
	v_bfe_i32 v102, v89, 16, 8
	v_add3_u32 v18, v18, v119, v120
	v_mul_i32_i24_e32 v119, v57, v24
	v_mad_i32_i24 v19, v3, v26, v19
	v_mul_i32_i24_e32 v120, v49, v91
	v_ashrrev_i32_e32 v89, 24, v89
	v_add3_u32 v18, v18, v121, v122
	v_mul_i32_i24_e32 v121, v5, v90
	v_add3_u32 v19, v19, v118, v119
	v_mul_i32_i24_e32 v118, v48, v87
	v_mul_i32_i24_e32 v119, v4, v92
	v_add_nc_u32_e32 v107, v90, v24
	v_bfe_i32 v103, v85, 16, 8
	v_ashrrev_i32_e32 v85, 24, v85
	v_mul_i32_i24_e32 v125, v70, v104
	v_add3_u32 v19, v19, v118, v119
	v_mul_i32_i24_e32 v126, v16, v99
	v_add3_u32 v18, v18, v123, v124
	v_mul_i32_i24_e32 v122, v50, v94
	v_mul_i32_i24_e32 v123, v6, v95
	v_add3_u32 v19, v19, v120, v121
	v_add_nc_u32_e32 v105, v92, v26
	v_add_nc_u32_e32 v106, v91, v25
	;; [unrolled: 1-line block ×3, first 2 shown]
	v_add3_u32 v107, v107, v88, v89
	v_mul_i32_i24_e32 v127, v73, v103
	v_mul_i32_i24_e32 v128, v75, v85
	v_add3_u32 v18, v18, v125, v126
	v_mul_i32_i24_e32 v124, v52, v96
	v_mul_i32_i24_e32 v125, v7, v88
	v_add3_u32 v19, v19, v122, v123
	v_add_nc_u32_e32 v113, v83, v23
	v_add_nc_u32_e32 v114, v86, v22
	v_add3_u32 v115, v115, v84, v85
	v_add3_u32 v106, v106, v96, v102
	;; [unrolled: 1-line block ×3, first 2 shown]
	v_mul_i32_i24_e32 v122, v107, v108
	v_add3_u32 v18, v18, v127, v128
	v_mul_i32_i24_e32 v126, v53, v100
	v_mul_i32_i24_e32 v127, v8, v101
	v_add3_u32 v19, v19, v124, v125
	v_add3_u32 v114, v114, v98, v104
	;; [unrolled: 1-line block ×3, first 2 shown]
	v_mul_i32_i24_e32 v118, v117, v109
	v_mul_i32_i24_e32 v119, v116, v112
	;; [unrolled: 1-line block ×4, first 2 shown]
	v_mad_i32_i24 v122, v115, v81, v122
	v_mul_i32_i24_e32 v128, v54, v102
	v_mul_i32_i24_e32 v129, v9, v89
	v_add3_u32 v19, v19, v126, v127
	v_mul_lo_u32 v18, v18, v45
	v_mad_i32_i24 v121, v113, v17, v121
	v_mad_i32_i24 v119, v114, v80, v119
	v_add3_u32 v118, v118, v120, v122
	v_add3_u32 v19, v19, v128, v129
	v_mul_i32_i24_e32 v120, v248, v79
	v_mul_i32_i24_e32 v122, v250, v93
	;; [unrolled: 1-line block ×3, first 2 shown]
	v_add3_u32 v118, v119, v121, v118
	v_mad_co_u64_u32 v[18:19], null, v19, v72, v[18:19]
	v_mul_i32_i24_e32 v119, v246, v83
	v_mul_i32_i24_e32 v121, v249, v98
	s_delay_alu instid0(VALU_DEP_4)
	v_cvt_f32_i32_e32 v19, v118
	v_mul_i32_i24_e32 v118, v21, v1
	v_mul_i32_i24_e32 v124, v252, v84
	;; [unrolled: 1-line block ×3, first 2 shown]
	v_cvt_f32_i32_e32 v18, v18
	v_mul_f32_e32 v19, v41, v19
	v_mul_i32_i24_e32 v126, v254, v99
	v_mul_i32_i24_e32 v127, v46, v103
	;; [unrolled: 1-line block ×4, first 2 shown]
	v_fma_mix_f32 v18, v2, v18, -v19 op_sel_hi:[1,0,0]
	v_mul_i32_i24_e32 v19, v23, v42
	s_delay_alu instid0(VALU_DEP_2) | instskip(SKIP_1) | instid1(VALU_DEP_1)
	v_fmac_f32_e32 v71, v20, v18
	v_mul_i32_i24_e32 v18, v22, v255
	v_mad_i32_i24 v18, v82, v247, v18
	s_delay_alu instid0(VALU_DEP_1) | instskip(SKIP_2) | instid1(VALU_DEP_1)
	v_add3_u32 v18, v18, v19, v118
	v_mul_i32_i24_e32 v19, v244, v86
	v_mul_i32_i24_e32 v118, v245, v40
	v_add3_u32 v18, v18, v19, v118
	v_mul_i32_i24_e32 v19, v235, v31
	v_mul_i32_i24_e32 v118, v238, v25
	s_delay_alu instid0(VALU_DEP_3) | instskip(SKIP_1) | instid1(VALU_DEP_4)
	v_add3_u32 v18, v18, v119, v120
	v_mul_i32_i24_e32 v119, v240, v24
	v_mad_i32_i24 v19, v227, v26, v19
	v_mul_i32_i24_e32 v120, v229, v91
	s_delay_alu instid0(VALU_DEP_4) | instskip(SKIP_1) | instid1(VALU_DEP_4)
	v_add3_u32 v18, v18, v121, v122
	v_mul_i32_i24_e32 v121, v230, v90
	v_add3_u32 v19, v19, v118, v119
	v_mul_i32_i24_e32 v118, v226, v87
	v_mul_i32_i24_e32 v119, v228, v92
	v_add3_u32 v18, v18, v123, v124
	v_mul_i32_i24_e32 v122, v231, v94
	v_mul_i32_i24_e32 v123, v232, v95
	v_mul_i32_i24_e32 v124, v233, v96
	v_add3_u32 v19, v19, v118, v119
	v_add3_u32 v18, v18, v125, v126
	v_mul_i32_i24_e32 v125, v234, v88
	v_mul_i32_i24_e32 v126, v236, v100
	v_mul_i32_i24_e32 v118, v107, v225
	v_add3_u32 v19, v19, v120, v121
	;; [unrolled: 5-line block ×3, first 2 shown]
	v_mul_i32_i24_e32 v122, v115, v204
	v_mul_i32_i24_e32 v123, v113, v203
	;; [unrolled: 1-line block ×3, first 2 shown]
	v_mul_lo_u32 v18, v18, v44
	v_add3_u32 v19, v19, v124, v125
	v_mul_i32_i24_e32 v124, v114, v201
	v_mul_i32_i24_e32 v119, v106, v224
	;; [unrolled: 1-line block ×3, first 2 shown]
	s_delay_alu instid0(VALU_DEP_4) | instskip(NEXT) | instid1(VALU_DEP_4)
	v_add3_u32 v19, v19, v126, v127
	v_mad_i32_i24 v124, v117, v202, v124
	v_mul_i32_i24_e32 v126, v215, v99
	v_mul_i32_i24_e32 v127, v217, v103
	s_delay_alu instid0(VALU_DEP_4) | instskip(NEXT) | instid1(VALU_DEP_4)
	v_add3_u32 v19, v19, v128, v129
	v_add3_u32 v122, v124, v123, v122
	v_mul_i32_i24_e32 v123, v212, v97
	v_mul_i32_i24_e32 v124, v213, v84
	;; [unrolled: 1-line block ×3, first 2 shown]
	v_mad_co_u64_u32 v[18:19], null, v19, v242, v[18:19]
	v_add3_u32 v120, v122, v120, v121
	v_mul_i32_i24_e32 v121, v210, v98
	v_mul_i32_i24_e32 v122, v211, v93
	;; [unrolled: 1-line block ×4, first 2 shown]
	v_add3_u32 v118, v120, v119, v118
	v_cvt_f32_i32_e32 v18, v18
	v_mul_i32_i24_e32 v119, v207, v83
	v_mul_i32_i24_e32 v120, v209, v79
	s_delay_alu instid0(VALU_DEP_4) | instskip(SKIP_2) | instid1(VALU_DEP_3)
	v_cvt_f32_i32_e32 v19, v118
	v_mul_i32_i24_e32 v118, v21, v220
	v_mul_i32_i24_e32 v21, v21, v176
	v_mul_f32_e32 v19, v243, v19
	s_delay_alu instid0(VALU_DEP_1) | instskip(SKIP_1) | instid1(VALU_DEP_2)
	v_fma_mix_f32 v18, v200, v18, -v19 op_sel_hi:[1,0,0]
	v_mul_i32_i24_e32 v19, v23, v219
	v_fmac_f32_e32 v67, v20, v18
	v_mul_i32_i24_e32 v18, v22, v216
	s_delay_alu instid0(VALU_DEP_1) | instskip(NEXT) | instid1(VALU_DEP_1)
	v_mad_i32_i24 v18, v82, v208, v18
	v_add3_u32 v18, v18, v19, v118
	v_mul_i32_i24_e32 v19, v205, v86
	v_mul_i32_i24_e32 v118, v206, v40
	s_delay_alu instid0(VALU_DEP_1) | instskip(SKIP_2) | instid1(VALU_DEP_3)
	v_add3_u32 v18, v18, v19, v118
	v_mul_i32_i24_e32 v19, v191, v31
	v_mul_i32_i24_e32 v118, v194, v25
	v_add3_u32 v18, v18, v119, v120
	v_mul_i32_i24_e32 v119, v196, v24
	s_delay_alu instid0(VALU_DEP_4) | instskip(SKIP_1) | instid1(VALU_DEP_4)
	v_mad_i32_i24 v19, v183, v26, v19
	v_mul_i32_i24_e32 v120, v185, v91
	v_add3_u32 v18, v18, v121, v122
	v_mul_i32_i24_e32 v121, v186, v90
	s_delay_alu instid0(VALU_DEP_4)
	v_add3_u32 v19, v19, v118, v119
	v_mul_i32_i24_e32 v118, v182, v87
	v_mul_i32_i24_e32 v119, v184, v92
	v_add3_u32 v18, v18, v123, v124
	v_mul_i32_i24_e32 v122, v187, v94
	v_mul_i32_i24_e32 v123, v188, v95
	v_mul_i32_i24_e32 v124, v189, v96
	v_add3_u32 v19, v19, v118, v119
	v_add3_u32 v18, v18, v125, v126
	v_mul_i32_i24_e32 v125, v190, v88
	v_mul_i32_i24_e32 v126, v192, v100
	v_mul_i32_i24_e32 v118, v107, v181
	v_add3_u32 v19, v19, v120, v121
	;; [unrolled: 5-line block ×3, first 2 shown]
	v_mul_i32_i24_e32 v122, v115, v157
	v_mul_i32_i24_e32 v123, v113, v156
	;; [unrolled: 1-line block ×3, first 2 shown]
	v_mul_lo_u32 v18, v18, v221
	v_add3_u32 v19, v19, v124, v125
	v_mul_i32_i24_e32 v124, v114, v154
	v_mul_i32_i24_e32 v119, v106, v180
	s_delay_alu instid0(VALU_DEP_3) | instskip(NEXT) | instid1(VALU_DEP_3)
	v_add3_u32 v19, v19, v126, v127
	v_mad_i32_i24 v124, v117, v155, v124
	s_delay_alu instid0(VALU_DEP_2) | instskip(NEXT) | instid1(VALU_DEP_2)
	v_add3_u32 v19, v19, v128, v129
	v_add3_u32 v122, v124, v123, v122
	s_delay_alu instid0(VALU_DEP_2) | instskip(NEXT) | instid1(VALU_DEP_2)
	v_mad_co_u64_u32 v[18:19], null, v19, v198, v[18:19]
	v_add3_u32 v120, v122, v120, v121
	s_delay_alu instid0(VALU_DEP_1) | instskip(NEXT) | instid1(VALU_DEP_3)
	v_add3_u32 v118, v120, v119, v118
	v_cvt_f32_i32_e32 v18, v18
	s_delay_alu instid0(VALU_DEP_2) | instskip(NEXT) | instid1(VALU_DEP_1)
	v_cvt_f32_i32_e32 v19, v118
	v_mul_f32_e32 v19, v199, v19
	s_delay_alu instid0(VALU_DEP_1)
	v_fma_mix_f32 v18, v0, v18, -v19 op_sel_hi:[1,0,0]
	v_mul_i32_i24_e32 v19, v23, v175
	v_mul_i32_i24_e32 v23, v162, v79
	;; [unrolled: 1-line block ×4, first 2 shown]
	v_fmac_f32_e32 v66, v20, v18
	v_mul_i32_i24_e32 v18, v22, v172
	v_mul_i32_i24_e32 v22, v160, v83
	;; [unrolled: 1-line block ×4, first 2 shown]
	s_delay_alu instid0(VALU_DEP_4) | instskip(SKIP_1) | instid1(VALU_DEP_2)
	v_mad_i32_i24 v18, v82, v161, v18
	v_mul_i32_i24_e32 v82, v167, v97
	v_add3_u32 v18, v18, v19, v21
	v_mul_i32_i24_e32 v19, v158, v86
	v_mul_i32_i24_e32 v21, v159, v40
	;; [unrolled: 1-line block ×4, first 2 shown]
	s_delay_alu instid0(VALU_DEP_3)
	v_add3_u32 v18, v18, v19, v21
	v_mul_i32_i24_e32 v19, v163, v31
	v_mul_i32_i24_e32 v21, v166, v25
	v_mul_i32_i24_e32 v25, v145, v94
	v_mul_i32_i24_e32 v31, v147, v96
	v_add3_u32 v18, v18, v22, v23
	v_mul_i32_i24_e32 v22, v168, v24
	v_mad_i32_i24 v19, v153, v26, v19
	v_mul_i32_i24_e32 v23, v143, v91
	v_mul_i32_i24_e32 v24, v144, v90
	;; [unrolled: 1-line block ×3, first 2 shown]
	v_add3_u32 v18, v18, v40, v79
	v_add3_u32 v19, v19, v21, v22
	v_mul_i32_i24_e32 v21, v141, v87
	v_mul_i32_i24_e32 v22, v142, v92
	v_mul_i32_i24_e32 v40, v148, v88
	v_add3_u32 v18, v18, v82, v83
	v_mul_i32_i24_e32 v79, v149, v100
	v_mul_i32_i24_e32 v82, v150, v101
	v_add3_u32 v19, v19, v21, v22
	v_mul_i32_i24_e32 v83, v151, v102
	v_add3_u32 v18, v18, v84, v86
	v_mul_i32_i24_e32 v84, v152, v89
	v_mul_i32_i24_e32 v21, v107, v140
	v_add3_u32 v19, v19, v23, v24
	v_mul_i32_i24_e32 v23, v116, v137
	;; [unrolled: 5-line block ×3, first 2 shown]
	v_mul_i32_i24_e32 v26, v113, v135
	v_mul_lo_u32 v18, v18, v177
	s_delay_alu instid0(VALU_DEP_4) | instskip(SKIP_1) | instid1(VALU_DEP_2)
	v_add3_u32 v19, v19, v31, v40
	v_mul_i32_i24_e32 v31, v114, v133
	v_add3_u32 v19, v19, v79, v82
	s_delay_alu instid0(VALU_DEP_2) | instskip(NEXT) | instid1(VALU_DEP_2)
	v_mad_i32_i24 v31, v117, v134, v31
	v_add3_u32 v19, v19, v83, v84
	s_delay_alu instid0(VALU_DEP_2) | instskip(NEXT) | instid1(VALU_DEP_2)
	v_add3_u32 v25, v31, v26, v25
	v_mad_co_u64_u32 v[18:19], null, v19, v132, v[18:19]
	s_delay_alu instid0(VALU_DEP_2) | instskip(NEXT) | instid1(VALU_DEP_1)
	v_add3_u32 v23, v25, v23, v24
	v_add3_u32 v21, v23, v22, v21
	s_delay_alu instid0(VALU_DEP_3) | instskip(NEXT) | instid1(VALU_DEP_2)
	v_cvt_f32_i32_e32 v18, v18
	v_cvt_f32_i32_e32 v19, v21
	s_delay_alu instid0(VALU_DEP_1) | instskip(NEXT) | instid1(VALU_DEP_1)
	v_mul_f32_e32 v19, v131, v19
	v_fma_mix_f32 v18, v130, v18, -v19 op_sel_hi:[1,0,0]
	s_delay_alu instid0(VALU_DEP_1) | instskip(SKIP_3) | instid1(VALU_DEP_1)
	v_fmac_f32_e32 v65, v20, v18
	scratch_load_b32 v18, off, off offset:40 ; 4-byte Folded Reload
	s_wait_loadcnt 0x0
	v_or_b32_e32 v18, s17, v18
	v_lshlrev_b32_e32 v19, 2, v18
	v_lshrrev_b32_e32 v18, 1, v18
	ds_load_b32 v20, v18 offset:30368
	ds_load_b128 v[82:85], v19 offset:16896
	ds_load_b128 v[86:89], v19 offset:16912
	s_wait_dscnt 0x1
	v_ashrrev_i32_e32 v21, 24, v82
	s_wait_dscnt 0x0
	v_lshrrev_b16 v18, 8, v86
	v_bfe_i32 v22, v82, 0, 8
	v_bfe_i32 v23, v82, 16, 8
	;; [unrolled: 1-line block ×5, first 2 shown]
	v_lshrrev_b16 v18, 8, v87
	v_bfe_i32 v31, v86, 0, 8
	v_ashrrev_i32_e32 v90, 24, v87
	v_bfe_i32 v91, v87, 16, 8
	v_bfe_i32 v87, v87, 0, 8
	;; [unrolled: 1-line block ×3, first 2 shown]
	v_lshrrev_b16 v18, 8, v84
	v_bfe_i32 v94, v88, 0, 8
	v_bfe_i32 v100, v89, 0, 8
	v_add_nc_u32_e32 v19, v87, v31
	v_ashrrev_i32_e32 v24, 24, v86
	v_bfe_i32 v93, v18, 0, 8
	v_lshrrev_b16 v18, 8, v85
	v_bfe_i32 v25, v86, 16, 8
	v_bfe_i32 v86, v83, 0, 8
	v_add3_u32 v116, v19, v94, v100
	v_mul_i32_i24_e32 v19, v23, v77
	v_bfe_i32 v99, v18, 0, 8
	v_add_nc_u32_e32 v18, v82, v40
	v_mul_i32_i24_e32 v118, v21, v78
	v_ashrrev_i32_e32 v79, 24, v83
	v_bfe_i32 v83, v83, 16, 8
	v_bfe_i32 v98, v84, 0, 8
	v_add3_u32 v117, v18, v93, v99
	v_mul_i32_i24_e32 v18, v22, v76
	v_mul_i32_i24_e32 v120, v13, v79
	;; [unrolled: 1-line block ×3, first 2 shown]
	v_bfe_i32 v97, v84, 16, 8
	v_ashrrev_i32_e32 v84, 24, v84
	v_mad_i32_i24 v18, v82, v11, v18
	v_mul_i32_i24_e32 v121, v68, v98
	v_mul_i32_i24_e32 v122, v14, v93
	v_bfe_i32 v95, v88, 8, 8
	v_bfe_i32 v104, v85, 0, 8
	v_add3_u32 v18, v18, v19, v118
	v_mul_i32_i24_e32 v19, v58, v86
	v_mul_i32_i24_e32 v118, v12, v40
	;; [unrolled: 1-line block ×4, first 2 shown]
	v_bfe_i32 v96, v88, 16, 8
	v_ashrrev_i32_e32 v88, 24, v88
	v_add3_u32 v18, v18, v19, v118
	v_mul_i32_i24_e32 v19, v55, v31
	v_mul_i32_i24_e32 v118, v10, v25
	v_bfe_i32 v101, v89, 8, 8
	v_bfe_i32 v102, v89, 16, 8
	v_add3_u32 v18, v18, v119, v120
	v_mul_i32_i24_e32 v119, v57, v24
	v_mad_i32_i24 v19, v3, v26, v19
	v_mul_i32_i24_e32 v120, v49, v91
	v_ashrrev_i32_e32 v89, 24, v89
	v_add3_u32 v18, v18, v121, v122
	v_mul_i32_i24_e32 v121, v5, v90
	v_add3_u32 v19, v19, v118, v119
	v_mul_i32_i24_e32 v118, v48, v87
	v_mul_i32_i24_e32 v119, v4, v92
	v_add_nc_u32_e32 v107, v90, v24
	v_bfe_i32 v103, v85, 16, 8
	v_ashrrev_i32_e32 v85, 24, v85
	v_mul_i32_i24_e32 v125, v70, v104
	v_add3_u32 v19, v19, v118, v119
	v_mul_i32_i24_e32 v126, v16, v99
	v_add3_u32 v18, v18, v123, v124
	v_mul_i32_i24_e32 v122, v50, v94
	v_mul_i32_i24_e32 v123, v6, v95
	v_add3_u32 v19, v19, v120, v121
	v_add_nc_u32_e32 v105, v92, v26
	v_add_nc_u32_e32 v106, v91, v25
	;; [unrolled: 1-line block ×3, first 2 shown]
	v_add3_u32 v107, v107, v88, v89
	v_mul_i32_i24_e32 v127, v73, v103
	v_mul_i32_i24_e32 v128, v75, v85
	v_add3_u32 v18, v18, v125, v126
	v_mul_i32_i24_e32 v124, v52, v96
	v_mul_i32_i24_e32 v125, v7, v88
	v_add3_u32 v19, v19, v122, v123
	v_add_nc_u32_e32 v113, v83, v23
	v_add_nc_u32_e32 v114, v86, v22
	v_add3_u32 v115, v115, v84, v85
	v_add3_u32 v106, v106, v96, v102
	v_add3_u32 v105, v105, v95, v101
	v_mul_i32_i24_e32 v122, v107, v108
	v_add3_u32 v18, v18, v127, v128
	v_mul_i32_i24_e32 v126, v53, v100
	v_mul_i32_i24_e32 v127, v8, v101
	v_add3_u32 v19, v19, v124, v125
	v_add3_u32 v114, v114, v98, v104
	v_add3_u32 v113, v113, v97, v103
	v_mul_i32_i24_e32 v118, v117, v109
	v_mul_i32_i24_e32 v119, v116, v112
	;; [unrolled: 1-line block ×4, first 2 shown]
	v_mad_i32_i24 v122, v115, v81, v122
	v_mul_i32_i24_e32 v128, v54, v102
	v_mul_i32_i24_e32 v129, v9, v89
	v_add3_u32 v19, v19, v126, v127
	v_mul_lo_u32 v18, v18, v45
	v_mad_i32_i24 v121, v113, v17, v121
	v_mad_i32_i24 v119, v114, v80, v119
	v_add3_u32 v118, v118, v120, v122
	v_add3_u32 v19, v19, v128, v129
	v_mul_i32_i24_e32 v120, v248, v79
	v_mul_i32_i24_e32 v122, v250, v93
	;; [unrolled: 1-line block ×3, first 2 shown]
	v_add3_u32 v118, v119, v121, v118
	v_mad_co_u64_u32 v[18:19], null, v19, v72, v[18:19]
	v_mul_i32_i24_e32 v119, v246, v83
	v_mul_i32_i24_e32 v121, v249, v98
	s_delay_alu instid0(VALU_DEP_4)
	v_cvt_f32_i32_e32 v19, v118
	v_mul_i32_i24_e32 v118, v21, v1
	v_mul_i32_i24_e32 v124, v252, v84
	;; [unrolled: 1-line block ×3, first 2 shown]
	v_cvt_f32_i32_e32 v18, v18
	v_mul_f32_e32 v19, v41, v19
	v_mul_i32_i24_e32 v126, v254, v99
	v_mul_i32_i24_e32 v127, v46, v103
	;; [unrolled: 1-line block ×4, first 2 shown]
	v_fma_mix_f32 v18, v2, v18, -v19 op_sel_hi:[1,0,0]
	v_mul_i32_i24_e32 v19, v23, v42
	s_delay_alu instid0(VALU_DEP_2) | instskip(SKIP_1) | instid1(VALU_DEP_1)
	v_fmac_f32_e32 v64, v20, v18
	v_mul_i32_i24_e32 v18, v22, v255
	v_mad_i32_i24 v18, v82, v247, v18
	s_delay_alu instid0(VALU_DEP_1) | instskip(SKIP_2) | instid1(VALU_DEP_1)
	v_add3_u32 v18, v18, v19, v118
	v_mul_i32_i24_e32 v19, v244, v86
	v_mul_i32_i24_e32 v118, v245, v40
	v_add3_u32 v18, v18, v19, v118
	v_mul_i32_i24_e32 v19, v235, v31
	v_mul_i32_i24_e32 v118, v238, v25
	s_delay_alu instid0(VALU_DEP_3) | instskip(SKIP_1) | instid1(VALU_DEP_4)
	v_add3_u32 v18, v18, v119, v120
	v_mul_i32_i24_e32 v119, v240, v24
	v_mad_i32_i24 v19, v227, v26, v19
	v_mul_i32_i24_e32 v120, v229, v91
	s_delay_alu instid0(VALU_DEP_4) | instskip(SKIP_1) | instid1(VALU_DEP_4)
	v_add3_u32 v18, v18, v121, v122
	v_mul_i32_i24_e32 v121, v230, v90
	v_add3_u32 v19, v19, v118, v119
	v_mul_i32_i24_e32 v118, v226, v87
	v_mul_i32_i24_e32 v119, v228, v92
	v_add3_u32 v18, v18, v123, v124
	v_mul_i32_i24_e32 v122, v231, v94
	v_mul_i32_i24_e32 v123, v232, v95
	v_mul_i32_i24_e32 v124, v233, v96
	v_add3_u32 v19, v19, v118, v119
	v_add3_u32 v18, v18, v125, v126
	v_mul_i32_i24_e32 v125, v234, v88
	v_mul_i32_i24_e32 v126, v236, v100
	v_mul_i32_i24_e32 v118, v107, v225
	v_add3_u32 v19, v19, v120, v121
	;; [unrolled: 5-line block ×3, first 2 shown]
	v_mul_i32_i24_e32 v122, v115, v204
	v_mul_i32_i24_e32 v123, v113, v203
	;; [unrolled: 1-line block ×3, first 2 shown]
	v_mul_lo_u32 v18, v18, v44
	v_add3_u32 v19, v19, v124, v125
	v_mul_i32_i24_e32 v124, v114, v201
	v_mul_i32_i24_e32 v119, v106, v224
	;; [unrolled: 1-line block ×3, first 2 shown]
	s_delay_alu instid0(VALU_DEP_4) | instskip(NEXT) | instid1(VALU_DEP_4)
	v_add3_u32 v19, v19, v126, v127
	v_mad_i32_i24 v124, v117, v202, v124
	v_mul_i32_i24_e32 v126, v215, v99
	v_mul_i32_i24_e32 v127, v217, v103
	s_delay_alu instid0(VALU_DEP_4) | instskip(NEXT) | instid1(VALU_DEP_4)
	v_add3_u32 v19, v19, v128, v129
	v_add3_u32 v122, v124, v123, v122
	v_mul_i32_i24_e32 v123, v212, v97
	v_mul_i32_i24_e32 v124, v213, v84
	;; [unrolled: 1-line block ×3, first 2 shown]
	v_mad_co_u64_u32 v[18:19], null, v19, v242, v[18:19]
	v_add3_u32 v120, v122, v120, v121
	v_mul_i32_i24_e32 v121, v210, v98
	v_mul_i32_i24_e32 v122, v211, v93
	;; [unrolled: 1-line block ×4, first 2 shown]
	v_add3_u32 v118, v120, v119, v118
	v_cvt_f32_i32_e32 v18, v18
	v_mul_i32_i24_e32 v119, v207, v83
	v_mul_i32_i24_e32 v120, v209, v79
	s_delay_alu instid0(VALU_DEP_4) | instskip(SKIP_2) | instid1(VALU_DEP_3)
	v_cvt_f32_i32_e32 v19, v118
	v_mul_i32_i24_e32 v118, v21, v220
	v_mul_i32_i24_e32 v21, v21, v176
	v_mul_f32_e32 v19, v243, v19
	s_delay_alu instid0(VALU_DEP_1) | instskip(SKIP_1) | instid1(VALU_DEP_2)
	v_fma_mix_f32 v18, v200, v18, -v19 op_sel_hi:[1,0,0]
	v_mul_i32_i24_e32 v19, v23, v219
	v_fmac_f32_e32 v62, v20, v18
	v_mul_i32_i24_e32 v18, v22, v216
	s_delay_alu instid0(VALU_DEP_1) | instskip(NEXT) | instid1(VALU_DEP_1)
	v_mad_i32_i24 v18, v82, v208, v18
	v_add3_u32 v18, v18, v19, v118
	v_mul_i32_i24_e32 v19, v205, v86
	v_mul_i32_i24_e32 v118, v206, v40
	s_delay_alu instid0(VALU_DEP_1) | instskip(SKIP_2) | instid1(VALU_DEP_3)
	v_add3_u32 v18, v18, v19, v118
	v_mul_i32_i24_e32 v19, v191, v31
	v_mul_i32_i24_e32 v118, v194, v25
	v_add3_u32 v18, v18, v119, v120
	v_mul_i32_i24_e32 v119, v196, v24
	s_delay_alu instid0(VALU_DEP_4) | instskip(SKIP_1) | instid1(VALU_DEP_4)
	v_mad_i32_i24 v19, v183, v26, v19
	v_mul_i32_i24_e32 v120, v185, v91
	v_add3_u32 v18, v18, v121, v122
	v_mul_i32_i24_e32 v121, v186, v90
	s_delay_alu instid0(VALU_DEP_4)
	v_add3_u32 v19, v19, v118, v119
	v_mul_i32_i24_e32 v118, v182, v87
	v_mul_i32_i24_e32 v119, v184, v92
	v_add3_u32 v18, v18, v123, v124
	v_mul_i32_i24_e32 v122, v187, v94
	v_mul_i32_i24_e32 v123, v188, v95
	v_mul_i32_i24_e32 v124, v189, v96
	v_add3_u32 v19, v19, v118, v119
	v_add3_u32 v18, v18, v125, v126
	v_mul_i32_i24_e32 v125, v190, v88
	v_mul_i32_i24_e32 v126, v192, v100
	v_mul_i32_i24_e32 v118, v107, v181
	v_add3_u32 v19, v19, v120, v121
	;; [unrolled: 5-line block ×3, first 2 shown]
	v_mul_i32_i24_e32 v122, v115, v157
	v_mul_i32_i24_e32 v123, v113, v156
	;; [unrolled: 1-line block ×3, first 2 shown]
	v_mul_lo_u32 v18, v18, v221
	v_add3_u32 v19, v19, v124, v125
	v_mul_i32_i24_e32 v124, v114, v154
	v_mul_i32_i24_e32 v119, v106, v180
	s_delay_alu instid0(VALU_DEP_3) | instskip(NEXT) | instid1(VALU_DEP_3)
	v_add3_u32 v19, v19, v126, v127
	v_mad_i32_i24 v124, v117, v155, v124
	s_delay_alu instid0(VALU_DEP_2) | instskip(NEXT) | instid1(VALU_DEP_2)
	v_add3_u32 v19, v19, v128, v129
	v_add3_u32 v122, v124, v123, v122
	s_delay_alu instid0(VALU_DEP_2) | instskip(NEXT) | instid1(VALU_DEP_2)
	v_mad_co_u64_u32 v[18:19], null, v19, v198, v[18:19]
	v_add3_u32 v120, v122, v120, v121
	s_delay_alu instid0(VALU_DEP_1) | instskip(NEXT) | instid1(VALU_DEP_3)
	v_add3_u32 v118, v120, v119, v118
	v_cvt_f32_i32_e32 v18, v18
	s_delay_alu instid0(VALU_DEP_2) | instskip(NEXT) | instid1(VALU_DEP_1)
	v_cvt_f32_i32_e32 v19, v118
	v_mul_f32_e32 v19, v199, v19
	s_delay_alu instid0(VALU_DEP_1)
	v_fma_mix_f32 v18, v0, v18, -v19 op_sel_hi:[1,0,0]
	v_mul_i32_i24_e32 v19, v23, v175
	v_mul_i32_i24_e32 v23, v162, v79
	;; [unrolled: 1-line block ×4, first 2 shown]
	v_fmac_f32_e32 v61, v20, v18
	v_mul_i32_i24_e32 v18, v22, v172
	v_mul_i32_i24_e32 v22, v160, v83
	;; [unrolled: 1-line block ×4, first 2 shown]
	s_delay_alu instid0(VALU_DEP_4) | instskip(SKIP_1) | instid1(VALU_DEP_2)
	v_mad_i32_i24 v18, v82, v161, v18
	v_mul_i32_i24_e32 v82, v167, v97
	v_add3_u32 v18, v18, v19, v21
	v_mul_i32_i24_e32 v19, v158, v86
	v_mul_i32_i24_e32 v21, v159, v40
	;; [unrolled: 1-line block ×4, first 2 shown]
	s_delay_alu instid0(VALU_DEP_3)
	v_add3_u32 v18, v18, v19, v21
	v_mul_i32_i24_e32 v19, v163, v31
	v_mul_i32_i24_e32 v21, v166, v25
	;; [unrolled: 1-line block ×4, first 2 shown]
	v_add3_u32 v18, v18, v22, v23
	v_mul_i32_i24_e32 v22, v168, v24
	v_mad_i32_i24 v19, v153, v26, v19
	v_mul_i32_i24_e32 v23, v143, v91
	v_mul_i32_i24_e32 v24, v144, v90
	v_mul_i32_i24_e32 v26, v146, v95
	v_add3_u32 v18, v18, v40, v79
	v_add3_u32 v19, v19, v21, v22
	v_mul_i32_i24_e32 v21, v141, v87
	v_mul_i32_i24_e32 v22, v142, v92
	;; [unrolled: 1-line block ×3, first 2 shown]
	v_add3_u32 v18, v18, v82, v83
	v_mul_i32_i24_e32 v79, v149, v100
	v_mul_i32_i24_e32 v82, v150, v101
	v_add3_u32 v19, v19, v21, v22
	v_mul_i32_i24_e32 v83, v151, v102
	v_add3_u32 v18, v18, v84, v86
	v_mul_i32_i24_e32 v84, v152, v89
	v_mul_i32_i24_e32 v21, v107, v140
	v_add3_u32 v19, v19, v23, v24
	v_mul_i32_i24_e32 v23, v116, v137
	;; [unrolled: 5-line block ×3, first 2 shown]
	v_mul_i32_i24_e32 v26, v113, v135
	v_mul_lo_u32 v18, v18, v177
	s_delay_alu instid0(VALU_DEP_4) | instskip(SKIP_1) | instid1(VALU_DEP_2)
	v_add3_u32 v19, v19, v31, v40
	v_mul_i32_i24_e32 v31, v114, v133
	v_add3_u32 v19, v19, v79, v82
	s_delay_alu instid0(VALU_DEP_2) | instskip(NEXT) | instid1(VALU_DEP_2)
	v_mad_i32_i24 v31, v117, v134, v31
	v_add3_u32 v19, v19, v83, v84
	s_delay_alu instid0(VALU_DEP_2) | instskip(NEXT) | instid1(VALU_DEP_2)
	v_add3_u32 v25, v31, v26, v25
	v_mad_co_u64_u32 v[18:19], null, v19, v132, v[18:19]
	s_delay_alu instid0(VALU_DEP_2) | instskip(NEXT) | instid1(VALU_DEP_1)
	v_add3_u32 v23, v25, v23, v24
	v_add3_u32 v21, v23, v22, v21
	s_delay_alu instid0(VALU_DEP_3) | instskip(NEXT) | instid1(VALU_DEP_2)
	v_cvt_f32_i32_e32 v18, v18
	v_cvt_f32_i32_e32 v19, v21
	s_delay_alu instid0(VALU_DEP_1) | instskip(NEXT) | instid1(VALU_DEP_1)
	v_mul_f32_e32 v19, v131, v19
	v_fma_mix_f32 v18, v130, v18, -v19 op_sel_hi:[1,0,0]
	s_delay_alu instid0(VALU_DEP_1) | instskip(SKIP_3) | instid1(VALU_DEP_1)
	v_fmac_f32_e32 v60, v20, v18
	scratch_load_b32 v18, off, off offset:44 ; 4-byte Folded Reload
	s_wait_loadcnt 0x0
	v_or_b32_e32 v18, s17, v18
	v_lshlrev_b32_e32 v19, 2, v18
	v_lshrrev_b32_e32 v18, 1, v18
	ds_load_b32 v20, v18 offset:30368
	ds_load_b128 v[82:85], v19 offset:16896
	ds_load_b128 v[86:89], v19 offset:16912
	s_wait_dscnt 0x1
	v_ashrrev_i32_e32 v24, 24, v82
	s_wait_dscnt 0x0
	v_bfe_i32 v93, v86, 0, 8
	v_bfe_i32 v94, v86, 8, 8
	v_bfe_i32 v95, v86, 16, 8
	v_ashrrev_i32_e32 v86, 24, v86
	v_bfe_i32 v96, v87, 0, 8
	v_bfe_i32 v97, v87, 8, 8
	v_bfe_i32 v98, v87, 16, 8
	v_ashrrev_i32_e32 v87, 24, v87
	;; [unrolled: 4-line block ×4, first 2 shown]
	v_add_nc_u32_e32 v18, v87, v86
	v_ashrrev_i32_e32 v40, 24, v83
	v_bfe_i32 v21, v82, 0, 8
	v_bfe_i32 v22, v82, 8, 8
	;; [unrolled: 1-line block ×3, first 2 shown]
	v_add3_u32 v105, v18, v88, v89
	v_add_nc_u32_e32 v18, v98, v95
	v_bfe_i32 v25, v83, 0, 8
	v_bfe_i32 v26, v83, 8, 8
	v_bfe_i32 v31, v83, 16, 8
	v_bfe_i32 v79, v84, 0, 8
	v_add3_u32 v106, v18, v101, v104
	v_add_nc_u32_e32 v18, v96, v93
	v_bfe_i32 v82, v84, 8, 8
	v_bfe_i32 v83, v84, 16, 8
	v_ashrrev_i32_e32 v84, 24, v84
	v_bfe_i32 v90, v85, 0, 8
	v_add3_u32 v107, v18, v99, v102
	v_add_nc_u32_e32 v18, v97, v94
	v_bfe_i32 v91, v85, 8, 8
	v_bfe_i32 v92, v85, 16, 8
	v_ashrrev_i32_e32 v85, 24, v85
	v_mul_i32_i24_e32 v19, v23, v77
	v_add3_u32 v113, v18, v100, v103
	v_add_nc_u32_e32 v18, v40, v24
	v_mul_i32_i24_e32 v118, v24, v78
	v_mul_i32_i24_e32 v119, v63, v31
	v_mul_i32_i24_e32 v120, v13, v40
	v_mul_i32_i24_e32 v121, v68, v79
	v_add3_u32 v114, v18, v84, v85
	v_add_nc_u32_e32 v18, v31, v23
	v_mul_i32_i24_e32 v122, v14, v82
	v_mul_i32_i24_e32 v123, v69, v83
	v_mul_i32_i24_e32 v124, v15, v84
	;; [unrolled: 6-line block ×3, first 2 shown]
	v_mul_i32_i24_e32 v129, v9, v89
	v_add3_u32 v116, v18, v82, v91
	v_add_nc_u32_e32 v18, v25, v21
	s_delay_alu instid0(VALU_DEP_1) | instskip(SKIP_1) | instid1(VALU_DEP_1)
	v_add3_u32 v117, v18, v79, v90
	v_mul_i32_i24_e32 v18, v21, v76
	v_mad_i32_i24 v18, v22, v11, v18
	s_delay_alu instid0(VALU_DEP_1) | instskip(SKIP_2) | instid1(VALU_DEP_1)
	v_add3_u32 v18, v18, v19, v118
	v_mul_i32_i24_e32 v19, v58, v25
	v_mul_i32_i24_e32 v118, v12, v26
	v_add3_u32 v18, v18, v19, v118
	v_mul_i32_i24_e32 v19, v55, v93
	v_mul_i32_i24_e32 v118, v10, v95
	s_delay_alu instid0(VALU_DEP_3) | instskip(SKIP_1) | instid1(VALU_DEP_4)
	v_add3_u32 v18, v18, v119, v120
	v_mul_i32_i24_e32 v119, v57, v86
	v_mad_i32_i24 v19, v3, v94, v19
	v_mul_i32_i24_e32 v120, v49, v98
	s_delay_alu instid0(VALU_DEP_4) | instskip(SKIP_1) | instid1(VALU_DEP_4)
	v_add3_u32 v18, v18, v121, v122
	v_mul_i32_i24_e32 v121, v5, v87
	v_add3_u32 v19, v19, v118, v119
	v_mul_i32_i24_e32 v118, v48, v96
	v_mul_i32_i24_e32 v119, v4, v97
	v_add3_u32 v18, v18, v123, v124
	v_mul_i32_i24_e32 v122, v50, v99
	v_mul_i32_i24_e32 v123, v6, v100
	v_mul_i32_i24_e32 v124, v52, v101
	v_add3_u32 v19, v19, v118, v119
	v_add3_u32 v18, v18, v125, v126
	v_mul_i32_i24_e32 v125, v7, v88
	v_mul_i32_i24_e32 v126, v53, v102
	v_mul_i32_i24_e32 v118, v105, v108
	v_add3_u32 v19, v19, v120, v121
	;; [unrolled: 5-line block ×3, first 2 shown]
	v_mul_i32_i24_e32 v122, v114, v81
	v_mul_i32_i24_e32 v123, v115, v17
	;; [unrolled: 1-line block ×3, first 2 shown]
	v_mul_lo_u32 v18, v18, v45
	v_add3_u32 v19, v19, v124, v125
	v_mul_i32_i24_e32 v124, v117, v80
	v_mul_i32_i24_e32 v119, v106, v111
	;; [unrolled: 1-line block ×3, first 2 shown]
	s_delay_alu instid0(VALU_DEP_4) | instskip(NEXT) | instid1(VALU_DEP_4)
	v_add3_u32 v19, v19, v126, v127
	v_mad_i32_i24 v124, v116, v109, v124
	v_mul_i32_i24_e32 v126, v254, v91
	v_mul_i32_i24_e32 v127, v46, v92
	s_delay_alu instid0(VALU_DEP_4) | instskip(NEXT) | instid1(VALU_DEP_4)
	v_add3_u32 v19, v19, v128, v129
	v_add3_u32 v122, v124, v123, v122
	v_mul_i32_i24_e32 v123, v251, v83
	v_mul_i32_i24_e32 v124, v252, v84
	;; [unrolled: 1-line block ×3, first 2 shown]
	v_mad_co_u64_u32 v[18:19], null, v19, v72, v[18:19]
	v_add3_u32 v120, v122, v120, v121
	v_mul_i32_i24_e32 v121, v249, v79
	v_mul_i32_i24_e32 v122, v250, v82
	;; [unrolled: 1-line block ×3, first 2 shown]
	s_delay_alu instid0(VALU_DEP_4) | instskip(SKIP_3) | instid1(VALU_DEP_4)
	v_add3_u32 v118, v120, v119, v118
	v_cvt_f32_i32_e32 v18, v18
	v_mul_i32_i24_e32 v119, v246, v31
	v_mul_i32_i24_e32 v120, v248, v40
	v_cvt_f32_i32_e32 v19, v118
	v_mul_i32_i24_e32 v118, v24, v1
	s_delay_alu instid0(VALU_DEP_2) | instskip(NEXT) | instid1(VALU_DEP_1)
	v_mul_f32_e32 v19, v41, v19
	v_fma_mix_f32 v18, v2, v18, -v19 op_sel_hi:[1,0,0]
	v_mul_i32_i24_e32 v19, v23, v42
	s_delay_alu instid0(VALU_DEP_2) | instskip(SKIP_1) | instid1(VALU_DEP_1)
	v_fmac_f32_e32 v59, v20, v18
	v_mul_i32_i24_e32 v18, v21, v255
	v_mad_i32_i24 v18, v22, v247, v18
	s_delay_alu instid0(VALU_DEP_1) | instskip(SKIP_2) | instid1(VALU_DEP_1)
	v_add3_u32 v18, v18, v19, v118
	v_mul_i32_i24_e32 v19, v244, v25
	v_mul_i32_i24_e32 v118, v245, v26
	v_add3_u32 v18, v18, v19, v118
	v_mul_i32_i24_e32 v19, v235, v93
	v_mul_i32_i24_e32 v118, v238, v95
	s_delay_alu instid0(VALU_DEP_3) | instskip(SKIP_1) | instid1(VALU_DEP_4)
	v_add3_u32 v18, v18, v119, v120
	v_mul_i32_i24_e32 v119, v240, v86
	v_mad_i32_i24 v19, v227, v94, v19
	v_mul_i32_i24_e32 v120, v229, v98
	s_delay_alu instid0(VALU_DEP_4) | instskip(SKIP_1) | instid1(VALU_DEP_4)
	v_add3_u32 v18, v18, v121, v122
	v_mul_i32_i24_e32 v121, v230, v87
	v_add3_u32 v19, v19, v118, v119
	v_mul_i32_i24_e32 v118, v226, v96
	v_mul_i32_i24_e32 v119, v228, v97
	v_add3_u32 v18, v18, v123, v124
	v_mul_i32_i24_e32 v122, v231, v99
	v_mul_i32_i24_e32 v123, v232, v100
	v_mul_i32_i24_e32 v124, v233, v101
	v_add3_u32 v19, v19, v118, v119
	v_add3_u32 v18, v18, v125, v126
	v_mul_i32_i24_e32 v125, v234, v88
	v_mul_i32_i24_e32 v126, v236, v102
	v_mul_i32_i24_e32 v118, v105, v225
	v_add3_u32 v19, v19, v120, v121
	;; [unrolled: 5-line block ×3, first 2 shown]
	v_mul_i32_i24_e32 v122, v114, v204
	v_mul_i32_i24_e32 v123, v115, v203
	;; [unrolled: 1-line block ×3, first 2 shown]
	v_mul_lo_u32 v18, v18, v44
	v_add3_u32 v19, v19, v124, v125
	v_mul_i32_i24_e32 v124, v117, v201
	v_mul_i32_i24_e32 v119, v106, v224
	s_delay_alu instid0(VALU_DEP_3) | instskip(NEXT) | instid1(VALU_DEP_3)
	v_add3_u32 v19, v19, v126, v127
	v_mad_i32_i24 v124, v116, v202, v124
	v_mul_i32_i24_e32 v126, v215, v91
	v_mul_i32_i24_e32 v127, v217, v92
	s_delay_alu instid0(VALU_DEP_4) | instskip(NEXT) | instid1(VALU_DEP_4)
	v_add3_u32 v19, v19, v128, v129
	v_add3_u32 v122, v124, v123, v122
	v_mul_i32_i24_e32 v123, v212, v83
	v_mul_i32_i24_e32 v124, v213, v84
	;; [unrolled: 1-line block ×3, first 2 shown]
	v_mad_co_u64_u32 v[18:19], null, v19, v242, v[18:19]
	v_add3_u32 v120, v122, v120, v121
	v_mul_i32_i24_e32 v121, v210, v79
	v_mul_i32_i24_e32 v122, v211, v82
	;; [unrolled: 1-line block ×3, first 2 shown]
	s_delay_alu instid0(VALU_DEP_4) | instskip(SKIP_3) | instid1(VALU_DEP_4)
	v_add3_u32 v118, v120, v119, v118
	v_cvt_f32_i32_e32 v18, v18
	v_mul_i32_i24_e32 v119, v207, v31
	v_mul_i32_i24_e32 v120, v209, v40
	v_cvt_f32_i32_e32 v19, v118
	v_mul_i32_i24_e32 v118, v24, v220
	s_delay_alu instid0(VALU_DEP_2) | instskip(SKIP_1) | instid1(VALU_DEP_2)
	v_mul_f32_e32 v19, v243, v19
	v_mul_i32_i24_e32 v125, v214, v90
	v_fma_mix_f32 v18, v200, v18, -v19 op_sel_hi:[1,0,0]
	v_mul_i32_i24_e32 v19, v23, v219
	s_delay_alu instid0(VALU_DEP_2) | instskip(SKIP_1) | instid1(VALU_DEP_1)
	v_fmac_f32_e32 v56, v20, v18
	v_mul_i32_i24_e32 v18, v21, v216
	v_mad_i32_i24 v18, v22, v208, v18
	s_delay_alu instid0(VALU_DEP_1) | instskip(SKIP_2) | instid1(VALU_DEP_1)
	v_add3_u32 v18, v18, v19, v118
	v_mul_i32_i24_e32 v19, v205, v25
	v_mul_i32_i24_e32 v118, v206, v26
	v_add3_u32 v18, v18, v19, v118
	v_mul_i32_i24_e32 v19, v191, v93
	v_mul_i32_i24_e32 v118, v194, v95
	s_delay_alu instid0(VALU_DEP_3) | instskip(SKIP_1) | instid1(VALU_DEP_4)
	v_add3_u32 v18, v18, v119, v120
	v_mul_i32_i24_e32 v119, v196, v86
	v_mad_i32_i24 v19, v183, v94, v19
	v_mul_i32_i24_e32 v120, v185, v98
	s_delay_alu instid0(VALU_DEP_4) | instskip(SKIP_1) | instid1(VALU_DEP_4)
	v_add3_u32 v18, v18, v121, v122
	v_mul_i32_i24_e32 v121, v186, v87
	v_add3_u32 v19, v19, v118, v119
	v_mul_i32_i24_e32 v118, v182, v96
	v_mul_i32_i24_e32 v119, v184, v97
	v_add3_u32 v18, v18, v123, v124
	v_mul_i32_i24_e32 v122, v187, v99
	v_mul_i32_i24_e32 v123, v188, v100
	v_mul_i32_i24_e32 v124, v189, v101
	v_add3_u32 v19, v19, v118, v119
	v_add3_u32 v18, v18, v125, v126
	v_mul_i32_i24_e32 v125, v190, v88
	v_mul_i32_i24_e32 v126, v192, v102
	v_mul_i32_i24_e32 v118, v105, v181
	v_add3_u32 v19, v19, v120, v121
	;; [unrolled: 5-line block ×3, first 2 shown]
	v_mul_i32_i24_e32 v122, v114, v157
	v_mul_i32_i24_e32 v123, v115, v156
	;; [unrolled: 1-line block ×3, first 2 shown]
	v_mul_lo_u32 v18, v18, v221
	v_add3_u32 v19, v19, v124, v125
	v_mul_i32_i24_e32 v124, v117, v154
	v_mul_i32_i24_e32 v119, v106, v180
	s_delay_alu instid0(VALU_DEP_3) | instskip(NEXT) | instid1(VALU_DEP_3)
	v_add3_u32 v19, v19, v126, v127
	v_mad_i32_i24 v124, v116, v155, v124
	s_delay_alu instid0(VALU_DEP_2) | instskip(NEXT) | instid1(VALU_DEP_2)
	v_add3_u32 v19, v19, v128, v129
	v_add3_u32 v122, v124, v123, v122
	s_delay_alu instid0(VALU_DEP_2) | instskip(NEXT) | instid1(VALU_DEP_2)
	v_mad_co_u64_u32 v[18:19], null, v19, v198, v[18:19]
	v_add3_u32 v120, v122, v120, v121
	s_delay_alu instid0(VALU_DEP_1) | instskip(NEXT) | instid1(VALU_DEP_3)
	v_add3_u32 v118, v120, v119, v118
	v_cvt_f32_i32_e32 v18, v18
	s_delay_alu instid0(VALU_DEP_2) | instskip(NEXT) | instid1(VALU_DEP_1)
	v_cvt_f32_i32_e32 v19, v118
	v_mul_f32_e32 v19, v199, v19
	s_delay_alu instid0(VALU_DEP_1) | instskip(SKIP_3) | instid1(VALU_DEP_4)
	v_fma_mix_f32 v18, v0, v18, -v19 op_sel_hi:[1,0,0]
	v_mul_i32_i24_e32 v19, v23, v175
	v_mul_i32_i24_e32 v23, v162, v40
	;; [unrolled: 1-line block ×3, first 2 shown]
	v_fmac_f32_e32 v51, v20, v18
	v_mul_i32_i24_e32 v18, v21, v172
	v_mul_i32_i24_e32 v21, v24, v176
	;; [unrolled: 1-line block ×4, first 2 shown]
	s_delay_alu instid0(VALU_DEP_4) | instskip(SKIP_3) | instid1(VALU_DEP_4)
	v_mad_i32_i24 v18, v22, v161, v18
	v_mul_i32_i24_e32 v22, v160, v31
	v_mul_i32_i24_e32 v31, v169, v84
	;; [unrolled: 1-line block ×3, first 2 shown]
	v_add3_u32 v18, v18, v19, v21
	v_mul_i32_i24_e32 v19, v158, v25
	v_mul_i32_i24_e32 v21, v159, v26
	;; [unrolled: 1-line block ×6, first 2 shown]
	v_add3_u32 v18, v18, v19, v21
	v_mul_i32_i24_e32 v19, v163, v93
	v_mul_i32_i24_e32 v21, v166, v95
	s_delay_alu instid0(VALU_DEP_3) | instskip(SKIP_1) | instid1(VALU_DEP_4)
	v_add3_u32 v18, v18, v22, v23
	v_mul_i32_i24_e32 v22, v168, v86
	v_mad_i32_i24 v19, v153, v94, v19
	v_mul_i32_i24_e32 v23, v143, v98
	s_delay_alu instid0(VALU_DEP_4) | instskip(SKIP_1) | instid1(VALU_DEP_4)
	v_add3_u32 v18, v18, v24, v25
	v_mul_i32_i24_e32 v24, v144, v87
	v_add3_u32 v19, v19, v21, v22
	v_mul_i32_i24_e32 v21, v141, v96
	v_mul_i32_i24_e32 v22, v142, v97
	v_add3_u32 v18, v18, v26, v31
	v_mul_i32_i24_e32 v25, v145, v99
	v_mul_i32_i24_e32 v26, v146, v100
	v_mul_i32_i24_e32 v31, v147, v101
	v_add3_u32 v19, v19, v21, v22
	v_add3_u32 v18, v18, v40, v79
	v_mul_i32_i24_e32 v40, v148, v88
	v_mul_i32_i24_e32 v79, v149, v102
	v_mul_i32_i24_e32 v21, v105, v140
	v_add3_u32 v19, v19, v23, v24
	v_add3_u32 v18, v18, v82, v83
	v_mul_i32_i24_e32 v82, v150, v103
	v_mul_i32_i24_e32 v23, v107, v137
	v_mul_i32_i24_e32 v24, v113, v138
	v_add3_u32 v19, v19, v25, v26
	v_mul_i32_i24_e32 v25, v114, v136
	v_mul_i32_i24_e32 v26, v115, v135
	;; [unrolled: 1-line block ×3, first 2 shown]
	v_mul_lo_u32 v18, v18, v177
	v_add3_u32 v19, v19, v31, v40
	v_mul_i32_i24_e32 v31, v117, v133
	v_mul_i32_i24_e32 v22, v106, v139
	s_delay_alu instid0(VALU_DEP_3) | instskip(NEXT) | instid1(VALU_DEP_3)
	v_add3_u32 v19, v19, v79, v82
	v_mad_i32_i24 v31, v116, v134, v31
	s_delay_alu instid0(VALU_DEP_2) | instskip(NEXT) | instid1(VALU_DEP_2)
	v_add3_u32 v19, v19, v83, v84
	v_add3_u32 v25, v31, v26, v25
	s_delay_alu instid0(VALU_DEP_2) | instskip(NEXT) | instid1(VALU_DEP_2)
	v_mad_co_u64_u32 v[18:19], null, v19, v132, v[18:19]
	v_add3_u32 v23, v25, v23, v24
	s_delay_alu instid0(VALU_DEP_1) | instskip(NEXT) | instid1(VALU_DEP_3)
	v_add3_u32 v21, v23, v22, v21
	v_cvt_f32_i32_e32 v18, v18
	s_delay_alu instid0(VALU_DEP_2) | instskip(NEXT) | instid1(VALU_DEP_1)
	v_cvt_f32_i32_e32 v19, v21
	v_mul_f32_e32 v19, v131, v19
	s_delay_alu instid0(VALU_DEP_1) | instskip(NEXT) | instid1(VALU_DEP_1)
	v_fma_mix_f32 v18, v130, v18, -v19 op_sel_hi:[1,0,0]
	v_fmac_f32_e32 v43, v20, v18
	scratch_load_b32 v18, off, off offset:32 ; 4-byte Folded Reload
	s_wait_loadcnt 0x0
	v_or_b32_e32 v18, s17, v18
	s_delay_alu instid0(VALU_DEP_1)
	v_lshlrev_b32_e32 v19, 2, v18
	v_lshrrev_b32_e32 v18, 1, v18
	ds_load_b32 v20, v18 offset:30368
	ds_load_b128 v[82:85], v19 offset:16896
	ds_load_b128 v[86:89], v19 offset:16912
	s_wait_dscnt 0x1
	v_ashrrev_i32_e32 v24, 24, v82
	s_wait_dscnt 0x0
	v_bfe_i32 v93, v86, 0, 8
	v_bfe_i32 v94, v86, 8, 8
	v_bfe_i32 v95, v86, 16, 8
	v_ashrrev_i32_e32 v86, 24, v86
	v_bfe_i32 v96, v87, 0, 8
	v_bfe_i32 v97, v87, 8, 8
	v_bfe_i32 v98, v87, 16, 8
	v_ashrrev_i32_e32 v87, 24, v87
	;; [unrolled: 4-line block ×4, first 2 shown]
	v_add_nc_u32_e32 v18, v87, v86
	v_ashrrev_i32_e32 v40, 24, v83
	v_bfe_i32 v21, v82, 0, 8
	v_bfe_i32 v22, v82, 8, 8
	;; [unrolled: 1-line block ×3, first 2 shown]
	v_add3_u32 v105, v18, v88, v89
	v_add_nc_u32_e32 v18, v98, v95
	v_bfe_i32 v25, v83, 0, 8
	v_bfe_i32 v26, v83, 8, 8
	;; [unrolled: 1-line block ×4, first 2 shown]
	v_add3_u32 v106, v18, v101, v104
	v_add_nc_u32_e32 v18, v96, v93
	v_bfe_i32 v82, v84, 8, 8
	v_bfe_i32 v83, v84, 16, 8
	v_ashrrev_i32_e32 v84, 24, v84
	v_bfe_i32 v90, v85, 0, 8
	v_add3_u32 v107, v18, v99, v102
	v_add_nc_u32_e32 v18, v97, v94
	v_bfe_i32 v91, v85, 8, 8
	v_bfe_i32 v92, v85, 16, 8
	v_ashrrev_i32_e32 v85, 24, v85
	v_mul_i32_i24_e32 v19, v23, v77
	v_add3_u32 v113, v18, v100, v103
	v_add_nc_u32_e32 v18, v40, v24
	v_mul_i32_i24_e32 v118, v24, v78
	v_mul_i32_i24_e32 v119, v63, v31
	v_mul_i32_i24_e32 v120, v13, v40
	v_mul_i32_i24_e32 v121, v68, v79
	v_add3_u32 v114, v18, v84, v85
	v_add_nc_u32_e32 v18, v31, v23
	v_mul_i32_i24_e32 v122, v14, v82
	v_mul_i32_i24_e32 v123, v69, v83
	v_mul_i32_i24_e32 v124, v15, v84
	;; [unrolled: 6-line block ×3, first 2 shown]
	v_mul_i32_i24_e32 v129, v9, v89
	v_add3_u32 v116, v18, v82, v91
	v_add_nc_u32_e32 v18, v25, v21
	s_delay_alu instid0(VALU_DEP_1) | instskip(SKIP_1) | instid1(VALU_DEP_1)
	v_add3_u32 v117, v18, v79, v90
	v_mul_i32_i24_e32 v18, v21, v76
	v_mad_i32_i24 v18, v22, v11, v18
	s_delay_alu instid0(VALU_DEP_1) | instskip(SKIP_2) | instid1(VALU_DEP_1)
	v_add3_u32 v18, v18, v19, v118
	v_mul_i32_i24_e32 v19, v58, v25
	v_mul_i32_i24_e32 v118, v12, v26
	v_add3_u32 v18, v18, v19, v118
	v_mul_i32_i24_e32 v19, v55, v93
	v_mul_i32_i24_e32 v118, v10, v95
	s_delay_alu instid0(VALU_DEP_3) | instskip(SKIP_1) | instid1(VALU_DEP_4)
	v_add3_u32 v18, v18, v119, v120
	v_mul_i32_i24_e32 v119, v57, v86
	v_mad_i32_i24 v19, v3, v94, v19
	v_mul_i32_i24_e32 v120, v49, v98
	s_delay_alu instid0(VALU_DEP_4) | instskip(SKIP_1) | instid1(VALU_DEP_4)
	v_add3_u32 v18, v18, v121, v122
	v_mul_i32_i24_e32 v121, v5, v87
	v_add3_u32 v19, v19, v118, v119
	v_mul_i32_i24_e32 v118, v48, v96
	v_mul_i32_i24_e32 v119, v4, v97
	v_add3_u32 v18, v18, v123, v124
	v_mul_i32_i24_e32 v122, v50, v99
	v_mul_i32_i24_e32 v123, v6, v100
	v_mul_i32_i24_e32 v124, v52, v101
	v_add3_u32 v19, v19, v118, v119
	v_add3_u32 v18, v18, v125, v126
	v_mul_i32_i24_e32 v125, v7, v88
	v_mul_i32_i24_e32 v126, v53, v102
	v_mul_i32_i24_e32 v118, v105, v108
	v_add3_u32 v19, v19, v120, v121
	;; [unrolled: 5-line block ×3, first 2 shown]
	v_mul_i32_i24_e32 v122, v114, v81
	v_mul_i32_i24_e32 v123, v115, v17
	;; [unrolled: 1-line block ×3, first 2 shown]
	v_mul_lo_u32 v18, v18, v45
	v_add3_u32 v19, v19, v124, v125
	v_mul_i32_i24_e32 v124, v117, v80
	v_mul_i32_i24_e32 v119, v106, v111
	;; [unrolled: 1-line block ×3, first 2 shown]
	s_delay_alu instid0(VALU_DEP_4) | instskip(NEXT) | instid1(VALU_DEP_4)
	v_add3_u32 v19, v19, v126, v127
	v_mad_i32_i24 v124, v116, v109, v124
	v_mul_i32_i24_e32 v126, v254, v91
	v_mul_i32_i24_e32 v127, v46, v92
	s_delay_alu instid0(VALU_DEP_4) | instskip(NEXT) | instid1(VALU_DEP_4)
	v_add3_u32 v19, v19, v128, v129
	v_add3_u32 v122, v124, v123, v122
	v_mul_i32_i24_e32 v123, v251, v83
	v_mul_i32_i24_e32 v124, v252, v84
	;; [unrolled: 1-line block ×3, first 2 shown]
	v_mad_co_u64_u32 v[18:19], null, v19, v72, v[18:19]
	v_add3_u32 v120, v122, v120, v121
	v_mul_i32_i24_e32 v121, v249, v79
	v_mul_i32_i24_e32 v122, v250, v82
	;; [unrolled: 1-line block ×3, first 2 shown]
	s_delay_alu instid0(VALU_DEP_4) | instskip(SKIP_3) | instid1(VALU_DEP_4)
	v_add3_u32 v118, v120, v119, v118
	v_cvt_f32_i32_e32 v18, v18
	v_mul_i32_i24_e32 v119, v246, v31
	v_mul_i32_i24_e32 v120, v248, v40
	v_cvt_f32_i32_e32 v19, v118
	v_mul_i32_i24_e32 v118, v24, v1
	s_delay_alu instid0(VALU_DEP_2) | instskip(NEXT) | instid1(VALU_DEP_1)
	v_mul_f32_e32 v19, v41, v19
	v_fma_mix_f32 v18, v2, v18, -v19 op_sel_hi:[1,0,0]
	v_mul_i32_i24_e32 v19, v23, v42
	s_delay_alu instid0(VALU_DEP_2) | instskip(SKIP_1) | instid1(VALU_DEP_1)
	v_fmac_f32_e32 v39, v20, v18
	v_mul_i32_i24_e32 v18, v21, v255
	v_mad_i32_i24 v18, v22, v247, v18
	s_delay_alu instid0(VALU_DEP_1) | instskip(SKIP_2) | instid1(VALU_DEP_1)
	v_add3_u32 v18, v18, v19, v118
	v_mul_i32_i24_e32 v19, v244, v25
	v_mul_i32_i24_e32 v118, v245, v26
	v_add3_u32 v18, v18, v19, v118
	v_mul_i32_i24_e32 v19, v235, v93
	v_mul_i32_i24_e32 v118, v238, v95
	s_delay_alu instid0(VALU_DEP_3) | instskip(SKIP_1) | instid1(VALU_DEP_4)
	v_add3_u32 v18, v18, v119, v120
	v_mul_i32_i24_e32 v119, v240, v86
	v_mad_i32_i24 v19, v227, v94, v19
	v_mul_i32_i24_e32 v120, v229, v98
	s_delay_alu instid0(VALU_DEP_4) | instskip(SKIP_1) | instid1(VALU_DEP_4)
	v_add3_u32 v18, v18, v121, v122
	v_mul_i32_i24_e32 v121, v230, v87
	v_add3_u32 v19, v19, v118, v119
	v_mul_i32_i24_e32 v118, v226, v96
	v_mul_i32_i24_e32 v119, v228, v97
	v_add3_u32 v18, v18, v123, v124
	v_mul_i32_i24_e32 v122, v231, v99
	v_mul_i32_i24_e32 v123, v232, v100
	v_mul_i32_i24_e32 v124, v233, v101
	v_add3_u32 v19, v19, v118, v119
	v_add3_u32 v18, v18, v125, v126
	v_mul_i32_i24_e32 v125, v234, v88
	v_mul_i32_i24_e32 v126, v236, v102
	v_mul_i32_i24_e32 v118, v105, v225
	v_add3_u32 v19, v19, v120, v121
	v_add3_u32 v18, v18, v127, v128
	v_mul_i32_i24_e32 v127, v237, v103
	v_mul_i32_i24_e32 v120, v107, v222
	v_mul_i32_i24_e32 v121, v113, v223
	v_add3_u32 v19, v19, v122, v123
	v_mul_i32_i24_e32 v122, v114, v204
	v_mul_i32_i24_e32 v123, v115, v203
	;; [unrolled: 1-line block ×3, first 2 shown]
	v_mul_lo_u32 v18, v18, v44
	v_add3_u32 v19, v19, v124, v125
	v_mul_i32_i24_e32 v124, v117, v201
	v_mul_i32_i24_e32 v119, v106, v224
	;; [unrolled: 1-line block ×3, first 2 shown]
	s_delay_alu instid0(VALU_DEP_4) | instskip(NEXT) | instid1(VALU_DEP_4)
	v_add3_u32 v19, v19, v126, v127
	v_mad_i32_i24 v124, v116, v202, v124
	v_mul_i32_i24_e32 v126, v215, v91
	v_mul_i32_i24_e32 v127, v217, v92
	s_delay_alu instid0(VALU_DEP_4) | instskip(NEXT) | instid1(VALU_DEP_4)
	v_add3_u32 v19, v19, v128, v129
	v_add3_u32 v122, v124, v123, v122
	v_mul_i32_i24_e32 v123, v212, v83
	v_mul_i32_i24_e32 v124, v213, v84
	v_mul_i32_i24_e32 v128, v218, v85
	v_mad_co_u64_u32 v[18:19], null, v19, v242, v[18:19]
	v_add3_u32 v120, v122, v120, v121
	v_mul_i32_i24_e32 v121, v210, v79
	v_mul_i32_i24_e32 v122, v211, v82
	;; [unrolled: 1-line block ×3, first 2 shown]
	s_delay_alu instid0(VALU_DEP_4) | instskip(SKIP_3) | instid1(VALU_DEP_4)
	v_add3_u32 v118, v120, v119, v118
	v_cvt_f32_i32_e32 v18, v18
	v_mul_i32_i24_e32 v119, v207, v31
	v_mul_i32_i24_e32 v120, v209, v40
	v_cvt_f32_i32_e32 v19, v118
	v_mul_i32_i24_e32 v118, v24, v220
	s_delay_alu instid0(VALU_DEP_2) | instskip(NEXT) | instid1(VALU_DEP_1)
	v_mul_f32_e32 v19, v243, v19
	v_fma_mix_f32 v18, v200, v18, -v19 op_sel_hi:[1,0,0]
	v_mul_i32_i24_e32 v19, v23, v219
	s_delay_alu instid0(VALU_DEP_2) | instskip(SKIP_1) | instid1(VALU_DEP_1)
	v_fmac_f32_e32 v38, v20, v18
	v_mul_i32_i24_e32 v18, v21, v216
	v_mad_i32_i24 v18, v22, v208, v18
	s_delay_alu instid0(VALU_DEP_1) | instskip(SKIP_2) | instid1(VALU_DEP_1)
	v_add3_u32 v18, v18, v19, v118
	v_mul_i32_i24_e32 v19, v205, v25
	v_mul_i32_i24_e32 v118, v206, v26
	v_add3_u32 v18, v18, v19, v118
	v_mul_i32_i24_e32 v19, v191, v93
	v_mul_i32_i24_e32 v118, v194, v95
	s_delay_alu instid0(VALU_DEP_3) | instskip(SKIP_1) | instid1(VALU_DEP_4)
	v_add3_u32 v18, v18, v119, v120
	v_mul_i32_i24_e32 v119, v196, v86
	v_mad_i32_i24 v19, v183, v94, v19
	v_mul_i32_i24_e32 v120, v185, v98
	s_delay_alu instid0(VALU_DEP_4) | instskip(SKIP_1) | instid1(VALU_DEP_4)
	v_add3_u32 v18, v18, v121, v122
	v_mul_i32_i24_e32 v121, v186, v87
	v_add3_u32 v19, v19, v118, v119
	v_mul_i32_i24_e32 v118, v182, v96
	v_mul_i32_i24_e32 v119, v184, v97
	v_add3_u32 v18, v18, v123, v124
	v_mul_i32_i24_e32 v122, v187, v99
	v_mul_i32_i24_e32 v123, v188, v100
	v_mul_i32_i24_e32 v124, v189, v101
	v_add3_u32 v19, v19, v118, v119
	v_add3_u32 v18, v18, v125, v126
	v_mul_i32_i24_e32 v125, v190, v88
	v_mul_i32_i24_e32 v126, v192, v102
	v_mul_i32_i24_e32 v118, v105, v181
	v_add3_u32 v19, v19, v120, v121
	;; [unrolled: 5-line block ×3, first 2 shown]
	v_mul_i32_i24_e32 v122, v114, v157
	v_mul_i32_i24_e32 v123, v115, v156
	;; [unrolled: 1-line block ×3, first 2 shown]
	v_mul_lo_u32 v18, v18, v221
	v_add3_u32 v19, v19, v124, v125
	v_mul_i32_i24_e32 v124, v117, v154
	v_mul_i32_i24_e32 v119, v106, v180
	s_delay_alu instid0(VALU_DEP_3) | instskip(NEXT) | instid1(VALU_DEP_3)
	v_add3_u32 v19, v19, v126, v127
	v_mad_i32_i24 v124, v116, v155, v124
	s_delay_alu instid0(VALU_DEP_2) | instskip(NEXT) | instid1(VALU_DEP_2)
	v_add3_u32 v19, v19, v128, v129
	v_add3_u32 v122, v124, v123, v122
	s_delay_alu instid0(VALU_DEP_2) | instskip(NEXT) | instid1(VALU_DEP_2)
	v_mad_co_u64_u32 v[18:19], null, v19, v198, v[18:19]
	v_add3_u32 v120, v122, v120, v121
	s_delay_alu instid0(VALU_DEP_1) | instskip(NEXT) | instid1(VALU_DEP_3)
	v_add3_u32 v118, v120, v119, v118
	v_cvt_f32_i32_e32 v18, v18
	s_delay_alu instid0(VALU_DEP_2) | instskip(NEXT) | instid1(VALU_DEP_1)
	v_cvt_f32_i32_e32 v19, v118
	v_mul_f32_e32 v19, v199, v19
	s_delay_alu instid0(VALU_DEP_1) | instskip(SKIP_3) | instid1(VALU_DEP_4)
	v_fma_mix_f32 v18, v0, v18, -v19 op_sel_hi:[1,0,0]
	v_mul_i32_i24_e32 v19, v23, v175
	v_mul_i32_i24_e32 v23, v162, v40
	;; [unrolled: 1-line block ×3, first 2 shown]
	v_fmac_f32_e32 v37, v20, v18
	v_mul_i32_i24_e32 v18, v21, v172
	v_mul_i32_i24_e32 v21, v24, v176
	;; [unrolled: 1-line block ×4, first 2 shown]
	s_delay_alu instid0(VALU_DEP_4) | instskip(SKIP_3) | instid1(VALU_DEP_4)
	v_mad_i32_i24 v18, v22, v161, v18
	v_mul_i32_i24_e32 v22, v160, v31
	v_mul_i32_i24_e32 v31, v169, v84
	;; [unrolled: 1-line block ×3, first 2 shown]
	v_add3_u32 v18, v18, v19, v21
	v_mul_i32_i24_e32 v19, v158, v25
	v_mul_i32_i24_e32 v21, v159, v26
	;; [unrolled: 1-line block ×6, first 2 shown]
	v_add3_u32 v18, v18, v19, v21
	v_mul_i32_i24_e32 v19, v163, v93
	v_mul_i32_i24_e32 v21, v166, v95
	s_delay_alu instid0(VALU_DEP_3) | instskip(SKIP_1) | instid1(VALU_DEP_4)
	v_add3_u32 v18, v18, v22, v23
	v_mul_i32_i24_e32 v22, v168, v86
	v_mad_i32_i24 v19, v153, v94, v19
	v_mul_i32_i24_e32 v23, v143, v98
	s_delay_alu instid0(VALU_DEP_4) | instskip(SKIP_1) | instid1(VALU_DEP_4)
	v_add3_u32 v18, v18, v24, v25
	v_mul_i32_i24_e32 v24, v144, v87
	v_add3_u32 v19, v19, v21, v22
	v_mul_i32_i24_e32 v21, v141, v96
	v_mul_i32_i24_e32 v22, v142, v97
	v_add3_u32 v18, v18, v26, v31
	v_mul_i32_i24_e32 v25, v145, v99
	v_mul_i32_i24_e32 v26, v146, v100
	v_mul_i32_i24_e32 v31, v147, v101
	v_add3_u32 v19, v19, v21, v22
	v_add3_u32 v18, v18, v40, v79
	v_mul_i32_i24_e32 v40, v148, v88
	v_mul_i32_i24_e32 v79, v149, v102
	v_mul_i32_i24_e32 v21, v105, v140
	v_add3_u32 v19, v19, v23, v24
	;; [unrolled: 5-line block ×3, first 2 shown]
	v_mul_i32_i24_e32 v25, v114, v136
	v_mul_i32_i24_e32 v26, v115, v135
	;; [unrolled: 1-line block ×3, first 2 shown]
	v_mul_lo_u32 v18, v18, v177
	v_add3_u32 v19, v19, v31, v40
	v_mul_i32_i24_e32 v31, v117, v133
	v_mul_i32_i24_e32 v22, v106, v139
	s_delay_alu instid0(VALU_DEP_3) | instskip(NEXT) | instid1(VALU_DEP_3)
	v_add3_u32 v19, v19, v79, v82
	v_mad_i32_i24 v31, v116, v134, v31
	s_delay_alu instid0(VALU_DEP_2) | instskip(NEXT) | instid1(VALU_DEP_2)
	v_add3_u32 v19, v19, v83, v84
	v_add3_u32 v25, v31, v26, v25
	s_delay_alu instid0(VALU_DEP_2) | instskip(NEXT) | instid1(VALU_DEP_2)
	v_mad_co_u64_u32 v[18:19], null, v19, v132, v[18:19]
	v_add3_u32 v23, v25, v23, v24
	s_delay_alu instid0(VALU_DEP_1) | instskip(NEXT) | instid1(VALU_DEP_3)
	v_add3_u32 v21, v23, v22, v21
	v_cvt_f32_i32_e32 v18, v18
	s_delay_alu instid0(VALU_DEP_2) | instskip(NEXT) | instid1(VALU_DEP_1)
	v_cvt_f32_i32_e32 v19, v21
	v_mul_f32_e32 v19, v131, v19
	s_delay_alu instid0(VALU_DEP_1) | instskip(NEXT) | instid1(VALU_DEP_1)
	v_fma_mix_f32 v18, v130, v18, -v19 op_sel_hi:[1,0,0]
	v_fmac_f32_e32 v36, v20, v18
	scratch_load_b32 v18, off, off offset:36 ; 4-byte Folded Reload
	s_wait_loadcnt 0x0
	v_or_b32_e32 v18, s17, v18
	s_delay_alu instid0(VALU_DEP_1)
	v_lshlrev_b32_e32 v19, 2, v18
	v_lshrrev_b32_e32 v18, 1, v18
	ds_load_b32 v20, v18 offset:30368
	ds_load_b128 v[82:85], v19 offset:16896
	ds_load_b128 v[86:89], v19 offset:16912
	s_wait_dscnt 0x1
	v_ashrrev_i32_e32 v24, 24, v82
	s_wait_dscnt 0x0
	v_bfe_i32 v93, v86, 0, 8
	v_bfe_i32 v94, v86, 8, 8
	v_bfe_i32 v95, v86, 16, 8
	v_ashrrev_i32_e32 v86, 24, v86
	v_bfe_i32 v96, v87, 0, 8
	v_bfe_i32 v97, v87, 8, 8
	v_bfe_i32 v98, v87, 16, 8
	v_ashrrev_i32_e32 v87, 24, v87
	v_bfe_i32 v99, v88, 0, 8
	v_bfe_i32 v100, v88, 8, 8
	v_bfe_i32 v101, v88, 16, 8
	v_ashrrev_i32_e32 v88, 24, v88
	v_bfe_i32 v102, v89, 0, 8
	v_bfe_i32 v103, v89, 8, 8
	v_bfe_i32 v104, v89, 16, 8
	v_ashrrev_i32_e32 v89, 24, v89
	v_add_nc_u32_e32 v18, v87, v86
	v_ashrrev_i32_e32 v40, 24, v83
	v_bfe_i32 v21, v82, 0, 8
	v_bfe_i32 v22, v82, 8, 8
	;; [unrolled: 1-line block ×3, first 2 shown]
	v_add3_u32 v105, v18, v88, v89
	v_add_nc_u32_e32 v18, v98, v95
	v_bfe_i32 v25, v83, 0, 8
	v_bfe_i32 v26, v83, 8, 8
	;; [unrolled: 1-line block ×4, first 2 shown]
	v_add3_u32 v106, v18, v101, v104
	v_add_nc_u32_e32 v18, v96, v93
	v_bfe_i32 v82, v84, 8, 8
	v_bfe_i32 v83, v84, 16, 8
	v_ashrrev_i32_e32 v84, 24, v84
	v_bfe_i32 v90, v85, 0, 8
	v_add3_u32 v107, v18, v99, v102
	v_add_nc_u32_e32 v18, v97, v94
	v_bfe_i32 v91, v85, 8, 8
	v_bfe_i32 v92, v85, 16, 8
	v_ashrrev_i32_e32 v85, 24, v85
	v_mul_i32_i24_e32 v19, v23, v77
	v_add3_u32 v113, v18, v100, v103
	v_add_nc_u32_e32 v18, v40, v24
	v_mul_i32_i24_e32 v118, v24, v78
	v_mul_i32_i24_e32 v119, v63, v31
	v_mul_i32_i24_e32 v120, v13, v40
	v_mul_i32_i24_e32 v121, v68, v79
	v_add3_u32 v114, v18, v84, v85
	v_add_nc_u32_e32 v18, v31, v23
	v_mul_i32_i24_e32 v122, v14, v82
	v_mul_i32_i24_e32 v123, v69, v83
	v_mul_i32_i24_e32 v124, v15, v84
	;; [unrolled: 6-line block ×3, first 2 shown]
	v_mul_i32_i24_e32 v129, v9, v89
	v_add3_u32 v116, v18, v82, v91
	v_add_nc_u32_e32 v18, v25, v21
	s_delay_alu instid0(VALU_DEP_1) | instskip(SKIP_1) | instid1(VALU_DEP_1)
	v_add3_u32 v117, v18, v79, v90
	v_mul_i32_i24_e32 v18, v21, v76
	v_mad_i32_i24 v18, v22, v11, v18
	s_delay_alu instid0(VALU_DEP_1) | instskip(SKIP_2) | instid1(VALU_DEP_1)
	v_add3_u32 v18, v18, v19, v118
	v_mul_i32_i24_e32 v19, v58, v25
	v_mul_i32_i24_e32 v118, v12, v26
	v_add3_u32 v18, v18, v19, v118
	v_mul_i32_i24_e32 v19, v55, v93
	v_mul_i32_i24_e32 v118, v10, v95
	s_delay_alu instid0(VALU_DEP_3) | instskip(SKIP_1) | instid1(VALU_DEP_4)
	v_add3_u32 v18, v18, v119, v120
	v_mul_i32_i24_e32 v119, v57, v86
	v_mad_i32_i24 v19, v3, v94, v19
	v_mul_i32_i24_e32 v120, v49, v98
	s_delay_alu instid0(VALU_DEP_4) | instskip(SKIP_1) | instid1(VALU_DEP_4)
	v_add3_u32 v18, v18, v121, v122
	v_mul_i32_i24_e32 v121, v5, v87
	v_add3_u32 v19, v19, v118, v119
	v_mul_i32_i24_e32 v118, v48, v96
	v_mul_i32_i24_e32 v119, v4, v97
	v_add3_u32 v18, v18, v123, v124
	v_mul_i32_i24_e32 v122, v50, v99
	v_mul_i32_i24_e32 v123, v6, v100
	v_mul_i32_i24_e32 v124, v52, v101
	v_add3_u32 v19, v19, v118, v119
	v_add3_u32 v18, v18, v125, v126
	v_mul_i32_i24_e32 v125, v7, v88
	v_mul_i32_i24_e32 v126, v53, v102
	v_mul_i32_i24_e32 v118, v105, v108
	v_add3_u32 v19, v19, v120, v121
	;; [unrolled: 5-line block ×3, first 2 shown]
	v_mul_i32_i24_e32 v122, v114, v81
	v_mul_i32_i24_e32 v123, v115, v17
	;; [unrolled: 1-line block ×3, first 2 shown]
	v_mul_lo_u32 v18, v18, v45
	v_add3_u32 v19, v19, v124, v125
	v_mul_i32_i24_e32 v124, v117, v80
	v_mul_i32_i24_e32 v119, v106, v111
	v_mul_i32_i24_e32 v125, v253, v90
	s_delay_alu instid0(VALU_DEP_4) | instskip(NEXT) | instid1(VALU_DEP_4)
	v_add3_u32 v19, v19, v126, v127
	v_mad_i32_i24 v124, v116, v109, v124
	v_mul_i32_i24_e32 v126, v254, v91
	v_mul_i32_i24_e32 v127, v46, v92
	s_delay_alu instid0(VALU_DEP_4) | instskip(NEXT) | instid1(VALU_DEP_4)
	v_add3_u32 v19, v19, v128, v129
	v_add3_u32 v122, v124, v123, v122
	v_mul_i32_i24_e32 v123, v251, v83
	v_mul_i32_i24_e32 v124, v252, v84
	;; [unrolled: 1-line block ×3, first 2 shown]
	v_mad_co_u64_u32 v[18:19], null, v19, v72, v[18:19]
	v_add3_u32 v120, v122, v120, v121
	v_mul_i32_i24_e32 v121, v249, v79
	v_mul_i32_i24_e32 v122, v250, v82
	v_mul_i32_i24_e32 v129, v241, v89
	s_delay_alu instid0(VALU_DEP_4) | instskip(SKIP_3) | instid1(VALU_DEP_4)
	v_add3_u32 v118, v120, v119, v118
	v_cvt_f32_i32_e32 v18, v18
	v_mul_i32_i24_e32 v119, v246, v31
	v_mul_i32_i24_e32 v120, v248, v40
	v_cvt_f32_i32_e32 v19, v118
	v_mul_i32_i24_e32 v118, v24, v1
	s_delay_alu instid0(VALU_DEP_2) | instskip(NEXT) | instid1(VALU_DEP_1)
	v_mul_f32_e32 v19, v41, v19
	v_fma_mix_f32 v18, v2, v18, -v19 op_sel_hi:[1,0,0]
	v_mul_i32_i24_e32 v19, v23, v42
	s_delay_alu instid0(VALU_DEP_2) | instskip(SKIP_1) | instid1(VALU_DEP_1)
	v_fmac_f32_e32 v35, v20, v18
	v_mul_i32_i24_e32 v18, v21, v255
	v_mad_i32_i24 v18, v22, v247, v18
	s_delay_alu instid0(VALU_DEP_1) | instskip(SKIP_2) | instid1(VALU_DEP_1)
	v_add3_u32 v18, v18, v19, v118
	v_mul_i32_i24_e32 v19, v244, v25
	v_mul_i32_i24_e32 v118, v245, v26
	v_add3_u32 v18, v18, v19, v118
	v_mul_i32_i24_e32 v19, v235, v93
	v_mul_i32_i24_e32 v118, v238, v95
	s_delay_alu instid0(VALU_DEP_3) | instskip(SKIP_1) | instid1(VALU_DEP_4)
	v_add3_u32 v18, v18, v119, v120
	v_mul_i32_i24_e32 v119, v240, v86
	v_mad_i32_i24 v19, v227, v94, v19
	v_mul_i32_i24_e32 v120, v229, v98
	s_delay_alu instid0(VALU_DEP_4) | instskip(SKIP_1) | instid1(VALU_DEP_4)
	v_add3_u32 v18, v18, v121, v122
	v_mul_i32_i24_e32 v121, v230, v87
	v_add3_u32 v19, v19, v118, v119
	v_mul_i32_i24_e32 v118, v226, v96
	v_mul_i32_i24_e32 v119, v228, v97
	v_add3_u32 v18, v18, v123, v124
	v_mul_i32_i24_e32 v122, v231, v99
	v_mul_i32_i24_e32 v123, v232, v100
	v_mul_i32_i24_e32 v124, v233, v101
	v_add3_u32 v19, v19, v118, v119
	v_add3_u32 v18, v18, v125, v126
	v_mul_i32_i24_e32 v125, v234, v88
	v_mul_i32_i24_e32 v126, v236, v102
	v_mul_i32_i24_e32 v118, v105, v225
	v_add3_u32 v19, v19, v120, v121
	;; [unrolled: 5-line block ×3, first 2 shown]
	v_mul_i32_i24_e32 v122, v114, v204
	v_mul_i32_i24_e32 v123, v115, v203
	;; [unrolled: 1-line block ×3, first 2 shown]
	v_mul_lo_u32 v18, v18, v44
	v_add3_u32 v19, v19, v124, v125
	v_mul_i32_i24_e32 v124, v117, v201
	v_mul_i32_i24_e32 v119, v106, v224
	;; [unrolled: 1-line block ×3, first 2 shown]
	s_delay_alu instid0(VALU_DEP_4) | instskip(NEXT) | instid1(VALU_DEP_4)
	v_add3_u32 v19, v19, v126, v127
	v_mad_i32_i24 v124, v116, v202, v124
	v_mul_i32_i24_e32 v126, v215, v91
	v_mul_i32_i24_e32 v127, v217, v92
	s_delay_alu instid0(VALU_DEP_4) | instskip(NEXT) | instid1(VALU_DEP_4)
	v_add3_u32 v19, v19, v128, v129
	v_add3_u32 v122, v124, v123, v122
	v_mul_i32_i24_e32 v123, v212, v83
	v_mul_i32_i24_e32 v124, v213, v84
	;; [unrolled: 1-line block ×3, first 2 shown]
	v_mad_co_u64_u32 v[18:19], null, v19, v242, v[18:19]
	v_add3_u32 v120, v122, v120, v121
	v_mul_i32_i24_e32 v121, v210, v79
	v_mul_i32_i24_e32 v122, v211, v82
	v_mul_i32_i24_e32 v129, v197, v89
	s_delay_alu instid0(VALU_DEP_4) | instskip(SKIP_3) | instid1(VALU_DEP_4)
	v_add3_u32 v118, v120, v119, v118
	v_cvt_f32_i32_e32 v18, v18
	v_mul_i32_i24_e32 v119, v207, v31
	v_mul_i32_i24_e32 v120, v209, v40
	v_cvt_f32_i32_e32 v19, v118
	v_mul_i32_i24_e32 v118, v24, v220
	s_delay_alu instid0(VALU_DEP_2) | instskip(NEXT) | instid1(VALU_DEP_1)
	v_mul_f32_e32 v19, v243, v19
	v_fma_mix_f32 v18, v200, v18, -v19 op_sel_hi:[1,0,0]
	v_mul_i32_i24_e32 v19, v23, v219
	s_delay_alu instid0(VALU_DEP_2) | instskip(SKIP_1) | instid1(VALU_DEP_1)
	v_fmac_f32_e32 v34, v20, v18
	v_mul_i32_i24_e32 v18, v21, v216
	v_mad_i32_i24 v18, v22, v208, v18
	s_delay_alu instid0(VALU_DEP_1) | instskip(SKIP_2) | instid1(VALU_DEP_1)
	v_add3_u32 v18, v18, v19, v118
	v_mul_i32_i24_e32 v19, v205, v25
	v_mul_i32_i24_e32 v118, v206, v26
	v_add3_u32 v18, v18, v19, v118
	v_mul_i32_i24_e32 v19, v191, v93
	v_mul_i32_i24_e32 v118, v194, v95
	s_delay_alu instid0(VALU_DEP_3) | instskip(SKIP_1) | instid1(VALU_DEP_4)
	v_add3_u32 v18, v18, v119, v120
	v_mul_i32_i24_e32 v119, v196, v86
	v_mad_i32_i24 v19, v183, v94, v19
	v_mul_i32_i24_e32 v120, v185, v98
	s_delay_alu instid0(VALU_DEP_4) | instskip(SKIP_1) | instid1(VALU_DEP_4)
	v_add3_u32 v18, v18, v121, v122
	v_mul_i32_i24_e32 v121, v186, v87
	v_add3_u32 v19, v19, v118, v119
	v_mul_i32_i24_e32 v118, v182, v96
	v_mul_i32_i24_e32 v119, v184, v97
	v_add3_u32 v18, v18, v123, v124
	v_mul_i32_i24_e32 v122, v187, v99
	v_mul_i32_i24_e32 v123, v188, v100
	v_mul_i32_i24_e32 v124, v189, v101
	v_add3_u32 v19, v19, v118, v119
	v_add3_u32 v18, v18, v125, v126
	v_mul_i32_i24_e32 v125, v190, v88
	v_mul_i32_i24_e32 v126, v192, v102
	v_mul_i32_i24_e32 v118, v105, v181
	v_add3_u32 v19, v19, v120, v121
	v_add3_u32 v18, v18, v127, v128
	v_mul_i32_i24_e32 v127, v193, v103
	v_mul_i32_i24_e32 v120, v107, v178
	v_mul_i32_i24_e32 v121, v113, v179
	v_add3_u32 v19, v19, v122, v123
	v_mul_i32_i24_e32 v122, v114, v157
	v_mul_i32_i24_e32 v123, v115, v156
	;; [unrolled: 1-line block ×3, first 2 shown]
	v_mul_lo_u32 v18, v18, v221
	v_add3_u32 v19, v19, v124, v125
	v_mul_i32_i24_e32 v124, v117, v154
	v_mul_i32_i24_e32 v119, v106, v180
	s_delay_alu instid0(VALU_DEP_3) | instskip(NEXT) | instid1(VALU_DEP_3)
	v_add3_u32 v19, v19, v126, v127
	v_mad_i32_i24 v124, v116, v155, v124
	s_delay_alu instid0(VALU_DEP_2) | instskip(NEXT) | instid1(VALU_DEP_2)
	v_add3_u32 v19, v19, v128, v129
	v_add3_u32 v122, v124, v123, v122
	s_delay_alu instid0(VALU_DEP_2) | instskip(NEXT) | instid1(VALU_DEP_2)
	v_mad_co_u64_u32 v[18:19], null, v19, v198, v[18:19]
	v_add3_u32 v120, v122, v120, v121
	s_delay_alu instid0(VALU_DEP_1) | instskip(NEXT) | instid1(VALU_DEP_3)
	v_add3_u32 v118, v120, v119, v118
	v_cvt_f32_i32_e32 v18, v18
	s_delay_alu instid0(VALU_DEP_2) | instskip(NEXT) | instid1(VALU_DEP_1)
	v_cvt_f32_i32_e32 v19, v118
	v_mul_f32_e32 v19, v199, v19
	s_delay_alu instid0(VALU_DEP_1) | instskip(SKIP_3) | instid1(VALU_DEP_4)
	v_fma_mix_f32 v18, v0, v18, -v19 op_sel_hi:[1,0,0]
	v_mul_i32_i24_e32 v19, v23, v175
	v_mul_i32_i24_e32 v23, v162, v40
	;; [unrolled: 1-line block ×3, first 2 shown]
	v_fmac_f32_e32 v32, v20, v18
	v_mul_i32_i24_e32 v18, v21, v172
	v_mul_i32_i24_e32 v21, v24, v176
	;; [unrolled: 1-line block ×4, first 2 shown]
	s_delay_alu instid0(VALU_DEP_4) | instskip(SKIP_3) | instid1(VALU_DEP_4)
	v_mad_i32_i24 v18, v22, v161, v18
	v_mul_i32_i24_e32 v22, v160, v31
	v_mul_i32_i24_e32 v31, v169, v84
	v_mul_i32_i24_e32 v84, v152, v89
	v_add3_u32 v18, v18, v19, v21
	v_mul_i32_i24_e32 v19, v158, v25
	v_mul_i32_i24_e32 v21, v159, v26
	;; [unrolled: 1-line block ×6, first 2 shown]
	v_add3_u32 v18, v18, v19, v21
	v_mul_i32_i24_e32 v19, v163, v93
	v_mul_i32_i24_e32 v21, v166, v95
	s_delay_alu instid0(VALU_DEP_3) | instskip(SKIP_1) | instid1(VALU_DEP_4)
	v_add3_u32 v18, v18, v22, v23
	v_mul_i32_i24_e32 v22, v168, v86
	v_mad_i32_i24 v19, v153, v94, v19
	v_mul_i32_i24_e32 v23, v143, v98
	s_delay_alu instid0(VALU_DEP_4) | instskip(SKIP_1) | instid1(VALU_DEP_4)
	v_add3_u32 v18, v18, v24, v25
	v_mul_i32_i24_e32 v24, v144, v87
	v_add3_u32 v19, v19, v21, v22
	v_mul_i32_i24_e32 v21, v141, v96
	v_mul_i32_i24_e32 v22, v142, v97
	v_add3_u32 v18, v18, v26, v31
	v_mul_i32_i24_e32 v25, v145, v99
	v_mul_i32_i24_e32 v26, v146, v100
	v_mul_i32_i24_e32 v31, v147, v101
	v_add3_u32 v19, v19, v21, v22
	v_add3_u32 v18, v18, v40, v79
	v_mul_i32_i24_e32 v40, v148, v88
	v_mul_i32_i24_e32 v79, v149, v102
	v_mul_i32_i24_e32 v21, v105, v140
	v_add3_u32 v19, v19, v23, v24
	;; [unrolled: 5-line block ×3, first 2 shown]
	v_mul_i32_i24_e32 v25, v114, v136
	v_mul_i32_i24_e32 v26, v115, v135
	;; [unrolled: 1-line block ×3, first 2 shown]
	v_mul_lo_u32 v18, v18, v177
	v_add3_u32 v19, v19, v31, v40
	v_mul_i32_i24_e32 v31, v117, v133
	v_mul_i32_i24_e32 v22, v106, v139
	s_delay_alu instid0(VALU_DEP_3) | instskip(NEXT) | instid1(VALU_DEP_3)
	v_add3_u32 v19, v19, v79, v82
	v_mad_i32_i24 v31, v116, v134, v31
	s_delay_alu instid0(VALU_DEP_2) | instskip(NEXT) | instid1(VALU_DEP_2)
	v_add3_u32 v19, v19, v83, v84
	v_add3_u32 v25, v31, v26, v25
	s_delay_alu instid0(VALU_DEP_2) | instskip(NEXT) | instid1(VALU_DEP_2)
	v_mad_co_u64_u32 v[18:19], null, v19, v132, v[18:19]
	v_add3_u32 v23, v25, v23, v24
	s_delay_alu instid0(VALU_DEP_1) | instskip(NEXT) | instid1(VALU_DEP_3)
	v_add3_u32 v21, v23, v22, v21
	v_cvt_f32_i32_e32 v18, v18
	s_delay_alu instid0(VALU_DEP_2) | instskip(NEXT) | instid1(VALU_DEP_1)
	v_cvt_f32_i32_e32 v19, v21
	v_mul_f32_e32 v19, v131, v19
	s_delay_alu instid0(VALU_DEP_1) | instskip(NEXT) | instid1(VALU_DEP_1)
	v_fma_mix_f32 v18, v130, v18, -v19 op_sel_hi:[1,0,0]
	v_fmac_f32_e32 v29, v20, v18
	scratch_load_b32 v18, off, off offset:28 ; 4-byte Folded Reload
	s_wait_loadcnt 0x0
	v_or_b32_e32 v18, s17, v18
	s_delay_alu instid0(VALU_DEP_1)
	v_lshlrev_b32_e32 v19, 2, v18
	v_lshrrev_b32_e32 v18, 1, v18
	ds_load_b32 v20, v18 offset:30368
	ds_load_b128 v[82:85], v19 offset:16896
	ds_load_b128 v[86:89], v19 offset:16912
	s_wait_dscnt 0x1
	v_ashrrev_i32_e32 v24, 24, v82
	s_wait_dscnt 0x0
	v_bfe_i32 v93, v86, 0, 8
	v_bfe_i32 v94, v86, 8, 8
	v_bfe_i32 v95, v86, 16, 8
	v_ashrrev_i32_e32 v86, 24, v86
	v_bfe_i32 v96, v87, 0, 8
	v_bfe_i32 v97, v87, 8, 8
	v_bfe_i32 v98, v87, 16, 8
	v_ashrrev_i32_e32 v87, 24, v87
	;; [unrolled: 4-line block ×4, first 2 shown]
	v_add_nc_u32_e32 v18, v87, v86
	v_ashrrev_i32_e32 v40, 24, v83
	v_bfe_i32 v21, v82, 0, 8
	v_bfe_i32 v22, v82, 8, 8
	;; [unrolled: 1-line block ×3, first 2 shown]
	v_add3_u32 v105, v18, v88, v89
	v_add_nc_u32_e32 v18, v98, v95
	v_bfe_i32 v25, v83, 0, 8
	v_bfe_i32 v26, v83, 8, 8
	;; [unrolled: 1-line block ×4, first 2 shown]
	v_add3_u32 v106, v18, v101, v104
	v_add_nc_u32_e32 v18, v96, v93
	v_bfe_i32 v82, v84, 8, 8
	v_bfe_i32 v83, v84, 16, 8
	v_ashrrev_i32_e32 v84, 24, v84
	v_bfe_i32 v90, v85, 0, 8
	v_add3_u32 v107, v18, v99, v102
	v_add_nc_u32_e32 v18, v97, v94
	v_bfe_i32 v91, v85, 8, 8
	v_bfe_i32 v92, v85, 16, 8
	v_ashrrev_i32_e32 v85, 24, v85
	v_mul_i32_i24_e32 v19, v23, v77
	v_add3_u32 v113, v18, v100, v103
	v_add_nc_u32_e32 v18, v40, v24
	v_mul_i32_i24_e32 v118, v24, v78
	v_mul_i32_i24_e32 v119, v63, v31
	v_mul_i32_i24_e32 v120, v13, v40
	v_mul_i32_i24_e32 v121, v68, v79
	v_add3_u32 v114, v18, v84, v85
	v_add_nc_u32_e32 v18, v31, v23
	v_mul_i32_i24_e32 v122, v14, v82
	v_mul_i32_i24_e32 v123, v69, v83
	v_mul_i32_i24_e32 v124, v15, v84
	;; [unrolled: 6-line block ×3, first 2 shown]
	v_mul_i32_i24_e32 v129, v9, v89
	v_add3_u32 v116, v18, v82, v91
	v_add_nc_u32_e32 v18, v25, v21
	s_delay_alu instid0(VALU_DEP_1) | instskip(SKIP_1) | instid1(VALU_DEP_1)
	v_add3_u32 v117, v18, v79, v90
	v_mul_i32_i24_e32 v18, v21, v76
	v_mad_i32_i24 v18, v22, v11, v18
	s_delay_alu instid0(VALU_DEP_1) | instskip(SKIP_2) | instid1(VALU_DEP_1)
	v_add3_u32 v18, v18, v19, v118
	v_mul_i32_i24_e32 v19, v58, v25
	v_mul_i32_i24_e32 v118, v12, v26
	v_add3_u32 v18, v18, v19, v118
	v_mul_i32_i24_e32 v19, v55, v93
	v_mul_i32_i24_e32 v118, v10, v95
	s_delay_alu instid0(VALU_DEP_3) | instskip(SKIP_1) | instid1(VALU_DEP_4)
	v_add3_u32 v18, v18, v119, v120
	v_mul_i32_i24_e32 v119, v57, v86
	v_mad_i32_i24 v19, v3, v94, v19
	v_mul_i32_i24_e32 v120, v49, v98
	s_delay_alu instid0(VALU_DEP_4) | instskip(SKIP_1) | instid1(VALU_DEP_4)
	v_add3_u32 v18, v18, v121, v122
	v_mul_i32_i24_e32 v121, v5, v87
	v_add3_u32 v19, v19, v118, v119
	v_mul_i32_i24_e32 v118, v48, v96
	v_mul_i32_i24_e32 v119, v4, v97
	v_add3_u32 v18, v18, v123, v124
	v_mul_i32_i24_e32 v122, v50, v99
	v_mul_i32_i24_e32 v123, v6, v100
	v_mul_i32_i24_e32 v124, v52, v101
	v_add3_u32 v19, v19, v118, v119
	v_add3_u32 v18, v18, v125, v126
	v_mul_i32_i24_e32 v125, v7, v88
	v_mul_i32_i24_e32 v126, v53, v102
	v_mul_i32_i24_e32 v118, v105, v108
	v_add3_u32 v19, v19, v120, v121
	;; [unrolled: 5-line block ×3, first 2 shown]
	v_mul_i32_i24_e32 v122, v114, v81
	v_mul_i32_i24_e32 v123, v115, v17
	v_mul_i32_i24_e32 v128, v54, v104
	v_mul_lo_u32 v18, v18, v45
	v_add3_u32 v19, v19, v124, v125
	v_mul_i32_i24_e32 v124, v117, v80
	v_mul_i32_i24_e32 v119, v106, v111
	;; [unrolled: 1-line block ×3, first 2 shown]
	s_delay_alu instid0(VALU_DEP_4) | instskip(NEXT) | instid1(VALU_DEP_4)
	v_add3_u32 v19, v19, v126, v127
	v_mad_i32_i24 v124, v116, v109, v124
	v_mul_i32_i24_e32 v126, v254, v91
	v_mul_i32_i24_e32 v127, v46, v92
	s_delay_alu instid0(VALU_DEP_4) | instskip(NEXT) | instid1(VALU_DEP_4)
	v_add3_u32 v19, v19, v128, v129
	v_add3_u32 v122, v124, v123, v122
	v_mul_i32_i24_e32 v123, v251, v83
	v_mul_i32_i24_e32 v124, v252, v84
	;; [unrolled: 1-line block ×3, first 2 shown]
	v_mad_co_u64_u32 v[18:19], null, v19, v72, v[18:19]
	v_add3_u32 v120, v122, v120, v121
	v_mul_i32_i24_e32 v121, v249, v79
	v_mul_i32_i24_e32 v122, v250, v82
	;; [unrolled: 1-line block ×3, first 2 shown]
	s_delay_alu instid0(VALU_DEP_4) | instskip(SKIP_3) | instid1(VALU_DEP_4)
	v_add3_u32 v118, v120, v119, v118
	v_cvt_f32_i32_e32 v18, v18
	v_mul_i32_i24_e32 v119, v246, v31
	v_mul_i32_i24_e32 v120, v248, v40
	v_cvt_f32_i32_e32 v19, v118
	v_mul_i32_i24_e32 v118, v24, v1
	s_delay_alu instid0(VALU_DEP_2) | instskip(NEXT) | instid1(VALU_DEP_1)
	v_mul_f32_e32 v19, v41, v19
	v_fma_mix_f32 v18, v2, v18, -v19 op_sel_hi:[1,0,0]
	v_mul_i32_i24_e32 v19, v23, v42
	s_delay_alu instid0(VALU_DEP_2) | instskip(SKIP_1) | instid1(VALU_DEP_1)
	v_fmac_f32_e32 v28, v20, v18
	v_mul_i32_i24_e32 v18, v21, v255
	v_mad_i32_i24 v18, v22, v247, v18
	s_delay_alu instid0(VALU_DEP_1) | instskip(SKIP_2) | instid1(VALU_DEP_1)
	v_add3_u32 v18, v18, v19, v118
	v_mul_i32_i24_e32 v19, v244, v25
	v_mul_i32_i24_e32 v118, v245, v26
	v_add3_u32 v18, v18, v19, v118
	v_mul_i32_i24_e32 v19, v235, v93
	v_mul_i32_i24_e32 v118, v238, v95
	s_delay_alu instid0(VALU_DEP_3) | instskip(SKIP_1) | instid1(VALU_DEP_4)
	v_add3_u32 v18, v18, v119, v120
	v_mul_i32_i24_e32 v119, v240, v86
	v_mad_i32_i24 v19, v227, v94, v19
	v_mul_i32_i24_e32 v120, v229, v98
	s_delay_alu instid0(VALU_DEP_4) | instskip(SKIP_1) | instid1(VALU_DEP_4)
	v_add3_u32 v18, v18, v121, v122
	v_mul_i32_i24_e32 v121, v230, v87
	v_add3_u32 v19, v19, v118, v119
	v_mul_i32_i24_e32 v118, v226, v96
	v_mul_i32_i24_e32 v119, v228, v97
	v_add3_u32 v18, v18, v123, v124
	v_mul_i32_i24_e32 v122, v231, v99
	v_mul_i32_i24_e32 v123, v232, v100
	v_mul_i32_i24_e32 v124, v233, v101
	v_add3_u32 v19, v19, v118, v119
	v_add3_u32 v18, v18, v125, v126
	v_mul_i32_i24_e32 v125, v234, v88
	v_mul_i32_i24_e32 v126, v236, v102
	v_mul_i32_i24_e32 v118, v105, v225
	v_add3_u32 v19, v19, v120, v121
	;; [unrolled: 5-line block ×3, first 2 shown]
	v_mul_i32_i24_e32 v122, v114, v204
	v_mul_i32_i24_e32 v123, v115, v203
	;; [unrolled: 1-line block ×3, first 2 shown]
	v_mul_lo_u32 v18, v18, v44
	v_add3_u32 v19, v19, v124, v125
	v_mul_i32_i24_e32 v124, v117, v201
	v_mul_i32_i24_e32 v119, v106, v224
	;; [unrolled: 1-line block ×3, first 2 shown]
	s_delay_alu instid0(VALU_DEP_4) | instskip(NEXT) | instid1(VALU_DEP_4)
	v_add3_u32 v19, v19, v126, v127
	v_mad_i32_i24 v124, v116, v202, v124
	v_mul_i32_i24_e32 v126, v215, v91
	v_mul_i32_i24_e32 v127, v217, v92
	s_delay_alu instid0(VALU_DEP_4) | instskip(NEXT) | instid1(VALU_DEP_4)
	v_add3_u32 v19, v19, v128, v129
	v_add3_u32 v122, v124, v123, v122
	v_mul_i32_i24_e32 v123, v212, v83
	v_mul_i32_i24_e32 v124, v213, v84
	;; [unrolled: 1-line block ×3, first 2 shown]
	v_mad_co_u64_u32 v[18:19], null, v19, v242, v[18:19]
	v_add3_u32 v120, v122, v120, v121
	v_mul_i32_i24_e32 v121, v210, v79
	v_mul_i32_i24_e32 v122, v211, v82
	;; [unrolled: 1-line block ×3, first 2 shown]
	s_delay_alu instid0(VALU_DEP_4) | instskip(SKIP_3) | instid1(VALU_DEP_4)
	v_add3_u32 v118, v120, v119, v118
	v_cvt_f32_i32_e32 v18, v18
	v_mul_i32_i24_e32 v119, v207, v31
	v_mul_i32_i24_e32 v120, v209, v40
	v_cvt_f32_i32_e32 v19, v118
	v_mul_i32_i24_e32 v118, v24, v220
	s_delay_alu instid0(VALU_DEP_2) | instskip(NEXT) | instid1(VALU_DEP_1)
	v_mul_f32_e32 v19, v243, v19
	v_fma_mix_f32 v18, v200, v18, -v19 op_sel_hi:[1,0,0]
	v_mul_i32_i24_e32 v19, v23, v219
	s_delay_alu instid0(VALU_DEP_2) | instskip(SKIP_1) | instid1(VALU_DEP_1)
	v_fmac_f32_e32 v27, v20, v18
	v_mul_i32_i24_e32 v18, v21, v216
	v_mad_i32_i24 v18, v22, v208, v18
	s_delay_alu instid0(VALU_DEP_1) | instskip(SKIP_2) | instid1(VALU_DEP_1)
	v_add3_u32 v18, v18, v19, v118
	v_mul_i32_i24_e32 v19, v205, v25
	v_mul_i32_i24_e32 v118, v206, v26
	v_add3_u32 v18, v18, v19, v118
	v_mul_i32_i24_e32 v19, v191, v93
	v_mul_i32_i24_e32 v118, v194, v95
	s_delay_alu instid0(VALU_DEP_3) | instskip(SKIP_1) | instid1(VALU_DEP_4)
	v_add3_u32 v18, v18, v119, v120
	v_mul_i32_i24_e32 v119, v196, v86
	v_mad_i32_i24 v19, v183, v94, v19
	v_mul_i32_i24_e32 v120, v185, v98
	s_delay_alu instid0(VALU_DEP_4) | instskip(SKIP_1) | instid1(VALU_DEP_4)
	v_add3_u32 v18, v18, v121, v122
	v_mul_i32_i24_e32 v121, v186, v87
	v_add3_u32 v19, v19, v118, v119
	v_mul_i32_i24_e32 v118, v182, v96
	v_mul_i32_i24_e32 v119, v184, v97
	v_add3_u32 v18, v18, v123, v124
	v_mul_i32_i24_e32 v122, v187, v99
	v_mul_i32_i24_e32 v123, v188, v100
	v_mul_i32_i24_e32 v124, v189, v101
	v_add3_u32 v19, v19, v118, v119
	v_add3_u32 v18, v18, v125, v126
	v_mul_i32_i24_e32 v125, v190, v88
	v_mul_i32_i24_e32 v126, v192, v102
	v_mul_i32_i24_e32 v118, v105, v181
	v_add3_u32 v19, v19, v120, v121
	;; [unrolled: 5-line block ×3, first 2 shown]
	v_mul_i32_i24_e32 v122, v114, v157
	v_mul_i32_i24_e32 v123, v115, v156
	;; [unrolled: 1-line block ×3, first 2 shown]
	v_mul_lo_u32 v18, v18, v221
	v_add3_u32 v19, v19, v124, v125
	v_mul_i32_i24_e32 v124, v117, v154
	scratch_load_b32 v125, off, off offset:56 ; 4-byte Folded Reload
	v_mul_i32_i24_e32 v119, v106, v180
	v_add3_u32 v19, v19, v126, v127
	v_mad_i32_i24 v124, v116, v155, v124
	scratch_load_b32 v126, off, off offset:72 ; 4-byte Folded Reload
	v_add3_u32 v19, v19, v128, v129
	s_clause 0x1
	scratch_load_b32 v129, off, off offset:96
	scratch_load_b32 v128, off, off offset:76
	v_add3_u32 v122, v124, v123, v122
	scratch_load_b32 v123, off, off offset:20 th:TH_LOAD_LU ; 4-byte Folded Reload
	v_mov_b32_e32 v124, v33
	v_mad_co_u64_u32 v[18:19], null, v19, v198, v[18:19]
	v_add3_u32 v120, v122, v120, v121
	scratch_load_b32 v122, off, off offset:16 th:TH_LOAD_LU ; 4-byte Folded Reload
	v_add3_u32 v118, v120, v119, v118
	v_cvt_f32_i32_e32 v18, v18
	s_delay_alu instid0(VALU_DEP_2) | instskip(NEXT) | instid1(VALU_DEP_1)
	v_cvt_f32_i32_e32 v19, v118
	v_mul_f32_e32 v19, v199, v19
	s_delay_alu instid0(VALU_DEP_1)
	v_fma_mix_f32 v18, v0, v18, -v19 op_sel_hi:[1,0,0]
	v_mul_i32_i24_e32 v19, v23, v175
	v_mul_i32_i24_e32 v23, v162, v40
	;; [unrolled: 1-line block ×3, first 2 shown]
	s_wait_loadcnt 0x1
	v_fmac_f32_e32 v123, v20, v18
	v_mul_i32_i24_e32 v18, v21, v172
	v_mul_i32_i24_e32 v21, v24, v176
	;; [unrolled: 1-line block ×4, first 2 shown]
	s_delay_alu instid0(VALU_DEP_4) | instskip(SKIP_3) | instid1(VALU_DEP_4)
	v_mad_i32_i24 v18, v22, v161, v18
	v_mul_i32_i24_e32 v22, v160, v31
	v_mul_i32_i24_e32 v31, v169, v84
	;; [unrolled: 1-line block ×3, first 2 shown]
	v_add3_u32 v18, v18, v19, v21
	v_mul_i32_i24_e32 v19, v158, v25
	v_mul_i32_i24_e32 v21, v159, v26
	;; [unrolled: 1-line block ×6, first 2 shown]
	v_add3_u32 v18, v18, v19, v21
	v_mul_i32_i24_e32 v19, v163, v93
	v_mul_i32_i24_e32 v21, v166, v95
	s_delay_alu instid0(VALU_DEP_3) | instskip(SKIP_1) | instid1(VALU_DEP_4)
	v_add3_u32 v18, v18, v22, v23
	v_mul_i32_i24_e32 v22, v168, v86
	v_mad_i32_i24 v19, v153, v94, v19
	v_mul_i32_i24_e32 v23, v143, v98
	s_delay_alu instid0(VALU_DEP_4) | instskip(SKIP_1) | instid1(VALU_DEP_4)
	v_add3_u32 v18, v18, v24, v25
	v_mul_i32_i24_e32 v24, v144, v87
	v_add3_u32 v19, v19, v21, v22
	v_mul_i32_i24_e32 v21, v141, v96
	v_mul_i32_i24_e32 v22, v142, v97
	v_add3_u32 v18, v18, v26, v31
	v_mul_i32_i24_e32 v25, v145, v99
	v_mul_i32_i24_e32 v26, v146, v100
	v_mul_i32_i24_e32 v31, v147, v101
	v_add3_u32 v19, v19, v21, v22
	v_add3_u32 v18, v18, v40, v79
	v_mul_i32_i24_e32 v40, v148, v88
	v_mul_i32_i24_e32 v79, v149, v102
	v_mul_i32_i24_e32 v21, v105, v140
	v_add3_u32 v19, v19, v23, v24
	;; [unrolled: 5-line block ×3, first 2 shown]
	v_mul_i32_i24_e32 v25, v114, v136
	v_mul_i32_i24_e32 v26, v115, v135
	v_mul_i32_i24_e32 v83, v151, v104
	v_mul_lo_u32 v18, v18, v177
	v_add3_u32 v19, v19, v31, v40
	v_mul_i32_i24_e32 v31, v117, v133
	v_mul_i32_i24_e32 v22, v106, v139
	s_delay_alu instid0(VALU_DEP_3) | instskip(NEXT) | instid1(VALU_DEP_3)
	v_add3_u32 v19, v19, v79, v82
	v_mad_i32_i24 v31, v116, v134, v31
	s_delay_alu instid0(VALU_DEP_2) | instskip(NEXT) | instid1(VALU_DEP_2)
	v_add3_u32 v19, v19, v83, v84
	v_add3_u32 v25, v31, v26, v25
	s_delay_alu instid0(VALU_DEP_2) | instskip(NEXT) | instid1(VALU_DEP_2)
	v_mad_co_u64_u32 v[18:19], null, v19, v132, v[18:19]
	v_add3_u32 v23, v25, v23, v24
	s_delay_alu instid0(VALU_DEP_1) | instskip(NEXT) | instid1(VALU_DEP_3)
	v_add3_u32 v21, v23, v22, v21
	v_cvt_f32_i32_e32 v18, v18
	s_delay_alu instid0(VALU_DEP_2) | instskip(NEXT) | instid1(VALU_DEP_1)
	v_cvt_f32_i32_e32 v19, v21
	v_mul_f32_e32 v19, v131, v19
	s_delay_alu instid0(VALU_DEP_1) | instskip(SKIP_1) | instid1(VALU_DEP_1)
	v_fma_mix_f32 v18, v130, v18, -v19 op_sel_hi:[1,0,0]
	s_wait_loadcnt 0x0
	v_fmac_f32_e32 v122, v20, v18
	v_or_b32_e32 v18, s17, v125
	s_delay_alu instid0(VALU_DEP_1)
	v_lshlrev_b32_e32 v19, 2, v18
	v_lshrrev_b32_e32 v18, 1, v18
	ds_load_b32 v82, v18 offset:30368
	ds_load_b128 v[83:86], v19 offset:16896
	ds_load_b128 v[87:90], v19 offset:16912
	s_wait_dscnt 0x1
	v_bfe_i32 v96, v85, 0, 8
	s_wait_dscnt 0x0
	v_ashrrev_i32_e32 v99, 24, v87
	v_ashrrev_i32_e32 v113, 24, v88
	v_bfe_i32 v91, v87, 16, 8
	v_bfe_i32 v31, v88, 16, 8
	v_ashrrev_i32_e32 v117, 24, v89
	v_ashrrev_i32_e32 v127, 24, v90
	v_add_nc_u32_e32 v20, v113, v99
	v_bfe_i32 v97, v85, 8, 8
	v_bfe_i32 v98, v85, 16, 8
	v_ashrrev_i32_e32 v100, 24, v85
	v_bfe_i32 v79, v87, 0, 8
	v_bfe_i32 v18, v88, 0, 8
	;; [unrolled: 1-line block ×4, first 2 shown]
	v_add3_u32 v85, v20, v117, v127
	v_add_nc_u32_e32 v20, v31, v91
	v_bfe_i32 v101, v86, 0, 8
	v_bfe_i32 v102, v86, 8, 8
	;; [unrolled: 1-line block ×3, first 2 shown]
	v_ashrrev_i32_e32 v104, 24, v86
	v_bfe_i32 v40, v87, 8, 8
	v_bfe_i32 v19, v88, 8, 8
	;; [unrolled: 1-line block ×4, first 2 shown]
	v_add3_u32 v86, v20, v116, v120
	v_add_nc_u32_e32 v20, v18, v79
	v_ashrrev_i32_e32 v121, 24, v83
	v_ashrrev_i32_e32 v95, 24, v84
	v_bfe_i32 v115, v89, 8, 8
	v_bfe_i32 v119, v90, 8, 8
	v_add3_u32 v87, v20, v114, v118
	v_add_nc_u32_e32 v20, v19, v40
	v_bfe_i32 v107, v83, 16, 8
	v_bfe_i32 v94, v84, 16, 8
	;; [unrolled: 1-line block ×4, first 2 shown]
	v_add3_u32 v88, v20, v115, v119
	v_add_nc_u32_e32 v20, v95, v121
	v_bfe_i32 v106, v83, 0, 8
	v_bfe_i32 v92, v84, 0, 8
	v_mul_i32_i24_e32 v21, v107, v77
	v_mul_i32_i24_e32 v22, v121, v78
	v_add3_u32 v89, v20, v100, v104
	v_add_nc_u32_e32 v20, v94, v107
	v_mul_i32_i24_e32 v12, v12, v93
	v_mul_i32_i24_e32 v13, v13, v95
	v_mul_i32_i24_e32 v14, v14, v97
	v_mul_i32_i24_e32 v23, v69, v98
	v_add3_u32 v90, v20, v98, v103
	v_add_nc_u32_e32 v20, v93, v105
	v_mul_i32_i24_e32 v15, v15, v100
	v_mul_i32_i24_e32 v10, v10, v91
	;; [unrolled: 6-line block ×3, first 2 shown]
	v_mul_i32_i24_e32 v24, v70, v101
	v_mul_i32_i24_e32 v16, v16, v102
	v_add3_u32 v84, v20, v96, v101
	v_mul_i32_i24_e32 v20, v106, v76
	v_mul_i32_i24_e32 v8, v8, v119
	;; [unrolled: 1-line block ×5, first 2 shown]
	v_mad_i32_i24 v11, v105, v11, v20
	v_mul_i32_i24_e32 v20, v58, v92
	scratch_load_b32 v73, off, off offset:64 ; 4-byte Folded Reload
	v_mul_i32_i24_e32 v1, v121, v1
	scratch_load_b32 v75, off, off offset:68 ; 4-byte Folded Reload
	v_add3_u32 v11, v11, v21, v22
	v_mul_i32_i24_e32 v21, v63, v94
	v_mul_i32_i24_e32 v22, v68, v96
	s_delay_alu instid0(VALU_DEP_3)
	v_add3_u32 v11, v11, v20, v12
	scratch_load_b32 v20, off, off th:TH_LOAD_LU ; 4-byte Folded Reload
	v_mul_i32_i24_e32 v12, v55, v79
	v_add3_u32 v11, v11, v21, v13
	scratch_load_b32 v21, off, off offset:4 th:TH_LOAD_LU ; 4-byte Folded Reload
	v_mul_i32_i24_e32 v13, v57, v99
	v_mad_i32_i24 v3, v3, v40, v12
	v_mul_i32_i24_e32 v12, v49, v31
	v_add3_u32 v11, v11, v22, v14
	s_clause 0x1
	scratch_load_b32 v22, off, off offset:8 th:TH_LOAD_LU
	scratch_load_b32 v57, off, off offset:52
	v_add3_u32 v3, v3, v10, v13
	v_mul_i32_i24_e32 v10, v48, v18
	v_add3_u32 v11, v11, v23, v15
	scratch_load_b32 v23, off, off offset:12 th:TH_LOAD_LU ; 4-byte Folded Reload
	v_mul_i32_i24_e32 v13, v50, v114
	v_mul_i32_i24_e32 v14, v52, v116
	v_add3_u32 v3, v3, v10, v4
	v_mul_i32_i24_e32 v15, v53, v118
	v_add3_u32 v11, v11, v24, v16
	v_mul_i32_i24_e32 v16, v54, v120
	v_mul_i32_i24_e32 v10, v84, v80
	v_add3_u32 v3, v3, v12, v5
	v_mul_i32_i24_e32 v4, v85, v108
	v_add3_u32 v11, v11, v25, v26
	v_mul_i32_i24_e32 v5, v86, v111
	v_mad_i32_i24 v10, v83, v109, v10
	v_add3_u32 v3, v3, v13, v6
	v_mul_i32_i24_e32 v6, v87, v112
	v_mul_lo_u32 v11, v11, v45
	v_mul_i32_i24_e32 v13, v30, v104
	s_delay_alu instid0(VALU_DEP_4) | instskip(SKIP_2) | instid1(VALU_DEP_3)
	v_add3_u32 v3, v3, v14, v7
	v_mul_i32_i24_e32 v7, v88, v110
	v_mul_i32_i24_e32 v14, v241, v127
	v_add3_u32 v3, v3, v15, v8
	v_mul_i32_i24_e32 v8, v89, v81
	s_delay_alu instid0(VALU_DEP_2) | instskip(SKIP_1) | instid1(VALU_DEP_1)
	v_add3_u32 v3, v3, v16, v9
	v_mul_i32_i24_e32 v9, v90, v17
	v_add3_u32 v8, v10, v9, v8
	v_mul_i32_i24_e32 v9, v252, v100
	s_delay_alu instid0(VALU_DEP_2) | instskip(SKIP_2) | instid1(VALU_DEP_3)
	v_add3_u32 v6, v8, v6, v7
	v_mul_i32_i24_e32 v7, v250, v97
	v_mul_i32_i24_e32 v8, v251, v98
	v_add3_u32 v5, v6, v5, v4
	v_mad_co_u64_u32 v[3:4], null, v3, v72, v[11:12]
	v_mul_i32_i24_e32 v6, v249, v96
	v_mul_i32_i24_e32 v11, v254, v102
	s_delay_alu instid0(VALU_DEP_4) | instskip(SKIP_3) | instid1(VALU_DEP_4)
	v_cvt_f32_i32_e32 v4, v5
	v_mul_i32_i24_e32 v5, v248, v95
	v_mul_i32_i24_e32 v12, v46, v103
	v_cvt_f32_i32_e32 v3, v3
	v_mul_f32_e32 v4, v41, v4
	v_mul_i32_i24_e32 v10, v253, v101
	s_delay_alu instid0(VALU_DEP_2) | instskip(SKIP_3) | instid1(VALU_DEP_3)
	v_fma_mix_f32 v2, v2, v3, -v4 op_sel_hi:[1,0,0]
	v_mul_i32_i24_e32 v3, v107, v42
	v_mul_i32_i24_e32 v4, v246, v94
	s_wait_loadcnt 0x0
	v_fmac_f32_e32 v23, v82, v2
	v_mul_i32_i24_e32 v2, v106, v255
	s_delay_alu instid0(VALU_DEP_1) | instskip(NEXT) | instid1(VALU_DEP_1)
	v_mad_i32_i24 v2, v105, v247, v2
	v_add3_u32 v1, v2, v3, v1
	v_mul_i32_i24_e32 v2, v244, v92
	v_mul_i32_i24_e32 v3, v245, v93
	s_delay_alu instid0(VALU_DEP_1) | instskip(SKIP_2) | instid1(VALU_DEP_3)
	v_add3_u32 v1, v1, v2, v3
	v_mul_i32_i24_e32 v2, v235, v79
	v_mul_i32_i24_e32 v3, v238, v91
	v_add3_u32 v1, v1, v4, v5
	v_mul_i32_i24_e32 v4, v240, v99
	s_delay_alu instid0(VALU_DEP_4) | instskip(SKIP_1) | instid1(VALU_DEP_4)
	v_mad_i32_i24 v2, v227, v40, v2
	v_mul_i32_i24_e32 v5, v229, v31
	v_add3_u32 v1, v1, v6, v7
	v_mul_i32_i24_e32 v6, v230, v113
	s_delay_alu instid0(VALU_DEP_4)
	v_add3_u32 v2, v2, v3, v4
	v_mul_i32_i24_e32 v3, v226, v18
	v_mul_i32_i24_e32 v4, v228, v19
	v_add3_u32 v1, v1, v8, v9
	v_mul_i32_i24_e32 v7, v231, v114
	v_mul_i32_i24_e32 v8, v232, v115
	v_mul_i32_i24_e32 v9, v233, v116
	v_add3_u32 v2, v2, v3, v4
	v_add3_u32 v1, v1, v10, v11
	v_mul_i32_i24_e32 v10, v234, v117
	v_mul_i32_i24_e32 v11, v236, v118
	v_mul_i32_i24_e32 v3, v85, v225
	v_add3_u32 v2, v2, v5, v6
	;; [unrolled: 5-line block ×3, first 2 shown]
	v_mul_i32_i24_e32 v7, v89, v204
	v_mul_i32_i24_e32 v8, v90, v203
	;; [unrolled: 1-line block ×3, first 2 shown]
	v_mul_lo_u32 v1, v1, v44
	v_add3_u32 v2, v2, v9, v10
	v_mul_i32_i24_e32 v9, v84, v201
	v_mul_i32_i24_e32 v4, v86, v224
	;; [unrolled: 1-line block ×3, first 2 shown]
	s_delay_alu instid0(VALU_DEP_4) | instskip(NEXT) | instid1(VALU_DEP_4)
	v_add3_u32 v2, v2, v11, v12
	v_mad_i32_i24 v9, v83, v202, v9
	v_mul_i32_i24_e32 v11, v215, v102
	v_mul_i32_i24_e32 v12, v217, v103
	s_delay_alu instid0(VALU_DEP_4) | instskip(NEXT) | instid1(VALU_DEP_4)
	v_add3_u32 v2, v2, v13, v14
	v_add3_u32 v7, v9, v8, v7
	v_mul_i32_i24_e32 v8, v212, v98
	v_mul_i32_i24_e32 v9, v213, v100
	;; [unrolled: 1-line block ×3, first 2 shown]
	v_mad_co_u64_u32 v[1:2], null, v2, v242, v[1:2]
	v_add3_u32 v5, v7, v5, v6
	v_mul_i32_i24_e32 v6, v210, v96
	v_mul_i32_i24_e32 v7, v211, v97
	;; [unrolled: 1-line block ×3, first 2 shown]
	s_delay_alu instid0(VALU_DEP_4) | instskip(SKIP_3) | instid1(VALU_DEP_4)
	v_add3_u32 v3, v5, v4, v3
	v_cvt_f32_i32_e32 v1, v1
	v_mul_i32_i24_e32 v4, v207, v94
	v_mul_i32_i24_e32 v5, v209, v95
	v_cvt_f32_i32_e32 v2, v3
	v_mul_i32_i24_e32 v3, v121, v220
	s_delay_alu instid0(VALU_DEP_2) | instskip(NEXT) | instid1(VALU_DEP_1)
	v_mul_f32_e32 v2, v243, v2
	v_fma_mix_f32 v1, v200, v1, -v2 op_sel_hi:[1,0,0]
	v_mul_i32_i24_e32 v2, v107, v219
	s_delay_alu instid0(VALU_DEP_2) | instskip(SKIP_1) | instid1(VALU_DEP_1)
	v_fmac_f32_e32 v22, v82, v1
	v_mul_i32_i24_e32 v1, v106, v216
	v_mad_i32_i24 v1, v105, v208, v1
	s_delay_alu instid0(VALU_DEP_1) | instskip(SKIP_2) | instid1(VALU_DEP_1)
	v_add3_u32 v1, v1, v2, v3
	v_mul_i32_i24_e32 v2, v205, v92
	v_mul_i32_i24_e32 v3, v206, v93
	v_add3_u32 v1, v1, v2, v3
	v_mul_i32_i24_e32 v2, v191, v79
	v_mul_i32_i24_e32 v3, v194, v91
	s_delay_alu instid0(VALU_DEP_3) | instskip(SKIP_1) | instid1(VALU_DEP_4)
	v_add3_u32 v1, v1, v4, v5
	v_mul_i32_i24_e32 v4, v196, v99
	v_mad_i32_i24 v2, v183, v40, v2
	v_mul_i32_i24_e32 v5, v185, v31
	s_delay_alu instid0(VALU_DEP_4) | instskip(SKIP_1) | instid1(VALU_DEP_4)
	v_add3_u32 v1, v1, v6, v7
	v_mul_i32_i24_e32 v6, v186, v113
	v_add3_u32 v2, v2, v3, v4
	v_mul_i32_i24_e32 v3, v182, v18
	v_mul_i32_i24_e32 v4, v184, v19
	v_add3_u32 v1, v1, v8, v9
	v_mul_i32_i24_e32 v7, v187, v114
	v_mul_i32_i24_e32 v8, v188, v115
	v_mul_i32_i24_e32 v9, v189, v116
	v_add3_u32 v2, v2, v3, v4
	v_add3_u32 v1, v1, v10, v11
	v_mul_i32_i24_e32 v10, v190, v117
	v_mul_i32_i24_e32 v11, v192, v118
	v_mul_i32_i24_e32 v3, v85, v181
	v_add3_u32 v2, v2, v5, v6
	;; [unrolled: 5-line block ×3, first 2 shown]
	v_mul_i32_i24_e32 v7, v89, v157
	v_mul_i32_i24_e32 v8, v90, v156
	;; [unrolled: 1-line block ×3, first 2 shown]
	v_mul_lo_u32 v1, v1, v221
	v_add3_u32 v2, v2, v9, v10
	v_mul_i32_i24_e32 v9, v84, v154
	v_mul_i32_i24_e32 v4, v86, v180
	;; [unrolled: 1-line block ×3, first 2 shown]
	s_delay_alu instid0(VALU_DEP_4) | instskip(NEXT) | instid1(VALU_DEP_4)
	v_add3_u32 v2, v2, v11, v12
	v_mad_i32_i24 v9, v83, v155, v9
	v_mul_i32_i24_e32 v11, v173, v103
	v_mul_i32_i24_e32 v12, v174, v104
	s_delay_alu instid0(VALU_DEP_4) | instskip(NEXT) | instid1(VALU_DEP_4)
	v_add3_u32 v2, v2, v13, v14
	v_add3_u32 v7, v9, v8, v7
	v_mul_i32_i24_e32 v8, v169, v100
	v_mul_i32_i24_e32 v9, v170, v101
	;; [unrolled: 1-line block ×3, first 2 shown]
	v_mad_co_u64_u32 v[1:2], null, v2, v198, v[1:2]
	v_add3_u32 v5, v7, v5, v6
	v_mul_i32_i24_e32 v6, v165, v97
	v_mul_i32_i24_e32 v7, v167, v98
	scratch_load_b32 v152, off, off offset:92 ; 4-byte Folded Reload
	v_add3_u32 v3, v5, v4, v3
	v_cvt_f32_i32_e32 v1, v1
	v_mul_i32_i24_e32 v4, v162, v95
	v_mul_i32_i24_e32 v5, v164, v96
	s_delay_alu instid0(VALU_DEP_4) | instskip(SKIP_1) | instid1(VALU_DEP_2)
	v_cvt_f32_i32_e32 v2, v3
	v_mul_i32_i24_e32 v3, v160, v94
	v_mul_f32_e32 v2, v199, v2
	s_delay_alu instid0(VALU_DEP_1) | instskip(SKIP_2) | instid1(VALU_DEP_3)
	v_fma_mix_f32 v0, v0, v1, -v2 op_sel_hi:[1,0,0]
	v_mul_i32_i24_e32 v1, v107, v175
	v_mul_i32_i24_e32 v2, v121, v176
	v_fmac_f32_e32 v21, v82, v0
	v_mul_i32_i24_e32 v0, v106, v172
	s_delay_alu instid0(VALU_DEP_1) | instskip(NEXT) | instid1(VALU_DEP_1)
	v_mad_i32_i24 v0, v105, v161, v0
	v_add3_u32 v0, v0, v1, v2
	v_mul_i32_i24_e32 v1, v158, v92
	v_mul_i32_i24_e32 v2, v159, v93
	s_clause 0x1
	scratch_load_b32 v158, off, off offset:112
	scratch_load_b32 v159, off, off offset:116
	v_add3_u32 v0, v0, v1, v2
	v_mul_i32_i24_e32 v1, v163, v79
	v_mul_i32_i24_e32 v2, v166, v91
	s_delay_alu instid0(VALU_DEP_3) | instskip(SKIP_1) | instid1(VALU_DEP_4)
	v_add3_u32 v0, v0, v3, v4
	v_mul_i32_i24_e32 v3, v168, v99
	v_mad_i32_i24 v1, v153, v40, v1
	v_mul_i32_i24_e32 v4, v143, v31
	scratch_load_b32 v153, off, off offset:108 ; 4-byte Folded Reload
	v_add3_u32 v0, v0, v5, v6
	v_mul_i32_i24_e32 v5, v144, v113
	v_add3_u32 v1, v1, v2, v3
	v_mul_i32_i24_e32 v2, v141, v18
	v_mul_i32_i24_e32 v3, v142, v19
	v_add3_u32 v0, v0, v7, v8
	v_mul_i32_i24_e32 v8, v147, v116
	scratch_load_b32 v147, off, off offset:24 ; 4-byte Folded Reload
	v_mul_i32_i24_e32 v6, v145, v114
	v_add3_u32 v1, v1, v2, v3
	v_add3_u32 v0, v0, v9, v10
	v_mul_i32_i24_e32 v9, v148, v117
	scratch_load_b32 v148, off, off offset:80 ; 4-byte Folded Reload
	v_mul_i32_i24_e32 v10, v149, v118
	scratch_load_b32 v149, off, off offset:84 ; 4-byte Folded Reload
	v_add3_u32 v0, v0, v11, v12
	v_mul_i32_i24_e32 v11, v150, v119
	scratch_load_b32 v150, off, off offset:104 ; 4-byte Folded Reload
	v_mul_i32_i24_e32 v12, v151, v120
	scratch_load_b32 v151, off, off offset:88 ; 4-byte Folded Reload
	v_add3_u32 v1, v1, v4, v5
	v_mul_i32_i24_e32 v4, v87, v137
	s_clause 0x1
	scratch_load_b32 v137, off, off offset:100
	scratch_load_b32 v26, off, off offset:60
	v_mul_i32_i24_e32 v7, v146, v115
	v_mul_i32_i24_e32 v5, v88, v138
	v_mul_lo_u32 v0, v0, v177
	v_mul_i32_i24_e32 v2, v85, v140
	v_mul_i32_i24_e32 v3, v86, v139
	v_add3_u32 v1, v1, v6, v7
	v_mul_i32_i24_e32 v6, v89, v136
	v_mul_i32_i24_e32 v7, v90, v135
	s_delay_alu instid0(VALU_DEP_3) | instskip(SKIP_1) | instid1(VALU_DEP_2)
	v_add3_u32 v1, v1, v8, v9
	v_mul_i32_i24_e32 v8, v84, v133
	v_add3_u32 v1, v1, v10, v11
	s_delay_alu instid0(VALU_DEP_2) | instskip(NEXT) | instid1(VALU_DEP_2)
	v_mad_i32_i24 v8, v83, v134, v8
	v_add3_u32 v1, v1, v12, v13
	s_delay_alu instid0(VALU_DEP_2) | instskip(NEXT) | instid1(VALU_DEP_2)
	v_add3_u32 v6, v8, v7, v6
	v_mad_co_u64_u32 v[0:1], null, v1, v132, v[0:1]
	s_delay_alu instid0(VALU_DEP_2) | instskip(NEXT) | instid1(VALU_DEP_1)
	v_add3_u32 v4, v6, v4, v5
	v_add3_u32 v2, v4, v3, v2
	s_delay_alu instid0(VALU_DEP_3) | instskip(NEXT) | instid1(VALU_DEP_2)
	v_cvt_f32_i32_e32 v0, v0
	v_cvt_f32_i32_e32 v1, v2
	s_delay_alu instid0(VALU_DEP_1) | instskip(NEXT) | instid1(VALU_DEP_1)
	v_mul_f32_e32 v1, v131, v1
	v_fma_mix_f32 v0, v130, v0, -v1 op_sel_hi:[1,0,0]
	s_delay_alu instid0(VALU_DEP_1)
	v_fmac_f32_e32 v20, v82, v0
	s_cbranch_scc1 .LBB128_12
; %bb.13:                               ;   in Loop: Header=BB128_8 Depth=2
	s_wait_loadcnt 0x0
	s_wait_storecnt 0x0
	s_barrier_signal -1
	s_barrier_wait -1
	global_inv scope:SCOPE_SE
	s_clause 0x7
	scratch_load_b32 v55, off, off offset:132
	scratch_load_b32 v58, off, off offset:48
	;; [unrolled: 1-line block ×8, first 2 shown]
	s_cmp_eq_u32 s10, 4
	s_cselect_b32 s11, -1, 0
	s_wait_alu 0xfffe
	s_and_b32 vcc_lo, exec_lo, s11
	s_wait_alu 0xfffe
	s_cbranch_vccz .LBB128_8
	s_branch .LBB128_5
.LBB128_14:
	s_clause 0x1
	scratch_load_b32 v1, off, off offset:480 th:TH_LOAD_LU
	scratch_load_b32 v3, off, off offset:484
	s_wait_loadcnt 0x2
	v_mov_b32_e32 v2, v33
.LBB128_15:
	s_mov_b32 s0, exec_lo
	s_wait_loadcnt 0x0
	v_cmpx_gt_u32_e64 s6, v3
	s_cbranch_execz .LBB128_66
; %bb.16:
	v_add_nc_u32_e32 v0, s14, v2
	v_mul_lo_u32 v5, v3, s12
	s_delay_alu instid0(VALU_DEP_2)
	v_cmp_gt_u32_e32 vcc_lo, s12, v0
	s_and_saveexec_b32 s1, vcc_lo
	s_cbranch_execz .LBB128_18
; %bb.17:
	s_delay_alu instid0(VALU_DEP_2) | instskip(NEXT) | instid1(VALU_DEP_1)
	v_dual_mov_b32 v3, 0 :: v_dual_add_nc_u32 v2, v0, v5
	v_lshlrev_b64_e32 v[2:3], 2, v[2:3]
	s_wait_kmcnt 0x0
	s_delay_alu instid0(VALU_DEP_1) | instskip(NEXT) | instid1(VALU_DEP_1)
	v_add_co_u32 v2, s0, s8, v2
	v_add_co_ci_u32_e64 v3, null, s9, v3, s0
	global_store_b32 v[2:3], v124, off
.LBB128_18:
	s_or_b32 exec_lo, exec_lo, s1
	v_add_nc_u32_e32 v2, 32, v0
	s_delay_alu instid0(VALU_DEP_1)
	v_cmp_gt_u32_e64 s0, s12, v2
	s_and_saveexec_b32 s2, s0
	s_cbranch_execz .LBB128_20
; %bb.19:
	v_dual_mov_b32 v4, 0 :: v_dual_add_nc_u32 v3, v2, v5
	s_delay_alu instid0(VALU_DEP_1) | instskip(SKIP_1) | instid1(VALU_DEP_1)
	v_lshlrev_b64_e32 v[3:4], 2, v[3:4]
	s_wait_kmcnt 0x0
	v_add_co_u32 v3, s1, s8, v3
	s_wait_alu 0xf1ff
	s_delay_alu instid0(VALU_DEP_2)
	v_add_co_ci_u32_e64 v4, null, s9, v4, s1
	global_store_b32 v[3:4], v147, off
.LBB128_20:
	s_wait_alu 0xfffe
	s_or_b32 exec_lo, exec_lo, s2
	v_add_nc_u32_e32 v3, 64, v0
	s_delay_alu instid0(VALU_DEP_1)
	v_cmp_gt_u32_e64 s1, s12, v3
	s_and_saveexec_b32 s3, s1
	s_cbranch_execz .LBB128_22
; %bb.21:
	v_dual_mov_b32 v7, 0 :: v_dual_add_nc_u32 v6, v3, v5
	s_delay_alu instid0(VALU_DEP_1) | instskip(SKIP_1) | instid1(VALU_DEP_1)
	v_lshlrev_b64_e32 v[6:7], 2, v[6:7]
	s_wait_kmcnt 0x0
	v_add_co_u32 v6, s2, s8, v6
	s_wait_alu 0xf1ff
	s_delay_alu instid0(VALU_DEP_2)
	v_add_co_ci_u32_e64 v7, null, s9, v7, s2
	global_store_b32 v[6:7], v47, off
.LBB128_22:
	s_wait_alu 0xfffe
	;; [unrolled: 18-line block ×3, first 2 shown]
	s_or_b32 exec_lo, exec_lo, s4
	v_add3_u32 v5, v1, s13, 8
	s_delay_alu instid0(VALU_DEP_1)
	v_cmp_gt_u32_e64 s3, s6, v5
	s_and_b32 exec_lo, exec_lo, s3
	s_cbranch_execz .LBB128_66
; %bb.25:
	v_mul_lo_u32 v5, v5, s12
	s_and_saveexec_b32 s4, vcc_lo
	s_cbranch_execnz .LBB128_67
; %bb.26:
	s_wait_alu 0xfffe
	s_or_b32 exec_lo, exec_lo, s4
	s_and_saveexec_b32 s4, s0
	s_cbranch_execnz .LBB128_68
.LBB128_27:
	s_wait_alu 0xfffe
	s_or_b32 exec_lo, exec_lo, s4
	s_and_saveexec_b32 s4, s1
	s_cbranch_execnz .LBB128_69
.LBB128_28:
	s_wait_alu 0xfffe
	s_or_b32 exec_lo, exec_lo, s4
	s_and_saveexec_b32 s4, s2
	s_cbranch_execz .LBB128_30
.LBB128_29:
	v_dual_mov_b32 v6, 0 :: v_dual_add_nc_u32 v5, v5, v4
	s_delay_alu instid0(VALU_DEP_1) | instskip(SKIP_1) | instid1(VALU_DEP_1)
	v_lshlrev_b64_e32 v[5:6], 2, v[5:6]
	s_wait_kmcnt 0x0
	v_add_co_u32 v5, s3, s8, v5
	s_wait_alu 0xf1ff
	s_delay_alu instid0(VALU_DEP_2)
	v_add_co_ci_u32_e64 v6, null, s9, v6, s3
	global_store_b32 v[5:6], v65, off
.LBB128_30:
	s_wait_alu 0xfffe
	s_or_b32 exec_lo, exec_lo, s4
	v_add3_u32 v5, v1, s13, 16
	s_delay_alu instid0(VALU_DEP_1)
	v_cmp_gt_u32_e64 s3, s6, v5
	s_and_b32 exec_lo, exec_lo, s3
	s_cbranch_execz .LBB128_66
; %bb.31:
	v_mul_lo_u32 v5, v5, s12
	s_and_saveexec_b32 s4, vcc_lo
	s_cbranch_execnz .LBB128_70
; %bb.32:
	s_wait_alu 0xfffe
	s_or_b32 exec_lo, exec_lo, s4
	s_and_saveexec_b32 s4, s0
	s_cbranch_execnz .LBB128_71
.LBB128_33:
	s_wait_alu 0xfffe
	s_or_b32 exec_lo, exec_lo, s4
	s_and_saveexec_b32 s4, s1
	s_cbranch_execnz .LBB128_72
.LBB128_34:
	s_wait_alu 0xfffe
	s_or_b32 exec_lo, exec_lo, s4
	s_and_saveexec_b32 s4, s2
	s_cbranch_execz .LBB128_36
.LBB128_35:
	v_dual_mov_b32 v6, 0 :: v_dual_add_nc_u32 v5, v5, v4
	s_delay_alu instid0(VALU_DEP_1) | instskip(SKIP_1) | instid1(VALU_DEP_1)
	v_lshlrev_b64_e32 v[5:6], 2, v[5:6]
	s_wait_kmcnt 0x0
	v_add_co_u32 v5, s3, s8, v5
	s_wait_alu 0xf1ff
	s_delay_alu instid0(VALU_DEP_2)
	v_add_co_ci_u32_e64 v6, null, s9, v6, s3
	global_store_b32 v[5:6], v60, off
.LBB128_36:
	s_wait_alu 0xfffe
	s_or_b32 exec_lo, exec_lo, s4
	v_add3_u32 v5, v1, s13, 24
	s_delay_alu instid0(VALU_DEP_1)
	v_cmp_gt_u32_e64 s3, s6, v5
	s_and_b32 exec_lo, exec_lo, s3
	s_cbranch_execz .LBB128_66
; %bb.37:
	v_mul_lo_u32 v5, v5, s12
	s_and_saveexec_b32 s4, vcc_lo
	s_cbranch_execnz .LBB128_73
; %bb.38:
	s_wait_alu 0xfffe
	s_or_b32 exec_lo, exec_lo, s4
	s_and_saveexec_b32 s4, s0
	s_cbranch_execnz .LBB128_74
.LBB128_39:
	s_wait_alu 0xfffe
	s_or_b32 exec_lo, exec_lo, s4
	s_and_saveexec_b32 s4, s1
	s_cbranch_execnz .LBB128_75
.LBB128_40:
	s_wait_alu 0xfffe
	s_or_b32 exec_lo, exec_lo, s4
	s_and_saveexec_b32 s4, s2
	s_cbranch_execz .LBB128_42
.LBB128_41:
	v_dual_mov_b32 v6, 0 :: v_dual_add_nc_u32 v5, v5, v4
	s_delay_alu instid0(VALU_DEP_1) | instskip(SKIP_1) | instid1(VALU_DEP_1)
	v_lshlrev_b64_e32 v[5:6], 2, v[5:6]
	s_wait_kmcnt 0x0
	v_add_co_u32 v5, s3, s8, v5
	s_wait_alu 0xf1ff
	s_delay_alu instid0(VALU_DEP_2)
	v_add_co_ci_u32_e64 v6, null, s9, v6, s3
	global_store_b32 v[5:6], v43, off
.LBB128_42:
	s_wait_alu 0xfffe
	s_or_b32 exec_lo, exec_lo, s4
	v_add3_u32 v5, v1, s13, 32
	s_delay_alu instid0(VALU_DEP_1)
	v_cmp_gt_u32_e64 s3, s6, v5
	s_and_b32 exec_lo, exec_lo, s3
	s_cbranch_execz .LBB128_66
; %bb.43:
	v_mul_lo_u32 v5, v5, s12
	s_and_saveexec_b32 s4, vcc_lo
	s_cbranch_execnz .LBB128_76
; %bb.44:
	s_wait_alu 0xfffe
	s_or_b32 exec_lo, exec_lo, s4
	s_and_saveexec_b32 s4, s0
	s_cbranch_execnz .LBB128_77
.LBB128_45:
	s_wait_alu 0xfffe
	s_or_b32 exec_lo, exec_lo, s4
	s_and_saveexec_b32 s4, s1
	s_cbranch_execnz .LBB128_78
.LBB128_46:
	s_wait_alu 0xfffe
	s_or_b32 exec_lo, exec_lo, s4
	s_and_saveexec_b32 s4, s2
	s_cbranch_execz .LBB128_48
.LBB128_47:
	v_dual_mov_b32 v6, 0 :: v_dual_add_nc_u32 v5, v5, v4
	s_delay_alu instid0(VALU_DEP_1) | instskip(SKIP_1) | instid1(VALU_DEP_1)
	v_lshlrev_b64_e32 v[5:6], 2, v[5:6]
	s_wait_kmcnt 0x0
	v_add_co_u32 v5, s3, s8, v5
	s_wait_alu 0xf1ff
	s_delay_alu instid0(VALU_DEP_2)
	v_add_co_ci_u32_e64 v6, null, s9, v6, s3
	global_store_b32 v[5:6], v36, off
.LBB128_48:
	s_wait_alu 0xfffe
	s_or_b32 exec_lo, exec_lo, s4
	v_add3_u32 v5, v1, s13, 40
	s_delay_alu instid0(VALU_DEP_1)
	v_cmp_gt_u32_e64 s3, s6, v5
	s_and_b32 exec_lo, exec_lo, s3
	s_cbranch_execz .LBB128_66
; %bb.49:
	v_mul_lo_u32 v5, v5, s12
	s_and_saveexec_b32 s4, vcc_lo
	s_cbranch_execnz .LBB128_79
; %bb.50:
	s_wait_alu 0xfffe
	s_or_b32 exec_lo, exec_lo, s4
	s_and_saveexec_b32 s4, s0
	s_cbranch_execnz .LBB128_80
.LBB128_51:
	s_wait_alu 0xfffe
	s_or_b32 exec_lo, exec_lo, s4
	s_and_saveexec_b32 s4, s1
	s_cbranch_execnz .LBB128_81
.LBB128_52:
	s_wait_alu 0xfffe
	s_or_b32 exec_lo, exec_lo, s4
	s_and_saveexec_b32 s4, s2
	s_cbranch_execz .LBB128_54
.LBB128_53:
	v_dual_mov_b32 v6, 0 :: v_dual_add_nc_u32 v5, v5, v4
	s_delay_alu instid0(VALU_DEP_1) | instskip(SKIP_1) | instid1(VALU_DEP_1)
	v_lshlrev_b64_e32 v[5:6], 2, v[5:6]
	s_wait_kmcnt 0x0
	v_add_co_u32 v5, s3, s8, v5
	s_wait_alu 0xf1ff
	s_delay_alu instid0(VALU_DEP_2)
	v_add_co_ci_u32_e64 v6, null, s9, v6, s3
	global_store_b32 v[5:6], v29, off
.LBB128_54:
	s_wait_alu 0xfffe
	s_or_b32 exec_lo, exec_lo, s4
	v_add3_u32 v5, v1, s13, 48
	s_delay_alu instid0(VALU_DEP_1)
	v_cmp_gt_u32_e64 s3, s6, v5
	s_and_b32 exec_lo, exec_lo, s3
	s_cbranch_execz .LBB128_66
; %bb.55:
	v_mul_lo_u32 v5, v5, s12
	s_and_saveexec_b32 s4, vcc_lo
	s_cbranch_execnz .LBB128_82
; %bb.56:
	s_wait_alu 0xfffe
	s_or_b32 exec_lo, exec_lo, s4
	s_and_saveexec_b32 s4, s0
	s_cbranch_execnz .LBB128_83
.LBB128_57:
	s_wait_alu 0xfffe
	s_or_b32 exec_lo, exec_lo, s4
	s_and_saveexec_b32 s4, s1
	s_cbranch_execnz .LBB128_84
.LBB128_58:
	s_wait_alu 0xfffe
	s_or_b32 exec_lo, exec_lo, s4
	s_and_saveexec_b32 s4, s2
	s_cbranch_execz .LBB128_60
.LBB128_59:
	v_dual_mov_b32 v6, 0 :: v_dual_add_nc_u32 v5, v5, v4
	s_delay_alu instid0(VALU_DEP_1) | instskip(SKIP_1) | instid1(VALU_DEP_1)
	v_lshlrev_b64_e32 v[5:6], 2, v[5:6]
	s_wait_kmcnt 0x0
	v_add_co_u32 v5, s3, s8, v5
	s_wait_alu 0xf1ff
	s_delay_alu instid0(VALU_DEP_2)
	v_add_co_ci_u32_e64 v6, null, s9, v6, s3
	global_store_b32 v[5:6], v122, off
.LBB128_60:
	s_wait_alu 0xfffe
	s_or_b32 exec_lo, exec_lo, s4
	v_add3_u32 v1, v1, s13, 56
	s_delay_alu instid0(VALU_DEP_1)
	v_cmp_gt_u32_e64 s3, s6, v1
	s_and_b32 exec_lo, exec_lo, s3
	s_cbranch_execz .LBB128_66
; %bb.61:
	v_mul_lo_u32 v1, v1, s12
	s_and_saveexec_b32 s3, vcc_lo
	s_cbranch_execnz .LBB128_85
; %bb.62:
	s_wait_alu 0xfffe
	s_or_b32 exec_lo, exec_lo, s3
	s_and_saveexec_b32 s3, s0
	s_cbranch_execnz .LBB128_86
.LBB128_63:
	s_wait_alu 0xfffe
	s_or_b32 exec_lo, exec_lo, s3
	s_and_saveexec_b32 s0, s1
	s_cbranch_execnz .LBB128_87
.LBB128_64:
	s_wait_alu 0xfffe
	s_or_b32 exec_lo, exec_lo, s0
	s_delay_alu instid0(SALU_CYCLE_1)
	s_and_b32 exec_lo, exec_lo, s2
	s_cbranch_execz .LBB128_66
.LBB128_65:
	v_dual_mov_b32 v1, 0 :: v_dual_add_nc_u32 v0, v1, v4
	s_delay_alu instid0(VALU_DEP_1) | instskip(SKIP_1) | instid1(VALU_DEP_1)
	v_lshlrev_b64_e32 v[0:1], 2, v[0:1]
	s_wait_kmcnt 0x0
	v_add_co_u32 v0, vcc_lo, s8, v0
	s_wait_alu 0xfffd
	s_delay_alu instid0(VALU_DEP_2)
	v_add_co_ci_u32_e64 v1, null, s9, v1, vcc_lo
	global_store_b32 v[0:1], v20, off
.LBB128_66:
	s_nop 0
	s_sendmsg sendmsg(MSG_DEALLOC_VGPRS)
	s_endpgm
.LBB128_67:
	s_delay_alu instid0(VALU_DEP_1) | instskip(NEXT) | instid1(VALU_DEP_1)
	v_dual_mov_b32 v7, 0 :: v_dual_add_nc_u32 v6, v5, v0
	v_lshlrev_b64_e32 v[6:7], 2, v[6:7]
	s_wait_kmcnt 0x0
	s_delay_alu instid0(VALU_DEP_1) | instskip(SKIP_1) | instid1(VALU_DEP_2)
	v_add_co_u32 v6, s3, s8, v6
	s_wait_alu 0xf1ff
	v_add_co_ci_u32_e64 v7, null, s9, v7, s3
	global_store_b32 v[6:7], v71, off
	s_wait_alu 0xfffe
	s_or_b32 exec_lo, exec_lo, s4
	s_and_saveexec_b32 s4, s0
	s_cbranch_execz .LBB128_27
.LBB128_68:
	s_delay_alu instid0(VALU_DEP_1) | instskip(NEXT) | instid1(VALU_DEP_1)
	v_dual_mov_b32 v7, 0 :: v_dual_add_nc_u32 v6, v5, v2
	v_lshlrev_b64_e32 v[6:7], 2, v[6:7]
	s_wait_kmcnt 0x0
	s_delay_alu instid0(VALU_DEP_1) | instskip(SKIP_1) | instid1(VALU_DEP_2)
	v_add_co_u32 v6, s3, s8, v6
	s_wait_alu 0xf1ff
	v_add_co_ci_u32_e64 v7, null, s9, v7, s3
	global_store_b32 v[6:7], v67, off
	s_wait_alu 0xfffe
	s_or_b32 exec_lo, exec_lo, s4
	s_and_saveexec_b32 s4, s1
	s_cbranch_execz .LBB128_28
.LBB128_69:
	v_dual_mov_b32 v7, 0 :: v_dual_add_nc_u32 v6, v5, v3
	s_delay_alu instid0(VALU_DEP_1) | instskip(SKIP_1) | instid1(VALU_DEP_1)
	v_lshlrev_b64_e32 v[6:7], 2, v[6:7]
	s_wait_kmcnt 0x0
	v_add_co_u32 v6, s3, s8, v6
	s_wait_alu 0xf1ff
	s_delay_alu instid0(VALU_DEP_2)
	v_add_co_ci_u32_e64 v7, null, s9, v7, s3
	global_store_b32 v[6:7], v66, off
	s_wait_alu 0xfffe
	s_or_b32 exec_lo, exec_lo, s4
	s_and_saveexec_b32 s4, s2
	s_cbranch_execnz .LBB128_29
	s_branch .LBB128_30
.LBB128_70:
	s_delay_alu instid0(VALU_DEP_1) | instskip(NEXT) | instid1(VALU_DEP_1)
	v_dual_mov_b32 v7, 0 :: v_dual_add_nc_u32 v6, v5, v0
	v_lshlrev_b64_e32 v[6:7], 2, v[6:7]
	s_wait_kmcnt 0x0
	s_delay_alu instid0(VALU_DEP_1) | instskip(SKIP_1) | instid1(VALU_DEP_2)
	v_add_co_u32 v6, s3, s8, v6
	s_wait_alu 0xf1ff
	v_add_co_ci_u32_e64 v7, null, s9, v7, s3
	global_store_b32 v[6:7], v64, off
	s_wait_alu 0xfffe
	s_or_b32 exec_lo, exec_lo, s4
	s_and_saveexec_b32 s4, s0
	s_cbranch_execz .LBB128_33
.LBB128_71:
	s_delay_alu instid0(VALU_DEP_1) | instskip(NEXT) | instid1(VALU_DEP_1)
	v_dual_mov_b32 v7, 0 :: v_dual_add_nc_u32 v6, v5, v2
	v_lshlrev_b64_e32 v[6:7], 2, v[6:7]
	s_wait_kmcnt 0x0
	s_delay_alu instid0(VALU_DEP_1) | instskip(SKIP_1) | instid1(VALU_DEP_2)
	v_add_co_u32 v6, s3, s8, v6
	s_wait_alu 0xf1ff
	v_add_co_ci_u32_e64 v7, null, s9, v7, s3
	global_store_b32 v[6:7], v62, off
	s_wait_alu 0xfffe
	s_or_b32 exec_lo, exec_lo, s4
	s_and_saveexec_b32 s4, s1
	s_cbranch_execz .LBB128_34
.LBB128_72:
	v_dual_mov_b32 v7, 0 :: v_dual_add_nc_u32 v6, v5, v3
	s_delay_alu instid0(VALU_DEP_1) | instskip(SKIP_1) | instid1(VALU_DEP_1)
	v_lshlrev_b64_e32 v[6:7], 2, v[6:7]
	s_wait_kmcnt 0x0
	v_add_co_u32 v6, s3, s8, v6
	s_wait_alu 0xf1ff
	s_delay_alu instid0(VALU_DEP_2)
	v_add_co_ci_u32_e64 v7, null, s9, v7, s3
	global_store_b32 v[6:7], v61, off
	s_wait_alu 0xfffe
	s_or_b32 exec_lo, exec_lo, s4
	s_and_saveexec_b32 s4, s2
	s_cbranch_execnz .LBB128_35
	s_branch .LBB128_36
.LBB128_73:
	s_delay_alu instid0(VALU_DEP_1) | instskip(NEXT) | instid1(VALU_DEP_1)
	v_dual_mov_b32 v7, 0 :: v_dual_add_nc_u32 v6, v5, v0
	v_lshlrev_b64_e32 v[6:7], 2, v[6:7]
	s_wait_kmcnt 0x0
	s_delay_alu instid0(VALU_DEP_1) | instskip(SKIP_1) | instid1(VALU_DEP_2)
	v_add_co_u32 v6, s3, s8, v6
	s_wait_alu 0xf1ff
	v_add_co_ci_u32_e64 v7, null, s9, v7, s3
	global_store_b32 v[6:7], v59, off
	s_wait_alu 0xfffe
	s_or_b32 exec_lo, exec_lo, s4
	s_and_saveexec_b32 s4, s0
	s_cbranch_execz .LBB128_39
.LBB128_74:
	s_delay_alu instid0(VALU_DEP_1) | instskip(NEXT) | instid1(VALU_DEP_1)
	v_dual_mov_b32 v7, 0 :: v_dual_add_nc_u32 v6, v5, v2
	v_lshlrev_b64_e32 v[6:7], 2, v[6:7]
	s_wait_kmcnt 0x0
	s_delay_alu instid0(VALU_DEP_1) | instskip(SKIP_1) | instid1(VALU_DEP_2)
	v_add_co_u32 v6, s3, s8, v6
	s_wait_alu 0xf1ff
	v_add_co_ci_u32_e64 v7, null, s9, v7, s3
	global_store_b32 v[6:7], v56, off
	s_wait_alu 0xfffe
	s_or_b32 exec_lo, exec_lo, s4
	s_and_saveexec_b32 s4, s1
	s_cbranch_execz .LBB128_40
.LBB128_75:
	v_dual_mov_b32 v7, 0 :: v_dual_add_nc_u32 v6, v5, v3
	s_delay_alu instid0(VALU_DEP_1) | instskip(SKIP_1) | instid1(VALU_DEP_1)
	v_lshlrev_b64_e32 v[6:7], 2, v[6:7]
	s_wait_kmcnt 0x0
	v_add_co_u32 v6, s3, s8, v6
	s_wait_alu 0xf1ff
	s_delay_alu instid0(VALU_DEP_2)
	v_add_co_ci_u32_e64 v7, null, s9, v7, s3
	global_store_b32 v[6:7], v51, off
	s_wait_alu 0xfffe
	s_or_b32 exec_lo, exec_lo, s4
	s_and_saveexec_b32 s4, s2
	s_cbranch_execnz .LBB128_41
	s_branch .LBB128_42
.LBB128_76:
	s_delay_alu instid0(VALU_DEP_1) | instskip(NEXT) | instid1(VALU_DEP_1)
	v_dual_mov_b32 v7, 0 :: v_dual_add_nc_u32 v6, v5, v0
	v_lshlrev_b64_e32 v[6:7], 2, v[6:7]
	s_wait_kmcnt 0x0
	s_delay_alu instid0(VALU_DEP_1) | instskip(SKIP_1) | instid1(VALU_DEP_2)
	v_add_co_u32 v6, s3, s8, v6
	s_wait_alu 0xf1ff
	v_add_co_ci_u32_e64 v7, null, s9, v7, s3
	global_store_b32 v[6:7], v39, off
	s_wait_alu 0xfffe
	s_or_b32 exec_lo, exec_lo, s4
	s_and_saveexec_b32 s4, s0
	s_cbranch_execz .LBB128_45
.LBB128_77:
	s_delay_alu instid0(VALU_DEP_1) | instskip(NEXT) | instid1(VALU_DEP_1)
	v_dual_mov_b32 v7, 0 :: v_dual_add_nc_u32 v6, v5, v2
	v_lshlrev_b64_e32 v[6:7], 2, v[6:7]
	s_wait_kmcnt 0x0
	s_delay_alu instid0(VALU_DEP_1) | instskip(SKIP_1) | instid1(VALU_DEP_2)
	v_add_co_u32 v6, s3, s8, v6
	s_wait_alu 0xf1ff
	v_add_co_ci_u32_e64 v7, null, s9, v7, s3
	global_store_b32 v[6:7], v38, off
	s_wait_alu 0xfffe
	s_or_b32 exec_lo, exec_lo, s4
	s_and_saveexec_b32 s4, s1
	s_cbranch_execz .LBB128_46
.LBB128_78:
	v_dual_mov_b32 v7, 0 :: v_dual_add_nc_u32 v6, v5, v3
	s_delay_alu instid0(VALU_DEP_1) | instskip(SKIP_1) | instid1(VALU_DEP_1)
	v_lshlrev_b64_e32 v[6:7], 2, v[6:7]
	s_wait_kmcnt 0x0
	v_add_co_u32 v6, s3, s8, v6
	s_wait_alu 0xf1ff
	s_delay_alu instid0(VALU_DEP_2)
	v_add_co_ci_u32_e64 v7, null, s9, v7, s3
	global_store_b32 v[6:7], v37, off
	s_wait_alu 0xfffe
	s_or_b32 exec_lo, exec_lo, s4
	s_and_saveexec_b32 s4, s2
	s_cbranch_execnz .LBB128_47
	s_branch .LBB128_48
.LBB128_79:
	s_delay_alu instid0(VALU_DEP_1) | instskip(NEXT) | instid1(VALU_DEP_1)
	v_dual_mov_b32 v7, 0 :: v_dual_add_nc_u32 v6, v5, v0
	v_lshlrev_b64_e32 v[6:7], 2, v[6:7]
	s_wait_kmcnt 0x0
	s_delay_alu instid0(VALU_DEP_1) | instskip(SKIP_1) | instid1(VALU_DEP_2)
	v_add_co_u32 v6, s3, s8, v6
	s_wait_alu 0xf1ff
	v_add_co_ci_u32_e64 v7, null, s9, v7, s3
	global_store_b32 v[6:7], v35, off
	s_wait_alu 0xfffe
	s_or_b32 exec_lo, exec_lo, s4
	s_and_saveexec_b32 s4, s0
	s_cbranch_execz .LBB128_51
.LBB128_80:
	s_delay_alu instid0(VALU_DEP_1) | instskip(NEXT) | instid1(VALU_DEP_1)
	v_dual_mov_b32 v7, 0 :: v_dual_add_nc_u32 v6, v5, v2
	v_lshlrev_b64_e32 v[6:7], 2, v[6:7]
	s_wait_kmcnt 0x0
	s_delay_alu instid0(VALU_DEP_1) | instskip(SKIP_1) | instid1(VALU_DEP_2)
	v_add_co_u32 v6, s3, s8, v6
	s_wait_alu 0xf1ff
	v_add_co_ci_u32_e64 v7, null, s9, v7, s3
	global_store_b32 v[6:7], v34, off
	s_wait_alu 0xfffe
	s_or_b32 exec_lo, exec_lo, s4
	s_and_saveexec_b32 s4, s1
	s_cbranch_execz .LBB128_52
.LBB128_81:
	v_dual_mov_b32 v7, 0 :: v_dual_add_nc_u32 v6, v5, v3
	s_delay_alu instid0(VALU_DEP_1) | instskip(SKIP_1) | instid1(VALU_DEP_1)
	v_lshlrev_b64_e32 v[6:7], 2, v[6:7]
	s_wait_kmcnt 0x0
	v_add_co_u32 v6, s3, s8, v6
	s_wait_alu 0xf1ff
	s_delay_alu instid0(VALU_DEP_2)
	v_add_co_ci_u32_e64 v7, null, s9, v7, s3
	global_store_b32 v[6:7], v32, off
	s_wait_alu 0xfffe
	s_or_b32 exec_lo, exec_lo, s4
	s_and_saveexec_b32 s4, s2
	s_cbranch_execnz .LBB128_53
	s_branch .LBB128_54
.LBB128_82:
	s_delay_alu instid0(VALU_DEP_1) | instskip(NEXT) | instid1(VALU_DEP_1)
	v_dual_mov_b32 v7, 0 :: v_dual_add_nc_u32 v6, v5, v0
	v_lshlrev_b64_e32 v[6:7], 2, v[6:7]
	s_wait_kmcnt 0x0
	s_delay_alu instid0(VALU_DEP_1) | instskip(SKIP_1) | instid1(VALU_DEP_2)
	v_add_co_u32 v6, s3, s8, v6
	s_wait_alu 0xf1ff
	v_add_co_ci_u32_e64 v7, null, s9, v7, s3
	global_store_b32 v[6:7], v28, off
	s_wait_alu 0xfffe
	s_or_b32 exec_lo, exec_lo, s4
	s_and_saveexec_b32 s4, s0
	s_cbranch_execz .LBB128_57
.LBB128_83:
	s_delay_alu instid0(VALU_DEP_1) | instskip(NEXT) | instid1(VALU_DEP_1)
	v_dual_mov_b32 v7, 0 :: v_dual_add_nc_u32 v6, v5, v2
	v_lshlrev_b64_e32 v[6:7], 2, v[6:7]
	s_wait_kmcnt 0x0
	s_delay_alu instid0(VALU_DEP_1) | instskip(SKIP_1) | instid1(VALU_DEP_2)
	v_add_co_u32 v6, s3, s8, v6
	s_wait_alu 0xf1ff
	v_add_co_ci_u32_e64 v7, null, s9, v7, s3
	global_store_b32 v[6:7], v27, off
	s_wait_alu 0xfffe
	s_or_b32 exec_lo, exec_lo, s4
	s_and_saveexec_b32 s4, s1
	s_cbranch_execz .LBB128_58
.LBB128_84:
	v_dual_mov_b32 v7, 0 :: v_dual_add_nc_u32 v6, v5, v3
	s_delay_alu instid0(VALU_DEP_1) | instskip(SKIP_1) | instid1(VALU_DEP_1)
	v_lshlrev_b64_e32 v[6:7], 2, v[6:7]
	s_wait_kmcnt 0x0
	v_add_co_u32 v6, s3, s8, v6
	s_wait_alu 0xf1ff
	s_delay_alu instid0(VALU_DEP_2)
	v_add_co_ci_u32_e64 v7, null, s9, v7, s3
	global_store_b32 v[6:7], v123, off
	s_wait_alu 0xfffe
	s_or_b32 exec_lo, exec_lo, s4
	s_and_saveexec_b32 s4, s2
	s_cbranch_execnz .LBB128_59
	s_branch .LBB128_60
.LBB128_85:
	s_delay_alu instid0(VALU_DEP_1) | instskip(NEXT) | instid1(VALU_DEP_1)
	v_dual_mov_b32 v6, 0 :: v_dual_add_nc_u32 v5, v1, v0
	v_lshlrev_b64_e32 v[5:6], 2, v[5:6]
	s_wait_kmcnt 0x0
	s_delay_alu instid0(VALU_DEP_1) | instskip(SKIP_1) | instid1(VALU_DEP_2)
	v_add_co_u32 v5, vcc_lo, s8, v5
	s_wait_alu 0xfffd
	v_add_co_ci_u32_e64 v6, null, s9, v6, vcc_lo
	global_store_b32 v[5:6], v23, off
	s_wait_alu 0xfffe
	s_or_b32 exec_lo, exec_lo, s3
	s_and_saveexec_b32 s3, s0
	s_cbranch_execz .LBB128_63
.LBB128_86:
	s_delay_alu instid0(VALU_DEP_1) | instskip(NEXT) | instid1(VALU_DEP_1)
	v_dual_mov_b32 v6, 0 :: v_dual_add_nc_u32 v5, v1, v2
	v_lshlrev_b64_e32 v[5:6], 2, v[5:6]
	s_wait_kmcnt 0x0
	s_delay_alu instid0(VALU_DEP_1) | instskip(SKIP_1) | instid1(VALU_DEP_2)
	v_add_co_u32 v5, vcc_lo, s8, v5
	s_wait_alu 0xfffd
	v_add_co_ci_u32_e64 v6, null, s9, v6, vcc_lo
	global_store_b32 v[5:6], v22, off
	s_wait_alu 0xfffe
	s_or_b32 exec_lo, exec_lo, s3
	s_and_saveexec_b32 s0, s1
	s_cbranch_execz .LBB128_64
.LBB128_87:
	v_dual_mov_b32 v3, 0 :: v_dual_add_nc_u32 v2, v1, v3
	s_delay_alu instid0(VALU_DEP_1) | instskip(SKIP_1) | instid1(VALU_DEP_1)
	v_lshlrev_b64_e32 v[2:3], 2, v[2:3]
	s_wait_kmcnt 0x0
	v_add_co_u32 v2, vcc_lo, s8, v2
	s_wait_alu 0xfffd
	s_delay_alu instid0(VALU_DEP_2) | instskip(SKIP_3) | instid1(SALU_CYCLE_1)
	v_add_co_ci_u32_e64 v3, null, s9, v3, vcc_lo
	global_store_b32 v[2:3], v21, off
	s_wait_alu 0xfffe
	s_or_b32 exec_lo, exec_lo, s0
	s_and_b32 exec_lo, exec_lo, s2
	s_cbranch_execnz .LBB128_65
	s_branch .LBB128_66
	.section	.rodata,"a",@progbits
	.p2align	6, 0x0
	.amdhsa_kernel _ZL12mul_mat_q2_KIfLb1EEvPKvS1_PT_iiiii
		.amdhsa_group_segment_fixed_size 31392
		.amdhsa_private_segment_fixed_size 492
		.amdhsa_kernarg_size 44
		.amdhsa_user_sgpr_count 2
		.amdhsa_user_sgpr_dispatch_ptr 0
		.amdhsa_user_sgpr_queue_ptr 0
		.amdhsa_user_sgpr_kernarg_segment_ptr 1
		.amdhsa_user_sgpr_dispatch_id 0
		.amdhsa_user_sgpr_private_segment_size 0
		.amdhsa_wavefront_size32 1
		.amdhsa_uses_dynamic_stack 0
		.amdhsa_enable_private_segment 1
		.amdhsa_system_sgpr_workgroup_id_x 1
		.amdhsa_system_sgpr_workgroup_id_y 1
		.amdhsa_system_sgpr_workgroup_id_z 0
		.amdhsa_system_sgpr_workgroup_info 0
		.amdhsa_system_vgpr_workitem_id 1
		.amdhsa_next_free_vgpr 256
		.amdhsa_next_free_sgpr 22
		.amdhsa_reserve_vcc 1
		.amdhsa_float_round_mode_32 0
		.amdhsa_float_round_mode_16_64 0
		.amdhsa_float_denorm_mode_32 3
		.amdhsa_float_denorm_mode_16_64 3
		.amdhsa_fp16_overflow 0
		.amdhsa_workgroup_processor_mode 1
		.amdhsa_memory_ordered 1
		.amdhsa_forward_progress 1
		.amdhsa_inst_pref_size 255
		.amdhsa_round_robin_scheduling 0
		.amdhsa_exception_fp_ieee_invalid_op 0
		.amdhsa_exception_fp_denorm_src 0
		.amdhsa_exception_fp_ieee_div_zero 0
		.amdhsa_exception_fp_ieee_overflow 0
		.amdhsa_exception_fp_ieee_underflow 0
		.amdhsa_exception_fp_ieee_inexact 0
		.amdhsa_exception_int_div_zero 0
	.end_amdhsa_kernel
	.section	.text._ZL12mul_mat_q2_KIfLb1EEvPKvS1_PT_iiiii,"axG",@progbits,_ZL12mul_mat_q2_KIfLb1EEvPKvS1_PT_iiiii,comdat
.Lfunc_end128:
	.size	_ZL12mul_mat_q2_KIfLb1EEvPKvS1_PT_iiiii, .Lfunc_end128-_ZL12mul_mat_q2_KIfLb1EEvPKvS1_PT_iiiii
                                        ; -- End function
	.set _ZL12mul_mat_q2_KIfLb1EEvPKvS1_PT_iiiii.num_vgpr, 256
	.set _ZL12mul_mat_q2_KIfLb1EEvPKvS1_PT_iiiii.num_agpr, 0
	.set _ZL12mul_mat_q2_KIfLb1EEvPKvS1_PT_iiiii.numbered_sgpr, 22
	.set _ZL12mul_mat_q2_KIfLb1EEvPKvS1_PT_iiiii.num_named_barrier, 0
	.set _ZL12mul_mat_q2_KIfLb1EEvPKvS1_PT_iiiii.private_seg_size, 492
	.set _ZL12mul_mat_q2_KIfLb1EEvPKvS1_PT_iiiii.uses_vcc, 1
	.set _ZL12mul_mat_q2_KIfLb1EEvPKvS1_PT_iiiii.uses_flat_scratch, 1
	.set _ZL12mul_mat_q2_KIfLb1EEvPKvS1_PT_iiiii.has_dyn_sized_stack, 0
	.set _ZL12mul_mat_q2_KIfLb1EEvPKvS1_PT_iiiii.has_recursion, 0
	.set _ZL12mul_mat_q2_KIfLb1EEvPKvS1_PT_iiiii.has_indirect_call, 0
	.section	.AMDGPU.csdata,"",@progbits
; Kernel info:
; codeLenInByte = 45556
; TotalNumSgprs: 24
; NumVgprs: 256
; ScratchSize: 492
; MemoryBound: 0
; FloatMode: 240
; IeeeMode: 1
; LDSByteSize: 31392 bytes/workgroup (compile time only)
; SGPRBlocks: 0
; VGPRBlocks: 31
; NumSGPRsForWavesPerEU: 24
; NumVGPRsForWavesPerEU: 256
; Occupancy: 5
; WaveLimiterHint : 0
; COMPUTE_PGM_RSRC2:SCRATCH_EN: 1
; COMPUTE_PGM_RSRC2:USER_SGPR: 2
; COMPUTE_PGM_RSRC2:TRAP_HANDLER: 0
; COMPUTE_PGM_RSRC2:TGID_X_EN: 1
; COMPUTE_PGM_RSRC2:TGID_Y_EN: 1
; COMPUTE_PGM_RSRC2:TGID_Z_EN: 0
; COMPUTE_PGM_RSRC2:TIDIG_COMP_CNT: 1
	.section	.text._ZL12mul_mat_q3_KIfLb0EEvPKvS1_PT_iiiii,"axG",@progbits,_ZL12mul_mat_q3_KIfLb0EEvPKvS1_PT_iiiii,comdat
	.globl	_ZL12mul_mat_q3_KIfLb0EEvPKvS1_PT_iiiii ; -- Begin function _ZL12mul_mat_q3_KIfLb0EEvPKvS1_PT_iiiii
	.p2align	8
	.type	_ZL12mul_mat_q3_KIfLb0EEvPKvS1_PT_iiiii,@function
_ZL12mul_mat_q3_KIfLb0EEvPKvS1_PT_iiiii: ; @_ZL12mul_mat_q3_KIfLb0EEvPKvS1_PT_iiiii
; %bb.0:
	s_clause 0x1
	s_load_b32 s10, s[0:1], 0x18
	s_load_b96 s[4:6], s[0:1], 0x20
	v_bfe_u32 v1, v0, 10, 10
	v_and_b32_e32 v17, 0x3ff, v0
	s_lshl_b32 s7, ttmp7, 6
	scratch_store_b32 off, v1, off offset:40 ; 4-byte Folded Spill
	s_wait_kmcnt 0x0
	s_cmp_gt_i32 s10, 0xff
	s_cbranch_scc1 .LBB129_2
; %bb.1:
	v_bfe_u32 v1, v0, 10, 10
	v_and_b32_e32 v2, 0x3ff, v0
	s_mov_b32 s2, 0
	s_delay_alu instid0(VALU_DEP_2)
	v_add_nc_u32_e32 v3, s7, v1
	s_branch .LBB129_3
.LBB129_2:
	s_mov_b32 s2, -1
                                        ; implicit-def: $vgpr1
                                        ; implicit-def: $vgpr2
                                        ; implicit-def: $vgpr3
.LBB129_3:
	s_load_b64 s[8:9], s[0:1], 0x10
	v_dual_mov_b32 v12, 0 :: v_dual_mov_b32 v23, 0
	v_dual_mov_b32 v18, 0 :: v_dual_mov_b32 v31, 0
	;; [unrolled: 1-line block ×14, first 2 shown]
	v_mov_b32_e32 v22, 0
	v_mov_b32_e32 v38, 0
	;; [unrolled: 1-line block ×4, first 2 shown]
	s_and_not1_b32 vcc_lo, exec_lo, s2
	s_lshl_b32 s14, ttmp9, 7
	s_cbranch_vccnz .LBB129_15
; %bb.4:
	s_ashr_i32 s11, s10, 31
	v_bfe_u32 v16, v0, 10, 10
	s_lshr_b32 s12, s11, 24
	v_and_b32_e32 v6, 1, v0
	s_add_co_i32 s10, s10, s12
	v_and_b32_e32 v3, 15, v0
	s_ashr_i32 s15, s10, 8
	v_dual_mov_b32 v19, 0 :: v_dual_lshlrev_b32 v18, 2, v17
	s_lshl_b32 s10, s15, 3
	s_delay_alu instid0(VALU_DEP_2)
	v_cmp_lt_u32_e32 vcc_lo, 7, v3
	v_mad_i32_i24 v1, s15, v16, s10
	v_lshlrev_b32_e32 v47, 2, v3
	v_bfe_u32 v25, v0, 4, 6
	v_bfe_u32 v33, v0, 1, 9
	v_cndmask_b32_e64 v3, 0, 1, vcc_lo
	s_clause 0x1
	scratch_store_b32 off, v1, off offset:44
	scratch_store_b32 off, v6, off offset:56
	v_dual_mov_b32 v84, 0 :: v_dual_add_nc_u32 v1, s10, v1
	v_mov_b32_e32 v66, 0
	v_mov_b32_e32 v60, 0
	v_lshlrev_b32_e32 v4, 1, v16
	scratch_store_b32 off, v1, off offset:48 ; 4-byte Folded Spill
	v_add_nc_u32_e32 v1, s10, v1
	v_lshlrev_b32_e32 v11, 2, v6
	s_ashr_i32 s11, s5, 31
	v_add_nc_u32_e32 v15, v25, v4
	v_add_nc_u16 v6, v25, v4
	v_add_nc_u32_e32 v5, s10, v1
	scratch_store_b32 off, v1, off offset:52 ; 4-byte Folded Spill
	v_add_nc_u32_e32 v23, s7, v16
	s_wait_alu 0xfffe
	s_lshr_b32 s11, s11, 27
	v_add_nc_u32_e32 v34, 16, v15
	scratch_store_b32 off, v5, off offset:60 ; 4-byte Folded Spill
	v_add_nc_u32_e32 v7, s10, v5
	v_mad_u32_u24 v5, 0x84, v16, v18
	s_wait_alu 0xfffe
	s_add_co_i32 s5, s5, s11
	s_lshl_b32 s11, s15, 4
	v_add_nc_u32_e32 v8, 16, v23
	s_clause 0x1
	scratch_store_b32 off, v7, off offset:64
	scratch_store_b32 off, v5, off offset:72
	v_add_nc_u32_e32 v7, s10, v7
	s_clause 0x1
	scratch_store_b32 off, v3, off offset:80
	scratch_store_b32 off, v7, off offset:76
	v_add_nc_u32_e32 v3, s10, v7
	v_lshl_add_u32 v5, v16, 4, v33
	v_lshrrev_b16 v20, 1, v6
	v_add_nc_u32_e32 v7, 8, v23
	v_add_nc_u32_e32 v9, 24, v23
	;; [unrolled: 1-line block ×3, first 2 shown]
	scratch_store_b32 off, v3, off offset:84 ; 4-byte Folded Spill
	v_and_b32_e32 v14, 0x7f, v5
	v_lshrrev_b32_e32 v21, 2, v5
	v_mul_i32_i24_e32 v5, s15, v15
	scratch_store_b32 off, v10, off offset:92 ; 4-byte Folded Spill
	v_add_nc_u32_e32 v10, s10, v10
	v_lshl_or_b32 v11, v14, 3, v11
	v_and_b32_e32 v21, 28, v21
	v_mul_i32_i24_e32 v14, s15, v14
	v_add_nc_u32_e32 v12, 32, v23
	scratch_store_b32 off, v10, off offset:96 ; 4-byte Folded Spill
	v_add_nc_u32_e32 v10, s10, v10
	s_clause 0x1
	scratch_store_b32 off, v5, off offset:104
	scratch_store_b32 off, v10, off offset:100
	v_add_nc_u32_e32 v10, s10, v10
	v_add3_u32 v11, v11, v21, 0x9380
	v_and_b32_e32 v20, 0xffff, v20
	s_wait_alu 0xfffe
	v_mad_i32_i24 v43, s15, v15, s11
	s_add_co_i32 s16, s4, -1
	v_add_nc_u32_e32 v22, s10, v10
	s_clause 0x3
	scratch_store_b32 off, v10, off offset:108
	scratch_store_b32 off, v11, off offset:128
	;; [unrolled: 1-line block ×4, first 2 shown]
	v_add_nc_u32_e32 v37, s10, v22
	scratch_store_b32 off, v22, off offset:112 ; 4-byte Folded Spill
	v_cvt_f64_i32_e32 v[1:2], s16
	v_cvt_f64_u32_e32 v[5:6], v7
	v_cvt_f64_u32_e32 v[7:8], v8
	v_add_nc_u32_e32 v39, s10, v37
	s_clause 0x1
	scratch_store_b32 off, v37, off offset:116
	scratch_store_b32 off, v14, off offset:124
	v_cvt_f64_u32_e32 v[9:10], v9
	v_lshlrev_b32_e32 v22, 1, v34
	v_add_nc_u32_e32 v11, s10, v39
	v_lshlrev_b32_e32 v20, 2, v20
	v_add_nc_u32_e32 v45, s11, v43
	v_dual_mov_b32 v74, 0 :: v_dual_add_nc_u32 v13, 40, v23
	scratch_store_b32 off, v11, off offset:132 ; 4-byte Folded Spill
	v_cvt_f64_u32_e32 v[11:12], v12
	v_and_b32_e32 v37, 0xffc, v22
	v_add3_u32 v38, v20, v47, 0x4200
	v_add_nc_u32_e32 v20, 48, v23
	v_add_nc_u32_e32 v22, 56, v23
	v_cvt_f64_u32_e32 v[3:4], v23
	scratch_store_b32 off, v23, off offset:248 ; 4-byte Folded Spill
	v_cvt_f64_u32_e32 v[13:14], v13
	v_cvt_f64_u32_e32 v[20:21], v20
	;; [unrolled: 1-line block ×3, first 2 shown]
	v_add_nc_u32_e32 v46, s11, v45
	v_lshlrev_b32_e32 v35, 6, v15
	v_add_nc_u32_e32 v36, 32, v15
	v_add_nc_u32_e32 v40, 48, v15
	;; [unrolled: 1-line block ×4, first 2 shown]
	scratch_store_b32 off, v45, off offset:140 ; 4-byte Folded Spill
	v_add_nc_u32_e32 v49, s11, v46
	scratch_store_b32 off, v46, off offset:144 ; 4-byte Folded Spill
	v_add_nc_u32_e32 v46, 0x60, v15
	v_add_nc_u32_e32 v50, 0x70, v15
	v_and_b32_e32 v15, 3, v0
	v_dual_mov_b32 v77, 0 :: v_dual_and_b32 v32, 7, v0
	v_add_nc_u32_e32 v52, s11, v49
	v_min_num_f64_e32 v[5:6], v[5:6], v[1:2]
	v_min_num_f64_e32 v[7:8], v[7:8], v[1:2]
	scratch_store_b32 off, v49, off offset:148 ; 4-byte Folded Spill
	v_lshlrev_b32_e32 v49, 1, v46
	v_cmp_gt_u32_e32 vcc_lo, 2, v15
	v_min_num_f64_e32 v[9:10], v[9:10], v[1:2]
	v_lshlrev_b32_e32 v48, 2, v32
	v_lshlrev_b32_e32 v51, 1, v50
	v_and_b32_e32 v49, 0xffc, v49
	scratch_store_b32 off, v39, off offset:120 ; 4-byte Folded Spill
	v_lshlrev_b32_e32 v39, 1, v36
	v_lshlrev_b32_e32 v42, 1, v40
	;; [unrolled: 1-line block ×3, first 2 shown]
	v_min_num_f64_e32 v[11:12], v[11:12], v[1:2]
	v_lshlrev_b32_e32 v45, 1, v44
	v_and_b32_e32 v39, 0xffc, v39
	v_and_b32_e32 v42, 0xffc, v42
	;; [unrolled: 1-line block ×3, first 2 shown]
	v_min_num_f64_e32 v[3:4], v[3:4], v[1:2]
	v_and_b32_e32 v45, 0xffc, v45
	v_min_num_f64_e32 v[13:14], v[13:14], v[1:2]
	v_min_num_f64_e32 v[20:21], v[20:21], v[1:2]
	;; [unrolled: 1-line block ×3, first 2 shown]
	v_lshlrev_b32_e32 v23, 6, v46
	v_add_nc_u16 v46, v15, -2
	v_add3_u32 v22, v49, v47, 0x4200
	v_and_b32_e32 v49, 0xffc, v51
	s_lshl_b32 s10, s15, 5
	v_add3_u32 v37, v37, v47, 0x4200
	s_wait_alu 0xfffd
	v_cndmask_b32_e32 v46, v46, v15, vcc_lo
	v_cmp_lt_u32_e32 vcc_lo, 3, v32
	v_add3_u32 v39, v39, v47, 0x4200
	v_add3_u32 v42, v42, v47, 0x4200
	;; [unrolled: 1-line block ×3, first 2 shown]
	v_and_b32_e32 v46, 0xff, v46
	s_wait_alu 0xfffd
	v_cndmask_b32_e64 v32, 0, 1, vcc_lo
	scratch_store_b32 off, v52, off offset:152 ; 4-byte Folded Spill
	v_add_nc_u32_e32 v52, s11, v52
	v_cvt_i32_f64_e32 v5, v[5:6]
	v_cvt_i32_f64_e32 v6, v[7:8]
	v_lshlrev_b32_e32 v46, 2, v46
	v_add3_u32 v45, v45, v47, 0x4200
	v_add_nc_u32_e32 v51, s11, v52
	v_cvt_i32_f64_e32 v7, v[9:10]
	scratch_store_b32 off, v52, off offset:156 ; 4-byte Folded Spill
	v_add3_u32 v49, v49, v47, 0x4200
	s_load_b128 s[0:3], s[0:1], 0x0
	scratch_store_b32 off, v51, off offset:160 ; 4-byte Folded Spill
	v_bfe_u32 v51, v0, 3, 7
	s_ashr_i32 s5, s5, 5
	v_and_b32_e32 v52, 31, v0
	v_cvt_i32_f64_e32 v9, v[11:12]
	v_bfe_u32 v12, v0, 2, 8
	v_lshl_add_u32 v51, v16, 2, v51
	v_and_b32_e32 v0, 0xfc, v0
	v_and_b32_e32 v18, 28, v18
	v_cvt_i32_f64_e32 v3, v[3:4]
	v_lshl_add_u32 v12, v16, 3, v12
	v_cvt_i32_f64_e32 v11, v[13:14]
	v_cvt_i32_f64_e32 v13, v[20:21]
	;; [unrolled: 1-line block ×3, first 2 shown]
	v_mad_i32_i24 v47, s15, v51, s10
	scratch_store_b32 off, v46, off offset:168 ; 4-byte Folded Spill
	v_lshlrev_b32_e32 v46, 1, v15
	v_add_nc_u32_e32 v10, 64, v51
	s_clause 0x1
	scratch_store_b32 off, v32, off offset:164
	scratch_store_b32 off, v47, off offset:180
	v_add_nc_u32_e32 v47, s10, v47
	scratch_store_b32 off, v46, off offset:172 ; 4-byte Folded Spill
	v_mul_i32_i24_e32 v46, s15, v51
	v_and_b32_e32 v14, 0xffc, v10
	v_and_b32_e32 v12, 63, v12
	v_lshlrev_b32_e32 v21, 5, v10
	v_add_nc_u32_e32 v10, s10, v47
	scratch_store_b32 off, v46, off offset:176 ; 4-byte Folded Spill
	v_add_nc_u32_e32 v4, 32, v51
	v_add_nc_u32_e32 v2, 0x60, v51
	s_clause 0x2
	scratch_store_b32 off, v47, off offset:184
	scratch_store_b32 off, v10, off offset:188
	scratch_store_b32 off, v48, off offset:88
	v_or_b32_e32 v10, s7, v12
	v_and_b32_e32 v32, 0x7fc, v51
	v_lshlrev_b32_e32 v46, 5, v51
	v_and_b32_e32 v8, 0xffc, v4
	v_and_b32_e32 v20, 0xffc, v2
	v_lshlrev_b32_e32 v51, 2, v15
	v_min_i32_e32 v10, s16, v10
	v_lshlrev_b32_e32 v34, 6, v34
	v_add3_u32 v32, v32, v48, 0x8300
	v_add3_u32 v8, v8, v48, 0x8300
	v_mul_lo_u32 v95, s5, v9
	v_lshlrev_b32_e32 v9, 5, v17
	v_add3_u32 v14, v14, v48, 0x8300
	v_add3_u32 v20, v20, v48, 0x8300
	v_lshl_or_b32 v12, v12, 4, v51
	v_lshl_or_b32 v51, v52, 2, 0x6300
	v_add3_u32 v98, v9, v0, 0x8300
	v_add_nc_u32_e32 v9, 0x60, v17
	v_mad_co_u64_u32 v[47:48], null, v10, s5, v[15:16]
	v_mul_lo_u32 v130, s5, v1
	v_add_nc_u32_e32 v1, 32, v17
	s_delay_alu instid0(VALU_DEP_4)
	v_lshlrev_b32_e32 v56, 5, v9
	v_and_b32_e32 v57, 0x1fc, v9
	v_mul_lo_u32 v91, s5, v3
	v_mul_lo_u32 v92, s5, v5
	;; [unrolled: 1-line block ×6, first 2 shown]
	v_lshlrev_b32_e32 v10, 5, v1
	v_and_b32_e32 v52, 0x1fc, v1
	v_lshrrev_b32_e32 v0, 1, v1
	v_lshrrev_b32_e32 v55, 4, v1
	;; [unrolled: 1-line block ×3, first 2 shown]
	v_add3_u32 v101, v56, v57, 0x8300
	v_lshrrev_b32_e32 v56, 4, v9
	v_lshlrev_b32_e32 v111, 6, v1
	v_lshlrev_b32_e32 v112, 3, v1
	;; [unrolled: 1-line block ×4, first 2 shown]
	s_wait_kmcnt 0x0
	v_add_co_u32 v9, s5, s2, v18
	v_dual_mov_b32 v18, 0 :: v_dual_add_nc_u32 v1, v38, v35
	v_lshlrev_b32_e32 v36, 6, v36
	v_lshlrev_b32_e32 v40, 6, v40
	;; [unrolled: 1-line block ×4, first 2 shown]
	scratch_store_b32 off, v1, off offset:200 ; 4-byte Folded Spill
	v_add_nc_u32_e32 v1, v37, v34
	v_lshlrev_b32_e32 v50, 6, v50
	v_lshlrev_b32_e32 v4, 5, v4
	;; [unrolled: 1-line block ×3, first 2 shown]
	v_dual_mov_b32 v69, 0 :: v_dual_add_nc_u32 v24, 8, v16
	scratch_store_b32 off, v1, off offset:204 ; 4-byte Folded Spill
	v_add_nc_u32_e32 v1, v39, v36
	v_lshlrev_b32_e32 v3, 7, v16
	v_add_nc_u32_e32 v26, 16, v16
	v_dual_mov_b32 v38, 0 :: v_dual_add_nc_u32 v29, 40, v16
	scratch_store_b32 off, v1, off offset:208 ; 4-byte Folded Spill
	v_add_nc_u32_e32 v1, v42, v40
	v_lshlrev_b32_e32 v5, 7, v24
	v_add_nc_u32_e32 v27, 24, v16
	v_lshlrev_b32_e32 v11, 7, v29
	v_lshlrev_b32_e32 v106, 5, v29
	scratch_store_b32 off, v1, off offset:212 ; 4-byte Folded Spill
	v_add_nc_u32_e32 v1, v43, v41
	v_dual_mov_b32 v29, 0 :: v_dual_lshlrev_b32 v6, 7, v26
	v_add_nc_u32_e32 v28, 32, v16
	v_add_nc_u32_e32 v90, 0x97a0, v12
	scratch_store_b32 off, v1, off offset:216 ; 4-byte Folded Spill
	v_add_nc_u32_e32 v1, v45, v44
	v_dual_mov_b32 v45, 0 :: v_dual_add_nc_u32 v30, 48, v16
	v_lshlrev_b32_e32 v12, 7, v28
	v_add_nc_u32_e32 v54, 64, v17
	scratch_store_b32 off, v1, off offset:220 ; 4-byte Folded Spill
	v_add_nc_u32_e32 v1, v22, v23
	v_dual_mov_b32 v22, 0 :: v_dual_add_nc_u32 v31, 56, v16
	v_lshlrev_b32_e32 v13, 7, v30
	v_add3_u32 v99, v10, v52, 0x8300
	scratch_store_b32 off, v1, off offset:224 ; 4-byte Folded Spill
	v_dual_mov_b32 v50, 0 :: v_dual_add_nc_u32 v1, v49, v50
	v_lshlrev_b32_e32 v7, 7, v27
	v_lshlrev_b32_e32 v10, 5, v54
	v_and_b32_e32 v52, 0x1fc, v54
	scratch_store_b32 off, v1, off offset:228 ; 4-byte Folded Spill
	v_add_nc_u32_e32 v1, v32, v46
	v_lshlrev_b32_e32 v15, 7, v31
	v_lshrrev_b32_e32 v58, 1, v54
	v_add3_u32 v100, v10, v52, 0x8300
	v_lshrrev_b32_e32 v52, 4, v54
	scratch_store_b32 off, v1, off offset:232 ; 4-byte Folded Spill
	v_add_nc_u32_e32 v1, v8, v4
	s_mul_i32 s12, s15, s14
	v_lshlrev_b32_e32 v78, 1, v17
	s_ashr_i32 s13, s12, 31
	v_lshlrev_b32_e32 v97, 5, v16
	scratch_store_b32 off, v1, off offset:236 ; 4-byte Folded Spill
	v_add_nc_u32_e32 v1, v14, v21
	v_lshlrev_b32_e32 v102, 5, v24
	v_lshlrev_b32_e32 v103, 5, v26
	;; [unrolled: 1-line block ×4, first 2 shown]
	scratch_store_b32 off, v1, off offset:240 ; 4-byte Folded Spill
	v_add_nc_u32_e32 v1, v20, v2
	v_lshlrev_b32_e32 v108, 5, v31
	v_mul_u32_u24_e32 v109, 0x84, v17
	v_lshlrev_b32_e32 v110, 6, v17
	v_lshlrev_b32_e32 v113, 6, v54
	scratch_store_b32 off, v1, off offset:244 ; 4-byte Folded Spill
	v_add_nc_u32_e32 v1, v51, v3
	v_lshlrev_b32_e32 v114, 3, v54
	v_add_co_ci_u32_e64 v10, null, s3, 0, s5
	v_lshlrev_b32_e32 v137, 2, v0
	s_clause 0x1
	scratch_store_b32 off, v1, off
	scratch_store_b32 off, v17, off offset:36
	v_add_nc_u32_e32 v1, v51, v5
	scratch_store_b64 off, v[47:48], off offset:192 ; 8-byte Folded Spill
	v_lshlrev_b32_e32 v138, 2, v55
	v_lshlrev_b32_e32 v139, 2, v58
	;; [unrolled: 1-line block ×3, first 2 shown]
	scratch_store_b32 off, v1, off offset:4 ; 4-byte Folded Spill
	v_add_nc_u32_e32 v1, v51, v6
	v_lshlrev_b32_e32 v141, 2, v59
	v_lshlrev_b32_e32 v142, 2, v56
	v_dual_mov_b32 v42, 0 :: v_dual_mov_b32 v41, 0
	scratch_store_b32 off, v1, off offset:8 ; 4-byte Folded Spill
	v_dual_mov_b32 v36, 0 :: v_dual_add_nc_u32 v1, v51, v7
	v_dual_mov_b32 v26, 0 :: v_dual_mov_b32 v21, 0
	v_mov_b32_e32 v14, 0
	scratch_store_b32 off, v1, off offset:12 ; 4-byte Folded Spill
	v_dual_mov_b32 v44, 0 :: v_dual_add_nc_u32 v1, v51, v12
	v_mov_b32_e32 v40, 0
	v_mov_b32_e32 v34, 0
	;; [unrolled: 1-line block ×3, first 2 shown]
	scratch_store_b32 off, v1, off offset:16 ; 4-byte Folded Spill
	v_dual_mov_b32 v20, 0 :: v_dual_add_nc_u32 v1, v51, v11
	v_mov_b32_e32 v55, 0
	v_mov_b32_e32 v43, 0
	;; [unrolled: 1-line block ×3, first 2 shown]
	scratch_store_b32 off, v1, off offset:20 ; 4-byte Folded Spill
	v_add_nc_u32_e32 v1, v51, v13
	v_mov_b32_e32 v13, 0
	v_mov_b32_e32 v31, 0
	v_dual_mov_b32 v23, 0 :: v_dual_mov_b32 v12, 0
	scratch_store_b32 off, v1, off offset:24 ; 4-byte Folded Spill
	v_add_nc_u32_e32 v1, v51, v15
	v_mov_b32_e32 v15, 0
	v_lshlrev_b32_e32 v105, 5, v28
	s_mul_u64 s[12:13], s[12:13], 0x6e
	s_mov_b32 s11, 0
	s_add_nc_u64 s[0:1], s[0:1], s[12:13]
	s_wait_alu 0xfffe
	s_mov_b32 s10, s11
	scratch_store_b32 off, v1, off offset:28 ; 4-byte Folded Spill
	s_branch .LBB129_6
.LBB129_5:                              ;   in Loop: Header=BB129_6 Depth=1
	s_add_co_i32 s10, s10, 2
	s_wait_alu 0xfffe
	s_cmp_ge_i32 s10, s15
	s_cbranch_scc1 .LBB129_14
.LBB129_6:                              ; =>This Loop Header: Depth=1
                                        ;     Child Loop BB129_8 Depth 2
                                        ;       Child Loop BB129_10 Depth 3
                                        ;       Child Loop BB129_12 Depth 3
	s_clause 0x4
	scratch_load_b32 v2, off, off offset:40
	scratch_load_b32 v4, off, off offset:44
	;; [unrolled: 1-line block ×5, first 2 shown]
	s_wait_alu 0xfffe
	s_mul_u64 s[12:13], s[10:11], 0x6e
	s_lshl_b32 s5, s10, 3
	s_wait_alu 0xfffe
	s_add_nc_u64 s[12:13], s[0:1], s[12:13]
	s_wait_alu 0xfffe
	v_mad_co_u64_u32 v[0:1], null, 0x6e, v25, s[12:13]
	s_wait_loadcnt 0x4
	v_mul_i32_i24_e32 v2, s15, v2
	s_wait_loadcnt 0x3
	s_delay_alu instid0(VALU_DEP_2)
	v_mad_co_u64_u32 v[4:5], null, 0x6e, v4, v[0:1]
	s_wait_loadcnt 0x1
	v_mad_co_u64_u32 v[27:28], null, 0x6e, v8, v[0:1]
	scratch_load_b32 v8, off, off offset:60 ; 4-byte Folded Reload
	v_mad_co_u64_u32 v[2:3], null, 0x6e, v2, v[0:1]
	v_mad_co_u64_u32 v[6:7], null, 0x6e, v6, v[0:1]
	s_wait_loadcnt 0x1
	s_delay_alu instid0(VALU_DEP_2) | instskip(SKIP_1) | instid1(VALU_DEP_3)
	v_add_co_u32 v2, vcc_lo, v2, v16
	s_wait_alu 0xfffd
	v_add_co_ci_u32_e64 v3, null, 0, v3, vcc_lo
	v_add_co_u32 v4, vcc_lo, v4, v16
	s_wait_alu 0xfffd
	v_add_co_ci_u32_e64 v5, null, 0, v5, vcc_lo
	;; [unrolled: 3-line block ×4, first 2 shown]
	s_wait_loadcnt 0x0
	v_mad_co_u64_u32 v[51:52], null, 0x6e, v8, v[0:1]
	scratch_load_b32 v8, off, off offset:64 ; 4-byte Folded Reload
	v_add_co_u32 v51, vcc_lo, v51, v16
	s_wait_alu 0xfffd
	v_add_co_ci_u32_e64 v52, null, 0, v52, vcc_lo
	s_wait_loadcnt 0x0
	v_mad_co_u64_u32 v[56:57], null, 0x6e, v8, v[0:1]
	scratch_load_b32 v8, off, off offset:76 ; 4-byte Folded Reload
	v_add_co_u32 v56, vcc_lo, v56, v16
	s_wait_alu 0xfffd
	v_add_co_ci_u32_e64 v57, null, 0, v57, vcc_lo
	;; [unrolled: 6-line block ×4, first 2 shown]
	s_wait_loadcnt 0x0
	v_mad_co_u64_u32 v[64:65], null, 0x6e, v8, v[0:1]
	s_clause 0x7
	global_load_b32 v8, v[2:3], off offset:32
	global_load_b32 v11, v[4:5], off offset:32
	;; [unrolled: 1-line block ×8, first 2 shown]
	s_clause 0x3
	scratch_load_b32 v2, off, off offset:96
	scratch_load_b32 v6, off, off offset:100
	;; [unrolled: 1-line block ×4, first 2 shown]
	v_add_co_u32 v4, vcc_lo, v64, v16
	s_wait_alu 0xfffd
	v_add_co_ci_u32_e64 v5, null, 0, v65, vcc_lo
	s_wait_loadcnt 0x3
	v_mad_co_u64_u32 v[2:3], null, 0x6e, v2, v[0:1]
	s_wait_loadcnt 0x2
	v_mad_co_u64_u32 v[6:7], null, 0x6e, v6, v[0:1]
	;; [unrolled: 2-line block ×3, first 2 shown]
	scratch_load_b32 v47, off, off offset:116 ; 4-byte Folded Reload
	v_mad_co_u64_u32 v[27:28], null, 0x6e, v27, v[0:1]
	v_add_co_u32 v2, vcc_lo, v2, v16
	s_wait_alu 0xfffd
	v_add_co_ci_u32_e64 v3, null, 0, v3, vcc_lo
	v_add_co_u32 v6, vcc_lo, v6, v16
	s_wait_alu 0xfffd
	v_add_co_ci_u32_e64 v7, null, 0, v7, vcc_lo
	;; [unrolled: 3-line block ×4, first 2 shown]
	s_wait_loadcnt 0x0
	v_mad_co_u64_u32 v[56:57], null, 0x6e, v47, v[0:1]
	scratch_load_b32 v47, off, off offset:120 ; 4-byte Folded Reload
	v_add_co_u32 v56, vcc_lo, v56, v16
	s_wait_alu 0xfffd
	v_add_co_ci_u32_e64 v57, null, 0, v57, vcc_lo
	s_wait_loadcnt 0x0
	v_mad_co_u64_u32 v[58:59], null, 0x6e, v47, v[0:1]
	scratch_load_b32 v47, off, off offset:132 ; 4-byte Folded Reload
	v_add_co_u32 v58, vcc_lo, v58, v16
	s_wait_alu 0xfffd
	v_add_co_ci_u32_e64 v59, null, 0, v59, vcc_lo
	s_wait_loadcnt 0x0
	v_mad_co_u64_u32 v[0:1], null, 0x6e, v47, v[0:1]
	scratch_load_b32 v47, off, off offset:80 ; 4-byte Folded Reload
	v_add_co_u32 v0, vcc_lo, v0, v16
	scratch_load_b32 v16, off, off offset:124 ; 4-byte Folded Reload
	s_wait_alu 0xfffd
	v_add_co_ci_u32_e64 v1, null, 0, v1, vcc_lo
	s_wait_loadcnt 0x0
	v_mad_co_u64_u32 v[64:65], null, 0x6e, v16, s[12:13]
	scratch_load_b32 v16, off, off offset:88 ; 4-byte Folded Reload
	v_mad_co_u64_u32 v[61:62], null, 0x6e, v47, s[12:13]
	s_clause 0x7
	global_load_b32 v54, v[4:5], off offset:32
	global_load_b32 v67, v[2:3], off offset:32
	;; [unrolled: 1-line block ×8, first 2 shown]
	s_clause 0x3
	scratch_load_b32 v0, off, off offset:56
	scratch_load_b32 v2, off, off offset:104
	;; [unrolled: 1-line block ×4, first 2 shown]
	s_wait_loadcnt 0xc
	v_add_co_u32 v61, vcc_lo, v61, v16
	scratch_load_b32 v16, off, off offset:144 ; 4-byte Folded Reload
	s_wait_alu 0xfffd
	v_add_co_ci_u32_e64 v62, null, 0, v62, vcc_lo
	s_wait_loadcnt 0x4
	v_mad_co_u64_u32 v[0:1], null, 0x6e, v0, v[64:65]
	s_wait_loadcnt 0x3
	s_delay_alu instid0(VALU_DEP_2)
	v_mad_co_u64_u32 v[2:3], null, 0x6e, v2, v[61:62]
	s_wait_loadcnt 0x2
	v_mad_co_u64_u32 v[4:5], null, 0x6e, v4, v[61:62]
	s_wait_loadcnt 0x1
	;; [unrolled: 2-line block ×3, first 2 shown]
	v_mad_co_u64_u32 v[27:28], null, 0x6e, v16, v[61:62]
	scratch_load_b32 v16, off, off offset:164 ; 4-byte Folded Reload
	s_wait_loadcnt 0x0
	v_mad_co_u64_u32 v[51:52], null, 0x6e, v16, s[12:13]
	scratch_load_b32 v16, off, off offset:148 ; 4-byte Folded Reload
	s_mov_b32 s12, 0
	s_wait_loadcnt 0x0
	v_mad_co_u64_u32 v[56:57], null, 0x6e, v16, v[61:62]
	scratch_load_b32 v16, off, off offset:152 ; 4-byte Folded Reload
	s_wait_loadcnt 0x0
	v_mad_co_u64_u32 v[58:59], null, 0x6e, v16, v[61:62]
	scratch_load_b32 v16, off, off offset:156 ; 4-byte Folded Reload
	;; [unrolled: 3-line block ×5, first 2 shown]
	s_wait_loadcnt 0x0
	v_mad_co_u64_u32 v[121:122], null, 0x6e, v16, v[51:52]
	s_clause 0x9
	global_load_u16 v125, v[0:1], off offset:108
	global_load_b32 v126, v[2:3], off
	global_load_b32 v127, v[4:5], off
	;; [unrolled: 1-line block ×7, first 2 shown]
	global_load_b32 v59, v[119:120], off offset:104
	global_load_b32 v64, v[121:122], off offset:104
	s_clause 0x2
	scratch_load_b32 v0, off, off offset:180
	scratch_load_b32 v2, off, off offset:160
	scratch_load_b32 v16, off, off offset:168
	s_wait_loadcnt 0xc
	v_cvt_f32_f16_e32 v125, v125
	s_wait_loadcnt 0x2
	v_mad_co_u64_u32 v[0:1], null, 0x6e, v0, v[51:52]
	s_wait_loadcnt 0x1
	v_mad_co_u64_u32 v[2:3], null, 0x6e, v2, v[61:62]
	s_wait_loadcnt 0x0
	v_add_co_u32 v4, vcc_lo, v117, v16
	s_wait_alu 0xfffd
	v_add_co_ci_u32_e64 v5, null, 0, v118, vcc_lo
	s_delay_alu instid0(VALU_DEP_4)
	v_add_co_u32 v6, vcc_lo, v0, v16
	s_wait_alu 0xfffd
	v_add_co_ci_u32_e64 v7, null, 0, v1, vcc_lo
	v_add_co_u32 v27, vcc_lo, v119, v16
	s_wait_alu 0xfffd
	v_add_co_ci_u32_e64 v28, null, 0, v120, vcc_lo
	;; [unrolled: 3-line block ×3, first 2 shown]
	s_clause 0x6
	global_load_b32 v2, v[2:3], off
	global_load_b32 v3, v[4:5], off offset:96
	global_load_b32 v0, v[0:1], off offset:104
	;; [unrolled: 1-line block ×6, first 2 shown]
	s_clause 0x1
	scratch_load_b64 v[47:48], off, off offset:192
	scratch_load_b32 v16, off, off offset:72
	s_wait_loadcnt 0x8
	v_not_b32_e32 v2, v2
	s_wait_loadcnt 0x1
	v_add_nc_u32_e32 v131, s5, v47
	scratch_load_b32 v47, off, off offset:172 ; 4-byte Folded Reload
	s_wait_loadcnt 0x1
	v_add_nc_u32_e32 v7, 0x420, v16
	v_add_nc_u32_e32 v27, 0x840, v16
	;; [unrolled: 1-line block ×15, first 2 shown]
	ds_store_b32 v16, v8
	ds_store_b32 v7, v11
	;; [unrolled: 1-line block ×16, first 2 shown]
	v_and_b32_e32 v16, 4, v78
	v_not_b32_e32 v7, v126
	v_not_b32_e32 v8, v127
	;; [unrolled: 1-line block ×4, first 2 shown]
	v_ashrrev_i32_e32 v3, v16, v3
	v_ashrrev_i32_e32 v4, v16, v4
	;; [unrolled: 1-line block ×4, first 2 shown]
	scratch_load_b32 v16, off, off offset:128 ; 4-byte Folded Reload
	v_and_b32_e32 v3, 0xf0f0f0f, v3
	v_not_b32_e32 v28, v56
	v_not_b32_e32 v30, v57
	v_and_b32_e32 v4, 0xf0f0f0f, v4
	v_and_b32_e32 v1, 0xf0f0f0f, v1
	;; [unrolled: 1-line block ×3, first 2 shown]
	v_not_b32_e32 v32, v58
	scratch_store_b32 off, v131, off offset:32 ; 4-byte Folded Spill
	s_wait_loadcnt 0x1
	v_ashrrev_i32_e32 v5, v47, v5
	v_ashrrev_i32_e32 v59, v47, v59
	;; [unrolled: 1-line block ×4, first 2 shown]
	s_delay_alu instid0(VALU_DEP_4) | instskip(NEXT) | instid1(VALU_DEP_4)
	v_lshlrev_b32_e32 v5, 4, v5
	v_lshlrev_b32_e32 v35, 4, v59
	s_delay_alu instid0(VALU_DEP_4) | instskip(NEXT) | instid1(VALU_DEP_4)
	v_lshlrev_b32_e32 v37, 4, v64
	v_lshlrev_b32_e32 v0, 4, v0
	s_delay_alu instid0(VALU_DEP_4)
	v_and_or_b32 v3, 0x30303030, v5, v3
	scratch_load_b32 v5, off, off offset:220 ; 4-byte Folded Reload
	v_and_or_b32 v1, 0x30303030, v35, v1
	v_and_or_b32 v0, 0x30303030, v0, v4
	;; [unrolled: 1-line block ×3, first 2 shown]
	v_and_b32_e32 v6, 0x3f00, v3
	s_wait_loadcnt 0x1
	ds_store_b32 v16, v125
	scratch_load_b32 v16, off, off offset:200 ; 4-byte Folded Reload
	s_wait_loadcnt 0x0
	ds_store_b32 v16, v7
	scratch_load_b32 v7, off, off offset:204 ; 4-byte Folded Reload
	;; [unrolled: 3-line block ×3, first 2 shown]
	v_and_b32_e32 v8, 0x3f00, v0
	s_wait_loadcnt 0x0
	ds_store_b32 v7, v11
	scratch_load_b32 v7, off, off offset:212 ; 4-byte Folded Reload
	v_lshrrev_b32_e32 v11, 16, v1
	s_delay_alu instid0(VALU_DEP_1) | instskip(SKIP_1) | instid1(VALU_DEP_1)
	v_and_b32_e32 v46, 0x3f00, v11
	v_lshlrev_b16 v11, 8, v11
	v_add_nc_u16 v11, 0xe000, v11
	s_wait_loadcnt 0x0
	ds_store_b32 v7, v27
	scratch_load_b32 v7, off, off offset:216 ; 4-byte Folded Reload
	v_and_b32_e32 v27, 0x3f00, v1
	v_lshlrev_b16 v1, 8, v1
	s_delay_alu instid0(VALU_DEP_1) | instskip(NEXT) | instid1(VALU_DEP_1)
	v_add_nc_u16 v1, 0xe000, v1
	v_lshrrev_b16 v1, 8, v1
	s_delay_alu instid0(VALU_DEP_1) | instskip(NEXT) | instid1(VALU_DEP_1)
	v_or_b32_e32 v1, v27, v1
	v_add_nc_u16 v1, 0xe000, v1
	s_delay_alu instid0(VALU_DEP_1)
	v_and_b32_e32 v1, 0xffff, v1
	s_wait_loadcnt 0x0
	ds_store_b32 v7, v28
	ds_store_b32 v5, v30
	v_lshrrev_b32_e32 v5, 16, v3
	v_lshlrev_b16 v3, 8, v3
	v_lshrrev_b32_e32 v7, 16, v0
	v_lshlrev_b16 v0, 8, v0
	v_lshrrev_b32_e32 v28, 16, v4
	v_and_b32_e32 v35, 0x3f00, v5
	v_lshlrev_b16 v5, 8, v5
	v_add_nc_u16 v3, 0xe000, v3
	v_and_b32_e32 v37, 0x3f00, v7
	v_lshlrev_b16 v7, 8, v7
	v_add_nc_u16 v0, 0xe000, v0
	v_add_nc_u16 v5, 0xe000, v5
	v_lshrrev_b16 v3, 8, v3
	v_and_b32_e32 v30, 0x3f00, v4
	v_add_nc_u16 v7, 0xe000, v7
	v_lshrrev_b16 v0, 8, v0
	v_lshrrev_b16 v5, 8, v5
	v_or_b32_e32 v3, v6, v3
	v_lshlrev_b16 v4, 8, v4
	v_lshrrev_b16 v6, 8, v7
	v_lshrrev_b16 v7, 8, v11
	v_or_b32_e32 v5, v35, v5
	v_add_nc_u16 v3, 0xe000, v3
	scratch_load_b32 v11, off, off offset:224 ; 4-byte Folded Reload
	v_or_b32_e32 v0, v8, v0
	v_or_b32_e32 v6, v37, v6
	v_add_nc_u16 v5, 0xe000, v5
	v_and_b32_e32 v3, 0xffff, v3
	v_or_b32_e32 v7, v46, v7
	v_add_nc_u16 v0, 0xe000, v0
	v_add_nc_u16 v6, 0xe000, v6
	v_lshlrev_b32_e32 v5, 16, v5
	v_and_b32_e32 v49, 0x3f00, v28
	v_add_nc_u16 v7, 0xe000, v7
	v_and_b32_e32 v0, 0xffff, v0
	v_lshlrev_b32_e32 v6, 16, v6
	v_or_b32_e32 v3, v3, v5
	scratch_load_b32 v5, off, off offset:228 ; 4-byte Folded Reload
	v_lshlrev_b32_e32 v7, 16, v7
	v_lshlrev_b16 v28, 8, v28
	v_or_b32_e32 v0, v0, v6
	v_add_nc_u16 v4, 0xe000, v4
	s_delay_alu instid0(VALU_DEP_4) | instskip(NEXT) | instid1(VALU_DEP_4)
	v_or_b32_e32 v1, v1, v7
	v_add_nc_u16 v28, 0xe000, v28
	s_delay_alu instid0(VALU_DEP_3) | instskip(NEXT) | instid1(VALU_DEP_2)
	v_lshrrev_b16 v4, 8, v4
	v_lshrrev_b16 v8, 8, v28
	s_delay_alu instid0(VALU_DEP_2) | instskip(NEXT) | instid1(VALU_DEP_2)
	v_or_b32_e32 v4, v30, v4
	v_or_b32_e32 v8, v49, v8
	s_delay_alu instid0(VALU_DEP_2) | instskip(NEXT) | instid1(VALU_DEP_2)
	v_add_nc_u16 v4, 0xe000, v4
	v_add_nc_u16 v8, 0xe000, v8
	s_delay_alu instid0(VALU_DEP_2) | instskip(NEXT) | instid1(VALU_DEP_2)
	v_and_b32_e32 v4, 0xffff, v4
	v_lshlrev_b32_e32 v8, 16, v8
	s_delay_alu instid0(VALU_DEP_1)
	v_or_b32_e32 v4, v4, v8
	s_wait_loadcnt 0x1
	ds_store_b32 v11, v32
	s_wait_loadcnt 0x0
	ds_store_b32 v5, v2
	scratch_load_b32 v2, off, off offset:232 ; 4-byte Folded Reload
	s_wait_loadcnt 0x0
	ds_store_b32 v2, v3
	scratch_load_b32 v2, off, off offset:236 ; 4-byte Folded Reload
	;; [unrolled: 3-line block ×4, first 2 shown]
	s_wait_loadcnt 0x0
	ds_store_b32 v0, v4
	s_branch .LBB129_8
.LBB129_7:                              ;   in Loop: Header=BB129_8 Depth=2
                                        ; implicit-def: $sgpr12
	s_wait_alu 0xfffe
	s_and_b32 vcc_lo, exec_lo, s13
	s_wait_alu 0xfffe
	s_cbranch_vccnz .LBB129_5
.LBB129_8:                              ;   Parent Loop BB129_6 Depth=1
                                        ; =>  This Loop Header: Depth=2
                                        ;       Child Loop BB129_10 Depth 3
                                        ;       Child Loop BB129_12 Depth 3
	s_wait_alu 0xfffe
	s_lshr_b32 s13, s12, 1
	s_wait_alu 0xfffe
	s_or_b32 s13, s13, s10
	s_wait_alu 0xfffe
	s_cmp_lt_i32 s13, s15
	s_mov_b32 s13, -1
	s_cbranch_scc0 .LBB129_7
; %bb.9:                                ;   in Loop: Header=BB129_8 Depth=2
	s_wait_loadcnt 0x1
	v_lshl_add_u32 v0, s12, 5, v17
	s_wait_loadcnt 0x0
	v_lshl_add_u32 v8, s12, 2, v131
	s_or_b32 s16, s12, 1
	s_lshl_b32 s17, s12, 3
	s_wait_alu 0xfffe
	s_lshl_b32 s13, s16, 3
	v_lshrrev_b32_e32 v0, 3, v0
	v_mad_co_u64_u32 v[27:28], null, v8, 36, s[2:3]
	s_delay_alu instid0(VALU_DEP_2) | instskip(NEXT) | instid1(VALU_DEP_1)
	v_add_nc_u32_e32 v0, s5, v0
	v_add_nc_u32_e32 v35, v0, v130
	v_add_nc_u32_e32 v1, v0, v91
	v_add_nc_u32_e32 v2, v0, v92
	v_add_nc_u32_e32 v4, v0, v93
	v_add_nc_u32_e32 v6, v0, v94
	v_add_nc_u32_e32 v11, v0, v95
	v_mad_co_i64_i32 v[51:52], null, v35, 36, v[9:10]
	v_add_nc_u32_e32 v30, v0, v96
	v_add_nc_u32_e32 v32, v0, v129
	v_mad_co_i64_i32 v[0:1], null, v1, 36, v[9:10]
	v_mad_co_i64_i32 v[2:3], null, v2, 36, v[9:10]
	;; [unrolled: 1-line block ×7, first 2 shown]
	s_clause 0x8
	global_load_b32 v8, v[27:28], off
	global_load_b32 v11, v[51:52], off offset:4
	global_load_b32 v0, v[0:1], off offset:4
	;; [unrolled: 1-line block ×8, first 2 shown]
	s_wait_loadcnt 0x8
	v_cvt_f32_f16_e32 v7, v8
	scratch_load_b32 v8, off, off offset:28 ; 4-byte Folded Reload
	s_wait_loadcnt 0x0
	ds_store_b32 v8, v11
	scratch_load_b32 v8, off, off           ; 4-byte Folded Reload
	s_wait_loadcnt 0x0
	ds_store_b32 v8, v0
	scratch_load_b32 v0, off, off offset:4  ; 4-byte Folded Reload
	s_wait_loadcnt 0x0
	ds_store_b32 v0, v1
	scratch_load_b32 v0, off, off offset:8  ; 4-byte Folded Reload
	s_wait_loadcnt 0x0
	ds_store_b32 v0, v2
	scratch_load_b32 v0, off, off offset:12 ; 4-byte Folded Reload
	s_wait_loadcnt 0x0
	ds_store_b32 v0, v3
	scratch_load_b32 v0, off, off offset:16 ; 4-byte Folded Reload
	;; [unrolled: 3-line block ×4, first 2 shown]
	s_wait_loadcnt 0x0
	ds_store_b32 v0, v6
	ds_store_b32 v90, v7
	s_wait_storecnt_dscnt 0x0
	s_barrier_signal -1
	s_barrier_wait -1
	global_inv scope:SCOPE_SE
.LBB129_10:                             ;   Parent Loop BB129_6 Depth=1
                                        ;     Parent Loop BB129_8 Depth=2
                                        ; =>    This Inner Loop Header: Depth=3
	s_lshl_b32 s18, s17, 2
	s_lshr_b32 s21, s17, 4
	s_wait_alu 0xfffe
	s_and_b32 s18, s18, 24
	s_lshl_b32 s23, s21, 5
	s_wait_alu 0xfffe
	v_or_b32_e32 v1, s18, v97
	s_addk_co_i32 s23, 0x4200
	s_and_b32 s22, s17, 0x3ffffff8
	s_bfe_u32 s19, s17, 0x30001
	s_wait_alu 0xfffe
	v_lshl_add_u32 v147, s22, 2, v109
	v_lshlrev_b32_e32 v0, 2, v1
	v_lshrrev_b32_e32 v1, 1, v1
	s_and_b32 s20, s17, 6
	v_lshlrev_b32_e32 v145, 2, v25
	v_lshlrev_b32_e32 v146, 2, v78
	s_lshl_b32 s24, s21, 2
	ds_load_b32 v59, v1 offset:38816
	v_lshlrev_b32_e32 v144, 2, v33
	s_add_co_i32 s22, s24, 0x9380
	s_and_b32 s21, s17, -2
	v_add3_u32 v153, s23, v139, v113
	s_wait_alu 0xfffe
	v_add_nc_u32_e32 v221, s21, v100
	v_add3_u32 v11, s23, v144, v110
	s_add_co_i32 s17, s17, 2
	s_wait_alu 0xfffe
	s_cmp_lt_u32 s17, s13
	ds_load_2addr_b32 v[3:4], v11 offset1:1
	ds_load_2addr_b32 v[1:2], v147 offset1:1
	s_wait_dscnt 0x1
	v_ashrrev_i32_e32 v3, s19, v3
	s_wait_dscnt 0x0
	v_ashrrev_i32_e32 v1, s20, v1
	v_ashrrev_i32_e32 v4, s19, v4
	s_delay_alu instid0(VALU_DEP_3) | instskip(NEXT) | instid1(VALU_DEP_3)
	v_lshlrev_b32_e32 v3, 2, v3
	v_and_b32_e32 v5, 0x3030303, v1
	v_bfe_u32 v1, v1, 24, 2
	s_delay_alu instid0(VALU_DEP_4) | instskip(NEXT) | instid1(VALU_DEP_4)
	v_lshlrev_b32_e32 v4, 2, v4
	v_and_b32_e32 v3, 0x4040404, v3
	s_delay_alu instid0(VALU_DEP_4) | instskip(SKIP_1) | instid1(VALU_DEP_4)
	v_lshrrev_b32_e32 v6, 16, v5
	v_lshrrev_b16 v7, 8, v5
	v_and_b32_e32 v4, 0x4040404, v4
	s_delay_alu instid0(VALU_DEP_4) | instskip(SKIP_3) | instid1(VALU_DEP_4)
	v_lshrrev_b32_e32 v27, 24, v3
	v_lshrrev_b32_e32 v8, 16, v3
	v_lshrrev_b16 v28, 8, v3
	v_sub_nc_u16 v126, v5, v3
	v_sub_nc_u16 v124, v1, v27
	v_ashrrev_i32_e32 v1, s20, v2
	s_delay_alu instid0(VALU_DEP_4)
	v_sub_nc_u16 v123, v7, v28
	v_sub_nc_u16 v125, v6, v8
	v_lshrrev_b32_e32 v6, 24, v4
	v_lshrrev_b32_e32 v7, 16, v4
	v_bfe_u32 v2, v1, 24, 2
	v_and_b32_e32 v1, 0x3030303, v1
	v_lshrrev_b16 v8, 8, v4
	v_bfe_i32 v170, v126, 0, 8
	v_bfe_i32 v172, v124, 0, 16
	v_sub_nc_u16 v122, v2, v6
	v_lshrrev_b32_e32 v3, 16, v1
	v_lshrrev_b16 v5, 8, v1
	v_sub_nc_u16 v119, v1, v4
	ds_load_2addr_b32 v[1:2], v147 offset0:2 offset1:3
	v_bfe_i32 v174, v122, 0, 16
	v_sub_nc_u16 v121, v3, v7
	ds_load_2addr_b32 v[3:4], v11 offset0:2 offset1:3
	v_sub_nc_u16 v120, v5, v8
	v_bfe_i32 v173, v123, 0, 16
	v_bfe_i32 v177, v119, 0, 8
	;; [unrolled: 1-line block ×5, first 2 shown]
	s_wait_dscnt 0x1
	v_ashrrev_i32_e32 v1, s20, v1
	s_wait_dscnt 0x0
	v_ashrrev_i32_e32 v3, s19, v3
	v_ashrrev_i32_e32 v4, s19, v4
	s_delay_alu instid0(VALU_DEP_3) | instskip(SKIP_1) | instid1(VALU_DEP_4)
	v_bfe_u32 v5, v1, 24, 2
	v_and_b32_e32 v1, 0x3030303, v1
	v_lshlrev_b32_e32 v3, 2, v3
	s_delay_alu instid0(VALU_DEP_4) | instskip(NEXT) | instid1(VALU_DEP_3)
	v_lshlrev_b32_e32 v4, 2, v4
	v_lshrrev_b32_e32 v6, 16, v1
	v_lshrrev_b16 v7, 8, v1
	s_delay_alu instid0(VALU_DEP_4) | instskip(NEXT) | instid1(VALU_DEP_4)
	v_and_b32_e32 v3, 0x4040404, v3
	v_and_b32_e32 v4, 0x4040404, v4
	s_delay_alu instid0(VALU_DEP_2)
	v_sub_nc_u16 v37, v1, v3
	v_ashrrev_i32_e32 v1, s20, v2
	v_lshrrev_b32_e32 v27, 16, v3
	v_lshrrev_b16 v28, 8, v3
	v_lshrrev_b32_e32 v8, 24, v3
	v_bfe_i32 v181, v37, 0, 8
	v_bfe_u32 v2, v1, 24, 2
	v_and_b32_e32 v1, 0x3030303, v1
	v_sub_nc_u16 v51, v7, v28
	v_sub_nc_u16 v58, v6, v27
	v_lshrrev_b32_e32 v6, 24, v4
	v_lshrrev_b32_e32 v7, 16, v4
	v_lshrrev_b32_e32 v3, 16, v1
	v_sub_nc_u16 v118, v5, v8
	v_lshrrev_b16 v5, 8, v1
	v_lshrrev_b16 v8, 8, v4
	v_sub_nc_u16 v49, v1, v4
	v_sub_nc_u16 v61, v3, v7
	;; [unrolled: 1-line block ×3, first 2 shown]
	ds_load_2addr_b32 v[1:2], v147 offset0:4 offset1:5
	ds_load_2addr_b32 v[3:4], v11 offset0:4 offset1:5
	v_sub_nc_u16 v54, v5, v8
	v_bfe_i32 v178, v118, 0, 16
	v_bfe_i32 v180, v51, 0, 16
	;; [unrolled: 1-line block ×7, first 2 shown]
	s_wait_dscnt 0x1
	v_ashrrev_i32_e32 v1, s20, v1
	s_wait_dscnt 0x0
	v_ashrrev_i32_e32 v3, s19, v3
	v_ashrrev_i32_e32 v4, s19, v4
	s_delay_alu instid0(VALU_DEP_3) | instskip(NEXT) | instid1(VALU_DEP_3)
	v_and_b32_e32 v5, 0x3030303, v1
	v_lshlrev_b32_e32 v3, 2, v3
	v_bfe_u32 v1, v1, 24, 2
	s_delay_alu instid0(VALU_DEP_4) | instskip(NEXT) | instid1(VALU_DEP_4)
	v_lshlrev_b32_e32 v4, 2, v4
	v_lshrrev_b32_e32 v6, 16, v5
	s_delay_alu instid0(VALU_DEP_4) | instskip(SKIP_1) | instid1(VALU_DEP_4)
	v_and_b32_e32 v3, 0x4040404, v3
	v_lshrrev_b16 v7, 8, v5
	v_and_b32_e32 v4, 0x4040404, v4
	s_delay_alu instid0(VALU_DEP_3) | instskip(SKIP_3) | instid1(VALU_DEP_4)
	v_lshrrev_b32_e32 v27, 24, v3
	v_lshrrev_b32_e32 v28, 16, v3
	v_lshrrev_b16 v8, 8, v3
	v_sub_nc_u16 v35, v5, v3
	v_sub_nc_u16 v27, v1, v27
	v_ashrrev_i32_e32 v1, s20, v2
	s_delay_alu instid0(VALU_DEP_4)
	v_sub_nc_u16 v8, v7, v8
	v_sub_nc_u16 v30, v6, v28
	v_lshrrev_b32_e32 v6, 24, v4
	v_lshrrev_b32_e32 v7, 16, v4
	v_bfe_u32 v2, v1, 24, 2
	v_and_b32_e32 v1, 0x3030303, v1
	v_lshrrev_b16 v28, 8, v4
	v_bfe_i32 v186, v35, 0, 8
	v_bfe_i32 v187, v30, 0, 8
	v_sub_nc_u16 v62, v2, v6
	v_lshrrev_b32_e32 v3, 16, v1
	v_lshrrev_b16 v5, 8, v1
	v_sub_nc_u16 v46, v1, v4
	ds_load_2addr_b32 v[1:2], v147 offset0:6 offset1:7
	v_bfe_i32 v190, v62, 0, 16
	v_sub_nc_u16 v56, v3, v7
	ds_load_2addr_b32 v[3:4], v11 offset0:6 offset1:7
	v_sub_nc_u16 v52, v5, v28
	v_bfe_i32 v188, v27, 0, 16
	v_bfe_i32 v189, v8, 0, 16
	;; [unrolled: 1-line block ×5, first 2 shown]
	s_wait_dscnt 0x1
	v_ashrrev_i32_e32 v1, s20, v1
	s_wait_dscnt 0x0
	v_ashrrev_i32_e32 v3, s19, v3
	v_ashrrev_i32_e32 v4, s19, v4
	s_delay_alu instid0(VALU_DEP_3) | instskip(SKIP_1) | instid1(VALU_DEP_4)
	v_bfe_u32 v5, v1, 24, 2
	v_and_b32_e32 v1, 0x3030303, v1
	v_lshlrev_b32_e32 v3, 2, v3
	s_delay_alu instid0(VALU_DEP_4) | instskip(NEXT) | instid1(VALU_DEP_3)
	v_lshlrev_b32_e32 v4, 2, v4
	v_lshrrev_b32_e32 v6, 16, v1
	v_lshrrev_b16 v7, 8, v1
	s_delay_alu instid0(VALU_DEP_4) | instskip(NEXT) | instid1(VALU_DEP_4)
	v_and_b32_e32 v3, 0x4040404, v3
	v_and_b32_e32 v4, 0x4040404, v4
	s_delay_alu instid0(VALU_DEP_2)
	v_sub_nc_u16 v57, v1, v3
	v_ashrrev_i32_e32 v1, s20, v2
	v_lshrrev_b32_e32 v11, 24, v3
	v_lshrrev_b32_e32 v28, 16, v3
	v_lshrrev_b16 v32, 8, v3
	v_bfe_i32 v197, v57, 0, 8
	v_bfe_u32 v2, v1, 24, 2
	v_and_b32_e32 v1, 0x3030303, v1
	v_sub_nc_u16 v67, v6, v28
	v_sub_nc_u16 v64, v7, v32
	v_sub_nc_u16 v83, v5, v11
	v_lshrrev_b32_e32 v6, 24, v4
	v_lshrrev_b32_e32 v3, 16, v1
	v_lshrrev_b16 v5, 8, v1
	v_lshrrev_b32_e32 v7, 16, v4
	v_lshrrev_b16 v11, 8, v4
	v_sub_nc_u16 v76, v1, v4
	v_add3_u32 v1, s22, v145, v146
	v_sub_nc_u16 v117, v2, v6
	v_sub_nc_u16 v87, v3, v7
	;; [unrolled: 1-line block ×3, first 2 shown]
	ds_load_b32 v11, v1
	ds_load_b128 v[4:7], v0 offset:25344
	ds_load_b128 v[0:3], v0 offset:25360
	v_bfe_i32 v194, v83, 0, 16
	v_bfe_i32 v195, v67, 0, 8
	;; [unrolled: 1-line block ×7, first 2 shown]
	v_add_nc_u32_e32 v32, s21, v98
	v_add_nc_u32_e32 v238, s21, v99
	s_wait_dscnt 0x1
	v_lshrrev_b16 v127, 8, v4
	v_lshrrev_b16 v128, 8, v5
	;; [unrolled: 1-line block ×3, first 2 shown]
	v_ashrrev_i32_e32 v247, 24, v5
	v_lshrrev_b16 v149, 8, v7
	v_ashrrev_i32_e32 v244, 24, v4
	v_bfe_i32 v245, v127, 0, 8
	v_bfe_i32 v248, v5, 16, 8
	;; [unrolled: 1-line block ×4, first 2 shown]
	v_mul_i32_i24_e32 v122, v174, v247
	v_ashrrev_i32_e32 v251, 24, v6
	v_bfe_i32 v253, v148, 0, 8
	v_ashrrev_i32_e32 v37, 24, v7
	v_bfe_i32 v28, v4, 0, 8
	v_bfe_i32 v243, v4, 16, 8
	v_mul_i32_i24_e32 v123, v173, v245
	v_mul_i32_i24_e32 v119, v177, v249
	;; [unrolled: 1-line block ×4, first 2 shown]
	v_bfe_i32 v252, v6, 16, 8
	v_bfe_i32 v254, v6, 0, 8
	v_mul_i32_i24_e32 v124, v180, v253
	v_mul_i32_i24_e32 v127, v178, v251
	v_bfe_i32 v51, v7, 16, 8
	v_bfe_i32 v58, v149, 0, 8
	;; [unrolled: 1-line block ×3, first 2 shown]
	v_mul_i32_i24_e32 v65, v182, v37
	v_mad_i32_i24 v122, v172, v244, v122
	v_mul_i32_i24_e32 v118, v181, v254
	v_mul_i32_i24_e32 v125, v179, v252
	;; [unrolled: 1-line block ×5, first 2 shown]
	v_mad_i32_i24 v121, v171, v243, v121
	v_mad_i32_i24 v119, v170, v28, v119
	v_add3_u32 v120, v123, v120, v124
	v_add3_u32 v65, v122, v127, v65
	s_wait_dscnt 0x0
	v_ashrrev_i32_e32 v229, 24, v1
	v_add3_u32 v61, v121, v125, v61
	v_add3_u32 v49, v119, v118, v49
	v_bfe_i32 v230, v1, 16, 8
	v_add3_u32 v54, v120, v54, v65
	v_lshrrev_b16 v65, 8, v2
	v_lshrrev_b16 v118, 8, v3
	v_bfe_i32 v227, v0, 16, 8
	v_ashrrev_i32_e32 v228, 24, v0
	v_add3_u32 v49, v49, v61, v54
	v_lshrrev_b16 v54, 8, v0
	v_lshrrev_b16 v61, 8, v1
	v_bfe_i32 v232, v1, 0, 8
	v_mul_i32_i24_e32 v35, v191, v230
	v_mul_i32_i24_e32 v46, v190, v229
	v_bfe_i32 v236, v54, 0, 8
	v_bfe_i32 v231, v61, 0, 8
	v_ashrrev_i32_e32 v225, 24, v2
	v_bfe_i32 v233, v2, 16, 8
	v_bfe_i32 v234, v65, 0, 8
	v_ashrrev_i32_e32 v64, 24, v3
	v_bfe_i32 v65, v3, 16, 8
	v_bfe_i32 v226, v0, 0, 8
	v_mul_i32_i24_e32 v8, v189, v236
	v_mul_i32_i24_e32 v27, v193, v232
	;; [unrolled: 1-line block ×3, first 2 shown]
	v_bfe_i32 v235, v2, 0, 8
	v_mul_i32_i24_e32 v54, v196, v234
	v_mul_i32_i24_e32 v56, v195, v233
	;; [unrolled: 1-line block ×3, first 2 shown]
	v_bfe_i32 v67, v118, 0, 8
	v_bfe_i32 v224, v3, 0, 8
	v_mul_i32_i24_e32 v76, v199, v65
	v_mul_i32_i24_e32 v79, v198, v64
	v_mad_i32_i24 v46, v188, v228, v46
	v_mad_i32_i24 v35, v187, v227, v35
	v_mul_i32_i24_e32 v52, v197, v235
	v_mul_i32_i24_e32 v61, v201, v224
	;; [unrolled: 1-line block ×3, first 2 shown]
	v_mad_i32_i24 v27, v186, v226, v27
	v_add3_u32 v8, v8, v30, v54
	v_add3_u32 v30, v35, v56, v76
	;; [unrolled: 1-line block ×5, first 2 shown]
	v_perm_b32 v63, v0, v0, 0xc0c0302
	v_perm_b32 v5, v5, v5, 0xc030201
	v_add3_u32 v8, v8, v62, v35
	ds_load_2addr_b32 v[61:62], v76 offset1:1
	v_perm_b32 v6, v6, v6, 0xc030201
	v_perm_b32 v7, v7, v7, 0xc030201
	;; [unrolled: 1-line block ×3, first 2 shown]
	v_add3_u32 v27, v27, v30, v8
	ds_load_u16 v8, v32
	ds_load_2addr_b32 v[117:118], v76 offset0:2 offset1:3
	ds_load_2addr_b32 v[148:149], v76 offset0:6 offset1:7
	s_wait_dscnt 0x3
	v_ashrrev_i32_e32 v35, s19, v61
	s_wait_dscnt 0x2
	v_bfe_i32 v209, v8, 0, 8
	v_lshrrev_b16 v30, 8, v8
	s_delay_alu instid0(VALU_DEP_3) | instskip(NEXT) | instid1(VALU_DEP_3)
	v_lshlrev_b32_e32 v35, 2, v35
	v_mul_lo_u32 v8, v49, v209
	s_delay_alu instid0(VALU_DEP_3) | instskip(NEXT) | instid1(VALU_DEP_3)
	v_bfe_i32 v202, v30, 0, 8
	v_and_b32_e32 v35, 0x4040404, v35
	s_delay_alu instid0(VALU_DEP_1) | instskip(NEXT) | instid1(VALU_DEP_3)
	v_lshrrev_b16 v46, 8, v35
	v_mad_co_u64_u32 v[56:57], null, v27, v202, v[8:9]
	v_mul_f32_e32 v8, v59, v11
	v_lshrrev_b32_e32 v49, 24, v35
	v_lshrrev_b32_e32 v52, 16, v35
	s_delay_alu instid0(VALU_DEP_4) | instskip(NEXT) | instid1(VALU_DEP_1)
	v_cvt_f32_i32_e32 v27, v56
	v_fmac_f32_e32 v19, v8, v27
	v_add_nc_u32_e32 v8, 0x1080, v147
	ds_load_2addr_b32 v[56:57], v8 offset1:1
	s_wait_dscnt 0x0
	v_ashrrev_i32_e32 v8, s20, v56
	s_delay_alu instid0(VALU_DEP_1) | instskip(SKIP_1) | instid1(VALU_DEP_2)
	v_and_b32_e32 v27, 0x3030303, v8
	v_bfe_u32 v8, v8, 24, 2
	v_sub_nc_u16 v242, v27, v35
	v_ashrrev_i32_e32 v35, s19, v62
	s_delay_alu instid0(VALU_DEP_3)
	v_sub_nc_u16 v240, v8, v49
	v_ashrrev_i32_e32 v8, s20, v57
	v_lshrrev_b16 v30, 8, v27
	v_lshrrev_b32_e32 v32, 16, v27
	v_lshlrev_b32_e32 v35, 2, v35
	v_bfe_i32 v242, v242, 0, 8
	v_bfe_u32 v27, v8, 24, 2
	v_and_b32_e32 v8, 0x3030303, v8
	v_sub_nc_u16 v241, v32, v52
	v_and_b32_e32 v35, 0x4040404, v35
	v_sub_nc_u16 v239, v30, v46
	v_bfe_i32 v240, v240, 0, 16
	v_lshrrev_b32_e32 v30, 16, v8
	v_lshrrev_b16 v32, 8, v8
	v_sub_nc_u16 v246, v8, v35
	v_add_nc_u32_e32 v8, 0x1088, v147
	v_lshrrev_b32_e32 v46, 24, v35
	v_lshrrev_b32_e32 v49, 16, v35
	v_lshrrev_b16 v52, 8, v35
	v_ashrrev_i32_e32 v35, s19, v117
	ds_load_2addr_b32 v[61:62], v8 offset1:1
	v_sub_nc_u16 v57, v27, v46
	v_sub_nc_u16 v56, v30, v49
	;; [unrolled: 1-line block ×3, first 2 shown]
	v_lshlrev_b32_e32 v35, 2, v35
	v_bfe_i32 v239, v239, 0, 16
	v_bfe_i32 v241, v241, 0, 8
	;; [unrolled: 1-line block ×3, first 2 shown]
	s_delay_alu instid0(VALU_DEP_4) | instskip(NEXT) | instid1(VALU_DEP_1)
	v_and_b32_e32 v35, 0x4040404, v35
	v_lshrrev_b32_e32 v52, 24, v35
	v_lshrrev_b32_e32 v49, 16, v35
	v_lshrrev_b16 v46, 8, v35
	s_wait_dscnt 0x0
	v_ashrrev_i32_e32 v8, s20, v61
	s_delay_alu instid0(VALU_DEP_1) | instskip(SKIP_1) | instid1(VALU_DEP_2)
	v_bfe_u32 v27, v8, 24, 2
	v_and_b32_e32 v8, 0x3030303, v8
	v_sub_nc_u16 v52, v27, v52
	s_delay_alu instid0(VALU_DEP_2)
	v_sub_nc_u16 v250, v8, v35
	v_ashrrev_i32_e32 v35, s19, v118
	v_lshrrev_b32_e32 v30, 16, v8
	v_lshrrev_b16 v32, 8, v8
	v_ashrrev_i32_e32 v8, s20, v62
	ds_load_2addr_b32 v[117:118], v76 offset0:4 offset1:5
	v_lshlrev_b32_e32 v35, 2, v35
	v_sub_nc_u16 v49, v30, v49
	v_sub_nc_u16 v46, v32, v46
	v_bfe_u32 v27, v8, 24, 2
	v_and_b32_e32 v8, 0x3030303, v8
	v_and_b32_e32 v35, 0x4040404, v35
	v_bfe_i32 v250, v250, 0, 8
	v_ashrrev_i32_e32 v76, s19, v148
	s_delay_alu instid0(VALU_DEP_4)
	v_lshrrev_b32_e32 v32, 16, v8
	v_lshrrev_b16 v30, 8, v8
	v_lshrrev_b32_e32 v61, 24, v35
	v_lshrrev_b32_e32 v62, 16, v35
	v_sub_nc_u16 v255, v8, v35
	v_add_nc_u32_e32 v8, 0x1090, v147
	v_lshrrev_b16 v79, 8, v35
	v_sub_nc_u16 v35, v27, v61
	v_sub_nc_u16 v32, v32, v62
	v_lshlrev_b32_e32 v76, 2, v76
	ds_load_2addr_b32 v[61:62], v8 offset1:1
	s_wait_dscnt 0x1
	v_ashrrev_i32_e32 v83, s19, v117
	v_sub_nc_u16 v30, v30, v79
	v_and_b32_e32 v76, 0x4040404, v76
	s_delay_alu instid0(VALU_DEP_3) | instskip(NEXT) | instid1(VALU_DEP_1)
	v_lshlrev_b32_e32 v83, 2, v83
	v_and_b32_e32 v83, 0x4040404, v83
	s_delay_alu instid0(VALU_DEP_1) | instskip(SKIP_4) | instid1(VALU_DEP_1)
	v_lshrrev_b16 v87, 8, v83
	v_lshrrev_b32_e32 v117, 24, v83
	v_lshrrev_b32_e32 v119, 16, v83
	s_wait_dscnt 0x0
	v_ashrrev_i32_e32 v8, s20, v61
	v_and_b32_e32 v27, 0x3030303, v8
	v_bfe_u32 v8, v8, 24, 2
	s_delay_alu instid0(VALU_DEP_2) | instskip(SKIP_2) | instid1(VALU_DEP_4)
	v_sub_nc_u16 v125, v27, v83
	v_ashrrev_i32_e32 v83, s19, v118
	v_lshrrev_b16 v61, 8, v27
	v_sub_nc_u16 v128, v8, v117
	v_ashrrev_i32_e32 v8, s20, v62
	v_lshrrev_b32_e32 v79, 16, v27
	v_lshlrev_b32_e32 v83, 2, v83
	v_sub_nc_u16 v27, v61, v87
	s_delay_alu instid0(VALU_DEP_4) | instskip(SKIP_1) | instid1(VALU_DEP_4)
	v_bfe_u32 v61, v8, 24, 2
	v_and_b32_e32 v8, 0x3030303, v8
	v_and_b32_e32 v83, 0x4040404, v83
	v_sub_nc_u16 v127, v79, v119
	v_lshrrev_b32_e32 v119, 16, v76
	s_delay_alu instid0(VALU_DEP_4)
	v_lshrrev_b32_e32 v62, 16, v8
	v_lshrrev_b16 v79, 8, v8
	v_lshrrev_b32_e32 v87, 24, v83
	v_lshrrev_b32_e32 v117, 16, v83
	v_sub_nc_u16 v120, v8, v83
	v_add_nc_u32_e32 v8, 0x1098, v147
	v_lshrrev_b16 v118, 8, v83
	v_sub_nc_u16 v124, v61, v87
	v_sub_nc_u16 v123, v62, v117
	v_lshrrev_b32_e32 v87, 24, v76
	ds_load_2addr_b32 v[61:62], v8 offset1:1
	v_sub_nc_u16 v122, v79, v118
	v_lshrrev_b16 v118, 8, v76
	s_wait_dscnt 0x0
	v_ashrrev_i32_e32 v8, s20, v61
	s_delay_alu instid0(VALU_DEP_1) | instskip(SKIP_1) | instid1(VALU_DEP_2)
	v_bfe_u32 v61, v8, 24, 2
	v_and_b32_e32 v8, 0x3030303, v8
	v_sub_nc_u16 v121, v61, v87
	s_delay_alu instid0(VALU_DEP_2) | instskip(SKIP_3) | instid1(VALU_DEP_4)
	v_lshrrev_b32_e32 v79, 16, v8
	v_lshrrev_b16 v83, 8, v8
	v_sub_nc_u16 v117, v8, v76
	v_ashrrev_i32_e32 v8, s20, v62
	v_sub_nc_u16 v119, v79, v119
	v_ashrrev_i32_e32 v79, s19, v149
	v_sub_nc_u16 v118, v83, v118
	s_delay_alu instid0(VALU_DEP_4) | instskip(SKIP_1) | instid1(VALU_DEP_4)
	v_bfe_u32 v61, v8, 24, 2
	v_and_b32_e32 v8, 0x3030303, v8
	v_lshlrev_b32_e32 v79, 2, v79
	s_delay_alu instid0(VALU_DEP_2) | instskip(SKIP_1) | instid1(VALU_DEP_3)
	v_lshrrev_b32_e32 v62, 16, v8
	v_lshrrev_b16 v76, 8, v8
	v_and_b32_e32 v79, 0x4040404, v79
	s_delay_alu instid0(VALU_DEP_1) | instskip(SKIP_3) | instid1(VALU_DEP_4)
	v_lshrrev_b32_e32 v148, 24, v79
	v_lshrrev_b32_e32 v87, 16, v79
	v_lshrrev_b16 v83, 8, v79
	v_sub_nc_u16 v79, v8, v79
	v_sub_nc_u16 v8, v61, v148
	v_add3_u32 v61, s22, v138, v112
	ds_load_2addr_b32 v[148:149], v153 offset1:1
	v_sub_nc_u16 v87, v62, v87
	v_sub_nc_u16 v83, v76, v83
	ds_load_b32 v159, v61
	v_add_nc_u32_e32 v61, 0x2100, v147
	ds_load_2addr_b32 v[61:62], v61 offset1:1
	s_wait_dscnt 0x2
	v_ashrrev_i32_e32 v148, s19, v148
	v_ashrrev_i32_e32 v149, s19, v149
	s_wait_dscnt 0x1
	v_mul_f32_e32 v76, v59, v159
	s_delay_alu instid0(VALU_DEP_3) | instskip(NEXT) | instid1(VALU_DEP_3)
	v_lshlrev_b32_e32 v148, 2, v148
	v_lshlrev_b32_e32 v149, 2, v149
	s_wait_dscnt 0x0
	v_ashrrev_i32_e32 v61, s20, v61
	s_delay_alu instid0(VALU_DEP_3) | instskip(NEXT) | instid1(VALU_DEP_3)
	v_and_b32_e32 v148, 0x4040404, v148
	v_and_b32_e32 v149, 0x4040404, v149
	s_delay_alu instid0(VALU_DEP_3) | instskip(SKIP_1) | instid1(VALU_DEP_4)
	v_and_b32_e32 v150, 0x3030303, v61
	v_bfe_u32 v61, v61, 24, 2
	v_lshrrev_b32_e32 v155, 16, v148
	v_lshrrev_b32_e32 v156, 24, v148
	v_lshrrev_b16 v154, 8, v148
	v_lshrrev_b32_e32 v152, 16, v150
	v_lshrrev_b16 v151, 8, v150
	v_sub_nc_u16 v160, v150, v148
	v_sub_nc_u16 v61, v61, v156
	s_delay_alu instid0(VALU_DEP_4) | instskip(NEXT) | instid1(VALU_DEP_3)
	v_sub_nc_u16 v208, v152, v155
	v_bfe_i32 v160, v160, 0, 8
	s_delay_alu instid0(VALU_DEP_3) | instskip(NEXT) | instid1(VALU_DEP_3)
	v_lshlrev_b16 v61, 8, v61
	v_and_b32_e32 v152, 0xff, v208
	s_delay_alu instid0(VALU_DEP_1)
	v_or_b32_e32 v210, v152, v61
	v_sub_nc_u16 v61, v151, v154
	v_lshrrev_b32_e32 v152, 16, v149
	v_lshrrev_b32_e32 v154, 24, v149
	v_lshrrev_b16 v151, 8, v149
	v_perm_b32 v216, v210, v208, 0xc0c0500
	v_lshlrev_b16 v161, 8, v61
	v_ashrrev_i32_e32 v61, s20, v62
	s_delay_alu instid0(VALU_DEP_2) | instskip(NEXT) | instid1(VALU_DEP_2)
	v_bfe_i32 v161, v161, 8, 8
	v_and_b32_e32 v62, 0x3030303, v61
	v_bfe_u32 v61, v61, 24, 2
	s_delay_alu instid0(VALU_DEP_2) | instskip(NEXT) | instid1(VALU_DEP_2)
	v_lshrrev_b32_e32 v150, 16, v62
	v_sub_nc_u16 v61, v61, v154
	v_lshrrev_b16 v148, 8, v62
	v_sub_nc_u16 v213, v62, v149
	s_delay_alu instid0(VALU_DEP_4) | instskip(NEXT) | instid1(VALU_DEP_4)
	v_sub_nc_u16 v165, v150, v152
	v_lshlrev_b16 v61, 8, v61
	s_delay_alu instid0(VALU_DEP_3) | instskip(NEXT) | instid1(VALU_DEP_3)
	v_bfe_i32 v217, v213, 0, 8
	v_and_b32_e32 v150, 0xff, v165
	s_delay_alu instid0(VALU_DEP_1)
	v_or_b32_e32 v203, v150, v61
	v_sub_nc_u16 v61, v148, v151
	ds_load_2addr_b32 v[148:149], v153 offset0:2 offset1:3
	v_lshlrev_b16 v205, 8, v61
	v_add_nc_u32_e32 v61, 0x2108, v147
	ds_load_2addr_b32 v[61:62], v61 offset1:1
	s_wait_dscnt 0x1
	v_ashrrev_i32_e32 v148, s19, v148
	v_ashrrev_i32_e32 v149, s19, v149
	s_delay_alu instid0(VALU_DEP_2) | instskip(NEXT) | instid1(VALU_DEP_2)
	v_lshlrev_b32_e32 v148, 2, v148
	v_lshlrev_b32_e32 v149, 2, v149
	s_wait_dscnt 0x0
	v_ashrrev_i32_e32 v61, s20, v61
	s_delay_alu instid0(VALU_DEP_3) | instskip(NEXT) | instid1(VALU_DEP_3)
	v_and_b32_e32 v148, 0x4040404, v148
	v_and_b32_e32 v149, 0x4040404, v149
	s_delay_alu instid0(VALU_DEP_3) | instskip(SKIP_1) | instid1(VALU_DEP_4)
	v_and_b32_e32 v150, 0x3030303, v61
	v_bfe_u32 v61, v61, 24, 2
	v_lshrrev_b32_e32 v155, 16, v148
	v_lshrrev_b32_e32 v156, 24, v148
	v_lshrrev_b16 v154, 8, v148
	v_lshrrev_b32_e32 v152, 16, v150
	v_lshrrev_b16 v151, 8, v150
	v_sub_nc_u16 v214, v150, v148
	v_sub_nc_u16 v61, v61, v156
	s_delay_alu instid0(VALU_DEP_4) | instskip(NEXT) | instid1(VALU_DEP_2)
	v_sub_nc_u16 v168, v152, v155
	v_lshlrev_b16 v61, 8, v61
	s_delay_alu instid0(VALU_DEP_2) | instskip(NEXT) | instid1(VALU_DEP_1)
	v_and_b32_e32 v152, 0xff, v168
	v_or_b32_e32 v206, v152, v61
	v_sub_nc_u16 v61, v151, v154
	v_lshrrev_b32_e32 v152, 16, v149
	v_lshrrev_b32_e32 v154, 24, v149
	v_lshrrev_b16 v151, 8, v149
	s_delay_alu instid0(VALU_DEP_4) | instskip(SKIP_1) | instid1(VALU_DEP_1)
	v_lshlrev_b16 v207, 8, v61
	v_ashrrev_i32_e32 v61, s20, v62
	v_and_b32_e32 v62, 0x3030303, v61
	v_bfe_u32 v61, v61, 24, 2
	s_delay_alu instid0(VALU_DEP_2) | instskip(NEXT) | instid1(VALU_DEP_2)
	v_lshrrev_b32_e32 v150, 16, v62
	v_sub_nc_u16 v61, v61, v154
	v_lshrrev_b16 v148, 8, v62
	v_sub_nc_u16 v218, v62, v149
	s_delay_alu instid0(VALU_DEP_4) | instskip(NEXT) | instid1(VALU_DEP_4)
	v_sub_nc_u16 v164, v150, v152
	v_lshlrev_b16 v61, 8, v61
	s_delay_alu instid0(VALU_DEP_3) | instskip(NEXT) | instid1(VALU_DEP_3)
	v_bfe_i32 v213, v218, 0, 8
	v_and_b32_e32 v150, 0xff, v164
	s_delay_alu instid0(VALU_DEP_1)
	v_or_b32_e32 v169, v150, v61
	v_sub_nc_u16 v61, v148, v151
	ds_load_2addr_b32 v[148:149], v153 offset0:4 offset1:5
	v_lshlrev_b16 v204, 8, v61
	v_add_nc_u32_e32 v61, 0x2110, v147
	ds_load_2addr_b32 v[61:62], v61 offset1:1
	s_wait_dscnt 0x1
	v_ashrrev_i32_e32 v148, s19, v148
	v_ashrrev_i32_e32 v149, s19, v149
	s_delay_alu instid0(VALU_DEP_2) | instskip(NEXT) | instid1(VALU_DEP_2)
	v_lshlrev_b32_e32 v148, 2, v148
	v_lshlrev_b32_e32 v149, 2, v149
	s_wait_dscnt 0x0
	v_ashrrev_i32_e32 v61, s20, v61
	s_delay_alu instid0(VALU_DEP_3) | instskip(NEXT) | instid1(VALU_DEP_2)
	v_and_b32_e32 v148, 0x4040404, v148
	v_and_b32_e32 v150, 0x3030303, v61
	v_bfe_u32 v61, v61, 24, 2
	s_delay_alu instid0(VALU_DEP_3)
	v_lshrrev_b32_e32 v155, 16, v148
	v_lshrrev_b32_e32 v156, 24, v148
	v_lshrrev_b16 v154, 8, v148
	v_lshrrev_b32_e32 v152, 16, v150
	v_lshrrev_b16 v151, 8, v150
	v_sub_nc_u16 v212, v150, v148
	v_sub_nc_u16 v61, v61, v156
	s_delay_alu instid0(VALU_DEP_4) | instskip(NEXT) | instid1(VALU_DEP_3)
	v_sub_nc_u16 v158, v152, v155
	v_bfe_i32 v222, v212, 0, 8
	s_delay_alu instid0(VALU_DEP_3) | instskip(NEXT) | instid1(VALU_DEP_3)
	v_lshlrev_b16 v61, 8, v61
	v_and_b32_e32 v152, 0xff, v158
	s_delay_alu instid0(VALU_DEP_1) | instskip(SKIP_2) | instid1(VALU_DEP_2)
	v_or_b32_e32 v162, v152, v61
	v_sub_nc_u16 v61, v151, v154
	v_and_b32_e32 v151, 0x4040404, v149
	v_lshlrev_b16 v211, 8, v61
	v_ashrrev_i32_e32 v61, s20, v62
	s_delay_alu instid0(VALU_DEP_3)
	v_lshrrev_b32_e32 v149, 16, v151
	v_lshrrev_b32_e32 v152, 24, v151
	v_lshrrev_b16 v154, 8, v151
	v_bfe_i32 v223, v211, 8, 8
	v_and_b32_e32 v62, 0x3030303, v61
	v_bfe_u32 v61, v61, 24, 2
	s_delay_alu instid0(VALU_DEP_2) | instskip(NEXT) | instid1(VALU_DEP_2)
	v_lshrrev_b32_e32 v150, 16, v62
	v_sub_nc_u16 v61, v61, v152
	v_lshrrev_b16 v148, 8, v62
	v_sub_nc_u16 v163, v62, v151
	s_delay_alu instid0(VALU_DEP_4) | instskip(NEXT) | instid1(VALU_DEP_4)
	v_sub_nc_u16 v149, v150, v149
	v_lshlrev_b16 v61, 8, v61
	s_delay_alu instid0(VALU_DEP_2) | instskip(NEXT) | instid1(VALU_DEP_1)
	v_and_b32_e32 v150, 0xff, v149
	v_or_b32_e32 v152, v150, v61
	v_sub_nc_u16 v61, v148, v154
	ds_load_2addr_b32 v[150:151], v153 offset0:6 offset1:7
	v_lshlrev_b16 v154, 8, v61
	v_add_nc_u32_e32 v61, 0x2118, v147
	ds_load_2addr_b32 v[61:62], v61 offset1:1
	s_wait_dscnt 0x1
	v_ashrrev_i32_e32 v150, s19, v150
	v_ashrrev_i32_e32 v151, s19, v151
	s_delay_alu instid0(VALU_DEP_2) | instskip(NEXT) | instid1(VALU_DEP_2)
	v_lshlrev_b32_e32 v150, 2, v150
	v_lshlrev_b32_e32 v151, 2, v151
	s_wait_dscnt 0x0
	v_ashrrev_i32_e32 v61, s20, v61
	s_delay_alu instid0(VALU_DEP_3) | instskip(NEXT) | instid1(VALU_DEP_2)
	v_and_b32_e32 v153, 0x4040404, v150
	v_and_b32_e32 v148, 0x3030303, v61
	v_bfe_u32 v61, v61, 24, 2
	s_delay_alu instid0(VALU_DEP_3) | instskip(SKIP_4) | instid1(VALU_DEP_4)
	v_lshrrev_b32_e32 v150, 16, v153
	v_lshrrev_b32_e32 v166, 24, v153
	v_lshrrev_b16 v157, 8, v153
	v_lshrrev_b32_e32 v155, 16, v148
	v_lshrrev_b16 v156, 8, v148
	v_sub_nc_u16 v61, v61, v166
	v_sub_nc_u16 v166, v148, v153
	s_delay_alu instid0(VALU_DEP_4) | instskip(NEXT) | instid1(VALU_DEP_3)
	v_sub_nc_u16 v150, v155, v150
	v_lshlrev_b16 v61, 8, v61
	s_delay_alu instid0(VALU_DEP_2) | instskip(NEXT) | instid1(VALU_DEP_1)
	v_and_b32_e32 v155, 0xff, v150
	v_or_b32_e32 v155, v155, v61
	v_sub_nc_u16 v61, v156, v157
	v_and_b32_e32 v156, 0x4040404, v151
	s_delay_alu instid0(VALU_DEP_2) | instskip(SKIP_1) | instid1(VALU_DEP_3)
	v_lshlrev_b16 v157, 8, v61
	v_ashrrev_i32_e32 v61, s20, v62
	v_lshrrev_b32_e32 v151, 16, v156
	v_lshrrev_b32_e32 v215, 24, v156
	v_lshrrev_b16 v167, 8, v156
	s_delay_alu instid0(VALU_DEP_4) | instskip(SKIP_1) | instid1(VALU_DEP_2)
	v_and_b32_e32 v62, 0x3030303, v61
	v_bfe_u32 v61, v61, 24, 2
	v_lshrrev_b32_e32 v148, 16, v62
	s_delay_alu instid0(VALU_DEP_2) | instskip(SKIP_1) | instid1(VALU_DEP_3)
	v_sub_nc_u16 v61, v61, v215
	v_lshrrev_b16 v153, 8, v62
	v_sub_nc_u16 v148, v148, v151
	s_delay_alu instid0(VALU_DEP_3) | instskip(NEXT) | instid1(VALU_DEP_2)
	v_lshlrev_b16 v61, 8, v61
	v_and_b32_e32 v151, 0xff, v148
	s_delay_alu instid0(VALU_DEP_1) | instskip(SKIP_4) | instid1(VALU_DEP_4)
	v_or_b32_e32 v151, v151, v61
	v_sub_nc_u16 v61, v153, v167
	v_sub_nc_u16 v167, v62, v156
	v_perm_b32 v62, v203, v165, 0xc05000c
	v_perm_b32 v165, v205, v205, 0xc0c0c01
	v_lshlrev_b16 v153, 8, v61
	v_add3_u32 v61, s22, v140, v114
	s_delay_alu instid0(VALU_DEP_3)
	v_or_b32_e32 v218, v62, v165
	v_perm_b32 v62, v206, v168, 0xc05000c
	v_perm_b32 v165, v207, v207, 0xc0c0c01
	ds_load_b32 v156, v61
	v_or_b32_e32 v219, v62, v165
	v_perm_b32 v62, v169, v164, 0xc05000c
	v_perm_b32 v164, v204, v204, 0xc0c0c01
	v_bfe_i32 v165, v163, 0, 8
	v_bfe_i32 v163, v166, 0, 8
	s_delay_alu instid0(VALU_DEP_3) | instskip(SKIP_4) | instid1(VALU_DEP_3)
	v_or_b32_e32 v220, v62, v164
	ds_load_u16 v62, v221
	v_mul_i32_i24_e32 v61, v28, v160
	v_perm_b32 v164, v162, v158, 0xc0c0500
	v_bfe_i32 v162, v167, 0, 8
	v_mad_i32_i24 v215, v245, v161, v61
	v_perm_b32 v61, v4, v4, 0xc0c0302
	s_delay_alu instid0(VALU_DEP_1) | instskip(SKIP_1) | instid1(VALU_DEP_2)
	v_dot4_i32_iu8 v4, v61, v216, v215 neg_lo:[1,1,0]
	v_bfe_i32 v215, v214, 0, 8
	v_mad_i32_i24 v4, v249, v217, v4
	s_wait_dscnt 0x0
	v_lshrrev_b16 v169, 8, v62
	v_bfe_i32 v221, v62, 0, 8
	v_mul_i32_i24_e32 v62, v226, v222
	v_dot4_i32_iu8 v4, v5, v218, v4 neg_lo:[1,1,0]
	s_delay_alu instid0(VALU_DEP_4) | instskip(NEXT) | instid1(VALU_DEP_3)
	v_bfe_i32 v169, v169, 0, 8
	v_mad_i32_i24 v62, v236, v223, v62
	s_delay_alu instid0(VALU_DEP_3) | instskip(NEXT) | instid1(VALU_DEP_2)
	v_mad_i32_i24 v4, v254, v215, v4
	v_dot4_i32_iu8 v0, v63, v164, v62 neg_lo:[1,1,0]
	v_perm_b32 v62, v1, v1, 0xc030201
	v_perm_b32 v1, v152, v149, 0xc05000c
	;; [unrolled: 1-line block ×3, first 2 shown]
	v_dot4_i32_iu8 v4, v6, v219, v4 neg_lo:[1,1,0]
	v_mad_i32_i24 v0, v232, v165, v0
	s_delay_alu instid0(VALU_DEP_3)
	v_or_b32_e32 v166, v1, v149
	v_perm_b32 v149, v2, v2, 0xc030201
	v_perm_b32 v1, v155, v150, 0xc05000c
	;; [unrolled: 1-line block ×3, first 2 shown]
	v_mad_i32_i24 v4, v237, v213, v4
	v_dot4_i32_iu8 v0, v62, v166, v0 neg_lo:[1,1,0]
	s_delay_alu instid0(VALU_DEP_3) | instskip(SKIP_1) | instid1(VALU_DEP_3)
	v_or_b32_e32 v167, v1, v2
	v_perm_b32 v1, v151, v148, 0xc05000c
	v_mad_i32_i24 v0, v235, v163, v0
	v_perm_b32 v2, v153, v153, 0xc0c0c01
	v_dot4_i32_iu8 v4, v7, v220, v4 neg_lo:[1,1,0]
	v_add3_u32 v151, s23, v141, v115
	s_delay_alu instid0(VALU_DEP_4) | instskip(NEXT) | instid1(VALU_DEP_4)
	v_dot4_i32_iu8 v0, v149, v167, v0 neg_lo:[1,1,0]
	v_or_b32_e32 v168, v1, v2
	s_delay_alu instid0(VALU_DEP_4) | instskip(SKIP_2) | instid1(VALU_DEP_1)
	v_mul_lo_u32 v4, v4, v221
	ds_load_2addr_b32 v[2:3], v151 offset1:1
	v_mad_i32_i24 v0, v224, v162, v0
	v_dot4_i32_iu8 v0, v68, v168, v0 neg_lo:[1,1,0]
	s_delay_alu instid0(VALU_DEP_1) | instskip(SKIP_1) | instid1(VALU_DEP_2)
	v_mad_co_u64_u32 v[0:1], null, v0, v169, v[4:5]
	v_mul_f32_e32 v1, v59, v156
	v_cvt_f32_i32_e32 v0, v0
	s_wait_dscnt 0x0
	v_ashrrev_i32_e32 v2, s19, v2
	v_ashrrev_i32_e32 v3, s19, v3
	s_delay_alu instid0(VALU_DEP_3) | instskip(NEXT) | instid1(VALU_DEP_3)
	v_dual_fmac_f32 v77, v1, v0 :: v_dual_add_nc_u32 v0, 0x3180, v147
	v_lshlrev_b32_e32 v2, 2, v2
	s_delay_alu instid0(VALU_DEP_3) | instskip(SKIP_3) | instid1(VALU_DEP_2)
	v_lshlrev_b32_e32 v3, 2, v3
	ds_load_2addr_b32 v[0:1], v0 offset1:1
	v_and_b32_e32 v2, 0x4040404, v2
	v_and_b32_e32 v3, 0x4040404, v3
	v_lshrrev_b32_e32 v153, 16, v2
	v_lshrrev_b32_e32 v154, 24, v2
	v_lshrrev_b16 v152, 8, v2
	s_delay_alu instid0(VALU_DEP_4) | instskip(SKIP_3) | instid1(VALU_DEP_1)
	v_lshrrev_b32_e32 v155, 16, v3
	v_lshrrev_b32_e32 v157, 24, v3
	s_wait_dscnt 0x0
	v_ashrrev_i32_e32 v0, s20, v0
	v_and_b32_e32 v4, 0x3030303, v0
	v_bfe_u32 v0, v0, 24, 2
	s_delay_alu instid0(VALU_DEP_2) | instskip(NEXT) | instid1(VALU_DEP_2)
	v_lshrrev_b32_e32 v150, 16, v4
	v_sub_nc_u16 v0, v0, v154
	v_lshrrev_b16 v148, 8, v4
	v_sub_nc_u16 v4, v4, v2
	v_lshrrev_b16 v154, 8, v3
	v_sub_nc_u16 v150, v150, v153
	v_lshlrev_b16 v0, 8, v0
	s_delay_alu instid0(VALU_DEP_2) | instskip(NEXT) | instid1(VALU_DEP_1)
	v_and_b32_e32 v153, 0xff, v150
	v_or_b32_e32 v153, v153, v0
	v_sub_nc_u16 v0, v148, v152
	s_delay_alu instid0(VALU_DEP_1) | instskip(SKIP_1) | instid1(VALU_DEP_1)
	v_lshlrev_b16 v148, 8, v0
	v_ashrrev_i32_e32 v0, s20, v1
	v_and_b32_e32 v1, 0x3030303, v0
	v_bfe_u32 v0, v0, 24, 2
	s_delay_alu instid0(VALU_DEP_2) | instskip(NEXT) | instid1(VALU_DEP_2)
	v_lshrrev_b32_e32 v152, 16, v1
	v_sub_nc_u16 v0, v0, v157
	v_lshrrev_b16 v2, 8, v1
	v_sub_nc_u16 v157, v1, v3
	s_delay_alu instid0(VALU_DEP_4) | instskip(NEXT) | instid1(VALU_DEP_4)
	v_sub_nc_u16 v152, v152, v155
	v_lshlrev_b16 v0, 8, v0
	s_delay_alu instid0(VALU_DEP_2) | instskip(NEXT) | instid1(VALU_DEP_1)
	v_and_b32_e32 v155, 0xff, v152
	v_or_b32_e32 v155, v155, v0
	v_sub_nc_u16 v0, v2, v154
	ds_load_2addr_b32 v[2:3], v151 offset0:2 offset1:3
	v_lshlrev_b16 v154, 8, v0
	v_add_nc_u32_e32 v0, 0x3188, v147
	ds_load_2addr_b32 v[0:1], v0 offset1:1
	s_wait_dscnt 0x1
	v_ashrrev_i32_e32 v2, s19, v2
	v_ashrrev_i32_e32 v3, s19, v3
	s_delay_alu instid0(VALU_DEP_2) | instskip(NEXT) | instid1(VALU_DEP_2)
	v_lshlrev_b32_e32 v2, 2, v2
	v_lshlrev_b32_e32 v3, 2, v3
	s_wait_dscnt 0x0
	v_ashrrev_i32_e32 v0, s20, v0
	s_delay_alu instid0(VALU_DEP_3) | instskip(NEXT) | instid1(VALU_DEP_3)
	v_and_b32_e32 v2, 0x4040404, v2
	v_and_b32_e32 v3, 0x4040404, v3
	s_delay_alu instid0(VALU_DEP_3) | instskip(SKIP_1) | instid1(VALU_DEP_4)
	v_and_b32_e32 v158, 0x3030303, v0
	v_bfe_u32 v0, v0, 24, 2
	v_lshrrev_b32_e32 v206, 16, v2
	v_lshrrev_b32_e32 v207, 24, v2
	v_lshrrev_b16 v205, 8, v2
	v_lshrrev_b32_e32 v204, 16, v158
	v_lshrrev_b16 v203, 8, v158
	v_sub_nc_u16 v158, v158, v2
	v_sub_nc_u16 v0, v0, v207
	s_delay_alu instid0(VALU_DEP_4) | instskip(SKIP_1) | instid1(VALU_DEP_3)
	v_sub_nc_u16 v211, v204, v206
	v_lshrrev_b32_e32 v206, 24, v3
	v_lshlrev_b16 v0, 8, v0
	s_delay_alu instid0(VALU_DEP_3) | instskip(NEXT) | instid1(VALU_DEP_1)
	v_and_b32_e32 v204, 0xff, v211
	v_or_b32_e32 v212, v204, v0
	v_sub_nc_u16 v0, v203, v205
	v_lshrrev_b32_e32 v205, 16, v3
	v_lshrrev_b16 v204, 8, v3
	s_delay_alu instid0(VALU_DEP_3) | instskip(SKIP_1) | instid1(VALU_DEP_1)
	v_lshlrev_b16 v214, 8, v0
	v_ashrrev_i32_e32 v0, s20, v1
	v_and_b32_e32 v1, 0x3030303, v0
	v_bfe_u32 v0, v0, 24, 2
	s_delay_alu instid0(VALU_DEP_2) | instskip(NEXT) | instid1(VALU_DEP_2)
	v_lshrrev_b32_e32 v203, 16, v1
	v_sub_nc_u16 v0, v0, v206
	v_lshrrev_b16 v2, 8, v1
	s_delay_alu instid0(VALU_DEP_3) | instskip(NEXT) | instid1(VALU_DEP_3)
	v_sub_nc_u16 v70, v203, v205
	v_lshlrev_b16 v0, 8, v0
	v_sub_nc_u16 v205, v1, v3
	s_delay_alu instid0(VALU_DEP_3) | instskip(NEXT) | instid1(VALU_DEP_2)
	v_and_b32_e32 v203, 0xff, v70
	v_bfe_i32 v205, v205, 0, 8
	s_delay_alu instid0(VALU_DEP_2)
	v_or_b32_e32 v71, v203, v0
	v_sub_nc_u16 v0, v2, v204
	ds_load_2addr_b32 v[2:3], v151 offset0:4 offset1:5
	v_lshlrev_b16 v72, 8, v0
	v_add_nc_u32_e32 v0, 0x3190, v147
	ds_load_2addr_b32 v[0:1], v0 offset1:1
	s_wait_dscnt 0x1
	v_ashrrev_i32_e32 v2, s19, v2
	v_ashrrev_i32_e32 v3, s19, v3
	s_delay_alu instid0(VALU_DEP_2) | instskip(NEXT) | instid1(VALU_DEP_2)
	v_lshlrev_b32_e32 v2, 2, v2
	v_lshlrev_b32_e32 v3, 2, v3
	s_wait_dscnt 0x0
	v_ashrrev_i32_e32 v0, s20, v0
	s_delay_alu instid0(VALU_DEP_3) | instskip(NEXT) | instid1(VALU_DEP_3)
	v_and_b32_e32 v2, 0x4040404, v2
	v_and_b32_e32 v3, 0x4040404, v3
	s_delay_alu instid0(VALU_DEP_3) | instskip(SKIP_1) | instid1(VALU_DEP_4)
	v_and_b32_e32 v203, 0x3030303, v0
	v_bfe_u32 v0, v0, 24, 2
	v_lshrrev_b32_e32 v208, 16, v2
	v_lshrrev_b32_e32 v210, 24, v2
	v_lshrrev_b16 v207, 8, v2
	v_lshrrev_b32_e32 v206, 16, v203
	v_lshrrev_b16 v204, 8, v203
	v_sub_nc_u16 v86, v203, v2
	v_sub_nc_u16 v0, v0, v210
	s_delay_alu instid0(VALU_DEP_4) | instskip(SKIP_1) | instid1(VALU_DEP_3)
	v_sub_nc_u16 v73, v206, v208
	v_bfe_i32 v208, v157, 0, 8
	v_lshlrev_b16 v0, 8, v0
	s_delay_alu instid0(VALU_DEP_3) | instskip(NEXT) | instid1(VALU_DEP_1)
	v_and_b32_e32 v206, 0xff, v73
	v_or_b32_e32 v75, v206, v0
	v_sub_nc_u16 v0, v204, v207
	v_lshrrev_b32_e32 v206, 16, v3
	v_lshrrev_b32_e32 v207, 24, v3
	v_lshrrev_b16 v204, 8, v3
	s_delay_alu instid0(VALU_DEP_4) | instskip(SKIP_1) | instid1(VALU_DEP_2)
	v_lshlrev_b16 v85, 8, v0
	v_ashrrev_i32_e32 v0, s20, v1
	v_bfe_i32 v157, v85, 8, 8
	s_delay_alu instid0(VALU_DEP_2) | instskip(SKIP_1) | instid1(VALU_DEP_2)
	v_and_b32_e32 v1, 0x3030303, v0
	v_bfe_u32 v0, v0, 24, 2
	v_lshrrev_b32_e32 v203, 16, v1
	s_delay_alu instid0(VALU_DEP_2) | instskip(SKIP_2) | instid1(VALU_DEP_4)
	v_sub_nc_u16 v0, v0, v207
	v_lshrrev_b16 v2, 8, v1
	v_sub_nc_u16 v81, v1, v3
	v_sub_nc_u16 v53, v203, v206
	s_delay_alu instid0(VALU_DEP_4) | instskip(NEXT) | instid1(VALU_DEP_2)
	v_lshlrev_b16 v0, 8, v0
	v_and_b32_e32 v203, 0xff, v53
	s_delay_alu instid0(VALU_DEP_1)
	v_or_b32_e32 v16, v203, v0
	v_sub_nc_u16 v0, v2, v204
	ds_load_2addr_b32 v[2:3], v151 offset0:6 offset1:7
	v_lshlrev_b16 v80, 8, v0
	v_add_nc_u32_e32 v0, 0x3198, v147
	ds_load_2addr_b32 v[0:1], v0 offset1:1
	s_wait_dscnt 0x1
	v_ashrrev_i32_e32 v2, s19, v2
	v_ashrrev_i32_e32 v3, s19, v3
	s_delay_alu instid0(VALU_DEP_2) | instskip(NEXT) | instid1(VALU_DEP_2)
	v_lshlrev_b32_e32 v2, 2, v2
	v_lshlrev_b32_e32 v3, 2, v3
	s_wait_dscnt 0x0
	v_ashrrev_i32_e32 v0, s20, v0
	s_delay_alu instid0(VALU_DEP_3) | instskip(NEXT) | instid1(VALU_DEP_3)
	v_and_b32_e32 v2, 0x4040404, v2
	v_and_b32_e32 v3, 0x4040404, v3
	s_delay_alu instid0(VALU_DEP_3) | instskip(SKIP_1) | instid1(VALU_DEP_4)
	v_and_b32_e32 v147, 0x3030303, v0
	v_bfe_u32 v0, v0, 24, 2
	v_lshrrev_b32_e32 v206, 16, v2
	v_lshrrev_b32_e32 v207, 24, v2
	v_lshrrev_b16 v151, 8, v2
	v_lshrrev_b32_e32 v204, 16, v147
	v_lshrrev_b16 v203, 8, v147
	v_sub_nc_u16 v2, v147, v2
	v_sub_nc_u16 v0, v0, v207
	v_lshrrev_b32_e32 v207, 24, v3
	v_sub_nc_u16 v82, v204, v206
	v_lshrrev_b32_e32 v206, 16, v3
	s_delay_alu instid0(VALU_DEP_4) | instskip(NEXT) | instid1(VALU_DEP_3)
	v_lshlrev_b16 v0, 8, v0
	v_and_b32_e32 v204, 0xff, v82
	s_delay_alu instid0(VALU_DEP_1) | instskip(SKIP_2) | instid1(VALU_DEP_2)
	v_or_b32_e32 v48, v204, v0
	v_sub_nc_u16 v0, v203, v151
	v_lshrrev_b16 v204, 8, v3
	v_lshlrev_b16 v151, 8, v0
	v_ashrrev_i32_e32 v0, s20, v1
	s_delay_alu instid0(VALU_DEP_1) | instskip(SKIP_1) | instid1(VALU_DEP_2)
	v_and_b32_e32 v1, 0x3030303, v0
	v_bfe_u32 v0, v0, 24, 2
	v_lshrrev_b32_e32 v203, 16, v1
	s_delay_alu instid0(VALU_DEP_2)
	v_sub_nc_u16 v0, v0, v207
	v_lshrrev_b16 v147, 8, v1
	v_sub_nc_u16 v1, v1, v3
	v_add3_u32 v3, s22, v142, v116
	v_sub_nc_u16 v47, v203, v206
	v_lshlrev_b16 v0, 8, v0
	v_perm_b32 v206, v153, v150, 0xc0c0500
	v_bfe_i32 v207, v158, 0, 8
	v_bfe_i32 v158, v86, 0, 8
	v_and_b32_e32 v203, 0xff, v47
	v_bfe_i32 v150, v1, 0, 8
	s_delay_alu instid0(VALU_DEP_2)
	v_or_b32_e32 v88, v203, v0
	v_sub_nc_u16 v0, v147, v204
	v_bfe_i32 v203, v4, 0, 8
	ds_load_b32 v147, v3
	v_bfe_i32 v204, v148, 8, 8
	v_perm_b32 v4, v155, v152, 0xc05000c
	v_lshlrev_b16 v89, 8, v0
	v_add_nc_u32_e32 v0, s21, v101
	v_perm_b32 v155, v75, v73, 0xc0c0500
	v_bfe_i32 v152, v2, 0, 8
	v_perm_b32 v2, v16, v53, 0xc05000c
	ds_load_u16 v0, v0
	v_mul_i32_i24_e32 v3, v28, v203
	s_delay_alu instid0(VALU_DEP_1) | instskip(NEXT) | instid1(VALU_DEP_1)
	v_mad_i32_i24 v3, v245, v204, v3
	v_dot4_i32_iu8 v3, v61, v206, v3 neg_lo:[1,1,0]
	v_perm_b32 v61, v154, v154, 0xc0c0c01
	v_bfe_i32 v154, v81, 0, 8
	s_delay_alu instid0(VALU_DEP_3) | instskip(NEXT) | instid1(VALU_DEP_3)
	v_mad_i32_i24 v3, v249, v208, v3
	v_or_b32_e32 v210, v4, v61
	v_perm_b32 v4, v212, v211, 0xc05000c
	s_delay_alu instid0(VALU_DEP_2) | instskip(SKIP_3) | instid1(VALU_DEP_3)
	v_dot4_i32_iu8 v3, v5, v210, v3 neg_lo:[1,1,0]
	v_perm_b32 v5, v214, v214, 0xc0c0c01
	s_wait_dscnt 0x0
	v_bfe_i32 v214, v0, 0, 8
	v_mad_i32_i24 v3, v254, v207, v3
	s_delay_alu instid0(VALU_DEP_3) | instskip(SKIP_2) | instid1(VALU_DEP_3)
	v_or_b32_e32 v211, v4, v5
	v_perm_b32 v4, v71, v70, 0xc05000c
	v_perm_b32 v5, v72, v72, 0xc0c0c01
	v_dot4_i32_iu8 v3, v6, v211, v3 neg_lo:[1,1,0]
	s_delay_alu instid0(VALU_DEP_2) | instskip(SKIP_1) | instid1(VALU_DEP_3)
	v_or_b32_e32 v212, v4, v5
	v_lshrrev_b16 v4, 8, v0
	v_mad_i32_i24 v3, v237, v205, v3
	s_delay_alu instid0(VALU_DEP_2) | instskip(NEXT) | instid1(VALU_DEP_2)
	v_bfe_i32 v148, v4, 0, 8
	v_dot4_i32_iu8 v3, v7, v212, v3 neg_lo:[1,1,0]
	s_delay_alu instid0(VALU_DEP_1) | instskip(SKIP_1) | instid1(VALU_DEP_1)
	v_mul_lo_u32 v0, v3, v214
	v_mul_i32_i24_e32 v3, v226, v158
	v_mad_i32_i24 v3, v236, v157, v3
	s_delay_alu instid0(VALU_DEP_1) | instskip(NEXT) | instid1(VALU_DEP_1)
	v_dot4_i32_iu8 v3, v63, v155, v3 neg_lo:[1,1,0]
	v_mad_i32_i24 v1, v232, v154, v3
	v_perm_b32 v3, v80, v80, 0xc0c0c01
	s_delay_alu instid0(VALU_DEP_1) | instskip(SKIP_2) | instid1(VALU_DEP_3)
	v_or_b32_e32 v153, v2, v3
	v_perm_b32 v2, v48, v82, 0xc05000c
	v_perm_b32 v3, v151, v151, 0xc0c0c01
	v_dot4_i32_iu8 v1, v62, v153, v1 neg_lo:[1,1,0]
	s_delay_alu instid0(VALU_DEP_2) | instskip(SKIP_2) | instid1(VALU_DEP_4)
	v_or_b32_e32 v151, v2, v3
	v_perm_b32 v2, v88, v47, 0xc05000c
	v_perm_b32 v3, v89, v89, 0xc0c0c01
	v_mad_i32_i24 v1, v235, v152, v1
	s_delay_alu instid0(VALU_DEP_1) | instskip(NEXT) | instid1(VALU_DEP_3)
	v_dot4_i32_iu8 v1, v149, v151, v1 neg_lo:[1,1,0]
	v_or_b32_e32 v149, v2, v3
	v_mul_i32_i24_e32 v2, v241, v243
	v_mul_i32_i24_e32 v3, v240, v244
	v_bfe_i32 v243, v57, 0, 16
	v_mad_i32_i24 v1, v224, v150, v1
	v_bfe_i32 v244, v56, 0, 8
	v_mul_i32_i24_e32 v56, v246, v249
	v_bfe_i32 v249, v46, 0, 16
	v_mul_i32_i24_e32 v73, v243, v247
	v_dot4_i32_iu8 v1, v68, v149, v1 neg_lo:[1,1,0]
	v_bfe_i32 v247, v52, 0, 16
	s_delay_alu instid0(VALU_DEP_4) | instskip(SKIP_1) | instid1(VALU_DEP_4)
	v_mul_i32_i24_e32 v52, v249, v253
	v_bfe_i32 v253, v30, 0, 16
	v_mad_co_u64_u32 v[0:1], null, v1, v148, v[0:1]
	v_mul_f32_e32 v1, v59, v147
	s_delay_alu instid0(VALU_DEP_2) | instskip(NEXT) | instid1(VALU_DEP_1)
	v_cvt_f32_i32_e32 v0, v0
	v_fmac_f32_e32 v74, v1, v0
	v_or_b32_e32 v0, s18, v102
	s_delay_alu instid0(VALU_DEP_1) | instskip(SKIP_3) | instid1(VALU_DEP_1)
	v_lshlrev_b32_e32 v1, 2, v0
	v_lshrrev_b32_e32 v0, 1, v0
	ds_load_b32 v59, v0 offset:38816
	v_mul_i32_i24_e32 v0, v242, v28
	v_mad_i32_i24 v0, v239, v245, v0
	v_bfe_i32 v245, v54, 0, 16
	s_delay_alu instid0(VALU_DEP_2) | instskip(SKIP_3) | instid1(VALU_DEP_1)
	v_add3_u32 v47, v0, v2, v3
	ds_load_b128 v[4:7], v1 offset:25344
	ds_load_b128 v[0:3], v1 offset:25360
	v_mul_i32_i24_e32 v57, v245, v126
	v_add3_u32 v47, v47, v56, v57
	s_wait_dscnt 0x2
	v_mul_f32_e32 v16, v11, v59
	s_wait_dscnt 0x1
	v_lshrrev_b16 v28, 8, v4
	v_bfe_i32 v61, v4, 0, 8
	v_lshrrev_b16 v48, 8, v5
	v_ashrrev_i32_e32 v63, 24, v4
	v_bfe_i32 v68, v4, 16, 8
	v_bfe_i32 v28, v28, 0, 8
	v_mul_i32_i24_e32 v70, v61, v170
	v_bfe_i32 v48, v48, 0, 8
	v_mul_i32_i24_e32 v72, v63, v172
	v_mul_i32_i24_e32 v71, v68, v171
	v_bfe_i32 v54, v5, 0, 8
	v_mad_i32_i24 v70, v28, v173, v70
	v_lshrrev_b16 v53, 8, v6
	v_ashrrev_i32_e32 v75, 24, v5
	v_bfe_i32 v80, v5, 16, 8
	v_mul_i32_i24_e32 v81, v54, v177
	v_add3_u32 v70, v70, v71, v72
	v_mul_i32_i24_e32 v72, v244, v248
	v_mul_i32_i24_e32 v82, v48, v176
	;; [unrolled: 1-line block ×4, first 2 shown]
	v_bfe_i32 v248, v49, 0, 8
	v_add3_u32 v47, v47, v72, v73
	v_add3_u32 v56, v70, v81, v82
	v_mul_i32_i24_e32 v49, v250, v254
	v_bfe_i32 v53, v53, 0, 8
	v_bfe_i32 v46, v6, 0, 8
	v_lshrrev_b16 v62, 8, v7
	v_add3_u32 v56, v56, v85, v86
	v_mul_i32_i24_e32 v70, v80, v244
	v_mul_i32_i24_e32 v72, v75, v243
	v_mul_i32_i24_e32 v73, v248, v252
	v_mul_i32_i24_e32 v75, v247, v251
	v_ashrrev_i32_e32 v80, 24, v6
	v_bfe_i32 v81, v6, 16, 8
	v_mul_i32_i24_e32 v82, v46, v181
	v_mul_i32_i24_e32 v85, v53, v180
	v_add3_u32 v47, v47, v49, v52
	v_bfe_i32 v254, v255, 0, 8
	v_mul_i32_i24_e32 v86, v81, v179
	v_mul_i32_i24_e32 v88, v80, v178
	v_add3_u32 v49, v56, v82, v85
	v_add3_u32 v47, v47, v73, v75
	v_bfe_i32 v251, v35, 0, 16
	v_bfe_i32 v252, v32, 0, 8
	v_mul_i32_i24_e32 v32, v254, v237
	v_mul_i32_i24_e32 v35, v253, v58
	v_bfe_i32 v62, v62, 0, 8
	v_bfe_i32 v30, v7, 0, 8
	v_add3_u32 v49, v49, v86, v88
	v_mul_i32_i24_e32 v73, v81, v248
	v_mul_i32_i24_e32 v75, v80, v247
	v_mul_i32_i24_e32 v51, v252, v51
	v_mul_i32_i24_e32 v37, v251, v37
	v_ashrrev_i32_e32 v58, 24, v7
	v_bfe_i32 v80, v7, 16, 8
	v_mul_i32_i24_e32 v52, v30, v185
	v_mul_i32_i24_e32 v81, v62, v184
	v_add3_u32 v32, v47, v32, v35
	v_mul_i32_i24_e32 v85, v58, v182
	v_mul_i32_i24_e32 v82, v80, v183
	;; [unrolled: 1-line block ×4, first 2 shown]
	v_add3_u32 v47, v32, v51, v37
	v_add3_u32 v32, v49, v52, v81
	v_mul_i32_i24_e32 v48, v48, v245
	v_mul_i32_i24_e32 v53, v53, v249
	;; [unrolled: 1-line block ×3, first 2 shown]
	v_mad_i32_i24 v51, v63, v240, v72
	v_add3_u32 v32, v32, v82, v85
	v_mul_i32_i24_e32 v56, v46, v250
	v_mul_i32_i24_e32 v35, v62, v253
	;; [unrolled: 1-line block ×3, first 2 shown]
	v_mad_i32_i24 v58, v68, v241, v70
	v_mul_lo_u32 v52, v32, v209
	v_mul_i32_i24_e32 v32, v30, v254
	v_mad_i32_i24 v57, v61, v242, v57
	v_add3_u32 v48, v71, v48, v53
	v_add3_u32 v49, v51, v75, v49
	;; [unrolled: 1-line block ×3, first 2 shown]
	v_bfe_i32 v58, v125, 0, 8
	v_add3_u32 v32, v57, v56, v32
	v_bfe_i32 v255, v27, 0, 16
	v_add3_u32 v35, v48, v35, v49
	v_bfe_i32 v51, v127, 0, 8
	v_mul_i32_i24_e32 v27, v58, v226
	s_wait_dscnt 0x0
	v_ashrrev_i32_e32 v62, 24, v0
	v_bfe_i32 v63, v0, 16, 8
	v_add3_u32 v48, v32, v37, v35
	v_bfe_i32 v37, v128, 0, 16
	v_mul_i32_i24_e32 v32, v51, v227
	v_mad_i32_i24 v27, v255, v236, v27
	v_mul_i32_i24_e32 v68, v63, v187
	v_mul_i32_i24_e32 v70, v62, v188
	;; [unrolled: 1-line block ×3, first 2 shown]
	v_bfe_i32 v228, v122, 0, 16
	v_bfe_i32 v237, v120, 0, 8
	;; [unrolled: 1-line block ×4, first 2 shown]
	v_add3_u32 v49, v27, v32, v35
	v_lshrrev_b16 v27, 8, v0
	v_bfe_i32 v32, v0, 0, 8
	v_lshrrev_b16 v35, 8, v1
	v_mul_i32_i24_e32 v71, v228, v231
	v_mul_i32_i24_e32 v72, v227, v230
	v_bfe_i32 v27, v27, 0, 8
	v_mul_i32_i24_e32 v57, v32, v186
	v_bfe_i32 v81, v35, 0, 8
	v_bfe_i32 v35, v1, 0, 8
	v_mul_i32_i24_e32 v73, v226, v229
	v_ashrrev_i32_e32 v75, 24, v1
	v_mad_i32_i24 v57, v27, v189, v57
	v_bfe_i32 v80, v1, 16, 8
	v_mul_i32_i24_e32 v82, v35, v193
	v_mul_i32_i24_e32 v85, v81, v192
	v_lshrrev_b16 v53, 8, v2
	v_add3_u32 v57, v57, v68, v70
	v_mul_i32_i24_e32 v70, v237, v232
	v_mul_i32_i24_e32 v86, v80, v191
	;; [unrolled: 1-line block ×3, first 2 shown]
	v_bfe_i32 v231, v118, 0, 16
	v_bfe_i32 v232, v117, 0, 8
	v_add3_u32 v49, v49, v70, v71
	v_bfe_i32 v229, v121, 0, 16
	v_bfe_i32 v230, v119, 0, 8
	;; [unrolled: 1-line block ×3, first 2 shown]
	v_lshrrev_b16 v56, 8, v3
	v_add3_u32 v70, v49, v72, v73
	v_add3_u32 v49, v57, v82, v85
	v_mul_i32_i24_e32 v72, v81, v228
	v_mul_i32_i24_e32 v73, v80, v227
	;; [unrolled: 1-line block ×4, first 2 shown]
	v_add3_u32 v57, v49, v86, v88
	v_bfe_i32 v49, v2, 0, 8
	v_mul_i32_i24_e32 v82, v230, v233
	v_mul_i32_i24_e32 v85, v229, v225
	v_ashrrev_i32_e32 v86, 24, v2
	v_bfe_i32 v88, v2, 16, 8
	v_mul_i32_i24_e32 v89, v49, v197
	v_mul_i32_i24_e32 v117, v53, v196
	v_add3_u32 v70, v70, v80, v81
	v_mul_i32_i24_e32 v119, v86, v194
	v_mul_i32_i24_e32 v118, v88, v195
	v_bfe_i32 v233, v8, 0, 16
	v_add3_u32 v57, v57, v89, v117
	v_add3_u32 v70, v70, v82, v85
	v_mul_i32_i24_e32 v82, v86, v229
	v_bfe_i32 v86, v56, 0, 8
	v_bfe_i32 v8, v3, 0, 8
	v_add3_u32 v57, v57, v118, v119
	v_bfe_i32 v234, v87, 0, 8
	v_bfe_i32 v235, v83, 0, 16
	v_ashrrev_i32_e32 v83, 24, v3
	v_bfe_i32 v85, v3, 16, 8
	v_mul_i32_i24_e32 v56, v8, v201
	v_mul_i32_i24_e32 v87, v86, v200
	;; [unrolled: 1-line block ×6, first 2 shown]
	v_add3_u32 v56, v57, v56, v87
	v_bfe_i32 v236, v79, 0, 8
	v_mul_i32_i24_e32 v75, v75, v226
	v_mul_i32_i24_e32 v67, v235, v67
	;; [unrolled: 1-line block ×3, first 2 shown]
	v_add3_u32 v56, v56, v88, v89
	v_mul_i32_i24_e32 v79, v236, v224
	v_mul_i32_i24_e32 v71, v35, v237
	;; [unrolled: 1-line block ×4, first 2 shown]
	v_mad_co_u64_u32 v[56:57], null, v56, v202, v[52:53]
	v_add3_u32 v67, v70, v79, v67
	v_mul_i32_i24_e32 v57, v83, v233
	v_mad_i32_i24 v62, v62, v37, v75
	v_mul_i32_i24_e32 v80, v49, v232
	v_mad_i32_i24 v63, v63, v51, v73
	v_add3_u32 v65, v67, v65, v64
	v_cvt_f32_i32_e32 v52, v56
	v_mul_i32_i24_e32 v56, v85, v234
	v_mad_i32_i24 v64, v32, v58, v71
	v_add3_u32 v53, v68, v72, v53
	v_add3_u32 v57, v62, v82, v57
	v_fmac_f32_e32 v69, v16, v52
	v_mul_i32_i24_e32 v16, v8, v236
	v_mul_i32_i24_e32 v52, v86, v235
	v_add3_u32 v56, v63, v81, v56
	v_perm_b32 v5, v5, v5, 0xc030201
	v_perm_b32 v6, v6, v6, 0xc030201
	v_add3_u32 v16, v64, v80, v16
	v_add3_u32 v52, v53, v52, v57
	v_perm_b32 v2, v2, v2, 0xc030201
	v_perm_b32 v7, v7, v7, 0xc030201
	v_perm_b32 v3, v3, v3, 0xc030201
	s_delay_alu instid0(VALU_DEP_4) | instskip(SKIP_4) | instid1(VALU_DEP_2)
	v_add3_u32 v16, v16, v56, v52
	ds_load_u16 v52, v238
	s_wait_dscnt 0x0
	v_bfe_i32 v64, v52, 0, 8
	v_lshrrev_b16 v53, 8, v52
	v_mul_lo_u32 v52, v47, v64
	s_delay_alu instid0(VALU_DEP_2) | instskip(NEXT) | instid1(VALU_DEP_1)
	v_bfe_i32 v238, v53, 0, 8
	v_mad_co_u64_u32 v[56:57], null, v65, v238, v[52:53]
	v_mul_lo_u32 v52, v48, v64
	v_perm_b32 v48, v0, v0, 0xc0c0302
	s_delay_alu instid0(VALU_DEP_3) | instskip(NEXT) | instid1(VALU_DEP_3)
	v_cvt_f32_i32_e32 v47, v56
	v_mad_co_u64_u32 v[56:57], null, v16, v238, v[52:53]
	v_mul_f32_e32 v16, v159, v59
	s_delay_alu instid0(VALU_DEP_3) | instskip(NEXT) | instid1(VALU_DEP_3)
	v_fmac_f32_e32 v84, v76, v47
	v_cvt_f32_i32_e32 v47, v56
	s_delay_alu instid0(VALU_DEP_1) | instskip(SKIP_2) | instid1(VALU_DEP_2)
	v_fmac_f32_e32 v66, v16, v47
	v_mul_i32_i24_e32 v16, v61, v160
	v_perm_b32 v47, v4, v4, 0xc0c0302
	v_mad_i32_i24 v16, v28, v161, v16
	s_delay_alu instid0(VALU_DEP_1) | instskip(SKIP_1) | instid1(VALU_DEP_2)
	v_dot4_i32_iu8 v4, v47, v216, v16 neg_lo:[1,1,0]
	v_mul_i32_i24_e32 v16, v32, v222
	v_mad_i32_i24 v4, v54, v217, v4
	s_delay_alu instid0(VALU_DEP_2) | instskip(NEXT) | instid1(VALU_DEP_2)
	v_mad_i32_i24 v16, v27, v223, v16
	v_dot4_i32_iu8 v4, v5, v218, v4 neg_lo:[1,1,0]
	s_delay_alu instid0(VALU_DEP_2) | instskip(SKIP_1) | instid1(VALU_DEP_3)
	v_dot4_i32_iu8 v0, v48, v164, v16 neg_lo:[1,1,0]
	v_perm_b32 v16, v1, v1, 0xc030201
	v_mad_i32_i24 v4, v46, v215, v4
	s_delay_alu instid0(VALU_DEP_3) | instskip(NEXT) | instid1(VALU_DEP_2)
	v_mad_i32_i24 v0, v35, v165, v0
	v_dot4_i32_iu8 v4, v6, v219, v4 neg_lo:[1,1,0]
	s_delay_alu instid0(VALU_DEP_2) | instskip(NEXT) | instid1(VALU_DEP_2)
	v_dot4_i32_iu8 v0, v16, v166, v0 neg_lo:[1,1,0]
	v_mad_i32_i24 v4, v30, v213, v4
	s_delay_alu instid0(VALU_DEP_2) | instskip(NEXT) | instid1(VALU_DEP_2)
	v_mad_i32_i24 v0, v49, v163, v0
	v_dot4_i32_iu8 v4, v7, v220, v4 neg_lo:[1,1,0]
	s_delay_alu instid0(VALU_DEP_2) | instskip(NEXT) | instid1(VALU_DEP_2)
	v_dot4_i32_iu8 v0, v2, v167, v0 neg_lo:[1,1,0]
	v_mul_lo_u32 v4, v4, v221
	s_delay_alu instid0(VALU_DEP_2) | instskip(NEXT) | instid1(VALU_DEP_1)
	v_mad_i32_i24 v0, v8, v162, v0
	v_dot4_i32_iu8 v0, v3, v168, v0 neg_lo:[1,1,0]
	s_delay_alu instid0(VALU_DEP_1) | instskip(SKIP_1) | instid1(VALU_DEP_2)
	v_mad_co_u64_u32 v[0:1], null, v0, v169, v[4:5]
	v_mul_f32_e32 v1, v156, v59
	v_cvt_f32_i32_e32 v0, v0
	s_delay_alu instid0(VALU_DEP_1) | instskip(SKIP_2) | instid1(VALU_DEP_2)
	v_fmac_f32_e32 v60, v1, v0
	v_mul_i32_i24_e32 v0, v61, v203
	v_mul_i32_i24_e32 v1, v32, v158
	v_mad_i32_i24 v0, v28, v204, v0
	s_delay_alu instid0(VALU_DEP_2) | instskip(NEXT) | instid1(VALU_DEP_2)
	v_mad_i32_i24 v1, v27, v157, v1
	v_dot4_i32_iu8 v0, v47, v206, v0 neg_lo:[1,1,0]
	s_delay_alu instid0(VALU_DEP_2) | instskip(NEXT) | instid1(VALU_DEP_2)
	v_dot4_i32_iu8 v1, v48, v155, v1 neg_lo:[1,1,0]
	v_mad_i32_i24 v0, v54, v208, v0
	s_delay_alu instid0(VALU_DEP_2) | instskip(NEXT) | instid1(VALU_DEP_2)
	v_mad_i32_i24 v1, v35, v154, v1
	v_dot4_i32_iu8 v0, v5, v210, v0 neg_lo:[1,1,0]
	s_delay_alu instid0(VALU_DEP_2) | instskip(NEXT) | instid1(VALU_DEP_2)
	v_dot4_i32_iu8 v1, v16, v153, v1 neg_lo:[1,1,0]
	;; [unrolled: 6-line block ×4, first 2 shown]
	v_mul_lo_u32 v0, v0, v214
	s_delay_alu instid0(VALU_DEP_1) | instskip(SKIP_1) | instid1(VALU_DEP_2)
	v_mad_co_u64_u32 v[0:1], null, v1, v148, v[0:1]
	v_mul_f32_e32 v1, v147, v59
	v_cvt_f32_i32_e32 v0, v0
	s_delay_alu instid0(VALU_DEP_1) | instskip(SKIP_1) | instid1(VALU_DEP_1)
	v_fmac_f32_e32 v55, v1, v0
	v_or_b32_e32 v0, s18, v103
	v_lshlrev_b32_e32 v1, 2, v0
	v_lshrrev_b32_e32 v0, 1, v0
	ds_load_b32 v8, v0 offset:38816
	ds_load_b128 v[4:7], v1 offset:25344
	ds_load_b128 v[0:3], v1 offset:25360
	s_wait_dscnt 0x1
	v_bfe_i32 v27, v4, 0, 8
	v_bfe_i32 v28, v4, 8, 8
	v_bfe_i32 v16, v4, 16, 8
	v_ashrrev_i32_e32 v47, 24, v4
	v_bfe_i32 v30, v5, 0, 8
	v_mul_i32_i24_e32 v57, v170, v27
	v_bfe_i32 v48, v5, 8, 8
	v_mul_i32_i24_e32 v61, v171, v16
	v_mul_i32_i24_e32 v62, v172, v47
	v_bfe_i32 v53, v5, 16, 8
	v_mad_i32_i24 v57, v173, v28, v57
	v_ashrrev_i32_e32 v59, 24, v5
	s_wait_dscnt 0x0
	v_bfe_i32 v46, v0, 0, 8
	v_bfe_i32 v49, v0, 8, 8
	;; [unrolled: 1-line block ×3, first 2 shown]
	v_add3_u32 v57, v57, v61, v62
	v_mul_i32_i24_e32 v61, v177, v30
	v_mul_i32_i24_e32 v62, v176, v48
	v_ashrrev_i32_e32 v73, 24, v0
	v_mul_i32_i24_e32 v87, v175, v53
	v_mul_i32_i24_e32 v88, v174, v59
	v_bfe_i32 v32, v6, 0, 8
	v_add3_u32 v57, v57, v61, v62
	v_mul_i32_i24_e32 v61, v186, v46
	v_bfe_i32 v63, v6, 8, 8
	v_bfe_i32 v52, v1, 0, 8
	;; [unrolled: 1-line block ×3, first 2 shown]
	v_add3_u32 v57, v57, v87, v88
	v_mul_i32_i24_e32 v62, v187, v72
	v_mul_i32_i24_e32 v87, v188, v73
	v_mad_i32_i24 v61, v189, v49, v61
	v_bfe_i32 v65, v6, 16, 8
	v_ashrrev_i32_e32 v67, 24, v6
	v_bfe_i32 v76, v1, 16, 8
	v_ashrrev_i32_e32 v79, 24, v1
	v_mul_i32_i24_e32 v89, v181, v32
	v_mul_i32_i24_e32 v117, v180, v63
	v_add3_u32 v61, v61, v62, v87
	v_mul_i32_i24_e32 v62, v193, v52
	v_mul_i32_i24_e32 v87, v192, v75
	v_bfe_i32 v35, v7, 0, 8
	v_bfe_i32 v68, v7, 8, 8
	;; [unrolled: 1-line block ×4, first 2 shown]
	v_mul_i32_i24_e32 v118, v179, v65
	v_mul_i32_i24_e32 v119, v178, v67
	v_add3_u32 v57, v57, v89, v117
	v_mul_i32_i24_e32 v88, v191, v76
	v_mul_i32_i24_e32 v89, v190, v79
	v_add3_u32 v61, v61, v62, v87
	v_bfe_i32 v70, v7, 16, 8
	v_ashrrev_i32_e32 v71, 24, v7
	v_bfe_i32 v81, v2, 16, 8
	v_ashrrev_i32_e32 v82, 24, v2
	v_mul_i32_i24_e32 v120, v185, v35
	v_mul_i32_i24_e32 v121, v184, v68
	v_add3_u32 v57, v57, v118, v119
	v_mul_i32_i24_e32 v117, v197, v54
	v_mul_i32_i24_e32 v118, v196, v80
	v_add3_u32 v61, v61, v88, v89
	v_bfe_i32 v56, v3, 0, 8
	v_bfe_i32 v83, v3, 8, 8
	v_mul_i32_i24_e32 v122, v183, v70
	v_mul_i32_i24_e32 v123, v182, v71
	v_add3_u32 v57, v57, v120, v121
	v_mul_i32_i24_e32 v119, v195, v81
	v_mul_i32_i24_e32 v120, v194, v82
	v_add3_u32 v61, v61, v117, v118
	v_bfe_i32 v85, v3, 16, 8
	v_ashrrev_i32_e32 v86, 24, v3
	v_add3_u32 v57, v57, v122, v123
	v_mul_i32_i24_e32 v121, v201, v56
	v_mul_i32_i24_e32 v122, v200, v83
	v_add3_u32 v61, v61, v119, v120
	v_mul_i32_i24_e32 v123, v199, v85
	v_mul_i32_i24_e32 v124, v198, v86
	v_mul_lo_u32 v57, v57, v209
	v_mul_i32_i24_e32 v16, v241, v16
	v_add3_u32 v61, v61, v121, v122
	v_mul_i32_i24_e32 v47, v240, v47
	v_mul_i32_i24_e32 v48, v245, v48
	;; [unrolled: 1-line block ×3, first 2 shown]
	v_perm_b32 v5, v5, v5, 0xc030201
	v_add3_u32 v61, v61, v123, v124
	v_perm_b32 v6, v6, v6, 0xc030201
	v_perm_b32 v2, v2, v2, 0xc030201
	;; [unrolled: 1-line block ×4, first 2 shown]
	v_mad_co_u64_u32 v[61:62], null, v61, v202, v[57:58]
	v_mul_f32_e32 v57, v11, v8
	v_mul_i32_i24_e32 v62, v248, v65
	v_mul_i32_i24_e32 v65, v254, v35
	s_delay_alu instid0(VALU_DEP_4) | instskip(NEXT) | instid1(VALU_DEP_1)
	v_cvt_f32_i32_e32 v61, v61
	v_fmac_f32_e32 v50, v57, v61
	v_mul_i32_i24_e32 v57, v242, v27
	v_mul_i32_i24_e32 v61, v249, v63
	;; [unrolled: 1-line block ×5, first 2 shown]
	v_mad_i32_i24 v57, v239, v28, v57
	v_mul_i32_i24_e32 v70, v251, v71
	v_mul_i32_i24_e32 v71, v233, v86
	s_delay_alu instid0(VALU_DEP_3) | instskip(SKIP_3) | instid1(VALU_DEP_3)
	v_add3_u32 v16, v57, v16, v47
	v_mul_i32_i24_e32 v47, v246, v30
	v_mul_i32_i24_e32 v57, v243, v59
	;; [unrolled: 1-line block ×3, first 2 shown]
	v_add3_u32 v16, v16, v47, v48
	v_mul_i32_i24_e32 v47, v51, v72
	v_mul_i32_i24_e32 v48, v37, v73
	s_delay_alu instid0(VALU_DEP_3) | instskip(SKIP_1) | instid1(VALU_DEP_2)
	v_add3_u32 v16, v16, v53, v57
	v_mul_i32_i24_e32 v53, v227, v76
	v_add3_u32 v16, v16, v59, v61
	v_mul_i32_i24_e32 v59, v226, v79
	v_mul_i32_i24_e32 v61, v232, v54
	s_delay_alu instid0(VALU_DEP_3) | instskip(SKIP_2) | instid1(VALU_DEP_3)
	v_add3_u32 v16, v16, v62, v63
	v_mul_i32_i24_e32 v62, v231, v80
	v_mul_i32_i24_e32 v63, v230, v81
	v_add3_u32 v16, v16, v65, v67
	v_mul_i32_i24_e32 v65, v229, v82
	v_mul_i32_i24_e32 v67, v236, v56
	s_delay_alu instid0(VALU_DEP_3) | instskip(SKIP_2) | instid1(VALU_DEP_3)
	v_add3_u32 v16, v16, v68, v70
	v_mul_i32_i24_e32 v68, v235, v83
	v_mul_i32_i24_e32 v70, v234, v85
	v_mul_lo_u32 v57, v16, v64
	v_mul_i32_i24_e32 v16, v58, v46
	s_delay_alu instid0(VALU_DEP_1) | instskip(NEXT) | instid1(VALU_DEP_1)
	v_mad_i32_i24 v16, v255, v49, v16
	v_add3_u32 v16, v16, v47, v48
	v_mul_i32_i24_e32 v47, v237, v52
	v_mul_i32_i24_e32 v48, v228, v75
	s_delay_alu instid0(VALU_DEP_1) | instskip(SKIP_1) | instid1(VALU_DEP_2)
	v_add3_u32 v16, v16, v47, v48
	v_perm_b32 v48, v0, v0, 0xc0c0302
	v_add3_u32 v16, v16, v53, v59
	s_delay_alu instid0(VALU_DEP_1) | instskip(NEXT) | instid1(VALU_DEP_1)
	v_add3_u32 v16, v16, v61, v62
	v_add3_u32 v16, v16, v63, v65
	s_delay_alu instid0(VALU_DEP_1) | instskip(NEXT) | instid1(VALU_DEP_1)
	v_add3_u32 v16, v16, v67, v68
	v_add3_u32 v16, v16, v70, v71
	s_delay_alu instid0(VALU_DEP_1) | instskip(SKIP_1) | instid1(VALU_DEP_2)
	v_mad_co_u64_u32 v[61:62], null, v16, v238, v[57:58]
	v_mul_f32_e32 v16, v159, v8
	v_cvt_f32_i32_e32 v47, v61
	s_delay_alu instid0(VALU_DEP_1) | instskip(SKIP_2) | instid1(VALU_DEP_2)
	v_fmac_f32_e32 v45, v16, v47
	v_mul_i32_i24_e32 v16, v27, v160
	v_perm_b32 v47, v4, v4, 0xc0c0302
	v_mad_i32_i24 v16, v28, v161, v16
	s_delay_alu instid0(VALU_DEP_1) | instskip(SKIP_1) | instid1(VALU_DEP_2)
	v_dot4_i32_iu8 v4, v47, v216, v16 neg_lo:[1,1,0]
	v_mul_i32_i24_e32 v16, v46, v222
	v_mad_i32_i24 v4, v30, v217, v4
	s_delay_alu instid0(VALU_DEP_2) | instskip(NEXT) | instid1(VALU_DEP_2)
	v_mad_i32_i24 v16, v49, v223, v16
	v_dot4_i32_iu8 v4, v5, v218, v4 neg_lo:[1,1,0]
	s_delay_alu instid0(VALU_DEP_2) | instskip(SKIP_1) | instid1(VALU_DEP_3)
	v_dot4_i32_iu8 v0, v48, v164, v16 neg_lo:[1,1,0]
	v_perm_b32 v16, v1, v1, 0xc030201
	v_mad_i32_i24 v4, v32, v215, v4
	s_delay_alu instid0(VALU_DEP_3) | instskip(NEXT) | instid1(VALU_DEP_2)
	v_mad_i32_i24 v0, v52, v165, v0
	v_dot4_i32_iu8 v4, v6, v219, v4 neg_lo:[1,1,0]
	s_delay_alu instid0(VALU_DEP_2) | instskip(NEXT) | instid1(VALU_DEP_2)
	v_dot4_i32_iu8 v0, v16, v166, v0 neg_lo:[1,1,0]
	v_mad_i32_i24 v4, v35, v213, v4
	s_delay_alu instid0(VALU_DEP_2) | instskip(NEXT) | instid1(VALU_DEP_2)
	v_mad_i32_i24 v0, v54, v163, v0
	v_dot4_i32_iu8 v4, v7, v220, v4 neg_lo:[1,1,0]
	s_delay_alu instid0(VALU_DEP_2) | instskip(NEXT) | instid1(VALU_DEP_2)
	v_dot4_i32_iu8 v0, v2, v167, v0 neg_lo:[1,1,0]
	v_mul_lo_u32 v4, v4, v221
	s_delay_alu instid0(VALU_DEP_2) | instskip(NEXT) | instid1(VALU_DEP_1)
	v_mad_i32_i24 v0, v56, v162, v0
	v_dot4_i32_iu8 v0, v3, v168, v0 neg_lo:[1,1,0]
	s_delay_alu instid0(VALU_DEP_1) | instskip(SKIP_1) | instid1(VALU_DEP_2)
	v_mad_co_u64_u32 v[0:1], null, v0, v169, v[4:5]
	v_mul_f32_e32 v1, v156, v8
	v_cvt_f32_i32_e32 v0, v0
	s_delay_alu instid0(VALU_DEP_1) | instskip(SKIP_2) | instid1(VALU_DEP_2)
	v_fmac_f32_e32 v44, v1, v0
	v_mul_i32_i24_e32 v0, v27, v203
	v_mul_i32_i24_e32 v1, v46, v158
	v_mad_i32_i24 v0, v28, v204, v0
	s_delay_alu instid0(VALU_DEP_2) | instskip(NEXT) | instid1(VALU_DEP_2)
	v_mad_i32_i24 v1, v49, v157, v1
	v_dot4_i32_iu8 v0, v47, v206, v0 neg_lo:[1,1,0]
	s_delay_alu instid0(VALU_DEP_2) | instskip(NEXT) | instid1(VALU_DEP_2)
	v_dot4_i32_iu8 v1, v48, v155, v1 neg_lo:[1,1,0]
	v_mad_i32_i24 v0, v30, v208, v0
	s_delay_alu instid0(VALU_DEP_2) | instskip(NEXT) | instid1(VALU_DEP_2)
	v_mad_i32_i24 v1, v52, v154, v1
	v_dot4_i32_iu8 v0, v5, v210, v0 neg_lo:[1,1,0]
	s_delay_alu instid0(VALU_DEP_2) | instskip(NEXT) | instid1(VALU_DEP_2)
	v_dot4_i32_iu8 v1, v16, v153, v1 neg_lo:[1,1,0]
	;; [unrolled: 6-line block ×4, first 2 shown]
	v_mul_lo_u32 v0, v0, v214
	s_delay_alu instid0(VALU_DEP_1) | instskip(SKIP_1) | instid1(VALU_DEP_2)
	v_mad_co_u64_u32 v[0:1], null, v1, v148, v[0:1]
	v_mul_f32_e32 v1, v147, v8
	v_cvt_f32_i32_e32 v0, v0
	s_delay_alu instid0(VALU_DEP_1) | instskip(SKIP_1) | instid1(VALU_DEP_1)
	v_fmac_f32_e32 v43, v1, v0
	v_or_b32_e32 v0, s18, v104
	v_lshlrev_b32_e32 v1, 2, v0
	v_lshrrev_b32_e32 v0, 1, v0
	ds_load_b32 v8, v0 offset:38816
	ds_load_b128 v[4:7], v1 offset:25344
	ds_load_b128 v[0:3], v1 offset:25360
	s_wait_dscnt 0x1
	v_bfe_i32 v27, v4, 0, 8
	v_bfe_i32 v28, v4, 8, 8
	;; [unrolled: 1-line block ×3, first 2 shown]
	v_ashrrev_i32_e32 v47, 24, v4
	v_bfe_i32 v30, v5, 0, 8
	v_mul_i32_i24_e32 v57, v170, v27
	v_bfe_i32 v48, v5, 8, 8
	v_mul_i32_i24_e32 v61, v171, v16
	v_mul_i32_i24_e32 v62, v172, v47
	v_bfe_i32 v53, v5, 16, 8
	v_mad_i32_i24 v57, v173, v28, v57
	v_ashrrev_i32_e32 v59, 24, v5
	s_wait_dscnt 0x0
	v_bfe_i32 v46, v0, 0, 8
	v_bfe_i32 v49, v0, 8, 8
	v_bfe_i32 v72, v0, 16, 8
	v_add3_u32 v57, v57, v61, v62
	v_mul_i32_i24_e32 v61, v177, v30
	v_mul_i32_i24_e32 v62, v176, v48
	v_ashrrev_i32_e32 v73, 24, v0
	v_mul_i32_i24_e32 v87, v175, v53
	v_mul_i32_i24_e32 v88, v174, v59
	v_bfe_i32 v32, v6, 0, 8
	v_add3_u32 v57, v57, v61, v62
	v_mul_i32_i24_e32 v61, v186, v46
	v_bfe_i32 v63, v6, 8, 8
	v_bfe_i32 v52, v1, 0, 8
	;; [unrolled: 1-line block ×3, first 2 shown]
	v_add3_u32 v57, v57, v87, v88
	v_mul_i32_i24_e32 v62, v187, v72
	v_mul_i32_i24_e32 v87, v188, v73
	v_mad_i32_i24 v61, v189, v49, v61
	v_bfe_i32 v65, v6, 16, 8
	v_ashrrev_i32_e32 v67, 24, v6
	v_bfe_i32 v76, v1, 16, 8
	v_ashrrev_i32_e32 v79, 24, v1
	v_mul_i32_i24_e32 v89, v181, v32
	v_mul_i32_i24_e32 v117, v180, v63
	v_add3_u32 v61, v61, v62, v87
	v_mul_i32_i24_e32 v62, v193, v52
	v_mul_i32_i24_e32 v87, v192, v75
	v_bfe_i32 v35, v7, 0, 8
	v_bfe_i32 v68, v7, 8, 8
	;; [unrolled: 1-line block ×4, first 2 shown]
	v_mul_i32_i24_e32 v118, v179, v65
	v_mul_i32_i24_e32 v119, v178, v67
	v_add3_u32 v57, v57, v89, v117
	v_mul_i32_i24_e32 v88, v191, v76
	v_mul_i32_i24_e32 v89, v190, v79
	v_add3_u32 v61, v61, v62, v87
	v_bfe_i32 v70, v7, 16, 8
	v_ashrrev_i32_e32 v71, 24, v7
	v_bfe_i32 v81, v2, 16, 8
	v_ashrrev_i32_e32 v82, 24, v2
	v_mul_i32_i24_e32 v120, v185, v35
	v_mul_i32_i24_e32 v121, v184, v68
	v_add3_u32 v57, v57, v118, v119
	v_mul_i32_i24_e32 v117, v197, v54
	v_mul_i32_i24_e32 v118, v196, v80
	v_add3_u32 v61, v61, v88, v89
	v_bfe_i32 v56, v3, 0, 8
	v_bfe_i32 v83, v3, 8, 8
	v_mul_i32_i24_e32 v122, v183, v70
	v_mul_i32_i24_e32 v123, v182, v71
	v_add3_u32 v57, v57, v120, v121
	v_mul_i32_i24_e32 v119, v195, v81
	v_mul_i32_i24_e32 v120, v194, v82
	v_add3_u32 v61, v61, v117, v118
	v_bfe_i32 v85, v3, 16, 8
	v_ashrrev_i32_e32 v86, 24, v3
	v_add3_u32 v57, v57, v122, v123
	v_mul_i32_i24_e32 v121, v201, v56
	v_mul_i32_i24_e32 v122, v200, v83
	v_add3_u32 v61, v61, v119, v120
	v_mul_i32_i24_e32 v123, v199, v85
	v_mul_i32_i24_e32 v124, v198, v86
	v_mul_lo_u32 v57, v57, v209
	v_mul_i32_i24_e32 v16, v241, v16
	v_add3_u32 v61, v61, v121, v122
	v_mul_i32_i24_e32 v47, v240, v47
	v_mul_i32_i24_e32 v48, v245, v48
	;; [unrolled: 1-line block ×3, first 2 shown]
	v_perm_b32 v5, v5, v5, 0xc030201
	v_add3_u32 v61, v61, v123, v124
	v_perm_b32 v6, v6, v6, 0xc030201
	v_perm_b32 v2, v2, v2, 0xc030201
	;; [unrolled: 1-line block ×4, first 2 shown]
	v_mad_co_u64_u32 v[61:62], null, v61, v202, v[57:58]
	v_mul_f32_e32 v57, v11, v8
	v_mul_i32_i24_e32 v62, v248, v65
	v_mul_i32_i24_e32 v65, v254, v35
	s_delay_alu instid0(VALU_DEP_4) | instskip(NEXT) | instid1(VALU_DEP_1)
	v_cvt_f32_i32_e32 v61, v61
	v_fmac_f32_e32 v42, v57, v61
	v_mul_i32_i24_e32 v57, v242, v27
	v_mul_i32_i24_e32 v61, v249, v63
	;; [unrolled: 1-line block ×5, first 2 shown]
	v_mad_i32_i24 v57, v239, v28, v57
	v_mul_i32_i24_e32 v70, v251, v71
	v_mul_i32_i24_e32 v71, v233, v86
	s_delay_alu instid0(VALU_DEP_3) | instskip(SKIP_3) | instid1(VALU_DEP_3)
	v_add3_u32 v16, v57, v16, v47
	v_mul_i32_i24_e32 v47, v246, v30
	v_mul_i32_i24_e32 v57, v243, v59
	;; [unrolled: 1-line block ×3, first 2 shown]
	v_add3_u32 v16, v16, v47, v48
	v_mul_i32_i24_e32 v47, v51, v72
	v_mul_i32_i24_e32 v48, v37, v73
	s_delay_alu instid0(VALU_DEP_3) | instskip(SKIP_1) | instid1(VALU_DEP_2)
	v_add3_u32 v16, v16, v53, v57
	v_mul_i32_i24_e32 v53, v227, v76
	v_add3_u32 v16, v16, v59, v61
	v_mul_i32_i24_e32 v59, v226, v79
	v_mul_i32_i24_e32 v61, v232, v54
	s_delay_alu instid0(VALU_DEP_3) | instskip(SKIP_2) | instid1(VALU_DEP_3)
	v_add3_u32 v16, v16, v62, v63
	v_mul_i32_i24_e32 v62, v231, v80
	v_mul_i32_i24_e32 v63, v230, v81
	v_add3_u32 v16, v16, v65, v67
	v_mul_i32_i24_e32 v65, v229, v82
	v_mul_i32_i24_e32 v67, v236, v56
	s_delay_alu instid0(VALU_DEP_3) | instskip(SKIP_2) | instid1(VALU_DEP_3)
	v_add3_u32 v16, v16, v68, v70
	v_mul_i32_i24_e32 v68, v235, v83
	v_mul_i32_i24_e32 v70, v234, v85
	v_mul_lo_u32 v57, v16, v64
	v_mul_i32_i24_e32 v16, v58, v46
	s_delay_alu instid0(VALU_DEP_1) | instskip(NEXT) | instid1(VALU_DEP_1)
	v_mad_i32_i24 v16, v255, v49, v16
	v_add3_u32 v16, v16, v47, v48
	v_mul_i32_i24_e32 v47, v237, v52
	v_mul_i32_i24_e32 v48, v228, v75
	s_delay_alu instid0(VALU_DEP_1) | instskip(SKIP_1) | instid1(VALU_DEP_2)
	v_add3_u32 v16, v16, v47, v48
	v_perm_b32 v48, v0, v0, 0xc0c0302
	v_add3_u32 v16, v16, v53, v59
	s_delay_alu instid0(VALU_DEP_1) | instskip(NEXT) | instid1(VALU_DEP_1)
	v_add3_u32 v16, v16, v61, v62
	v_add3_u32 v16, v16, v63, v65
	s_delay_alu instid0(VALU_DEP_1) | instskip(NEXT) | instid1(VALU_DEP_1)
	v_add3_u32 v16, v16, v67, v68
	v_add3_u32 v16, v16, v70, v71
	s_delay_alu instid0(VALU_DEP_1) | instskip(SKIP_1) | instid1(VALU_DEP_2)
	v_mad_co_u64_u32 v[61:62], null, v16, v238, v[57:58]
	v_mul_f32_e32 v16, v159, v8
	v_cvt_f32_i32_e32 v47, v61
	s_delay_alu instid0(VALU_DEP_1) | instskip(SKIP_2) | instid1(VALU_DEP_2)
	v_fmac_f32_e32 v41, v16, v47
	v_mul_i32_i24_e32 v16, v27, v160
	v_perm_b32 v47, v4, v4, 0xc0c0302
	v_mad_i32_i24 v16, v28, v161, v16
	s_delay_alu instid0(VALU_DEP_1) | instskip(SKIP_1) | instid1(VALU_DEP_2)
	v_dot4_i32_iu8 v4, v47, v216, v16 neg_lo:[1,1,0]
	v_mul_i32_i24_e32 v16, v46, v222
	v_mad_i32_i24 v4, v30, v217, v4
	s_delay_alu instid0(VALU_DEP_2) | instskip(NEXT) | instid1(VALU_DEP_2)
	v_mad_i32_i24 v16, v49, v223, v16
	v_dot4_i32_iu8 v4, v5, v218, v4 neg_lo:[1,1,0]
	s_delay_alu instid0(VALU_DEP_2) | instskip(SKIP_1) | instid1(VALU_DEP_3)
	v_dot4_i32_iu8 v0, v48, v164, v16 neg_lo:[1,1,0]
	v_perm_b32 v16, v1, v1, 0xc030201
	v_mad_i32_i24 v4, v32, v215, v4
	s_delay_alu instid0(VALU_DEP_3) | instskip(NEXT) | instid1(VALU_DEP_2)
	v_mad_i32_i24 v0, v52, v165, v0
	v_dot4_i32_iu8 v4, v6, v219, v4 neg_lo:[1,1,0]
	s_delay_alu instid0(VALU_DEP_2) | instskip(NEXT) | instid1(VALU_DEP_2)
	v_dot4_i32_iu8 v0, v16, v166, v0 neg_lo:[1,1,0]
	v_mad_i32_i24 v4, v35, v213, v4
	s_delay_alu instid0(VALU_DEP_2) | instskip(NEXT) | instid1(VALU_DEP_2)
	v_mad_i32_i24 v0, v54, v163, v0
	v_dot4_i32_iu8 v4, v7, v220, v4 neg_lo:[1,1,0]
	s_delay_alu instid0(VALU_DEP_2) | instskip(NEXT) | instid1(VALU_DEP_2)
	v_dot4_i32_iu8 v0, v2, v167, v0 neg_lo:[1,1,0]
	v_mul_lo_u32 v4, v4, v221
	s_delay_alu instid0(VALU_DEP_2) | instskip(NEXT) | instid1(VALU_DEP_1)
	v_mad_i32_i24 v0, v56, v162, v0
	v_dot4_i32_iu8 v0, v3, v168, v0 neg_lo:[1,1,0]
	s_delay_alu instid0(VALU_DEP_1) | instskip(SKIP_1) | instid1(VALU_DEP_2)
	v_mad_co_u64_u32 v[0:1], null, v0, v169, v[4:5]
	v_mul_f32_e32 v1, v156, v8
	v_cvt_f32_i32_e32 v0, v0
	s_delay_alu instid0(VALU_DEP_1) | instskip(SKIP_2) | instid1(VALU_DEP_2)
	v_fmac_f32_e32 v40, v1, v0
	v_mul_i32_i24_e32 v0, v27, v203
	v_mul_i32_i24_e32 v1, v46, v158
	v_mad_i32_i24 v0, v28, v204, v0
	s_delay_alu instid0(VALU_DEP_2) | instskip(NEXT) | instid1(VALU_DEP_2)
	v_mad_i32_i24 v1, v49, v157, v1
	v_dot4_i32_iu8 v0, v47, v206, v0 neg_lo:[1,1,0]
	s_delay_alu instid0(VALU_DEP_2) | instskip(NEXT) | instid1(VALU_DEP_2)
	v_dot4_i32_iu8 v1, v48, v155, v1 neg_lo:[1,1,0]
	v_mad_i32_i24 v0, v30, v208, v0
	s_delay_alu instid0(VALU_DEP_2) | instskip(NEXT) | instid1(VALU_DEP_2)
	v_mad_i32_i24 v1, v52, v154, v1
	v_dot4_i32_iu8 v0, v5, v210, v0 neg_lo:[1,1,0]
	s_delay_alu instid0(VALU_DEP_2) | instskip(NEXT) | instid1(VALU_DEP_2)
	v_dot4_i32_iu8 v1, v16, v153, v1 neg_lo:[1,1,0]
	;; [unrolled: 6-line block ×4, first 2 shown]
	v_mul_lo_u32 v0, v0, v214
	s_delay_alu instid0(VALU_DEP_1) | instskip(SKIP_1) | instid1(VALU_DEP_2)
	v_mad_co_u64_u32 v[0:1], null, v1, v148, v[0:1]
	v_mul_f32_e32 v1, v147, v8
	v_cvt_f32_i32_e32 v0, v0
	s_delay_alu instid0(VALU_DEP_1) | instskip(SKIP_1) | instid1(VALU_DEP_1)
	v_fmac_f32_e32 v39, v1, v0
	v_or_b32_e32 v0, s18, v105
	v_lshlrev_b32_e32 v1, 2, v0
	v_lshrrev_b32_e32 v0, 1, v0
	ds_load_b32 v8, v0 offset:38816
	ds_load_b128 v[4:7], v1 offset:25344
	ds_load_b128 v[0:3], v1 offset:25360
	s_wait_dscnt 0x1
	v_bfe_i32 v27, v4, 0, 8
	v_bfe_i32 v28, v4, 8, 8
	;; [unrolled: 1-line block ×3, first 2 shown]
	v_ashrrev_i32_e32 v47, 24, v4
	v_bfe_i32 v30, v5, 0, 8
	v_mul_i32_i24_e32 v57, v170, v27
	v_bfe_i32 v48, v5, 8, 8
	v_mul_i32_i24_e32 v61, v171, v16
	v_mul_i32_i24_e32 v62, v172, v47
	v_bfe_i32 v53, v5, 16, 8
	v_mad_i32_i24 v57, v173, v28, v57
	v_ashrrev_i32_e32 v59, 24, v5
	s_wait_dscnt 0x0
	v_bfe_i32 v46, v0, 0, 8
	v_bfe_i32 v49, v0, 8, 8
	;; [unrolled: 1-line block ×3, first 2 shown]
	v_add3_u32 v57, v57, v61, v62
	v_mul_i32_i24_e32 v61, v177, v30
	v_mul_i32_i24_e32 v62, v176, v48
	v_ashrrev_i32_e32 v73, 24, v0
	v_mul_i32_i24_e32 v87, v175, v53
	v_mul_i32_i24_e32 v88, v174, v59
	v_bfe_i32 v32, v6, 0, 8
	v_add3_u32 v57, v57, v61, v62
	v_mul_i32_i24_e32 v61, v186, v46
	v_bfe_i32 v63, v6, 8, 8
	v_bfe_i32 v52, v1, 0, 8
	;; [unrolled: 1-line block ×3, first 2 shown]
	v_add3_u32 v57, v57, v87, v88
	v_mul_i32_i24_e32 v62, v187, v72
	v_mul_i32_i24_e32 v87, v188, v73
	v_mad_i32_i24 v61, v189, v49, v61
	v_bfe_i32 v65, v6, 16, 8
	v_ashrrev_i32_e32 v67, 24, v6
	v_bfe_i32 v76, v1, 16, 8
	v_ashrrev_i32_e32 v79, 24, v1
	v_mul_i32_i24_e32 v89, v181, v32
	v_mul_i32_i24_e32 v117, v180, v63
	v_add3_u32 v61, v61, v62, v87
	v_mul_i32_i24_e32 v62, v193, v52
	v_mul_i32_i24_e32 v87, v192, v75
	v_bfe_i32 v35, v7, 0, 8
	v_bfe_i32 v68, v7, 8, 8
	;; [unrolled: 1-line block ×4, first 2 shown]
	v_mul_i32_i24_e32 v118, v179, v65
	v_mul_i32_i24_e32 v119, v178, v67
	v_add3_u32 v57, v57, v89, v117
	v_mul_i32_i24_e32 v88, v191, v76
	v_mul_i32_i24_e32 v89, v190, v79
	v_add3_u32 v61, v61, v62, v87
	v_bfe_i32 v70, v7, 16, 8
	v_ashrrev_i32_e32 v71, 24, v7
	v_bfe_i32 v81, v2, 16, 8
	v_ashrrev_i32_e32 v82, 24, v2
	v_mul_i32_i24_e32 v120, v185, v35
	v_mul_i32_i24_e32 v121, v184, v68
	v_add3_u32 v57, v57, v118, v119
	v_mul_i32_i24_e32 v117, v197, v54
	v_mul_i32_i24_e32 v118, v196, v80
	v_add3_u32 v61, v61, v88, v89
	v_bfe_i32 v56, v3, 0, 8
	v_bfe_i32 v83, v3, 8, 8
	v_mul_i32_i24_e32 v122, v183, v70
	v_mul_i32_i24_e32 v123, v182, v71
	v_add3_u32 v57, v57, v120, v121
	v_mul_i32_i24_e32 v119, v195, v81
	v_mul_i32_i24_e32 v120, v194, v82
	v_add3_u32 v61, v61, v117, v118
	v_bfe_i32 v85, v3, 16, 8
	v_ashrrev_i32_e32 v86, 24, v3
	v_add3_u32 v57, v57, v122, v123
	v_mul_i32_i24_e32 v121, v201, v56
	v_mul_i32_i24_e32 v122, v200, v83
	v_add3_u32 v61, v61, v119, v120
	v_mul_i32_i24_e32 v123, v199, v85
	v_mul_i32_i24_e32 v124, v198, v86
	v_mul_lo_u32 v57, v57, v209
	v_mul_i32_i24_e32 v16, v241, v16
	v_add3_u32 v61, v61, v121, v122
	v_mul_i32_i24_e32 v47, v240, v47
	v_mul_i32_i24_e32 v48, v245, v48
	;; [unrolled: 1-line block ×3, first 2 shown]
	v_perm_b32 v5, v5, v5, 0xc030201
	v_add3_u32 v61, v61, v123, v124
	v_perm_b32 v6, v6, v6, 0xc030201
	v_perm_b32 v2, v2, v2, 0xc030201
	;; [unrolled: 1-line block ×4, first 2 shown]
	v_mad_co_u64_u32 v[61:62], null, v61, v202, v[57:58]
	v_mul_f32_e32 v57, v11, v8
	v_mul_i32_i24_e32 v62, v248, v65
	v_mul_i32_i24_e32 v65, v254, v35
	s_delay_alu instid0(VALU_DEP_4) | instskip(NEXT) | instid1(VALU_DEP_1)
	v_cvt_f32_i32_e32 v61, v61
	v_fmac_f32_e32 v38, v57, v61
	v_mul_i32_i24_e32 v57, v242, v27
	v_mul_i32_i24_e32 v61, v249, v63
	v_mul_i32_i24_e32 v63, v247, v67
	v_mul_i32_i24_e32 v67, v253, v68
	v_mul_i32_i24_e32 v68, v252, v70
	v_mad_i32_i24 v57, v239, v28, v57
	v_mul_i32_i24_e32 v70, v251, v71
	v_mul_i32_i24_e32 v71, v233, v86
	s_delay_alu instid0(VALU_DEP_3) | instskip(SKIP_3) | instid1(VALU_DEP_3)
	v_add3_u32 v16, v57, v16, v47
	v_mul_i32_i24_e32 v47, v246, v30
	v_mul_i32_i24_e32 v57, v243, v59
	;; [unrolled: 1-line block ×3, first 2 shown]
	v_add3_u32 v16, v16, v47, v48
	v_mul_i32_i24_e32 v47, v51, v72
	v_mul_i32_i24_e32 v48, v37, v73
	s_delay_alu instid0(VALU_DEP_3) | instskip(SKIP_1) | instid1(VALU_DEP_2)
	v_add3_u32 v16, v16, v53, v57
	v_mul_i32_i24_e32 v53, v227, v76
	v_add3_u32 v16, v16, v59, v61
	v_mul_i32_i24_e32 v59, v226, v79
	v_mul_i32_i24_e32 v61, v232, v54
	s_delay_alu instid0(VALU_DEP_3) | instskip(SKIP_2) | instid1(VALU_DEP_3)
	v_add3_u32 v16, v16, v62, v63
	v_mul_i32_i24_e32 v62, v231, v80
	v_mul_i32_i24_e32 v63, v230, v81
	v_add3_u32 v16, v16, v65, v67
	v_mul_i32_i24_e32 v65, v229, v82
	v_mul_i32_i24_e32 v67, v236, v56
	s_delay_alu instid0(VALU_DEP_3) | instskip(SKIP_2) | instid1(VALU_DEP_3)
	v_add3_u32 v16, v16, v68, v70
	v_mul_i32_i24_e32 v68, v235, v83
	v_mul_i32_i24_e32 v70, v234, v85
	v_mul_lo_u32 v57, v16, v64
	v_mul_i32_i24_e32 v16, v58, v46
	s_delay_alu instid0(VALU_DEP_1) | instskip(NEXT) | instid1(VALU_DEP_1)
	v_mad_i32_i24 v16, v255, v49, v16
	v_add3_u32 v16, v16, v47, v48
	v_mul_i32_i24_e32 v47, v237, v52
	v_mul_i32_i24_e32 v48, v228, v75
	s_delay_alu instid0(VALU_DEP_1) | instskip(SKIP_1) | instid1(VALU_DEP_2)
	v_add3_u32 v16, v16, v47, v48
	v_perm_b32 v48, v0, v0, 0xc0c0302
	v_add3_u32 v16, v16, v53, v59
	s_delay_alu instid0(VALU_DEP_1) | instskip(NEXT) | instid1(VALU_DEP_1)
	v_add3_u32 v16, v16, v61, v62
	v_add3_u32 v16, v16, v63, v65
	s_delay_alu instid0(VALU_DEP_1) | instskip(NEXT) | instid1(VALU_DEP_1)
	v_add3_u32 v16, v16, v67, v68
	v_add3_u32 v16, v16, v70, v71
	s_delay_alu instid0(VALU_DEP_1) | instskip(SKIP_1) | instid1(VALU_DEP_2)
	v_mad_co_u64_u32 v[61:62], null, v16, v238, v[57:58]
	v_mul_f32_e32 v16, v159, v8
	v_cvt_f32_i32_e32 v47, v61
	s_delay_alu instid0(VALU_DEP_1) | instskip(SKIP_2) | instid1(VALU_DEP_2)
	v_fmac_f32_e32 v36, v16, v47
	v_mul_i32_i24_e32 v16, v27, v160
	v_perm_b32 v47, v4, v4, 0xc0c0302
	v_mad_i32_i24 v16, v28, v161, v16
	s_delay_alu instid0(VALU_DEP_1) | instskip(SKIP_1) | instid1(VALU_DEP_2)
	v_dot4_i32_iu8 v4, v47, v216, v16 neg_lo:[1,1,0]
	v_mul_i32_i24_e32 v16, v46, v222
	v_mad_i32_i24 v4, v30, v217, v4
	s_delay_alu instid0(VALU_DEP_2) | instskip(NEXT) | instid1(VALU_DEP_2)
	v_mad_i32_i24 v16, v49, v223, v16
	v_dot4_i32_iu8 v4, v5, v218, v4 neg_lo:[1,1,0]
	s_delay_alu instid0(VALU_DEP_2) | instskip(SKIP_1) | instid1(VALU_DEP_3)
	v_dot4_i32_iu8 v0, v48, v164, v16 neg_lo:[1,1,0]
	v_perm_b32 v16, v1, v1, 0xc030201
	v_mad_i32_i24 v4, v32, v215, v4
	s_delay_alu instid0(VALU_DEP_3) | instskip(NEXT) | instid1(VALU_DEP_2)
	v_mad_i32_i24 v0, v52, v165, v0
	v_dot4_i32_iu8 v4, v6, v219, v4 neg_lo:[1,1,0]
	s_delay_alu instid0(VALU_DEP_2) | instskip(NEXT) | instid1(VALU_DEP_2)
	v_dot4_i32_iu8 v0, v16, v166, v0 neg_lo:[1,1,0]
	v_mad_i32_i24 v4, v35, v213, v4
	s_delay_alu instid0(VALU_DEP_2) | instskip(NEXT) | instid1(VALU_DEP_2)
	v_mad_i32_i24 v0, v54, v163, v0
	v_dot4_i32_iu8 v4, v7, v220, v4 neg_lo:[1,1,0]
	s_delay_alu instid0(VALU_DEP_2) | instskip(NEXT) | instid1(VALU_DEP_2)
	v_dot4_i32_iu8 v0, v2, v167, v0 neg_lo:[1,1,0]
	v_mul_lo_u32 v4, v4, v221
	s_delay_alu instid0(VALU_DEP_2) | instskip(NEXT) | instid1(VALU_DEP_1)
	v_mad_i32_i24 v0, v56, v162, v0
	v_dot4_i32_iu8 v0, v3, v168, v0 neg_lo:[1,1,0]
	s_delay_alu instid0(VALU_DEP_1) | instskip(SKIP_1) | instid1(VALU_DEP_2)
	v_mad_co_u64_u32 v[0:1], null, v0, v169, v[4:5]
	v_mul_f32_e32 v1, v156, v8
	v_cvt_f32_i32_e32 v0, v0
	s_delay_alu instid0(VALU_DEP_1) | instskip(SKIP_2) | instid1(VALU_DEP_2)
	v_fmac_f32_e32 v34, v1, v0
	v_mul_i32_i24_e32 v0, v27, v203
	v_mul_i32_i24_e32 v1, v46, v158
	v_mad_i32_i24 v0, v28, v204, v0
	s_delay_alu instid0(VALU_DEP_2) | instskip(NEXT) | instid1(VALU_DEP_2)
	v_mad_i32_i24 v1, v49, v157, v1
	v_dot4_i32_iu8 v0, v47, v206, v0 neg_lo:[1,1,0]
	s_delay_alu instid0(VALU_DEP_2) | instskip(NEXT) | instid1(VALU_DEP_2)
	v_dot4_i32_iu8 v1, v48, v155, v1 neg_lo:[1,1,0]
	v_mad_i32_i24 v0, v30, v208, v0
	s_delay_alu instid0(VALU_DEP_2) | instskip(NEXT) | instid1(VALU_DEP_2)
	v_mad_i32_i24 v1, v52, v154, v1
	v_dot4_i32_iu8 v0, v5, v210, v0 neg_lo:[1,1,0]
	s_delay_alu instid0(VALU_DEP_2) | instskip(NEXT) | instid1(VALU_DEP_2)
	v_dot4_i32_iu8 v1, v16, v153, v1 neg_lo:[1,1,0]
	;; [unrolled: 6-line block ×4, first 2 shown]
	v_mul_lo_u32 v0, v0, v214
	s_delay_alu instid0(VALU_DEP_1) | instskip(SKIP_1) | instid1(VALU_DEP_2)
	v_mad_co_u64_u32 v[0:1], null, v1, v148, v[0:1]
	v_mul_f32_e32 v1, v147, v8
	v_cvt_f32_i32_e32 v0, v0
	s_delay_alu instid0(VALU_DEP_1) | instskip(SKIP_1) | instid1(VALU_DEP_1)
	v_fmac_f32_e32 v31, v1, v0
	v_or_b32_e32 v0, s18, v106
	v_lshlrev_b32_e32 v1, 2, v0
	v_lshrrev_b32_e32 v0, 1, v0
	ds_load_b32 v8, v0 offset:38816
	ds_load_b128 v[4:7], v1 offset:25344
	ds_load_b128 v[0:3], v1 offset:25360
	s_wait_dscnt 0x1
	v_bfe_i32 v27, v4, 0, 8
	v_bfe_i32 v28, v4, 8, 8
	v_bfe_i32 v16, v4, 16, 8
	v_ashrrev_i32_e32 v47, 24, v4
	v_bfe_i32 v30, v5, 0, 8
	v_mul_i32_i24_e32 v57, v170, v27
	v_bfe_i32 v48, v5, 8, 8
	v_mul_i32_i24_e32 v61, v171, v16
	v_mul_i32_i24_e32 v62, v172, v47
	v_bfe_i32 v53, v5, 16, 8
	v_mad_i32_i24 v57, v173, v28, v57
	v_ashrrev_i32_e32 v59, 24, v5
	s_wait_dscnt 0x0
	v_bfe_i32 v46, v0, 0, 8
	v_bfe_i32 v49, v0, 8, 8
	;; [unrolled: 1-line block ×3, first 2 shown]
	v_add3_u32 v57, v57, v61, v62
	v_mul_i32_i24_e32 v61, v177, v30
	v_mul_i32_i24_e32 v62, v176, v48
	v_ashrrev_i32_e32 v73, 24, v0
	v_mul_i32_i24_e32 v87, v175, v53
	v_mul_i32_i24_e32 v88, v174, v59
	v_bfe_i32 v32, v6, 0, 8
	v_add3_u32 v57, v57, v61, v62
	v_mul_i32_i24_e32 v61, v186, v46
	v_bfe_i32 v63, v6, 8, 8
	v_bfe_i32 v52, v1, 0, 8
	;; [unrolled: 1-line block ×3, first 2 shown]
	v_add3_u32 v57, v57, v87, v88
	v_mul_i32_i24_e32 v62, v187, v72
	v_mul_i32_i24_e32 v87, v188, v73
	v_mad_i32_i24 v61, v189, v49, v61
	v_bfe_i32 v65, v6, 16, 8
	v_ashrrev_i32_e32 v67, 24, v6
	v_bfe_i32 v76, v1, 16, 8
	v_ashrrev_i32_e32 v79, 24, v1
	v_mul_i32_i24_e32 v89, v181, v32
	v_mul_i32_i24_e32 v117, v180, v63
	v_add3_u32 v61, v61, v62, v87
	v_mul_i32_i24_e32 v62, v193, v52
	v_mul_i32_i24_e32 v87, v192, v75
	v_bfe_i32 v35, v7, 0, 8
	v_bfe_i32 v68, v7, 8, 8
	;; [unrolled: 1-line block ×4, first 2 shown]
	v_mul_i32_i24_e32 v118, v179, v65
	v_mul_i32_i24_e32 v119, v178, v67
	v_add3_u32 v57, v57, v89, v117
	v_mul_i32_i24_e32 v88, v191, v76
	v_mul_i32_i24_e32 v89, v190, v79
	v_add3_u32 v61, v61, v62, v87
	v_bfe_i32 v70, v7, 16, 8
	v_ashrrev_i32_e32 v71, 24, v7
	v_bfe_i32 v81, v2, 16, 8
	v_ashrrev_i32_e32 v82, 24, v2
	v_mul_i32_i24_e32 v120, v185, v35
	v_mul_i32_i24_e32 v121, v184, v68
	v_add3_u32 v57, v57, v118, v119
	v_mul_i32_i24_e32 v117, v197, v54
	v_mul_i32_i24_e32 v118, v196, v80
	v_add3_u32 v61, v61, v88, v89
	v_bfe_i32 v56, v3, 0, 8
	v_bfe_i32 v83, v3, 8, 8
	v_mul_i32_i24_e32 v122, v183, v70
	v_mul_i32_i24_e32 v123, v182, v71
	v_add3_u32 v57, v57, v120, v121
	v_mul_i32_i24_e32 v119, v195, v81
	v_mul_i32_i24_e32 v120, v194, v82
	v_add3_u32 v61, v61, v117, v118
	v_bfe_i32 v85, v3, 16, 8
	v_ashrrev_i32_e32 v86, 24, v3
	v_add3_u32 v57, v57, v122, v123
	v_mul_i32_i24_e32 v121, v201, v56
	v_mul_i32_i24_e32 v122, v200, v83
	v_add3_u32 v61, v61, v119, v120
	v_mul_i32_i24_e32 v123, v199, v85
	v_mul_i32_i24_e32 v124, v198, v86
	v_mul_lo_u32 v57, v57, v209
	v_mul_i32_i24_e32 v16, v241, v16
	v_add3_u32 v61, v61, v121, v122
	v_mul_i32_i24_e32 v47, v240, v47
	v_mul_i32_i24_e32 v48, v245, v48
	;; [unrolled: 1-line block ×3, first 2 shown]
	v_perm_b32 v5, v5, v5, 0xc030201
	v_add3_u32 v61, v61, v123, v124
	v_perm_b32 v6, v6, v6, 0xc030201
	v_perm_b32 v2, v2, v2, 0xc030201
	;; [unrolled: 1-line block ×4, first 2 shown]
	v_mad_co_u64_u32 v[61:62], null, v61, v202, v[57:58]
	v_mul_f32_e32 v57, v11, v8
	v_mul_i32_i24_e32 v62, v248, v65
	v_mul_i32_i24_e32 v65, v254, v35
	s_delay_alu instid0(VALU_DEP_4) | instskip(NEXT) | instid1(VALU_DEP_1)
	v_cvt_f32_i32_e32 v61, v61
	v_fmac_f32_e32 v29, v57, v61
	v_mul_i32_i24_e32 v57, v242, v27
	v_mul_i32_i24_e32 v61, v249, v63
	;; [unrolled: 1-line block ×5, first 2 shown]
	v_mad_i32_i24 v57, v239, v28, v57
	v_mul_i32_i24_e32 v70, v251, v71
	v_mul_i32_i24_e32 v71, v233, v86
	s_delay_alu instid0(VALU_DEP_3) | instskip(SKIP_3) | instid1(VALU_DEP_3)
	v_add3_u32 v16, v57, v16, v47
	v_mul_i32_i24_e32 v47, v246, v30
	v_mul_i32_i24_e32 v57, v243, v59
	;; [unrolled: 1-line block ×3, first 2 shown]
	v_add3_u32 v16, v16, v47, v48
	v_mul_i32_i24_e32 v47, v51, v72
	v_mul_i32_i24_e32 v48, v37, v73
	s_delay_alu instid0(VALU_DEP_3) | instskip(SKIP_1) | instid1(VALU_DEP_2)
	v_add3_u32 v16, v16, v53, v57
	v_mul_i32_i24_e32 v53, v227, v76
	v_add3_u32 v16, v16, v59, v61
	v_mul_i32_i24_e32 v59, v226, v79
	v_mul_i32_i24_e32 v61, v232, v54
	s_delay_alu instid0(VALU_DEP_3) | instskip(SKIP_2) | instid1(VALU_DEP_3)
	v_add3_u32 v16, v16, v62, v63
	v_mul_i32_i24_e32 v62, v231, v80
	v_mul_i32_i24_e32 v63, v230, v81
	v_add3_u32 v16, v16, v65, v67
	v_mul_i32_i24_e32 v65, v229, v82
	v_mul_i32_i24_e32 v67, v236, v56
	s_delay_alu instid0(VALU_DEP_3) | instskip(SKIP_2) | instid1(VALU_DEP_3)
	v_add3_u32 v16, v16, v68, v70
	v_mul_i32_i24_e32 v68, v235, v83
	v_mul_i32_i24_e32 v70, v234, v85
	v_mul_lo_u32 v57, v16, v64
	v_mul_i32_i24_e32 v16, v58, v46
	s_delay_alu instid0(VALU_DEP_1) | instskip(NEXT) | instid1(VALU_DEP_1)
	v_mad_i32_i24 v16, v255, v49, v16
	v_add3_u32 v16, v16, v47, v48
	v_mul_i32_i24_e32 v47, v237, v52
	v_mul_i32_i24_e32 v48, v228, v75
	s_delay_alu instid0(VALU_DEP_1) | instskip(SKIP_1) | instid1(VALU_DEP_2)
	v_add3_u32 v16, v16, v47, v48
	v_perm_b32 v48, v0, v0, 0xc0c0302
	v_add3_u32 v16, v16, v53, v59
	s_delay_alu instid0(VALU_DEP_1) | instskip(NEXT) | instid1(VALU_DEP_1)
	v_add3_u32 v16, v16, v61, v62
	v_add3_u32 v16, v16, v63, v65
	s_delay_alu instid0(VALU_DEP_1) | instskip(NEXT) | instid1(VALU_DEP_1)
	v_add3_u32 v16, v16, v67, v68
	v_add3_u32 v16, v16, v70, v71
	s_delay_alu instid0(VALU_DEP_1) | instskip(SKIP_1) | instid1(VALU_DEP_2)
	v_mad_co_u64_u32 v[61:62], null, v16, v238, v[57:58]
	v_mul_f32_e32 v16, v159, v8
	v_cvt_f32_i32_e32 v47, v61
	s_delay_alu instid0(VALU_DEP_1) | instskip(SKIP_2) | instid1(VALU_DEP_2)
	v_fmac_f32_e32 v26, v16, v47
	v_mul_i32_i24_e32 v16, v27, v160
	v_perm_b32 v47, v4, v4, 0xc0c0302
	v_mad_i32_i24 v16, v28, v161, v16
	s_delay_alu instid0(VALU_DEP_1) | instskip(SKIP_1) | instid1(VALU_DEP_2)
	v_dot4_i32_iu8 v4, v47, v216, v16 neg_lo:[1,1,0]
	v_mul_i32_i24_e32 v16, v46, v222
	v_mad_i32_i24 v4, v30, v217, v4
	s_delay_alu instid0(VALU_DEP_2) | instskip(NEXT) | instid1(VALU_DEP_2)
	v_mad_i32_i24 v16, v49, v223, v16
	v_dot4_i32_iu8 v4, v5, v218, v4 neg_lo:[1,1,0]
	s_delay_alu instid0(VALU_DEP_2) | instskip(SKIP_1) | instid1(VALU_DEP_3)
	v_dot4_i32_iu8 v0, v48, v164, v16 neg_lo:[1,1,0]
	v_perm_b32 v16, v1, v1, 0xc030201
	v_mad_i32_i24 v4, v32, v215, v4
	s_delay_alu instid0(VALU_DEP_3) | instskip(NEXT) | instid1(VALU_DEP_2)
	v_mad_i32_i24 v0, v52, v165, v0
	v_dot4_i32_iu8 v4, v6, v219, v4 neg_lo:[1,1,0]
	s_delay_alu instid0(VALU_DEP_2) | instskip(NEXT) | instid1(VALU_DEP_2)
	v_dot4_i32_iu8 v0, v16, v166, v0 neg_lo:[1,1,0]
	v_mad_i32_i24 v4, v35, v213, v4
	s_delay_alu instid0(VALU_DEP_2) | instskip(NEXT) | instid1(VALU_DEP_2)
	v_mad_i32_i24 v0, v54, v163, v0
	v_dot4_i32_iu8 v4, v7, v220, v4 neg_lo:[1,1,0]
	s_delay_alu instid0(VALU_DEP_2) | instskip(NEXT) | instid1(VALU_DEP_2)
	v_dot4_i32_iu8 v0, v2, v167, v0 neg_lo:[1,1,0]
	v_mul_lo_u32 v4, v4, v221
	s_delay_alu instid0(VALU_DEP_2) | instskip(NEXT) | instid1(VALU_DEP_1)
	v_mad_i32_i24 v0, v56, v162, v0
	v_dot4_i32_iu8 v0, v3, v168, v0 neg_lo:[1,1,0]
	s_delay_alu instid0(VALU_DEP_1) | instskip(SKIP_1) | instid1(VALU_DEP_2)
	v_mad_co_u64_u32 v[0:1], null, v0, v169, v[4:5]
	v_mul_f32_e32 v1, v156, v8
	v_cvt_f32_i32_e32 v0, v0
	s_delay_alu instid0(VALU_DEP_1) | instskip(SKIP_2) | instid1(VALU_DEP_2)
	v_fmac_f32_e32 v24, v1, v0
	v_mul_i32_i24_e32 v0, v27, v203
	v_mul_i32_i24_e32 v1, v46, v158
	v_mad_i32_i24 v0, v28, v204, v0
	s_delay_alu instid0(VALU_DEP_2) | instskip(NEXT) | instid1(VALU_DEP_2)
	v_mad_i32_i24 v1, v49, v157, v1
	v_dot4_i32_iu8 v0, v47, v206, v0 neg_lo:[1,1,0]
	s_delay_alu instid0(VALU_DEP_2) | instskip(NEXT) | instid1(VALU_DEP_2)
	v_dot4_i32_iu8 v1, v48, v155, v1 neg_lo:[1,1,0]
	v_mad_i32_i24 v0, v30, v208, v0
	s_delay_alu instid0(VALU_DEP_2) | instskip(NEXT) | instid1(VALU_DEP_2)
	v_mad_i32_i24 v1, v52, v154, v1
	v_dot4_i32_iu8 v0, v5, v210, v0 neg_lo:[1,1,0]
	s_delay_alu instid0(VALU_DEP_2) | instskip(NEXT) | instid1(VALU_DEP_2)
	v_dot4_i32_iu8 v1, v16, v153, v1 neg_lo:[1,1,0]
	;; [unrolled: 6-line block ×4, first 2 shown]
	v_mul_lo_u32 v0, v0, v214
	s_delay_alu instid0(VALU_DEP_1) | instskip(SKIP_1) | instid1(VALU_DEP_2)
	v_mad_co_u64_u32 v[0:1], null, v1, v148, v[0:1]
	v_mul_f32_e32 v1, v147, v8
	v_cvt_f32_i32_e32 v0, v0
	s_delay_alu instid0(VALU_DEP_1) | instskip(SKIP_1) | instid1(VALU_DEP_1)
	v_fmac_f32_e32 v23, v1, v0
	v_or_b32_e32 v0, s18, v107
	v_lshlrev_b32_e32 v1, 2, v0
	v_lshrrev_b32_e32 v0, 1, v0
	ds_load_b32 v4, v0 offset:38816
	ds_load_b128 v[117:120], v1 offset:25344
	ds_load_b128 v[0:3], v1 offset:25360
	s_wait_dscnt 0x1
	v_bfe_i32 v5, v117, 0, 8
	v_bfe_i32 v6, v117, 8, 8
	v_bfe_i32 v16, v117, 16, 8
	v_ashrrev_i32_e32 v47, 24, v117
	v_bfe_i32 v7, v118, 0, 8
	v_mul_i32_i24_e32 v49, v170, v5
	v_bfe_i32 v48, v118, 8, 8
	v_mul_i32_i24_e32 v56, v171, v16
	v_mul_i32_i24_e32 v57, v172, v47
	v_bfe_i32 v52, v118, 16, 8
	v_mad_i32_i24 v49, v173, v6, v49
	v_ashrrev_i32_e32 v53, 24, v118
	s_wait_dscnt 0x0
	v_bfe_i32 v28, v0, 0, 8
	v_bfe_i32 v30, v0, 8, 8
	;; [unrolled: 1-line block ×3, first 2 shown]
	v_add3_u32 v49, v49, v56, v57
	v_mul_i32_i24_e32 v56, v177, v7
	v_mul_i32_i24_e32 v57, v176, v48
	v_ashrrev_i32_e32 v68, 24, v0
	v_mul_i32_i24_e32 v82, v175, v52
	v_mul_i32_i24_e32 v83, v174, v53
	v_bfe_i32 v8, v119, 0, 8
	v_add3_u32 v49, v49, v56, v57
	v_mul_i32_i24_e32 v56, v186, v28
	v_bfe_i32 v54, v119, 8, 8
	v_bfe_i32 v32, v1, 0, 8
	;; [unrolled: 1-line block ×3, first 2 shown]
	v_add3_u32 v49, v49, v82, v83
	v_mul_i32_i24_e32 v57, v187, v67
	v_mul_i32_i24_e32 v82, v188, v68
	v_mad_i32_i24 v56, v189, v30, v56
	v_bfe_i32 v59, v119, 16, 8
	v_ashrrev_i32_e32 v61, 24, v119
	v_bfe_i32 v71, v1, 16, 8
	v_ashrrev_i32_e32 v72, 24, v1
	v_mul_i32_i24_e32 v85, v181, v8
	v_mul_i32_i24_e32 v86, v180, v54
	v_add3_u32 v56, v56, v57, v82
	v_mul_i32_i24_e32 v57, v193, v32
	v_mul_i32_i24_e32 v82, v192, v70
	v_bfe_i32 v27, v120, 0, 8
	v_bfe_i32 v62, v120, 8, 8
	;; [unrolled: 1-line block ×4, first 2 shown]
	v_mul_i32_i24_e32 v87, v179, v59
	v_mul_i32_i24_e32 v88, v178, v61
	v_add3_u32 v49, v49, v85, v86
	v_mul_i32_i24_e32 v83, v191, v71
	v_mul_i32_i24_e32 v85, v190, v72
	v_add3_u32 v56, v56, v57, v82
	v_bfe_i32 v63, v120, 16, 8
	v_ashrrev_i32_e32 v65, 24, v120
	v_bfe_i32 v75, v2, 16, 8
	v_ashrrev_i32_e32 v76, 24, v2
	v_mul_i32_i24_e32 v89, v185, v27
	v_mul_i32_i24_e32 v121, v184, v62
	v_add3_u32 v49, v49, v87, v88
	v_mul_i32_i24_e32 v86, v197, v35
	v_mul_i32_i24_e32 v87, v196, v73
	v_add3_u32 v56, v56, v83, v85
	v_bfe_i32 v46, v3, 0, 8
	v_bfe_i32 v79, v3, 8, 8
	v_mul_i32_i24_e32 v122, v183, v63
	v_mul_i32_i24_e32 v123, v182, v65
	v_add3_u32 v49, v49, v89, v121
	v_mul_i32_i24_e32 v88, v195, v75
	v_mul_i32_i24_e32 v89, v194, v76
	v_add3_u32 v56, v56, v86, v87
	v_bfe_i32 v80, v3, 16, 8
	v_ashrrev_i32_e32 v81, 24, v3
	v_add3_u32 v49, v49, v122, v123
	v_mul_i32_i24_e32 v121, v201, v46
	v_mul_i32_i24_e32 v122, v200, v79
	v_add3_u32 v56, v56, v88, v89
	v_mul_i32_i24_e32 v123, v199, v80
	v_mul_i32_i24_e32 v124, v198, v81
	v_mul_lo_u32 v49, v49, v209
	v_mul_i32_i24_e32 v16, v241, v16
	v_add3_u32 v56, v56, v121, v122
	v_mul_i32_i24_e32 v47, v240, v47
	v_mul_i32_i24_e32 v48, v245, v48
	;; [unrolled: 1-line block ×3, first 2 shown]
	v_perm_b32 v2, v2, v2, 0xc030201
	v_add3_u32 v56, v56, v123, v124
	v_perm_b32 v3, v3, v3, 0xc030201
	s_delay_alu instid0(VALU_DEP_2)
	v_mad_co_u64_u32 v[56:57], null, v56, v202, v[49:50]
	v_mul_f32_e32 v49, v11, v4
	v_mul_i32_i24_e32 v57, v247, v61
	v_mul_i32_i24_e32 v61, v253, v62
	;; [unrolled: 1-line block ×5, first 2 shown]
	v_cvt_f32_i32_e32 v56, v56
	s_delay_alu instid0(VALU_DEP_1) | instskip(SKIP_3) | instid1(VALU_DEP_3)
	v_fmac_f32_e32 v22, v49, v56
	v_mul_i32_i24_e32 v49, v242, v5
	v_mul_i32_i24_e32 v56, v248, v59
	;; [unrolled: 1-line block ×3, first 2 shown]
	v_mad_i32_i24 v49, v239, v6, v49
	s_delay_alu instid0(VALU_DEP_1) | instskip(SKIP_4) | instid1(VALU_DEP_4)
	v_add3_u32 v16, v49, v16, v47
	v_mul_i32_i24_e32 v47, v246, v7
	v_mul_i32_i24_e32 v49, v244, v52
	v_mul_i32_i24_e32 v52, v243, v53
	v_mul_i32_i24_e32 v53, v250, v8
	v_add3_u32 v16, v16, v47, v48
	v_mul_i32_i24_e32 v47, v51, v67
	v_mul_i32_i24_e32 v48, v37, v68
	s_delay_alu instid0(VALU_DEP_3) | instskip(SKIP_1) | instid1(VALU_DEP_2)
	v_add3_u32 v16, v16, v49, v52
	v_mul_i32_i24_e32 v52, v227, v71
	v_add3_u32 v16, v16, v53, v54
	v_mul_i32_i24_e32 v53, v226, v72
	v_mul_i32_i24_e32 v54, v232, v35
	s_delay_alu instid0(VALU_DEP_3) | instskip(SKIP_2) | instid1(VALU_DEP_3)
	v_add3_u32 v16, v16, v56, v57
	v_mul_i32_i24_e32 v56, v231, v73
	v_mul_i32_i24_e32 v57, v230, v75
	v_add3_u32 v16, v16, v59, v61
	v_mul_i32_i24_e32 v59, v229, v76
	v_mul_i32_i24_e32 v61, v236, v46
	s_delay_alu instid0(VALU_DEP_3) | instskip(SKIP_2) | instid1(VALU_DEP_3)
	v_add3_u32 v16, v16, v62, v63
	v_mul_i32_i24_e32 v62, v235, v79
	v_mul_i32_i24_e32 v63, v234, v80
	v_mul_lo_u32 v49, v16, v64
	v_mul_i32_i24_e32 v16, v58, v28
	s_delay_alu instid0(VALU_DEP_1) | instskip(NEXT) | instid1(VALU_DEP_1)
	v_mad_i32_i24 v16, v255, v30, v16
	v_add3_u32 v16, v16, v47, v48
	v_mul_i32_i24_e32 v47, v237, v32
	v_mul_i32_i24_e32 v48, v228, v70
	s_delay_alu instid0(VALU_DEP_1) | instskip(SKIP_1) | instid1(VALU_DEP_2)
	v_add3_u32 v16, v16, v47, v48
	v_perm_b32 v48, v118, v118, 0xc030201
	v_add3_u32 v16, v16, v52, v53
	v_perm_b32 v52, v119, v119, 0xc030201
	v_perm_b32 v53, v120, v120, 0xc030201
	s_delay_alu instid0(VALU_DEP_3) | instskip(SKIP_1) | instid1(VALU_DEP_2)
	v_add3_u32 v16, v16, v54, v56
	v_perm_b32 v54, v0, v0, 0xc0c0302
	v_add3_u32 v16, v16, v57, v59
	s_delay_alu instid0(VALU_DEP_1) | instskip(NEXT) | instid1(VALU_DEP_1)
	v_add3_u32 v16, v16, v61, v62
	v_add3_u32 v16, v16, v63, v65
	s_delay_alu instid0(VALU_DEP_1) | instskip(SKIP_1) | instid1(VALU_DEP_2)
	v_mad_co_u64_u32 v[56:57], null, v16, v238, v[49:50]
	v_mul_f32_e32 v16, v159, v4
	v_cvt_f32_i32_e32 v47, v56
	s_delay_alu instid0(VALU_DEP_1) | instskip(SKIP_2) | instid1(VALU_DEP_2)
	v_fmac_f32_e32 v21, v16, v47
	v_mul_i32_i24_e32 v16, v5, v160
	v_perm_b32 v47, v117, v117, 0xc0c0302
	v_mad_i32_i24 v16, v6, v161, v16
	s_delay_alu instid0(VALU_DEP_1) | instskip(NEXT) | instid1(VALU_DEP_1)
	v_dot4_i32_iu8 v16, v47, v216, v16 neg_lo:[1,1,0]
	v_mad_i32_i24 v16, v7, v217, v16
	s_delay_alu instid0(VALU_DEP_1) | instskip(NEXT) | instid1(VALU_DEP_1)
	v_dot4_i32_iu8 v16, v48, v218, v16 neg_lo:[1,1,0]
	;; [unrolled: 3-line block ×4, first 2 shown]
	v_mul_lo_u32 v49, v16, v221
	v_mul_i32_i24_e32 v16, v28, v222
	s_delay_alu instid0(VALU_DEP_1) | instskip(NEXT) | instid1(VALU_DEP_1)
	v_mad_i32_i24 v16, v30, v223, v16
	v_dot4_i32_iu8 v0, v54, v164, v16 neg_lo:[1,1,0]
	v_perm_b32 v16, v1, v1, 0xc030201
	s_delay_alu instid0(VALU_DEP_2) | instskip(NEXT) | instid1(VALU_DEP_1)
	v_mad_i32_i24 v0, v32, v165, v0
	v_dot4_i32_iu8 v0, v16, v166, v0 neg_lo:[1,1,0]
	s_delay_alu instid0(VALU_DEP_1) | instskip(NEXT) | instid1(VALU_DEP_1)
	v_mad_i32_i24 v0, v35, v163, v0
	v_dot4_i32_iu8 v0, v2, v167, v0 neg_lo:[1,1,0]
	s_delay_alu instid0(VALU_DEP_1) | instskip(NEXT) | instid1(VALU_DEP_1)
	v_mad_i32_i24 v0, v46, v162, v0
	v_dot4_i32_iu8 v0, v3, v168, v0 neg_lo:[1,1,0]
	s_delay_alu instid0(VALU_DEP_1) | instskip(SKIP_1) | instid1(VALU_DEP_2)
	v_mad_co_u64_u32 v[0:1], null, v0, v169, v[49:50]
	v_mul_f32_e32 v1, v156, v4
	v_cvt_f32_i32_e32 v0, v0
	s_delay_alu instid0(VALU_DEP_1) | instskip(SKIP_2) | instid1(VALU_DEP_2)
	v_fmac_f32_e32 v20, v1, v0
	v_mul_i32_i24_e32 v0, v5, v203
	v_mul_i32_i24_e32 v1, v28, v158
	v_mad_i32_i24 v0, v6, v204, v0
	s_delay_alu instid0(VALU_DEP_2) | instskip(NEXT) | instid1(VALU_DEP_2)
	v_mad_i32_i24 v1, v30, v157, v1
	v_dot4_i32_iu8 v0, v47, v206, v0 neg_lo:[1,1,0]
	s_delay_alu instid0(VALU_DEP_2) | instskip(NEXT) | instid1(VALU_DEP_2)
	v_dot4_i32_iu8 v1, v54, v155, v1 neg_lo:[1,1,0]
	v_mad_i32_i24 v0, v7, v208, v0
	s_delay_alu instid0(VALU_DEP_2) | instskip(NEXT) | instid1(VALU_DEP_2)
	v_mad_i32_i24 v1, v32, v154, v1
	v_dot4_i32_iu8 v0, v48, v210, v0 neg_lo:[1,1,0]
	s_delay_alu instid0(VALU_DEP_2) | instskip(NEXT) | instid1(VALU_DEP_2)
	v_dot4_i32_iu8 v1, v16, v153, v1 neg_lo:[1,1,0]
	;; [unrolled: 6-line block ×4, first 2 shown]
	v_mul_lo_u32 v0, v0, v214
	s_delay_alu instid0(VALU_DEP_1) | instskip(SKIP_1) | instid1(VALU_DEP_2)
	v_mad_co_u64_u32 v[0:1], null, v1, v148, v[0:1]
	v_mul_f32_e32 v1, v147, v4
	v_cvt_f32_i32_e32 v0, v0
	s_delay_alu instid0(VALU_DEP_1) | instskip(SKIP_1) | instid1(VALU_DEP_1)
	v_fmac_f32_e32 v18, v1, v0
	v_or_b32_e32 v0, s18, v108
	v_lshlrev_b32_e32 v1, 2, v0
	v_lshrrev_b32_e32 v0, 1, v0
	ds_load_b32 v224, v0 offset:38816
	ds_load_b128 v[4:7], v1 offset:25344
	ds_load_b128 v[0:3], v1 offset:25360
	s_wait_dscnt 0x2
	v_mul_f32_e32 v11, v11, v224
	s_wait_dscnt 0x1
	v_bfe_i32 v28, v4, 0, 8
	v_bfe_i32 v30, v4, 8, 8
	;; [unrolled: 1-line block ×3, first 2 shown]
	v_ashrrev_i32_e32 v47, 24, v4
	v_bfe_i32 v32, v5, 0, 8
	v_mul_i32_i24_e32 v79, v170, v28
	v_bfe_i32 v48, v5, 8, 8
	v_mul_i32_i24_e32 v82, v171, v16
	v_mul_i32_i24_e32 v83, v172, v47
	v_bfe_i32 v53, v5, 16, 8
	v_mad_i32_i24 v79, v173, v30, v79
	v_ashrrev_i32_e32 v63, 24, v5
	s_wait_dscnt 0x0
	v_bfe_i32 v27, v0, 0, 8
	v_bfe_i32 v8, v0, 8, 8
	;; [unrolled: 1-line block ×3, first 2 shown]
	v_add3_u32 v79, v79, v82, v83
	v_mul_i32_i24_e32 v82, v177, v32
	v_mul_i32_i24_e32 v83, v176, v48
	v_ashrrev_i32_e32 v81, 24, v0
	v_mul_i32_i24_e32 v85, v175, v53
	v_mul_i32_i24_e32 v86, v174, v63
	v_bfe_i32 v35, v6, 0, 8
	v_add3_u32 v79, v79, v82, v83
	v_mul_i32_i24_e32 v82, v186, v27
	v_bfe_i32 v68, v6, 8, 8
	v_bfe_i32 v67, v1, 0, 8
	;; [unrolled: 1-line block ×3, first 2 shown]
	v_add3_u32 v79, v79, v85, v86
	v_mul_i32_i24_e32 v83, v187, v80
	v_mul_i32_i24_e32 v85, v188, v81
	v_mad_i32_i24 v82, v189, v8, v82
	v_bfe_i32 v70, v6, 16, 8
	v_ashrrev_i32_e32 v71, 24, v6
	v_bfe_i32 v52, v1, 16, 8
	v_ashrrev_i32_e32 v54, 24, v1
	v_mul_i32_i24_e32 v87, v181, v35
	v_mul_i32_i24_e32 v88, v180, v68
	v_add3_u32 v82, v82, v83, v85
	v_mul_i32_i24_e32 v83, v193, v67
	v_mul_i32_i24_e32 v85, v192, v49
	v_bfe_i32 v46, v7, 0, 8
	v_bfe_i32 v72, v7, 8, 8
	v_bfe_i32 v65, v2, 0, 8
	v_bfe_i32 v56, v2, 8, 8
	v_mul_i32_i24_e32 v89, v179, v70
	v_mul_i32_i24_e32 v117, v178, v71
	v_add3_u32 v79, v79, v87, v88
	v_mul_i32_i24_e32 v86, v191, v52
	v_mul_i32_i24_e32 v87, v190, v54
	v_add3_u32 v82, v82, v83, v85
	v_bfe_i32 v73, v7, 16, 8
	v_ashrrev_i32_e32 v75, 24, v7
	v_bfe_i32 v57, v2, 16, 8
	v_ashrrev_i32_e32 v59, 24, v2
	v_mul_i32_i24_e32 v118, v185, v46
	v_mul_i32_i24_e32 v119, v184, v72
	v_add3_u32 v79, v79, v89, v117
	v_mul_i32_i24_e32 v88, v197, v65
	v_mul_i32_i24_e32 v89, v196, v56
	v_add3_u32 v82, v82, v86, v87
	v_bfe_i32 v225, v3, 0, 8
	v_bfe_i32 v61, v3, 8, 8
	v_mul_i32_i24_e32 v120, v183, v73
	v_mul_i32_i24_e32 v121, v182, v75
	v_add3_u32 v79, v79, v118, v119
	v_mul_i32_i24_e32 v117, v195, v57
	v_mul_i32_i24_e32 v118, v194, v59
	v_add3_u32 v82, v82, v88, v89
	v_bfe_i32 v62, v3, 16, 8
	v_ashrrev_i32_e32 v76, 24, v3
	v_add3_u32 v79, v79, v120, v121
	v_mul_i32_i24_e32 v119, v201, v225
	v_mul_i32_i24_e32 v120, v200, v61
	v_add3_u32 v82, v82, v117, v118
	v_mul_i32_i24_e32 v121, v199, v62
	v_mul_i32_i24_e32 v122, v198, v76
	v_mul_lo_u32 v79, v79, v209
	v_mul_i32_i24_e32 v16, v241, v16
	v_add3_u32 v82, v82, v119, v120
	v_mul_i32_i24_e32 v47, v240, v47
	v_mul_i32_i24_e32 v37, v37, v81
	;; [unrolled: 1-line block ×4, first 2 shown]
	v_add3_u32 v82, v82, v121, v122
	v_mul_i32_i24_e32 v71, v247, v71
	v_mul_i32_i24_e32 v72, v253, v72
	;; [unrolled: 1-line block ×4, first 2 shown]
	v_mad_co_u64_u32 v[117:118], null, v82, v202, v[79:80]
	v_perm_b32 v2, v2, v2, 0xc030201
	s_delay_alu instid0(VALU_DEP_2) | instskip(NEXT) | instid1(VALU_DEP_1)
	v_cvt_f32_i32_e32 v79, v117
	v_fmac_f32_e32 v15, v11, v79
	v_mul_i32_i24_e32 v11, v242, v28
	v_mul_i32_i24_e32 v79, v254, v46
	s_delay_alu instid0(VALU_DEP_2) | instskip(NEXT) | instid1(VALU_DEP_1)
	v_mad_i32_i24 v11, v239, v30, v11
	v_add3_u32 v11, v11, v16, v47
	v_mul_i32_i24_e32 v16, v246, v32
	v_mul_i32_i24_e32 v47, v245, v48
	;; [unrolled: 1-line block ×5, first 2 shown]
	s_delay_alu instid0(VALU_DEP_4)
	v_add3_u32 v11, v11, v16, v47
	v_mul_i32_i24_e32 v16, v58, v27
	v_mul_i32_i24_e32 v47, v51, v80
	v_mul_i32_i24_e32 v51, v232, v65
	v_mul_i32_i24_e32 v58, v234, v62
	v_add3_u32 v11, v11, v48, v53
	v_mad_i32_i24 v16, v255, v8, v16
	v_mul_i32_i24_e32 v48, v227, v52
	v_mul_i32_i24_e32 v52, v231, v56
	;; [unrolled: 1-line block ×3, first 2 shown]
	v_add3_u32 v11, v11, v63, v68
	v_add3_u32 v37, v16, v47, v37
	v_mul_i32_i24_e32 v16, v237, v67
	v_mul_i32_i24_e32 v47, v228, v49
	;; [unrolled: 1-line block ×3, first 2 shown]
	v_add3_u32 v11, v11, v70, v71
	v_mul_i32_i24_e32 v54, v229, v59
	v_mul_i32_i24_e32 v56, v236, v225
	v_add3_u32 v16, v37, v16, v47
	v_mul_i32_i24_e32 v57, v235, v61
	v_add3_u32 v11, v11, v79, v72
	v_mul_i32_i24_e32 v59, v233, v76
	v_perm_b32 v37, v6, v6, 0xc030201
	v_add3_u32 v16, v16, v48, v49
	v_perm_b32 v47, v7, v7, 0xc030201
	v_add3_u32 v11, v11, v73, v75
	s_delay_alu instid0(VALU_DEP_3) | instskip(NEXT) | instid1(VALU_DEP_2)
	v_add3_u32 v16, v16, v51, v52
	v_mul_lo_u32 v11, v11, v64
	s_delay_alu instid0(VALU_DEP_2) | instskip(NEXT) | instid1(VALU_DEP_1)
	v_add3_u32 v16, v16, v53, v54
	v_add3_u32 v16, v16, v56, v57
	s_delay_alu instid0(VALU_DEP_1) | instskip(NEXT) | instid1(VALU_DEP_1)
	v_add3_u32 v16, v16, v58, v59
	v_mad_co_u64_u32 v[51:52], null, v16, v238, v[11:12]
	v_mul_f32_e32 v11, v159, v224
	s_delay_alu instid0(VALU_DEP_2) | instskip(NEXT) | instid1(VALU_DEP_1)
	v_cvt_f32_i32_e32 v16, v51
	v_fmac_f32_e32 v14, v11, v16
	v_mul_i32_i24_e32 v11, v28, v160
	v_perm_b32 v16, v4, v4, 0xc0c0302
	s_delay_alu instid0(VALU_DEP_2) | instskip(NEXT) | instid1(VALU_DEP_1)
	v_mad_i32_i24 v11, v30, v161, v11
	v_dot4_i32_iu8 v4, v16, v216, v11 neg_lo:[1,1,0]
	v_perm_b32 v11, v5, v5, 0xc030201
	v_perm_b32 v5, v0, v0, 0xc0c0302
	s_delay_alu instid0(VALU_DEP_3) | instskip(NEXT) | instid1(VALU_DEP_1)
	v_mad_i32_i24 v4, v32, v217, v4
	v_dot4_i32_iu8 v4, v11, v218, v4 neg_lo:[1,1,0]
	s_delay_alu instid0(VALU_DEP_1) | instskip(NEXT) | instid1(VALU_DEP_1)
	v_mad_i32_i24 v4, v35, v215, v4
	v_dot4_i32_iu8 v4, v37, v219, v4 neg_lo:[1,1,0]
	s_delay_alu instid0(VALU_DEP_1) | instskip(NEXT) | instid1(VALU_DEP_1)
	v_mad_i32_i24 v4, v46, v213, v4
	v_dot4_i32_iu8 v4, v47, v220, v4 neg_lo:[1,1,0]
	s_delay_alu instid0(VALU_DEP_1) | instskip(SKIP_1) | instid1(VALU_DEP_1)
	v_mul_lo_u32 v6, v4, v221
	v_mul_i32_i24_e32 v4, v27, v222
	v_mad_i32_i24 v4, v8, v223, v4
	s_delay_alu instid0(VALU_DEP_1) | instskip(SKIP_2) | instid1(VALU_DEP_3)
	v_dot4_i32_iu8 v0, v5, v164, v4 neg_lo:[1,1,0]
	v_perm_b32 v4, v1, v1, 0xc030201
	v_perm_b32 v1, v3, v3, 0xc030201
	v_mad_i32_i24 v0, v67, v165, v0
	s_delay_alu instid0(VALU_DEP_1) | instskip(NEXT) | instid1(VALU_DEP_1)
	v_dot4_i32_iu8 v0, v4, v166, v0 neg_lo:[1,1,0]
	v_mad_i32_i24 v0, v65, v163, v0
	s_delay_alu instid0(VALU_DEP_1) | instskip(NEXT) | instid1(VALU_DEP_1)
	v_dot4_i32_iu8 v0, v2, v167, v0 neg_lo:[1,1,0]
	;; [unrolled: 3-line block ×3, first 2 shown]
	v_mad_co_u64_u32 v[6:7], null, v0, v169, v[6:7]
	v_mul_f32_e32 v0, v156, v224
	s_delay_alu instid0(VALU_DEP_2) | instskip(NEXT) | instid1(VALU_DEP_1)
	v_cvt_f32_i32_e32 v3, v6
	v_fmac_f32_e32 v13, v0, v3
	v_mul_i32_i24_e32 v0, v28, v203
	v_mul_i32_i24_e32 v3, v27, v158
	s_delay_alu instid0(VALU_DEP_2) | instskip(NEXT) | instid1(VALU_DEP_2)
	v_mad_i32_i24 v0, v30, v204, v0
	v_mad_i32_i24 v3, v8, v157, v3
	s_delay_alu instid0(VALU_DEP_2) | instskip(NEXT) | instid1(VALU_DEP_2)
	v_dot4_i32_iu8 v0, v16, v206, v0 neg_lo:[1,1,0]
	v_dot4_i32_iu8 v3, v5, v155, v3 neg_lo:[1,1,0]
	s_delay_alu instid0(VALU_DEP_2) | instskip(NEXT) | instid1(VALU_DEP_2)
	v_mad_i32_i24 v0, v32, v208, v0
	v_mad_i32_i24 v3, v67, v154, v3
	s_delay_alu instid0(VALU_DEP_2) | instskip(NEXT) | instid1(VALU_DEP_2)
	v_dot4_i32_iu8 v0, v11, v210, v0 neg_lo:[1,1,0]
	v_dot4_i32_iu8 v3, v4, v153, v3 neg_lo:[1,1,0]
	;; [unrolled: 6-line block ×4, first 2 shown]
	s_delay_alu instid0(VALU_DEP_2) | instskip(NEXT) | instid1(VALU_DEP_1)
	v_mul_lo_u32 v0, v0, v214
	v_mad_co_u64_u32 v[0:1], null, v1, v148, v[0:1]
	v_mul_f32_e32 v1, v147, v224
	s_delay_alu instid0(VALU_DEP_2) | instskip(NEXT) | instid1(VALU_DEP_1)
	v_cvt_f32_i32_e32 v0, v0
	v_fmac_f32_e32 v12, v1, v0
	s_cbranch_scc1 .LBB129_10
; %bb.11:                               ;   in Loop: Header=BB129_8 Depth=2
	v_lshl_add_u32 v0, s16, 5, v17
	v_lshl_add_u32 v11, s16, 2, v131
	s_wait_loadcnt 0x0
	s_barrier_signal -1
	s_barrier_wait -1
	v_lshrrev_b32_e32 v0, 3, v0
	v_mad_co_u64_u32 v[27:28], null, v11, 36, s[2:3]
	global_inv scope:SCOPE_SE
	v_dual_mov_b32 v132, v92 :: v_dual_mov_b32 v135, v95
	v_dual_mov_b32 v131, v91 :: v_dual_add_nc_u32 v8, s5, v0
	v_mov_b32_e32 v134, v94
	v_dual_mov_b32 v136, v96 :: v_dual_mov_b32 v133, v93
	s_delay_alu instid0(VALU_DEP_3)
	v_add_nc_u32_e32 v0, v8, v91
	v_add_nc_u32_e32 v32, v8, v130
	v_dual_mov_b32 v143, v130 :: v_dual_add_nc_u32 v2, v8, v92
	v_dual_mov_b32 v17, v129 :: v_dual_add_nc_u32 v4, v8, v93
	v_add_nc_u32_e32 v6, v8, v94
	v_add_nc_u32_e32 v16, v8, v95
	v_mad_co_i64_i32 v[51:52], null, v32, 36, v[9:10]
	v_mad_co_i64_i32 v[0:1], null, v0, 36, v[9:10]
	v_add_nc_u32_e32 v30, v8, v96
	v_mad_co_i64_i32 v[2:3], null, v2, 36, v[9:10]
	v_add_nc_u32_e32 v8, v8, v129
	v_mad_co_i64_i32 v[4:5], null, v4, 36, v[9:10]
	v_mad_co_i64_i32 v[6:7], null, v6, 36, v[9:10]
	;; [unrolled: 1-line block ×5, first 2 shown]
	s_clause 0x8
	global_load_b32 v8, v[27:28], off
	global_load_b32 v11, v[51:52], off offset:4
	global_load_b32 v0, v[0:1], off offset:4
	;; [unrolled: 1-line block ×8, first 2 shown]
	v_mov_b32_e32 v130, v90
	s_add_co_i32 s12, s12, 2
	s_wait_alu 0xfffe
	s_lshl_b32 s16, s12, 3
	s_wait_loadcnt 0x8
	v_cvt_f32_f16_e32 v7, v8
	scratch_load_b32 v8, off, off offset:28 ; 4-byte Folded Reload
	ds_store_b32 v90, v7
	s_wait_loadcnt 0x0
	ds_store_b32 v8, v11
	scratch_load_b32 v8, off, off           ; 4-byte Folded Reload
	s_wait_loadcnt 0x0
	ds_store_b32 v8, v0
	scratch_load_b32 v0, off, off offset:4  ; 4-byte Folded Reload
	s_wait_loadcnt 0x0
	ds_store_b32 v0, v1
	scratch_load_b32 v0, off, off offset:8  ; 4-byte Folded Reload
	s_wait_loadcnt 0x0
	ds_store_b32 v0, v2
	scratch_load_b32 v0, off, off offset:12 ; 4-byte Folded Reload
	s_wait_loadcnt 0x0
	ds_store_b32 v0, v3
	scratch_load_b32 v0, off, off offset:16 ; 4-byte Folded Reload
	;; [unrolled: 3-line block ×4, first 2 shown]
	s_wait_loadcnt 0x0
	ds_store_b32 v0, v6
	s_wait_dscnt 0x0
	s_barrier_signal -1
	s_barrier_wait -1
	global_inv scope:SCOPE_SE
.LBB129_12:                             ;   Parent Loop BB129_6 Depth=1
                                        ;     Parent Loop BB129_8 Depth=2
                                        ; =>    This Inner Loop Header: Depth=3
	s_lshl_b32 s17, s13, 2
	s_lshr_b32 s20, s13, 4
	s_wait_alu 0xfffe
	s_and_b32 s17, s17, 24
	s_lshl_b32 s22, s20, 5
	s_wait_alu 0xfffe
	v_or_b32_e32 v1, s17, v97
	s_addk_co_i32 s22, 0x4200
	s_and_b32 s21, s13, 0x3ffffff8
	s_wait_alu 0xfffe
	v_add3_u32 v11, s22, v144, v110
	v_lshl_add_u32 v147, s21, 2, v109
	v_lshlrev_b32_e32 v0, 2, v1
	v_lshrrev_b32_e32 v1, 1, v1
	s_bfe_u32 s18, s13, 0x30001
	s_and_b32 s19, s13, 6
	s_lshl_b32 s23, s20, 2
	ds_load_2addr_b32 v[3:4], v11 offset1:1
	ds_load_b32 v59, v1 offset:38816
	ds_load_2addr_b32 v[1:2], v147 offset1:1
	s_wait_alu 0xfffe
	s_add_co_i32 s21, s23, 0x9380
	s_and_b32 s20, s13, -2
	s_add_co_i32 s13, s13, 2
	s_wait_alu 0xfffe
	v_add_nc_u32_e32 v221, s20, v100
	s_cmp_lt_u32 s13, s16
	s_wait_dscnt 0x2
	v_ashrrev_i32_e32 v3, s18, v3
	v_ashrrev_i32_e32 v4, s18, v4
	s_wait_dscnt 0x0
	v_ashrrev_i32_e32 v1, s19, v1
	s_delay_alu instid0(VALU_DEP_3) | instskip(NEXT) | instid1(VALU_DEP_3)
	v_lshlrev_b32_e32 v3, 2, v3
	v_lshlrev_b32_e32 v4, 2, v4
	s_delay_alu instid0(VALU_DEP_3) | instskip(SKIP_1) | instid1(VALU_DEP_4)
	v_and_b32_e32 v5, 0x3030303, v1
	v_bfe_u32 v1, v1, 24, 2
	v_and_b32_e32 v3, 0x4040404, v3
	s_delay_alu instid0(VALU_DEP_4) | instskip(NEXT) | instid1(VALU_DEP_4)
	v_and_b32_e32 v4, 0x4040404, v4
	v_lshrrev_b32_e32 v6, 16, v5
	v_lshrrev_b16 v7, 8, v5
	s_delay_alu instid0(VALU_DEP_4) | instskip(SKIP_3) | instid1(VALU_DEP_4)
	v_lshrrev_b32_e32 v16, 24, v3
	v_lshrrev_b32_e32 v8, 16, v3
	v_lshrrev_b16 v27, 8, v3
	v_sub_nc_u16 v125, v5, v3
	v_sub_nc_u16 v123, v1, v16
	v_ashrrev_i32_e32 v1, s19, v2
	s_delay_alu instid0(VALU_DEP_4)
	v_sub_nc_u16 v122, v7, v27
	v_sub_nc_u16 v124, v6, v8
	v_lshrrev_b32_e32 v6, 24, v4
	v_lshrrev_b32_e32 v7, 16, v4
	v_bfe_u32 v2, v1, 24, 2
	v_and_b32_e32 v1, 0x3030303, v1
	v_lshrrev_b16 v8, 8, v4
	v_bfe_i32 v170, v125, 0, 8
	v_bfe_i32 v172, v123, 0, 16
	v_sub_nc_u16 v121, v2, v6
	v_lshrrev_b32_e32 v3, 16, v1
	v_lshrrev_b16 v5, 8, v1
	v_sub_nc_u16 v79, v1, v4
	ds_load_2addr_b32 v[1:2], v147 offset0:2 offset1:3
	v_bfe_i32 v174, v121, 0, 16
	v_sub_nc_u16 v120, v3, v7
	ds_load_2addr_b32 v[3:4], v11 offset0:2 offset1:3
	v_sub_nc_u16 v119, v5, v8
	v_bfe_i32 v177, v79, 0, 8
	v_bfe_i32 v173, v122, 0, 16
	;; [unrolled: 1-line block ×5, first 2 shown]
	s_wait_dscnt 0x1
	v_ashrrev_i32_e32 v1, s19, v1
	s_wait_dscnt 0x0
	v_ashrrev_i32_e32 v3, s18, v3
	v_ashrrev_i32_e32 v4, s18, v4
	s_delay_alu instid0(VALU_DEP_3) | instskip(SKIP_1) | instid1(VALU_DEP_4)
	v_bfe_u32 v5, v1, 24, 2
	v_and_b32_e32 v1, 0x3030303, v1
	v_lshlrev_b32_e32 v3, 2, v3
	s_delay_alu instid0(VALU_DEP_4) | instskip(NEXT) | instid1(VALU_DEP_3)
	v_lshlrev_b32_e32 v4, 2, v4
	v_lshrrev_b32_e32 v6, 16, v1
	v_lshrrev_b16 v7, 8, v1
	s_delay_alu instid0(VALU_DEP_4) | instskip(NEXT) | instid1(VALU_DEP_4)
	v_and_b32_e32 v3, 0x4040404, v3
	v_and_b32_e32 v4, 0x4040404, v4
	s_delay_alu instid0(VALU_DEP_2)
	v_sub_nc_u16 v37, v1, v3
	v_ashrrev_i32_e32 v1, s19, v2
	v_lshrrev_b32_e32 v16, 16, v3
	v_lshrrev_b16 v27, 8, v3
	v_lshrrev_b32_e32 v8, 24, v3
	v_bfe_i32 v181, v37, 0, 8
	v_bfe_u32 v2, v1, 24, 2
	v_and_b32_e32 v1, 0x3030303, v1
	v_sub_nc_u16 v51, v7, v27
	v_sub_nc_u16 v58, v6, v16
	v_lshrrev_b32_e32 v6, 24, v4
	v_lshrrev_b32_e32 v7, 16, v4
	;; [unrolled: 1-line block ×3, first 2 shown]
	v_sub_nc_u16 v118, v5, v8
	v_lshrrev_b16 v5, 8, v1
	v_lshrrev_b16 v8, 8, v4
	v_sub_nc_u16 v46, v1, v4
	v_sub_nc_u16 v57, v3, v7
	;; [unrolled: 1-line block ×3, first 2 shown]
	ds_load_2addr_b32 v[1:2], v147 offset0:4 offset1:5
	ds_load_2addr_b32 v[3:4], v11 offset0:4 offset1:5
	v_sub_nc_u16 v52, v5, v8
	v_bfe_i32 v178, v118, 0, 16
	v_bfe_i32 v180, v51, 0, 16
	;; [unrolled: 1-line block ×7, first 2 shown]
	s_wait_dscnt 0x1
	v_ashrrev_i32_e32 v1, s19, v1
	s_wait_dscnt 0x0
	v_ashrrev_i32_e32 v3, s18, v3
	v_ashrrev_i32_e32 v4, s18, v4
	s_delay_alu instid0(VALU_DEP_3) | instskip(NEXT) | instid1(VALU_DEP_3)
	v_and_b32_e32 v5, 0x3030303, v1
	v_lshlrev_b32_e32 v3, 2, v3
	v_bfe_u32 v1, v1, 24, 2
	s_delay_alu instid0(VALU_DEP_4) | instskip(NEXT) | instid1(VALU_DEP_4)
	v_lshlrev_b32_e32 v4, 2, v4
	v_lshrrev_b32_e32 v6, 16, v5
	s_delay_alu instid0(VALU_DEP_4) | instskip(SKIP_1) | instid1(VALU_DEP_4)
	v_and_b32_e32 v3, 0x4040404, v3
	v_lshrrev_b16 v7, 8, v5
	v_and_b32_e32 v4, 0x4040404, v4
	s_delay_alu instid0(VALU_DEP_3) | instskip(SKIP_3) | instid1(VALU_DEP_4)
	v_lshrrev_b32_e32 v27, 24, v3
	v_lshrrev_b32_e32 v16, 16, v3
	v_lshrrev_b16 v8, 8, v3
	v_sub_nc_u16 v32, v5, v3
	v_sub_nc_u16 v27, v1, v27
	v_ashrrev_i32_e32 v1, s19, v2
	s_delay_alu instid0(VALU_DEP_4)
	v_sub_nc_u16 v8, v7, v8
	v_sub_nc_u16 v28, v6, v16
	v_lshrrev_b32_e32 v6, 24, v4
	v_lshrrev_b32_e32 v7, 16, v4
	v_bfe_u32 v2, v1, 24, 2
	v_and_b32_e32 v1, 0x3030303, v1
	v_lshrrev_b16 v16, 8, v4
	v_bfe_i32 v186, v32, 0, 8
	v_bfe_i32 v187, v28, 0, 8
	v_sub_nc_u16 v61, v2, v6
	v_lshrrev_b32_e32 v3, 16, v1
	v_lshrrev_b16 v5, 8, v1
	v_sub_nc_u16 v35, v1, v4
	ds_load_2addr_b32 v[1:2], v147 offset0:6 offset1:7
	v_bfe_i32 v190, v61, 0, 16
	v_sub_nc_u16 v54, v3, v7
	ds_load_2addr_b32 v[3:4], v11 offset0:6 offset1:7
	v_sub_nc_u16 v49, v5, v16
	v_bfe_i32 v188, v27, 0, 16
	v_bfe_i32 v189, v8, 0, 16
	;; [unrolled: 1-line block ×5, first 2 shown]
	s_wait_dscnt 0x1
	v_ashrrev_i32_e32 v1, s19, v1
	s_wait_dscnt 0x0
	v_ashrrev_i32_e32 v3, s18, v3
	v_ashrrev_i32_e32 v4, s18, v4
	s_delay_alu instid0(VALU_DEP_3) | instskip(SKIP_1) | instid1(VALU_DEP_4)
	v_bfe_u32 v5, v1, 24, 2
	v_and_b32_e32 v1, 0x3030303, v1
	v_lshlrev_b32_e32 v3, 2, v3
	s_delay_alu instid0(VALU_DEP_4) | instskip(NEXT) | instid1(VALU_DEP_3)
	v_lshlrev_b32_e32 v4, 2, v4
	v_lshrrev_b32_e32 v6, 16, v1
	v_lshrrev_b16 v7, 8, v1
	s_delay_alu instid0(VALU_DEP_4) | instskip(NEXT) | instid1(VALU_DEP_4)
	v_and_b32_e32 v3, 0x4040404, v3
	v_and_b32_e32 v4, 0x4040404, v4
	s_delay_alu instid0(VALU_DEP_2)
	v_sub_nc_u16 v56, v1, v3
	v_ashrrev_i32_e32 v1, s19, v2
	v_lshrrev_b32_e32 v11, 24, v3
	v_lshrrev_b32_e32 v16, 16, v3
	v_lshrrev_b16 v30, 8, v3
	v_bfe_i32 v197, v56, 0, 8
	v_bfe_u32 v2, v1, 24, 2
	v_and_b32_e32 v1, 0x3030303, v1
	v_sub_nc_u16 v65, v6, v16
	v_sub_nc_u16 v62, v7, v30
	;; [unrolled: 1-line block ×3, first 2 shown]
	v_lshrrev_b32_e32 v6, 24, v4
	v_lshrrev_b32_e32 v3, 16, v1
	v_lshrrev_b16 v5, 8, v1
	v_lshrrev_b32_e32 v7, 16, v4
	v_lshrrev_b16 v11, 8, v4
	v_sub_nc_u16 v76, v1, v4
	v_add3_u32 v1, s21, v145, v146
	v_sub_nc_u16 v117, v2, v6
	v_sub_nc_u16 v87, v3, v7
	;; [unrolled: 1-line block ×3, first 2 shown]
	ds_load_b32 v11, v1
	ds_load_b128 v[4:7], v0 offset:25344
	ds_load_b128 v[0:3], v0 offset:25360
	v_bfe_i32 v194, v67, 0, 16
	v_bfe_i32 v195, v65, 0, 8
	;; [unrolled: 1-line block ×7, first 2 shown]
	v_add_nc_u32_e32 v30, s20, v98
	v_add_nc_u32_e32 v238, s20, v99
	s_wait_dscnt 0x1
	v_lshrrev_b16 v16, 8, v4
	v_lshrrev_b16 v47, 8, v5
	;; [unrolled: 1-line block ×3, first 2 shown]
	v_ashrrev_i32_e32 v125, 24, v5
	v_bfe_i32 v248, v5, 0, 8
	v_lshrrev_b16 v53, 8, v7
	v_bfe_i32 v243, v4, 0, 8
	v_ashrrev_i32_e32 v245, 24, v4
	v_bfe_i32 v246, v16, 0, 8
	v_bfe_i32 v127, v5, 16, 8
	;; [unrolled: 1-line block ×3, first 2 shown]
	v_mul_i32_i24_e32 v47, v177, v248
	v_mul_i32_i24_e32 v70, v174, v125
	v_ashrrev_i32_e32 v251, 24, v6
	v_bfe_i32 v253, v48, 0, 8
	v_bfe_i32 v79, v6, 0, 8
	v_ashrrev_i32_e32 v37, 24, v7
	v_bfe_i32 v237, v7, 0, 8
	v_bfe_i32 v244, v4, 16, 8
	v_mul_i32_i24_e32 v16, v173, v246
	v_mul_i32_i24_e32 v63, v176, v247
	;; [unrolled: 1-line block ×3, first 2 shown]
	v_bfe_i32 v252, v6, 16, 8
	v_mul_i32_i24_e32 v48, v181, v79
	v_mul_i32_i24_e32 v71, v180, v253
	;; [unrolled: 1-line block ×3, first 2 shown]
	v_bfe_i32 v51, v7, 16, 8
	v_bfe_i32 v58, v53, 0, 8
	v_mul_i32_i24_e32 v46, v185, v237
	v_mul_i32_i24_e32 v57, v182, v37
	v_mad_i32_i24 v64, v172, v245, v70
	v_mad_i32_i24 v47, v170, v243, v47
	v_mul_i32_i24_e32 v72, v179, v252
	v_mul_i32_i24_e32 v52, v184, v58
	;; [unrolled: 1-line block ×3, first 2 shown]
	v_mad_i32_i24 v68, v171, v244, v68
	v_add3_u32 v16, v16, v63, v71
	v_add3_u32 v46, v47, v48, v46
	;; [unrolled: 1-line block ×3, first 2 shown]
	s_wait_dscnt 0x0
	v_ashrrev_i32_e32 v229, 24, v1
	v_add3_u32 v47, v68, v72, v53
	v_bfe_i32 v230, v1, 16, 8
	v_bfe_i32 v227, v0, 16, 8
	v_add3_u32 v16, v16, v52, v48
	v_lshrrev_b16 v48, 8, v2
	v_lshrrev_b16 v52, 8, v3
	v_ashrrev_i32_e32 v228, 24, v0
	v_bfe_i32 v232, v1, 0, 8
	v_add3_u32 v16, v46, v47, v16
	v_lshrrev_b16 v46, 8, v0
	v_lshrrev_b16 v47, 8, v1
	v_mul_i32_i24_e32 v32, v191, v230
	v_mul_i32_i24_e32 v35, v190, v229
	v_ashrrev_i32_e32 v225, 24, v2
	v_bfe_i32 v236, v46, 0, 8
	v_bfe_i32 v231, v47, 0, 8
	;; [unrolled: 1-line block ×4, first 2 shown]
	v_ashrrev_i32_e32 v64, 24, v3
	v_bfe_i32 v65, v3, 16, 8
	v_bfe_i32 v226, v0, 0, 8
	v_mul_i32_i24_e32 v8, v189, v236
	v_mul_i32_i24_e32 v27, v193, v232
	;; [unrolled: 1-line block ×3, first 2 shown]
	v_bfe_i32 v235, v2, 0, 8
	v_mul_i32_i24_e32 v47, v196, v234
	v_mul_i32_i24_e32 v48, v195, v233
	;; [unrolled: 1-line block ×3, first 2 shown]
	v_bfe_i32 v67, v52, 0, 8
	v_bfe_i32 v224, v3, 0, 8
	v_mul_i32_i24_e32 v54, v199, v65
	v_mul_i32_i24_e32 v56, v198, v64
	v_mad_i32_i24 v35, v188, v228, v35
	v_mad_i32_i24 v32, v187, v227, v32
	v_mul_i32_i24_e32 v46, v197, v235
	v_mul_i32_i24_e32 v52, v201, v224
	;; [unrolled: 1-line block ×3, first 2 shown]
	v_mad_i32_i24 v27, v186, v226, v27
	v_add3_u32 v8, v8, v28, v47
	v_add3_u32 v28, v32, v48, v54
	;; [unrolled: 1-line block ×5, first 2 shown]
	v_perm_b32 v5, v5, v5, 0xc030201
	v_perm_b32 v6, v6, v6, 0xc030201
	v_add3_u32 v8, v8, v53, v32
	ds_load_2addr_b32 v[56:57], v47 offset1:1
	v_perm_b32 v7, v7, v7, 0xc030201
	ds_load_2addr_b32 v[61:62], v47 offset0:2 offset1:3
	ds_load_2addr_b32 v[117:118], v47 offset0:4 offset1:5
	v_add3_u32 v27, v27, v28, v8
	ds_load_u16 v8, v30
	ds_load_2addr_b32 v[148:149], v47 offset0:6 offset1:7
	s_wait_dscnt 0x4
	v_ashrrev_i32_e32 v32, s18, v56
	s_wait_dscnt 0x1
	v_bfe_i32 v206, v8, 0, 8
	v_lshrrev_b16 v28, 8, v8
	s_delay_alu instid0(VALU_DEP_3)
	v_lshlrev_b32_e32 v32, 2, v32
	s_wait_dscnt 0x0
	v_ashrrev_i32_e32 v47, s18, v148
	v_mul_lo_u32 v8, v16, v206
	v_bfe_i32 v202, v28, 0, 8
	v_and_b32_e32 v32, 0x4040404, v32
	s_delay_alu instid0(VALU_DEP_4) | instskip(NEXT) | instid1(VALU_DEP_2)
	v_lshlrev_b32_e32 v47, 2, v47
	v_lshrrev_b32_e32 v48, 16, v32
	s_delay_alu instid0(VALU_DEP_4)
	v_mad_co_u64_u32 v[27:28], null, v27, v202, v[8:9]
	v_mul_f32_e32 v8, v59, v11
	v_lshrrev_b32_e32 v46, 24, v32
	v_lshrrev_b16 v35, 8, v32
	v_and_b32_e32 v47, 0x4040404, v47
	v_cvt_f32_i32_e32 v16, v27
	s_delay_alu instid0(VALU_DEP_1) | instskip(SKIP_3) | instid1(VALU_DEP_1)
	v_dual_fmac_f32 v19, v8, v16 :: v_dual_add_nc_u32 v8, 0x1080, v147
	ds_load_2addr_b32 v[27:28], v8 offset1:1
	s_wait_dscnt 0x0
	v_ashrrev_i32_e32 v8, s19, v27
	v_and_b32_e32 v16, 0x3030303, v8
	v_bfe_u32 v8, v8, 24, 2
	s_delay_alu instid0(VALU_DEP_2) | instskip(NEXT) | instid1(VALU_DEP_2)
	v_lshrrev_b32_e32 v30, 16, v16
	v_sub_nc_u16 v240, v8, v46
	v_ashrrev_i32_e32 v8, s19, v28
	v_lshrrev_b16 v27, 8, v16
	v_sub_nc_u16 v242, v16, v32
	v_sub_nc_u16 v241, v30, v48
	v_ashrrev_i32_e32 v30, s18, v57
	v_bfe_u32 v16, v8, 24, 2
	v_and_b32_e32 v8, 0x3030303, v8
	v_sub_nc_u16 v239, v27, v35
	v_bfe_i32 v242, v242, 0, 8
	v_lshlrev_b32_e32 v30, 2, v30
	v_bfe_i32 v240, v240, 0, 16
	v_lshrrev_b32_e32 v27, 16, v8
	v_lshrrev_b16 v28, 8, v8
	v_bfe_i32 v239, v239, 0, 16
	v_and_b32_e32 v30, 0x4040404, v30
	v_bfe_i32 v241, v241, 0, 8
	s_delay_alu instid0(VALU_DEP_2)
	v_lshrrev_b32_e32 v35, 16, v30
	v_lshrrev_b16 v46, 8, v30
	v_sub_nc_u16 v54, v8, v30
	v_add_nc_u32_e32 v8, 0x1088, v147
	v_lshrrev_b32_e32 v32, 24, v30
	v_sub_nc_u16 v57, v27, v35
	v_sub_nc_u16 v56, v28, v46
	ds_load_2addr_b32 v[27:28], v8 offset1:1
	v_sub_nc_u16 v250, v16, v32
	v_ashrrev_i32_e32 v32, s18, v61
	s_delay_alu instid0(VALU_DEP_1) | instskip(NEXT) | instid1(VALU_DEP_1)
	v_lshlrev_b32_e32 v32, 2, v32
	v_and_b32_e32 v32, 0x4040404, v32
	s_delay_alu instid0(VALU_DEP_1) | instskip(SKIP_4) | instid1(VALU_DEP_1)
	v_lshrrev_b16 v49, 8, v32
	v_lshrrev_b32_e32 v35, 24, v32
	v_lshrrev_b32_e32 v48, 16, v32
	s_wait_dscnt 0x0
	v_ashrrev_i32_e32 v8, s19, v27
	v_bfe_u32 v16, v8, 24, 2
	v_and_b32_e32 v8, 0x3030303, v8
	s_delay_alu instid0(VALU_DEP_2) | instskip(NEXT) | instid1(VALU_DEP_2)
	v_sub_nc_u16 v249, v16, v35
	v_lshrrev_b16 v30, 8, v8
	v_lshrrev_b32_e32 v27, 16, v8
	v_sub_nc_u16 v46, v8, v32
	v_ashrrev_i32_e32 v8, s19, v28
	s_delay_alu instid0(VALU_DEP_4) | instskip(SKIP_2) | instid1(VALU_DEP_4)
	v_sub_nc_u16 v49, v30, v49
	v_ashrrev_i32_e32 v30, s18, v62
	v_sub_nc_u16 v52, v27, v48
	v_bfe_u32 v16, v8, 24, 2
	v_and_b32_e32 v8, 0x3030303, v8
	s_delay_alu instid0(VALU_DEP_4) | instskip(NEXT) | instid1(VALU_DEP_2)
	v_lshlrev_b32_e32 v30, 2, v30
	v_lshrrev_b32_e32 v27, 16, v8
	v_lshrrev_b16 v28, 8, v8
	s_delay_alu instid0(VALU_DEP_3) | instskip(NEXT) | instid1(VALU_DEP_1)
	v_and_b32_e32 v30, 0x4040404, v30
	v_lshrrev_b32_e32 v48, 24, v30
	v_lshrrev_b32_e32 v35, 16, v30
	v_lshrrev_b16 v32, 8, v30
	v_sub_nc_u16 v30, v8, v30
	v_add_nc_u32_e32 v8, 0x1090, v147
	v_sub_nc_u16 v254, v16, v48
	v_sub_nc_u16 v35, v27, v35
	v_sub_nc_u16 v32, v28, v32
	v_ashrrev_i32_e32 v28, s18, v117
	ds_load_2addr_b32 v[61:62], v8 offset1:1
	v_lshlrev_b32_e32 v28, 2, v28
	s_delay_alu instid0(VALU_DEP_1) | instskip(NEXT) | instid1(VALU_DEP_1)
	v_and_b32_e32 v28, 0x4040404, v28
	v_lshrrev_b16 v53, 8, v28
	v_lshrrev_b32_e32 v63, 16, v28
	s_wait_dscnt 0x0
	v_ashrrev_i32_e32 v8, s19, v61
	v_lshrrev_b32_e32 v61, 24, v28
	s_delay_alu instid0(VALU_DEP_2) | instskip(SKIP_1) | instid1(VALU_DEP_2)
	v_and_b32_e32 v16, 0x3030303, v8
	v_bfe_u32 v8, v8, 24, 2
	v_sub_nc_u16 v128, v16, v28
	s_delay_alu instid0(VALU_DEP_2) | instskip(SKIP_4) | instid1(VALU_DEP_4)
	v_sub_nc_u16 v28, v8, v61
	v_ashrrev_i32_e32 v61, s18, v118
	v_ashrrev_i32_e32 v8, s19, v62
	v_lshrrev_b16 v48, 8, v16
	v_lshrrev_b32_e32 v27, 16, v16
	v_lshlrev_b32_e32 v61, 2, v61
	s_delay_alu instid0(VALU_DEP_4) | instskip(SKIP_4) | instid1(VALU_DEP_4)
	v_bfe_u32 v16, v8, 24, 2
	v_and_b32_e32 v8, 0x3030303, v8
	v_sub_nc_u16 v255, v48, v53
	v_sub_nc_u16 v27, v27, v63
	v_and_b32_e32 v61, 0x4040404, v61
	v_lshrrev_b32_e32 v48, 16, v8
	v_lshrrev_b16 v53, 8, v8
	v_bfe_i32 v255, v255, 0, 16
	s_delay_alu instid0(VALU_DEP_4)
	v_lshrrev_b32_e32 v62, 24, v61
	v_sub_nc_u16 v121, v8, v61
	v_add_nc_u32_e32 v8, 0x1098, v147
	v_lshrrev_b32_e32 v63, 16, v61
	v_lshrrev_b16 v68, 8, v61
	v_sub_nc_u16 v126, v16, v62
	ds_load_2addr_b32 v[61:62], v8 offset1:1
	v_sub_nc_u16 v124, v48, v63
	v_sub_nc_u16 v123, v53, v68
	v_lshrrev_b16 v68, 8, v47
	v_lshrrev_b32_e32 v63, 16, v47
	s_wait_dscnt 0x0
	v_ashrrev_i32_e32 v8, s19, v61
	v_lshrrev_b32_e32 v61, 24, v47
	s_delay_alu instid0(VALU_DEP_2) | instskip(SKIP_1) | instid1(VALU_DEP_2)
	v_bfe_u32 v16, v8, 24, 2
	v_and_b32_e32 v8, 0x3030303, v8
	v_sub_nc_u16 v122, v16, v61
	s_delay_alu instid0(VALU_DEP_2) | instskip(SKIP_3) | instid1(VALU_DEP_4)
	v_lshrrev_b16 v53, 8, v8
	v_lshrrev_b32_e32 v48, 16, v8
	v_sub_nc_u16 v118, v8, v47
	v_ashrrev_i32_e32 v8, s19, v62
	v_sub_nc_u16 v119, v53, v68
	v_ashrrev_i32_e32 v53, s18, v149
	v_sub_nc_u16 v120, v48, v63
	s_delay_alu instid0(VALU_DEP_4) | instskip(SKIP_1) | instid1(VALU_DEP_4)
	v_bfe_u32 v16, v8, 24, 2
	v_and_b32_e32 v8, 0x3030303, v8
	v_lshlrev_b32_e32 v53, 2, v53
	s_delay_alu instid0(VALU_DEP_2) | instskip(SKIP_1) | instid1(VALU_DEP_3)
	v_lshrrev_b16 v48, 8, v8
	v_lshrrev_b32_e32 v47, 16, v8
	v_and_b32_e32 v53, 0x4040404, v53
	s_delay_alu instid0(VALU_DEP_1) | instskip(SKIP_3) | instid1(VALU_DEP_4)
	v_lshrrev_b32_e32 v61, 24, v53
	v_lshrrev_b16 v63, 8, v53
	v_lshrrev_b32_e32 v62, 16, v53
	v_sub_nc_u16 v83, v8, v53
	v_sub_nc_u16 v117, v16, v61
	s_delay_alu instid0(VALU_DEP_4)
	v_sub_nc_u16 v87, v48, v63
	v_add3_u32 v16, s21, v138, v112
	v_add3_u32 v63, s22, v139, v113
	v_sub_nc_u16 v8, v47, v62
	ds_load_b32 v159, v16
	ds_load_2addr_b32 v[148:149], v63 offset1:1
	v_add_nc_u32_e32 v16, 0x2100, v147
	ds_load_2addr_b32 v[150:151], v63 offset0:6 offset1:7
	ds_load_2addr_b32 v[61:62], v16 offset1:1
	s_wait_dscnt 0x3
	v_mul_f32_e32 v76, v59, v159
	s_wait_dscnt 0x0
	v_ashrrev_i32_e32 v16, s19, v61
	v_ashrrev_i32_e32 v61, s18, v148
	s_delay_alu instid0(VALU_DEP_2) | instskip(NEXT) | instid1(VALU_DEP_2)
	v_and_b32_e32 v47, 0x3030303, v16
	v_lshlrev_b32_e32 v61, 2, v61
	v_bfe_u32 v16, v16, 24, 2
	s_delay_alu instid0(VALU_DEP_3) | instskip(NEXT) | instid1(VALU_DEP_3)
	v_lshrrev_b32_e32 v53, 16, v47
	v_and_b32_e32 v61, 0x4040404, v61
	v_lshrrev_b16 v48, 8, v47
	s_delay_alu instid0(VALU_DEP_2) | instskip(SKIP_3) | instid1(VALU_DEP_4)
	v_lshrrev_b32_e32 v70, 16, v61
	v_lshrrev_b32_e32 v71, 24, v61
	v_lshrrev_b16 v68, 8, v61
	v_sub_nc_u16 v47, v47, v61
	v_sub_nc_u16 v209, v53, v70
	s_delay_alu instid0(VALU_DEP_4) | instskip(NEXT) | instid1(VALU_DEP_3)
	v_sub_nc_u16 v16, v16, v71
	v_bfe_i32 v160, v47, 0, 8
	s_delay_alu instid0(VALU_DEP_3) | instskip(NEXT) | instid1(VALU_DEP_3)
	v_and_b32_e32 v53, 0xff, v209
	v_lshlrev_b16 v16, 8, v16
	s_delay_alu instid0(VALU_DEP_3) | instskip(NEXT) | instid1(VALU_DEP_2)
	v_mul_i32_i24_e32 v47, v243, v160
	v_or_b32_e32 v210, v53, v16
	v_sub_nc_u16 v16, v48, v68
	v_ashrrev_i32_e32 v68, s18, v149
	v_ashrrev_i32_e32 v48, s19, v62
	ds_load_2addr_b32 v[148:149], v63 offset0:2 offset1:3
	v_perm_b32 v216, v210, v209, 0xc0c0500
	v_lshlrev_b16 v16, 8, v16
	v_lshlrev_b32_e32 v68, 2, v68
	v_and_b32_e32 v53, 0x3030303, v48
	v_bfe_u32 v48, v48, 24, 2
	s_delay_alu instid0(VALU_DEP_4) | instskip(NEXT) | instid1(VALU_DEP_4)
	v_bfe_i32 v161, v16, 8, 8
	v_and_b32_e32 v68, 0x4040404, v68
	s_delay_alu instid0(VALU_DEP_4)
	v_lshrrev_b32_e32 v62, 16, v53
	v_lshrrev_b16 v61, 8, v53
	v_perm_b32 v16, v4, v4, 0xc0c0302
	v_mad_i32_i24 v215, v246, v161, v47
	v_lshrrev_b32_e32 v71, 16, v68
	v_lshrrev_b32_e32 v72, 24, v68
	v_lshrrev_b16 v70, 8, v68
	v_sub_nc_u16 v213, v53, v68
	v_dot4_i32_iu8 v4, v16, v216, v215 neg_lo:[1,1,0]
	v_sub_nc_u16 v165, v62, v71
	v_sub_nc_u16 v48, v48, v72
	s_delay_alu instid0(VALU_DEP_4) | instskip(NEXT) | instid1(VALU_DEP_3)
	v_bfe_i32 v217, v213, 0, 8
	v_and_b32_e32 v62, 0xff, v165
	s_delay_alu instid0(VALU_DEP_3) | instskip(NEXT) | instid1(VALU_DEP_3)
	v_lshlrev_b16 v48, 8, v48
	v_mad_i32_i24 v4, v248, v217, v4
	s_delay_alu instid0(VALU_DEP_2) | instskip(SKIP_3) | instid1(VALU_DEP_3)
	v_or_b32_e32 v203, v62, v48
	v_sub_nc_u16 v48, v61, v70
	s_wait_dscnt 0x0
	v_ashrrev_i32_e32 v70, s18, v148
	v_perm_b32 v47, v203, v165, 0xc05000c
	s_delay_alu instid0(VALU_DEP_3) | instskip(SKIP_1) | instid1(VALU_DEP_4)
	v_lshlrev_b16 v205, 8, v48
	v_add_nc_u32_e32 v48, 0x2108, v147
	v_lshlrev_b32_e32 v70, 2, v70
	ds_load_2addr_b32 v[61:62], v48 offset1:1
	v_and_b32_e32 v70, 0x4040404, v70
	s_delay_alu instid0(VALU_DEP_1) | instskip(SKIP_4) | instid1(VALU_DEP_1)
	v_lshrrev_b32_e32 v72, 16, v70
	v_lshrrev_b32_e32 v73, 24, v70
	v_lshrrev_b16 v71, 8, v70
	s_wait_dscnt 0x0
	v_ashrrev_i32_e32 v48, s19, v61
	v_and_b32_e32 v53, 0x3030303, v48
	v_bfe_u32 v48, v48, 24, 2
	s_delay_alu instid0(VALU_DEP_2) | instskip(NEXT) | instid1(VALU_DEP_2)
	v_lshrrev_b32_e32 v68, 16, v53
	v_sub_nc_u16 v48, v48, v73
	v_lshrrev_b16 v61, 8, v53
	v_sub_nc_u16 v214, v53, v70
	s_delay_alu instid0(VALU_DEP_4) | instskip(NEXT) | instid1(VALU_DEP_4)
	v_sub_nc_u16 v168, v68, v72
	v_lshlrev_b16 v48, 8, v48
	s_delay_alu instid0(VALU_DEP_3) | instskip(NEXT) | instid1(VALU_DEP_3)
	v_bfe_i32 v215, v214, 0, 8
	v_and_b32_e32 v68, 0xff, v168
	s_delay_alu instid0(VALU_DEP_1)
	v_or_b32_e32 v207, v68, v48
	v_sub_nc_u16 v48, v61, v71
	v_ashrrev_i32_e32 v68, s18, v149
	ds_load_2addr_b32 v[148:149], v63 offset0:4 offset1:5
	v_ashrrev_i32_e32 v63, s18, v150
	v_lshlrev_b16 v208, 8, v48
	v_ashrrev_i32_e32 v48, s19, v62
	v_lshlrev_b32_e32 v68, 2, v68
	s_delay_alu instid0(VALU_DEP_4) | instskip(NEXT) | instid1(VALU_DEP_3)
	v_lshlrev_b32_e32 v63, 2, v63
	v_and_b32_e32 v53, 0x3030303, v48
	s_delay_alu instid0(VALU_DEP_3) | instskip(SKIP_1) | instid1(VALU_DEP_4)
	v_and_b32_e32 v68, 0x4040404, v68
	v_bfe_u32 v48, v48, 24, 2
	v_and_b32_e32 v63, 0x4040404, v63
	s_delay_alu instid0(VALU_DEP_4) | instskip(NEXT) | instid1(VALU_DEP_4)
	v_lshrrev_b32_e32 v62, 16, v53
	v_lshrrev_b32_e32 v71, 16, v68
	;; [unrolled: 1-line block ×3, first 2 shown]
	v_lshrrev_b16 v61, 8, v53
	v_lshrrev_b16 v70, 8, v68
	v_sub_nc_u16 v218, v53, v68
	v_sub_nc_u16 v164, v62, v71
	;; [unrolled: 1-line block ×3, first 2 shown]
	s_delay_alu instid0(VALU_DEP_3) | instskip(NEXT) | instid1(VALU_DEP_3)
	v_bfe_i32 v213, v218, 0, 8
	v_and_b32_e32 v62, 0xff, v164
	s_delay_alu instid0(VALU_DEP_3) | instskip(NEXT) | instid1(VALU_DEP_1)
	v_lshlrev_b16 v48, 8, v48
	v_or_b32_e32 v169, v62, v48
	v_sub_nc_u16 v48, v61, v70
	s_wait_dscnt 0x0
	v_ashrrev_i32_e32 v70, s18, v148
	s_delay_alu instid0(VALU_DEP_2) | instskip(SKIP_1) | instid1(VALU_DEP_3)
	v_lshlrev_b16 v204, 8, v48
	v_add_nc_u32_e32 v48, 0x2110, v147
	v_lshlrev_b32_e32 v70, 2, v70
	ds_load_2addr_b32 v[61:62], v48 offset1:1
	v_and_b32_e32 v70, 0x4040404, v70
	s_delay_alu instid0(VALU_DEP_1) | instskip(SKIP_4) | instid1(VALU_DEP_1)
	v_lshrrev_b32_e32 v72, 16, v70
	v_lshrrev_b32_e32 v73, 24, v70
	v_lshrrev_b16 v71, 8, v70
	s_wait_dscnt 0x0
	v_ashrrev_i32_e32 v48, s19, v61
	v_and_b32_e32 v53, 0x3030303, v48
	v_bfe_u32 v48, v48, 24, 2
	s_delay_alu instid0(VALU_DEP_2) | instskip(NEXT) | instid1(VALU_DEP_2)
	v_lshrrev_b32_e32 v68, 16, v53
	v_sub_nc_u16 v48, v48, v73
	v_lshrrev_b16 v61, 8, v53
	v_sub_nc_u16 v212, v53, v70
	s_delay_alu instid0(VALU_DEP_4) | instskip(NEXT) | instid1(VALU_DEP_4)
	v_sub_nc_u16 v158, v68, v72
	v_lshlrev_b16 v48, 8, v48
	s_delay_alu instid0(VALU_DEP_3) | instskip(NEXT) | instid1(VALU_DEP_3)
	v_bfe_i32 v222, v212, 0, 8
	v_and_b32_e32 v68, 0xff, v158
	s_delay_alu instid0(VALU_DEP_1) | instskip(SKIP_2) | instid1(VALU_DEP_2)
	v_or_b32_e32 v162, v68, v48
	v_sub_nc_u16 v48, v61, v71
	v_ashrrev_i32_e32 v68, s18, v149
	v_lshlrev_b16 v211, 8, v48
	v_ashrrev_i32_e32 v48, s19, v62
	s_delay_alu instid0(VALU_DEP_3) | instskip(NEXT) | instid1(VALU_DEP_3)
	v_lshlrev_b32_e32 v68, 2, v68
	v_bfe_i32 v223, v211, 8, 8
	s_delay_alu instid0(VALU_DEP_3) | instskip(NEXT) | instid1(VALU_DEP_3)
	v_and_b32_e32 v53, 0x3030303, v48
	v_and_b32_e32 v68, 0x4040404, v68
	v_bfe_u32 v48, v48, 24, 2
	s_delay_alu instid0(VALU_DEP_3) | instskip(NEXT) | instid1(VALU_DEP_3)
	v_lshrrev_b32_e32 v62, 16, v53
	v_lshrrev_b32_e32 v71, 16, v68
	;; [unrolled: 1-line block ×3, first 2 shown]
	v_lshrrev_b16 v61, 8, v53
	v_lshrrev_b16 v70, 8, v68
	v_sub_nc_u16 v163, v53, v68
	v_sub_nc_u16 v149, v62, v71
	;; [unrolled: 1-line block ×3, first 2 shown]
	v_lshrrev_b32_e32 v71, 16, v63
	v_lshrrev_b32_e32 v72, 24, v63
	v_bfe_i32 v165, v163, 0, 8
	v_and_b32_e32 v62, 0xff, v149
	v_lshlrev_b16 v48, 8, v48
	s_delay_alu instid0(VALU_DEP_1) | instskip(SKIP_2) | instid1(VALU_DEP_2)
	v_or_b32_e32 v152, v62, v48
	v_sub_nc_u16 v48, v61, v70
	v_lshrrev_b16 v70, 8, v63
	v_lshlrev_b16 v154, 8, v48
	v_add_nc_u32_e32 v48, 0x2118, v147
	ds_load_2addr_b32 v[61:62], v48 offset1:1
	s_wait_dscnt 0x0
	v_ashrrev_i32_e32 v48, s19, v61
	s_delay_alu instid0(VALU_DEP_1) | instskip(SKIP_1) | instid1(VALU_DEP_2)
	v_and_b32_e32 v53, 0x3030303, v48
	v_bfe_u32 v48, v48, 24, 2
	v_lshrrev_b32_e32 v68, 16, v53
	s_delay_alu instid0(VALU_DEP_2)
	v_sub_nc_u16 v48, v48, v72
	v_lshrrev_b16 v61, 8, v53
	v_sub_nc_u16 v166, v53, v63
	v_ashrrev_i32_e32 v63, s18, v151
	v_sub_nc_u16 v150, v68, v71
	v_lshlrev_b16 v48, 8, v48
	s_delay_alu instid0(VALU_DEP_4) | instskip(NEXT) | instid1(VALU_DEP_4)
	v_bfe_i32 v163, v166, 0, 8
	v_lshlrev_b32_e32 v63, 2, v63
	s_delay_alu instid0(VALU_DEP_4) | instskip(NEXT) | instid1(VALU_DEP_2)
	v_and_b32_e32 v68, 0xff, v150
	v_and_b32_e32 v63, 0x4040404, v63
	s_delay_alu instid0(VALU_DEP_2) | instskip(SKIP_1) | instid1(VALU_DEP_3)
	v_or_b32_e32 v155, v68, v48
	v_sub_nc_u16 v48, v61, v70
	v_lshrrev_b32_e32 v70, 16, v63
	v_lshrrev_b32_e32 v71, 24, v63
	s_delay_alu instid0(VALU_DEP_3) | instskip(SKIP_2) | instid1(VALU_DEP_2)
	v_lshlrev_b16 v157, 8, v48
	v_ashrrev_i32_e32 v48, s19, v62
	v_lshrrev_b16 v68, 8, v63
	v_and_b32_e32 v53, 0x3030303, v48
	v_bfe_u32 v48, v48, 24, 2
	s_delay_alu instid0(VALU_DEP_2) | instskip(NEXT) | instid1(VALU_DEP_2)
	v_lshrrev_b32_e32 v62, 16, v53
	v_sub_nc_u16 v48, v48, v71
	v_lshrrev_b16 v61, 8, v53
	v_sub_nc_u16 v167, v53, v63
	v_perm_b32 v53, v0, v0, 0xc0c0302
	v_sub_nc_u16 v148, v62, v70
	v_lshlrev_b16 v48, 8, v48
	s_delay_alu instid0(VALU_DEP_2) | instskip(NEXT) | instid1(VALU_DEP_1)
	v_and_b32_e32 v62, 0xff, v148
	v_or_b32_e32 v151, v62, v48
	v_sub_nc_u16 v48, v61, v68
	v_perm_b32 v61, v154, v154, 0xc0c0c01
	v_perm_b32 v62, v3, v3, 0xc030201
	v_add3_u32 v68, s22, v141, v115
	s_delay_alu instid0(VALU_DEP_4) | instskip(SKIP_3) | instid1(VALU_DEP_1)
	v_lshlrev_b16 v153, 8, v48
	v_add3_u32 v48, s21, v140, v114
	ds_load_b32 v156, v48
	v_perm_b32 v48, v205, v205, 0xc0c0c01
	v_or_b32_e32 v218, v47, v48
	v_perm_b32 v47, v207, v168, 0xc05000c
	v_perm_b32 v48, v208, v208, 0xc0c0c01
	s_delay_alu instid0(VALU_DEP_3) | instskip(NEXT) | instid1(VALU_DEP_2)
	v_dot4_i32_iu8 v4, v5, v218, v4 neg_lo:[1,1,0]
	v_or_b32_e32 v219, v47, v48
	v_perm_b32 v47, v169, v164, 0xc05000c
	v_perm_b32 v48, v204, v204, 0xc0c0c01
	v_perm_b32 v164, v162, v158, 0xc0c0500
	v_mad_i32_i24 v4, v79, v215, v4
	v_bfe_i32 v162, v167, 0, 8
	s_delay_alu instid0(VALU_DEP_4) | instskip(SKIP_2) | instid1(VALU_DEP_1)
	v_or_b32_e32 v220, v47, v48
	ds_load_u16 v47, v221
	v_dot4_i32_iu8 v4, v6, v219, v4 neg_lo:[1,1,0]
	v_mad_i32_i24 v4, v237, v213, v4
	s_delay_alu instid0(VALU_DEP_1) | instskip(SKIP_4) | instid1(VALU_DEP_3)
	v_dot4_i32_iu8 v4, v7, v220, v4 neg_lo:[1,1,0]
	s_wait_dscnt 0x0
	v_lshrrev_b16 v48, 8, v47
	v_bfe_i32 v221, v47, 0, 8
	v_mul_i32_i24_e32 v47, v226, v222
	v_bfe_i32 v169, v48, 0, 8
	s_delay_alu instid0(VALU_DEP_3) | instskip(NEXT) | instid1(VALU_DEP_3)
	v_mul_lo_u32 v4, v4, v221
	v_mad_i32_i24 v47, v236, v223, v47
	s_delay_alu instid0(VALU_DEP_1) | instskip(SKIP_2) | instid1(VALU_DEP_3)
	v_dot4_i32_iu8 v0, v53, v164, v47 neg_lo:[1,1,0]
	v_perm_b32 v47, v1, v1, 0xc030201
	v_perm_b32 v1, v152, v149, 0xc05000c
	v_mad_i32_i24 v0, v232, v165, v0
	s_delay_alu instid0(VALU_DEP_2) | instskip(SKIP_3) | instid1(VALU_DEP_4)
	v_or_b32_e32 v166, v1, v61
	v_perm_b32 v61, v2, v2, 0xc030201
	v_perm_b32 v1, v155, v150, 0xc05000c
	;; [unrolled: 1-line block ×3, first 2 shown]
	v_dot4_i32_iu8 v0, v47, v166, v0 neg_lo:[1,1,0]
	s_delay_alu instid0(VALU_DEP_2) | instskip(SKIP_1) | instid1(VALU_DEP_3)
	v_or_b32_e32 v167, v1, v2
	v_perm_b32 v1, v151, v148, 0xc05000c
	v_mad_i32_i24 v0, v235, v163, v0
	v_perm_b32 v2, v153, v153, 0xc0c0c01
	s_delay_alu instid0(VALU_DEP_2) | instskip(NEXT) | instid1(VALU_DEP_2)
	v_dot4_i32_iu8 v0, v61, v167, v0 neg_lo:[1,1,0]
	v_or_b32_e32 v168, v1, v2
	ds_load_2addr_b32 v[2:3], v68 offset1:1
	v_mad_i32_i24 v0, v224, v162, v0
	s_delay_alu instid0(VALU_DEP_1) | instskip(NEXT) | instid1(VALU_DEP_1)
	v_dot4_i32_iu8 v0, v62, v168, v0 neg_lo:[1,1,0]
	v_mad_co_u64_u32 v[0:1], null, v0, v169, v[4:5]
	v_mul_f32_e32 v1, v59, v156
	s_wait_dscnt 0x0
	v_ashrrev_i32_e32 v2, s18, v2
	s_delay_alu instid0(VALU_DEP_3) | instskip(SKIP_1) | instid1(VALU_DEP_2)
	v_cvt_f32_i32_e32 v0, v0
	v_ashrrev_i32_e32 v3, s18, v3
	v_dual_fmac_f32 v77, v1, v0 :: v_dual_lshlrev_b32 v2, 2, v2
	v_add_nc_u32_e32 v0, 0x3180, v147
	s_delay_alu instid0(VALU_DEP_3) | instskip(NEXT) | instid1(VALU_DEP_3)
	v_lshlrev_b32_e32 v3, 2, v3
	v_and_b32_e32 v2, 0x4040404, v2
	ds_load_2addr_b32 v[0:1], v0 offset1:1
	v_and_b32_e32 v3, 0x4040404, v3
	v_lshrrev_b32_e32 v71, 16, v2
	v_lshrrev_b32_e32 v72, 24, v2
	v_lshrrev_b16 v70, 8, v2
	s_delay_alu instid0(VALU_DEP_4) | instskip(SKIP_3) | instid1(VALU_DEP_1)
	v_lshrrev_b32_e32 v73, 16, v3
	v_lshrrev_b32_e32 v75, 24, v3
	s_wait_dscnt 0x0
	v_ashrrev_i32_e32 v0, s19, v0
	v_and_b32_e32 v4, 0x3030303, v0
	v_bfe_u32 v0, v0, 24, 2
	s_delay_alu instid0(VALU_DEP_2) | instskip(NEXT) | instid1(VALU_DEP_2)
	v_lshrrev_b32_e32 v63, 16, v4
	v_sub_nc_u16 v0, v0, v72
	v_lshrrev_b16 v48, 8, v4
	v_sub_nc_u16 v4, v4, v2
	v_lshrrev_b16 v72, 8, v3
	v_sub_nc_u16 v63, v63, v71
	v_lshlrev_b16 v0, 8, v0
	s_delay_alu instid0(VALU_DEP_4) | instskip(NEXT) | instid1(VALU_DEP_3)
	v_bfe_i32 v203, v4, 0, 8
	v_and_b32_e32 v71, 0xff, v63
	s_delay_alu instid0(VALU_DEP_1) | instskip(SKIP_1) | instid1(VALU_DEP_2)
	v_or_b32_e32 v71, v71, v0
	v_sub_nc_u16 v0, v48, v70
	v_perm_b32 v207, v71, v63, 0xc0c0500
	s_delay_alu instid0(VALU_DEP_2) | instskip(SKIP_1) | instid1(VALU_DEP_2)
	v_lshlrev_b16 v48, 8, v0
	v_ashrrev_i32_e32 v0, s19, v1
	v_bfe_i32 v204, v48, 8, 8
	s_delay_alu instid0(VALU_DEP_2) | instskip(SKIP_1) | instid1(VALU_DEP_2)
	v_and_b32_e32 v1, 0x3030303, v0
	v_bfe_u32 v0, v0, 24, 2
	v_lshrrev_b32_e32 v70, 16, v1
	s_delay_alu instid0(VALU_DEP_2) | instskip(SKIP_2) | instid1(VALU_DEP_4)
	v_sub_nc_u16 v0, v0, v75
	v_lshrrev_b16 v2, 8, v1
	v_sub_nc_u16 v75, v1, v3
	v_sub_nc_u16 v70, v70, v73
	s_delay_alu instid0(VALU_DEP_4) | instskip(NEXT) | instid1(VALU_DEP_3)
	v_lshlrev_b16 v0, 8, v0
	v_bfe_i32 v209, v75, 0, 8
	s_delay_alu instid0(VALU_DEP_3) | instskip(NEXT) | instid1(VALU_DEP_1)
	v_and_b32_e32 v73, 0xff, v70
	v_or_b32_e32 v73, v73, v0
	v_sub_nc_u16 v0, v2, v72
	ds_load_2addr_b32 v[2:3], v68 offset0:2 offset1:3
	v_perm_b32 v4, v73, v70, 0xc05000c
	v_lshlrev_b16 v72, 8, v0
	v_add_nc_u32_e32 v0, 0x3188, v147
	ds_load_2addr_b32 v[0:1], v0 offset1:1
	s_wait_dscnt 0x1
	v_ashrrev_i32_e32 v2, s18, v2
	v_ashrrev_i32_e32 v3, s18, v3
	s_delay_alu instid0(VALU_DEP_2) | instskip(NEXT) | instid1(VALU_DEP_2)
	v_lshlrev_b32_e32 v2, 2, v2
	v_lshlrev_b32_e32 v3, 2, v3
	s_wait_dscnt 0x0
	v_ashrrev_i32_e32 v0, s19, v0
	s_delay_alu instid0(VALU_DEP_3) | instskip(NEXT) | instid1(VALU_DEP_3)
	v_and_b32_e32 v2, 0x4040404, v2
	v_and_b32_e32 v3, 0x4040404, v3
	s_delay_alu instid0(VALU_DEP_3) | instskip(SKIP_1) | instid1(VALU_DEP_4)
	v_and_b32_e32 v80, 0x3030303, v0
	v_bfe_u32 v0, v0, 24, 2
	v_lshrrev_b32_e32 v86, 16, v2
	v_lshrrev_b32_e32 v88, 24, v2
	v_lshrrev_b16 v85, 8, v2
	v_lshrrev_b32_e32 v82, 16, v80
	v_lshrrev_b16 v81, 8, v80
	v_lshrrev_b32_e32 v89, 16, v3
	v_sub_nc_u16 v0, v0, v88
	v_lshrrev_b32_e32 v148, 24, v3
	v_sub_nc_u16 v82, v82, v86
	v_sub_nc_u16 v80, v80, v2
	v_lshrrev_b16 v88, 8, v3
	v_lshlrev_b16 v0, 8, v0
	s_delay_alu instid0(VALU_DEP_4) | instskip(NEXT) | instid1(VALU_DEP_4)
	v_and_b32_e32 v86, 0xff, v82
	v_bfe_i32 v208, v80, 0, 8
	s_delay_alu instid0(VALU_DEP_2) | instskip(SKIP_1) | instid1(VALU_DEP_1)
	v_or_b32_e32 v86, v86, v0
	v_sub_nc_u16 v0, v81, v85
	v_lshlrev_b16 v81, 8, v0
	v_ashrrev_i32_e32 v0, s19, v1
	s_delay_alu instid0(VALU_DEP_1) | instskip(SKIP_1) | instid1(VALU_DEP_2)
	v_and_b32_e32 v1, 0x3030303, v0
	v_bfe_u32 v0, v0, 24, 2
	v_lshrrev_b32_e32 v85, 16, v1
	s_delay_alu instid0(VALU_DEP_2) | instskip(SKIP_2) | instid1(VALU_DEP_4)
	v_sub_nc_u16 v0, v0, v148
	v_lshrrev_b16 v2, 8, v1
	v_sub_nc_u16 v148, v1, v3
	v_sub_nc_u16 v85, v85, v89
	s_delay_alu instid0(VALU_DEP_4) | instskip(NEXT) | instid1(VALU_DEP_3)
	v_lshlrev_b16 v0, 8, v0
	v_bfe_i32 v205, v148, 0, 8
	s_delay_alu instid0(VALU_DEP_3) | instskip(NEXT) | instid1(VALU_DEP_1)
	v_and_b32_e32 v89, 0xff, v85
	v_or_b32_e32 v89, v89, v0
	v_sub_nc_u16 v0, v2, v88
	ds_load_2addr_b32 v[2:3], v68 offset0:4 offset1:5
	v_lshlrev_b16 v88, 8, v0
	v_add_nc_u32_e32 v0, 0x3190, v147
	ds_load_2addr_b32 v[0:1], v0 offset1:1
	s_wait_dscnt 0x1
	v_ashrrev_i32_e32 v2, s18, v2
	v_ashrrev_i32_e32 v3, s18, v3
	s_delay_alu instid0(VALU_DEP_2) | instskip(NEXT) | instid1(VALU_DEP_2)
	v_lshlrev_b32_e32 v2, 2, v2
	v_lshlrev_b32_e32 v3, 2, v3
	s_wait_dscnt 0x0
	v_ashrrev_i32_e32 v0, s19, v0
	s_delay_alu instid0(VALU_DEP_3) | instskip(NEXT) | instid1(VALU_DEP_3)
	v_and_b32_e32 v2, 0x4040404, v2
	v_and_b32_e32 v3, 0x4040404, v3
	s_delay_alu instid0(VALU_DEP_3) | instskip(SKIP_1) | instid1(VALU_DEP_4)
	v_and_b32_e32 v149, 0x3030303, v0
	v_bfe_u32 v0, v0, 24, 2
	v_lshrrev_b32_e32 v153, 16, v2
	v_lshrrev_b32_e32 v154, 24, v2
	v_lshrrev_b16 v152, 8, v2
	v_lshrrev_b32_e32 v151, 16, v149
	v_lshrrev_b16 v150, 8, v149
	v_lshrrev_b32_e32 v155, 16, v3
	v_sub_nc_u16 v0, v0, v154
	v_lshrrev_b32_e32 v157, 24, v3
	v_sub_nc_u16 v151, v151, v153
	v_sub_nc_u16 v149, v149, v2
	v_lshrrev_b16 v154, 8, v3
	v_lshlrev_b16 v0, 8, v0
	s_delay_alu instid0(VALU_DEP_4) | instskip(NEXT) | instid1(VALU_DEP_1)
	v_and_b32_e32 v153, 0xff, v151
	v_or_b32_e32 v153, v153, v0
	v_sub_nc_u16 v0, v150, v152
	s_delay_alu instid0(VALU_DEP_1) | instskip(SKIP_1) | instid1(VALU_DEP_1)
	v_lshlrev_b16 v150, 8, v0
	v_ashrrev_i32_e32 v0, s19, v1
	v_and_b32_e32 v1, 0x3030303, v0
	v_bfe_u32 v0, v0, 24, 2
	s_delay_alu instid0(VALU_DEP_2) | instskip(NEXT) | instid1(VALU_DEP_2)
	v_lshrrev_b32_e32 v152, 16, v1
	v_sub_nc_u16 v0, v0, v157
	v_lshrrev_b16 v2, 8, v1
	s_delay_alu instid0(VALU_DEP_3) | instskip(NEXT) | instid1(VALU_DEP_3)
	v_sub_nc_u16 v90, v152, v155
	v_lshlrev_b16 v0, 8, v0
	s_delay_alu instid0(VALU_DEP_2) | instskip(NEXT) | instid1(VALU_DEP_1)
	v_and_b32_e32 v152, 0xff, v90
	v_or_b32_e32 v91, v152, v0
	v_sub_nc_u16 v0, v2, v154
	v_sub_nc_u16 v152, v1, v3
	ds_load_2addr_b32 v[2:3], v68 offset0:6 offset1:7
	v_lshlrev_b16 v92, 8, v0
	v_add_nc_u32_e32 v0, 0x3198, v147
	ds_load_2addr_b32 v[0:1], v0 offset1:1
	s_wait_dscnt 0x1
	v_ashrrev_i32_e32 v2, s18, v2
	v_ashrrev_i32_e32 v3, s18, v3
	s_delay_alu instid0(VALU_DEP_2) | instskip(NEXT) | instid1(VALU_DEP_2)
	v_lshlrev_b32_e32 v2, 2, v2
	v_lshlrev_b32_e32 v3, 2, v3
	s_wait_dscnt 0x0
	v_ashrrev_i32_e32 v0, s19, v0
	s_delay_alu instid0(VALU_DEP_3) | instskip(NEXT) | instid1(VALU_DEP_3)
	v_and_b32_e32 v2, 0x4040404, v2
	v_and_b32_e32 v3, 0x4040404, v3
	s_delay_alu instid0(VALU_DEP_3) | instskip(SKIP_1) | instid1(VALU_DEP_4)
	v_and_b32_e32 v147, 0x3030303, v0
	v_bfe_u32 v0, v0, 24, 2
	v_lshrrev_b32_e32 v157, 16, v2
	v_lshrrev_b32_e32 v158, 24, v2
	v_lshrrev_b16 v68, 8, v2
	v_lshrrev_b32_e32 v155, 16, v147
	v_lshrrev_b16 v154, 8, v147
	v_sub_nc_u16 v2, v147, v2
	v_sub_nc_u16 v0, v0, v158
	v_lshrrev_b32_e32 v158, 24, v3
	v_sub_nc_u16 v93, v155, v157
	v_lshrrev_b32_e32 v157, 16, v3
	s_delay_alu instid0(VALU_DEP_4) | instskip(NEXT) | instid1(VALU_DEP_3)
	v_lshlrev_b16 v0, 8, v0
	v_and_b32_e32 v155, 0xff, v93
	s_delay_alu instid0(VALU_DEP_1) | instskip(SKIP_2) | instid1(VALU_DEP_2)
	v_or_b32_e32 v94, v155, v0
	v_sub_nc_u16 v0, v154, v68
	v_lshrrev_b16 v155, 8, v3
	v_lshlrev_b16 v68, 8, v0
	v_ashrrev_i32_e32 v0, s19, v1
	s_delay_alu instid0(VALU_DEP_1) | instskip(SKIP_1) | instid1(VALU_DEP_2)
	v_and_b32_e32 v1, 0x3030303, v0
	v_bfe_u32 v0, v0, 24, 2
	v_lshrrev_b32_e32 v154, 16, v1
	s_delay_alu instid0(VALU_DEP_2)
	v_sub_nc_u16 v0, v0, v158
	v_lshrrev_b16 v147, 8, v1
	v_sub_nc_u16 v1, v1, v3
	v_add3_u32 v3, s21, v142, v116
	v_sub_nc_u16 v95, v154, v157
	v_lshlrev_b16 v0, 8, v0
	v_bfe_i32 v158, v149, 0, 8
	v_bfe_i32 v157, v150, 8, 8
	;; [unrolled: 1-line block ×3, first 2 shown]
	v_and_b32_e32 v154, 0xff, v95
	s_delay_alu instid0(VALU_DEP_1)
	v_or_b32_e32 v96, v154, v0
	v_sub_nc_u16 v0, v147, v155
	ds_load_b32 v147, v3
	v_perm_b32 v155, v153, v151, 0xc0c0500
	v_bfe_i32 v154, v152, 0, 8
	v_bfe_i32 v152, v2, 0, 8
	v_lshlrev_b16 v129, 8, v0
	v_add_nc_u32_e32 v0, s20, v101
	v_perm_b32 v2, v91, v90, 0xc05000c
	ds_load_u16 v0, v0
	v_mul_i32_i24_e32 v3, v243, v203
	s_delay_alu instid0(VALU_DEP_1) | instskip(NEXT) | instid1(VALU_DEP_1)
	v_mad_i32_i24 v3, v246, v204, v3
	v_dot4_i32_iu8 v3, v16, v207, v3 neg_lo:[1,1,0]
	v_perm_b32 v16, v72, v72, 0xc0c0c01
	s_delay_alu instid0(VALU_DEP_2) | instskip(NEXT) | instid1(VALU_DEP_2)
	v_mad_i32_i24 v3, v248, v209, v3
	v_or_b32_e32 v210, v4, v16
	v_perm_b32 v4, v86, v82, 0xc05000c
	s_wait_dscnt 0x0
	v_bfe_i32 v214, v0, 0, 8
	s_delay_alu instid0(VALU_DEP_3) | instskip(SKIP_1) | instid1(VALU_DEP_2)
	v_dot4_i32_iu8 v3, v5, v210, v3 neg_lo:[1,1,0]
	v_perm_b32 v5, v81, v81, 0xc0c0c01
	v_mad_i32_i24 v3, v79, v208, v3
	s_delay_alu instid0(VALU_DEP_2) | instskip(SKIP_2) | instid1(VALU_DEP_3)
	v_or_b32_e32 v211, v4, v5
	v_perm_b32 v4, v89, v85, 0xc05000c
	v_perm_b32 v5, v88, v88, 0xc0c0c01
	v_dot4_i32_iu8 v3, v6, v211, v3 neg_lo:[1,1,0]
	s_delay_alu instid0(VALU_DEP_2) | instskip(SKIP_1) | instid1(VALU_DEP_3)
	v_or_b32_e32 v212, v4, v5
	v_lshrrev_b16 v4, 8, v0
	v_mad_i32_i24 v3, v237, v205, v3
	s_delay_alu instid0(VALU_DEP_2) | instskip(NEXT) | instid1(VALU_DEP_2)
	v_bfe_i32 v148, v4, 0, 8
	v_dot4_i32_iu8 v3, v7, v212, v3 neg_lo:[1,1,0]
	s_delay_alu instid0(VALU_DEP_1) | instskip(SKIP_1) | instid1(VALU_DEP_1)
	v_mul_lo_u32 v0, v3, v214
	v_mul_i32_i24_e32 v3, v226, v158
	v_mad_i32_i24 v3, v236, v157, v3
	s_delay_alu instid0(VALU_DEP_1) | instskip(NEXT) | instid1(VALU_DEP_1)
	v_dot4_i32_iu8 v3, v53, v155, v3 neg_lo:[1,1,0]
	v_mad_i32_i24 v1, v232, v154, v3
	v_perm_b32 v3, v92, v92, 0xc0c0c01
	s_delay_alu instid0(VALU_DEP_1) | instskip(SKIP_2) | instid1(VALU_DEP_3)
	v_or_b32_e32 v153, v2, v3
	v_perm_b32 v2, v94, v93, 0xc05000c
	v_perm_b32 v3, v68, v68, 0xc0c0c01
	v_dot4_i32_iu8 v1, v47, v153, v1 neg_lo:[1,1,0]
	s_delay_alu instid0(VALU_DEP_2) | instskip(SKIP_2) | instid1(VALU_DEP_4)
	v_or_b32_e32 v151, v2, v3
	v_perm_b32 v2, v96, v95, 0xc05000c
	v_perm_b32 v3, v129, v129, 0xc0c0c01
	v_mad_i32_i24 v1, v235, v152, v1
	s_delay_alu instid0(VALU_DEP_2) | instskip(NEXT) | instid1(VALU_DEP_2)
	v_or_b32_e32 v149, v2, v3
	v_dot4_i32_iu8 v1, v61, v151, v1 neg_lo:[1,1,0]
	v_mul_i32_i24_e32 v2, v241, v244
	v_mul_i32_i24_e32 v3, v240, v245
	v_bfe_i32 v245, v56, 0, 16
	v_bfe_i32 v244, v57, 0, 8
	v_mad_i32_i24 v1, v224, v150, v1
	s_delay_alu instid0(VALU_DEP_3) | instskip(SKIP_1) | instid1(VALU_DEP_3)
	v_mul_i32_i24_e32 v57, v245, v247
	v_bfe_i32 v247, v249, 0, 16
	v_dot4_i32_iu8 v1, v62, v149, v1 neg_lo:[1,1,0]
	v_bfe_i32 v249, v49, 0, 16
	s_delay_alu instid0(VALU_DEP_2) | instskip(SKIP_1) | instid1(VALU_DEP_2)
	v_mad_co_u64_u32 v[0:1], null, v1, v148, v[0:1]
	v_mul_f32_e32 v1, v59, v147
	v_cvt_f32_i32_e32 v0, v0
	s_delay_alu instid0(VALU_DEP_1) | instskip(SKIP_1) | instid1(VALU_DEP_1)
	v_fmac_f32_e32 v74, v1, v0
	v_or_b32_e32 v0, s17, v102
	v_lshlrev_b32_e32 v1, 2, v0
	v_lshrrev_b32_e32 v0, 1, v0
	ds_load_b32 v59, v0 offset:38816
	v_mul_i32_i24_e32 v0, v242, v243
	v_bfe_i32 v243, v250, 0, 16
	v_bfe_i32 v250, v46, 0, 8
	s_delay_alu instid0(VALU_DEP_3) | instskip(SKIP_1) | instid1(VALU_DEP_4)
	v_mad_i32_i24 v0, v239, v246, v0
	v_bfe_i32 v246, v54, 0, 8
	v_mul_i32_i24_e32 v75, v243, v125
	s_delay_alu instid0(VALU_DEP_4)
	v_mul_i32_i24_e32 v49, v250, v79
	v_mul_i32_i24_e32 v79, v247, v251
	v_add3_u32 v47, v0, v2, v3
	ds_load_b128 v[4:7], v1 offset:25344
	ds_load_b128 v[0:3], v1 offset:25360
	v_mul_i32_i24_e32 v56, v246, v248
	v_bfe_i32 v248, v52, 0, 8
	v_mul_i32_i24_e32 v52, v249, v253
	v_bfe_i32 v251, v254, 0, 16
	v_bfe_i32 v253, v32, 0, 16
	v_add3_u32 v47, v47, v56, v57
	v_bfe_i32 v254, v30, 0, 8
	s_wait_dscnt 0x2
	v_mul_f32_e32 v16, v11, v59
	v_mul_i32_i24_e32 v37, v251, v37
	s_delay_alu instid0(VALU_DEP_3)
	v_mul_i32_i24_e32 v32, v254, v237
	v_bfe_i32 v237, v121, 0, 8
	s_wait_dscnt 0x1
	v_lshrrev_b16 v48, 8, v4
	v_bfe_i32 v62, v4, 0, 8
	v_lshrrev_b16 v53, 8, v5
	v_bfe_i32 v70, v4, 16, 8
	v_bfe_i32 v54, v5, 0, 8
	;; [unrolled: 1-line block ×3, first 2 shown]
	v_ashrrev_i32_e32 v48, 24, v4
	v_mul_i32_i24_e32 v71, v62, v170
	v_mul_i32_i24_e32 v72, v70, v171
	v_bfe_i32 v53, v53, 0, 8
	v_lshrrev_b16 v63, 8, v6
	v_mul_i32_i24_e32 v73, v48, v172
	v_mad_i32_i24 v71, v61, v173, v71
	v_ashrrev_i32_e32 v80, 24, v5
	v_bfe_i32 v81, v5, 16, 8
	v_mul_i32_i24_e32 v82, v54, v177
	v_mul_i32_i24_e32 v85, v53, v176
	v_add3_u32 v71, v71, v72, v73
	v_mul_i32_i24_e32 v73, v244, v127
	v_mul_i32_i24_e32 v86, v81, v175
	;; [unrolled: 1-line block ×3, first 2 shown]
	v_bfe_i32 v63, v63, 0, 8
	v_add3_u32 v56, v71, v82, v85
	v_add3_u32 v47, v47, v73, v75
	v_bfe_i32 v46, v6, 0, 8
	v_lshrrev_b16 v68, 8, v7
	v_mul_i32_i24_e32 v71, v81, v244
	v_add3_u32 v56, v56, v86, v88
	v_mul_i32_i24_e32 v73, v80, v243
	v_mul_i32_i24_e32 v75, v248, v252
	v_ashrrev_i32_e32 v80, 24, v6
	v_bfe_i32 v81, v6, 16, 8
	v_mul_i32_i24_e32 v82, v46, v181
	v_mul_i32_i24_e32 v85, v63, v180
	v_add3_u32 v47, v47, v49, v52
	v_mul_i32_i24_e32 v88, v80, v178
	v_mul_i32_i24_e32 v86, v81, v179
	v_bfe_i32 v252, v35, 0, 8
	v_add3_u32 v49, v56, v82, v85
	v_add3_u32 v47, v47, v75, v79
	v_mul_i32_i24_e32 v35, v253, v58
	v_bfe_i32 v68, v68, 0, 8
	v_bfe_i32 v30, v7, 0, 8
	v_add3_u32 v49, v49, v86, v88
	v_mul_i32_i24_e32 v56, v63, v249
	v_mul_i32_i24_e32 v63, v81, v248
	;; [unrolled: 1-line block ×4, first 2 shown]
	v_ashrrev_i32_e32 v58, 24, v7
	v_bfe_i32 v79, v7, 16, 8
	v_mul_i32_i24_e32 v80, v30, v185
	v_mul_i32_i24_e32 v81, v68, v184
	v_add3_u32 v32, v47, v32, v35
	v_mul_i32_i24_e32 v85, v58, v182
	v_mul_i32_i24_e32 v82, v79, v183
	;; [unrolled: 1-line block ×4, first 2 shown]
	v_add3_u32 v47, v32, v51, v37
	v_add3_u32 v32, v49, v80, v81
	v_mul_i32_i24_e32 v53, v53, v245
	v_mul_i32_i24_e32 v51, v58, v251
	v_mad_i32_i24 v48, v48, v240, v73
	v_mul_i32_i24_e32 v52, v46, v250
	v_add3_u32 v32, v32, v82, v85
	v_mul_i32_i24_e32 v35, v68, v253
	v_mul_i32_i24_e32 v37, v79, v252
	v_mad_i32_i24 v58, v70, v241, v71
	v_mad_i32_i24 v57, v62, v242, v57
	v_mul_lo_u32 v49, v32, v206
	v_mul_i32_i24_e32 v32, v30, v254
	v_add3_u32 v53, v72, v53, v56
	v_add3_u32 v48, v48, v75, v51
	;; [unrolled: 1-line block ×3, first 2 shown]
	v_bfe_i32 v58, v128, 0, 8
	v_add3_u32 v32, v57, v52, v32
	v_bfe_i32 v51, v27, 0, 8
	v_add3_u32 v35, v53, v35, v48
	s_wait_dscnt 0x0
	v_ashrrev_i32_e32 v63, 24, v0
	v_mul_i32_i24_e32 v27, v58, v226
	v_bfe_i32 v68, v0, 16, 8
	v_bfe_i32 v226, v126, 0, 16
	v_add3_u32 v48, v32, v37, v35
	v_bfe_i32 v37, v28, 0, 16
	v_mul_i32_i24_e32 v28, v51, v227
	v_mad_i32_i24 v27, v255, v236, v27
	v_mul_i32_i24_e32 v57, v68, v187
	v_mul_i32_i24_e32 v70, v63, v188
	;; [unrolled: 1-line block ×3, first 2 shown]
	v_bfe_i32 v228, v123, 0, 16
	v_bfe_i32 v227, v124, 0, 8
	v_mul_i32_i24_e32 v73, v226, v229
	v_ashrrev_i32_e32 v75, 24, v1
	v_add3_u32 v35, v27, v28, v32
	v_lshrrev_b16 v27, 8, v0
	v_bfe_i32 v28, v0, 0, 8
	v_lshrrev_b16 v32, 8, v1
	v_mul_i32_i24_e32 v71, v228, v231
	v_mul_i32_i24_e32 v72, v227, v230
	v_bfe_i32 v27, v27, 0, 8
	v_mul_i32_i24_e32 v56, v28, v186
	v_bfe_i32 v80, v32, 0, 8
	v_bfe_i32 v32, v1, 0, 8
	;; [unrolled: 1-line block ×3, first 2 shown]
	v_lshrrev_b16 v52, 8, v2
	v_mad_i32_i24 v56, v27, v189, v56
	v_mul_i32_i24_e32 v82, v80, v192
	v_mul_i32_i24_e32 v81, v32, v193
	;; [unrolled: 1-line block ×4, first 2 shown]
	v_add3_u32 v56, v56, v57, v70
	v_mul_i32_i24_e32 v57, v237, v232
	v_bfe_i32 v231, v119, 0, 16
	v_bfe_i32 v232, v118, 0, 8
	;; [unrolled: 1-line block ×3, first 2 shown]
	v_lshrrev_b16 v53, 8, v3
	v_add3_u32 v35, v35, v57, v71
	v_bfe_i32 v229, v122, 0, 16
	v_bfe_i32 v230, v120, 0, 8
	v_mul_i32_i24_e32 v89, v52, v196
	v_bfe_i32 v53, v53, 0, 8
	v_add3_u32 v57, v35, v72, v73
	v_add3_u32 v35, v56, v81, v82
	v_mul_i32_i24_e32 v72, v80, v228
	v_mul_i32_i24_e32 v73, v79, v227
	v_mul_i32_i24_e32 v79, v232, v235
	v_mul_i32_i24_e32 v80, v231, v234
	v_add3_u32 v56, v35, v85, v86
	v_bfe_i32 v35, v2, 0, 8
	v_ashrrev_i32_e32 v85, 24, v2
	v_bfe_i32 v86, v2, 16, 8
	v_mul_i32_i24_e32 v81, v230, v233
	v_mul_i32_i24_e32 v82, v229, v225
	;; [unrolled: 1-line block ×5, first 2 shown]
	v_add3_u32 v57, v57, v79, v80
	v_bfe_i32 v234, v8, 0, 8
	v_add3_u32 v56, v56, v88, v89
	v_bfe_i32 v8, v3, 0, 8
	v_mul_i32_i24_e32 v80, v86, v230
	v_add3_u32 v57, v57, v81, v82
	v_mul_i32_i24_e32 v81, v85, v229
	v_add3_u32 v56, v56, v90, v91
	v_bfe_i32 v235, v87, 0, 16
	v_bfe_i32 v236, v83, 0, 8
	v_ashrrev_i32_e32 v83, 24, v3
	v_bfe_i32 v85, v3, 16, 8
	v_mul_i32_i24_e32 v86, v8, v201
	v_mul_i32_i24_e32 v87, v53, v200
	v_bfe_i32 v233, v117, 0, 16
	v_mul_i32_i24_e32 v82, v236, v224
	v_mul_i32_i24_e32 v67, v235, v67
	;; [unrolled: 1-line block ×4, first 2 shown]
	v_add3_u32 v56, v56, v86, v87
	v_mul_i32_i24_e32 v65, v234, v65
	v_mul_i32_i24_e32 v64, v233, v64
	v_add3_u32 v57, v57, v82, v67
	v_mul_i32_i24_e32 v75, v75, v226
	v_add3_u32 v56, v56, v88, v89
	v_mul_i32_i24_e32 v70, v27, v255
	v_mul_i32_i24_e32 v71, v32, v237
	v_add3_u32 v65, v57, v65, v64
	v_mul_i32_i24_e32 v52, v52, v231
	v_mad_co_u64_u32 v[56:57], null, v56, v202, v[49:50]
	v_mad_i32_i24 v57, v63, v37, v75
	v_mul_i32_i24_e32 v79, v35, v232
	v_mad_i32_i24 v63, v68, v51, v73
	v_mad_i32_i24 v64, v28, v58, v71
	v_add3_u32 v52, v70, v72, v52
	v_perm_b32 v5, v5, v5, 0xc030201
	v_cvt_f32_i32_e32 v49, v56
	v_mul_i32_i24_e32 v56, v83, v233
	v_perm_b32 v6, v6, v6, 0xc030201
	v_perm_b32 v2, v2, v2, 0xc030201
	;; [unrolled: 1-line block ×3, first 2 shown]
	v_fmac_f32_e32 v69, v16, v49
	v_mul_i32_i24_e32 v16, v8, v236
	v_mul_i32_i24_e32 v49, v53, v235
	;; [unrolled: 1-line block ×3, first 2 shown]
	v_add3_u32 v56, v57, v81, v56
	v_perm_b32 v3, v3, v3, 0xc030201
	v_add3_u32 v16, v64, v79, v16
	s_delay_alu instid0(VALU_DEP_4) | instskip(NEXT) | instid1(VALU_DEP_4)
	v_add3_u32 v53, v63, v80, v53
	v_add3_u32 v49, v52, v49, v56
	s_delay_alu instid0(VALU_DEP_1) | instskip(SKIP_4) | instid1(VALU_DEP_2)
	v_add3_u32 v16, v16, v53, v49
	ds_load_u16 v49, v238
	s_wait_dscnt 0x0
	v_bfe_i32 v64, v49, 0, 8
	v_lshrrev_b16 v52, 8, v49
	v_mul_lo_u32 v49, v47, v64
	s_delay_alu instid0(VALU_DEP_2) | instskip(NEXT) | instid1(VALU_DEP_1)
	v_bfe_i32 v238, v52, 0, 8
	v_mad_co_u64_u32 v[56:57], null, v65, v238, v[49:50]
	v_mul_lo_u32 v49, v48, v64
	v_perm_b32 v48, v0, v0, 0xc0c0302
	s_delay_alu instid0(VALU_DEP_3) | instskip(NEXT) | instid1(VALU_DEP_3)
	v_cvt_f32_i32_e32 v47, v56
	v_mad_co_u64_u32 v[56:57], null, v16, v238, v[49:50]
	v_mul_f32_e32 v16, v159, v59
	s_delay_alu instid0(VALU_DEP_3) | instskip(NEXT) | instid1(VALU_DEP_3)
	v_fmac_f32_e32 v84, v76, v47
	v_cvt_f32_i32_e32 v47, v56
	s_delay_alu instid0(VALU_DEP_1) | instskip(SKIP_2) | instid1(VALU_DEP_2)
	v_fmac_f32_e32 v66, v16, v47
	v_mul_i32_i24_e32 v16, v62, v160
	v_perm_b32 v47, v4, v4, 0xc0c0302
	v_mad_i32_i24 v16, v61, v161, v16
	s_delay_alu instid0(VALU_DEP_1) | instskip(SKIP_1) | instid1(VALU_DEP_2)
	v_dot4_i32_iu8 v4, v47, v216, v16 neg_lo:[1,1,0]
	v_mul_i32_i24_e32 v16, v28, v222
	v_mad_i32_i24 v4, v54, v217, v4
	s_delay_alu instid0(VALU_DEP_2) | instskip(NEXT) | instid1(VALU_DEP_2)
	v_mad_i32_i24 v16, v27, v223, v16
	v_dot4_i32_iu8 v4, v5, v218, v4 neg_lo:[1,1,0]
	s_delay_alu instid0(VALU_DEP_2) | instskip(SKIP_1) | instid1(VALU_DEP_3)
	v_dot4_i32_iu8 v0, v48, v164, v16 neg_lo:[1,1,0]
	v_perm_b32 v16, v1, v1, 0xc030201
	v_mad_i32_i24 v4, v46, v215, v4
	s_delay_alu instid0(VALU_DEP_3) | instskip(NEXT) | instid1(VALU_DEP_2)
	v_mad_i32_i24 v0, v32, v165, v0
	v_dot4_i32_iu8 v4, v6, v219, v4 neg_lo:[1,1,0]
	s_delay_alu instid0(VALU_DEP_2) | instskip(NEXT) | instid1(VALU_DEP_2)
	v_dot4_i32_iu8 v0, v16, v166, v0 neg_lo:[1,1,0]
	v_mad_i32_i24 v4, v30, v213, v4
	s_delay_alu instid0(VALU_DEP_2) | instskip(NEXT) | instid1(VALU_DEP_2)
	v_mad_i32_i24 v0, v35, v163, v0
	v_dot4_i32_iu8 v4, v7, v220, v4 neg_lo:[1,1,0]
	s_delay_alu instid0(VALU_DEP_2) | instskip(NEXT) | instid1(VALU_DEP_2)
	v_dot4_i32_iu8 v0, v2, v167, v0 neg_lo:[1,1,0]
	v_mul_lo_u32 v4, v4, v221
	s_delay_alu instid0(VALU_DEP_2) | instskip(NEXT) | instid1(VALU_DEP_1)
	v_mad_i32_i24 v0, v8, v162, v0
	v_dot4_i32_iu8 v0, v3, v168, v0 neg_lo:[1,1,0]
	s_delay_alu instid0(VALU_DEP_1) | instskip(SKIP_1) | instid1(VALU_DEP_2)
	v_mad_co_u64_u32 v[0:1], null, v0, v169, v[4:5]
	v_mul_f32_e32 v1, v156, v59
	v_cvt_f32_i32_e32 v0, v0
	s_delay_alu instid0(VALU_DEP_1) | instskip(SKIP_2) | instid1(VALU_DEP_2)
	v_fmac_f32_e32 v60, v1, v0
	v_mul_i32_i24_e32 v0, v62, v203
	v_mul_i32_i24_e32 v1, v28, v158
	v_mad_i32_i24 v0, v61, v204, v0
	s_delay_alu instid0(VALU_DEP_2) | instskip(NEXT) | instid1(VALU_DEP_2)
	v_mad_i32_i24 v1, v27, v157, v1
	v_dot4_i32_iu8 v0, v47, v207, v0 neg_lo:[1,1,0]
	s_delay_alu instid0(VALU_DEP_2) | instskip(NEXT) | instid1(VALU_DEP_2)
	v_dot4_i32_iu8 v1, v48, v155, v1 neg_lo:[1,1,0]
	v_mad_i32_i24 v0, v54, v209, v0
	s_delay_alu instid0(VALU_DEP_2) | instskip(NEXT) | instid1(VALU_DEP_2)
	v_mad_i32_i24 v1, v32, v154, v1
	v_dot4_i32_iu8 v0, v5, v210, v0 neg_lo:[1,1,0]
	s_delay_alu instid0(VALU_DEP_2) | instskip(NEXT) | instid1(VALU_DEP_2)
	v_dot4_i32_iu8 v1, v16, v153, v1 neg_lo:[1,1,0]
	v_mad_i32_i24 v0, v46, v208, v0
	s_delay_alu instid0(VALU_DEP_2) | instskip(NEXT) | instid1(VALU_DEP_2)
	v_mad_i32_i24 v1, v35, v152, v1
	v_dot4_i32_iu8 v0, v6, v211, v0 neg_lo:[1,1,0]
	s_delay_alu instid0(VALU_DEP_2) | instskip(NEXT) | instid1(VALU_DEP_2)
	v_dot4_i32_iu8 v1, v2, v151, v1 neg_lo:[1,1,0]
	v_mad_i32_i24 v0, v30, v205, v0
	s_delay_alu instid0(VALU_DEP_2) | instskip(NEXT) | instid1(VALU_DEP_2)
	v_mad_i32_i24 v1, v8, v150, v1
	v_dot4_i32_iu8 v0, v7, v212, v0 neg_lo:[1,1,0]
	s_delay_alu instid0(VALU_DEP_2) | instskip(NEXT) | instid1(VALU_DEP_2)
	v_dot4_i32_iu8 v1, v3, v149, v1 neg_lo:[1,1,0]
	v_mul_lo_u32 v0, v0, v214
	s_delay_alu instid0(VALU_DEP_1) | instskip(SKIP_1) | instid1(VALU_DEP_2)
	v_mad_co_u64_u32 v[0:1], null, v1, v148, v[0:1]
	v_mul_f32_e32 v1, v147, v59
	v_cvt_f32_i32_e32 v0, v0
	s_delay_alu instid0(VALU_DEP_1) | instskip(SKIP_1) | instid1(VALU_DEP_1)
	v_fmac_f32_e32 v55, v1, v0
	v_or_b32_e32 v0, s17, v103
	v_lshlrev_b32_e32 v1, 2, v0
	v_lshrrev_b32_e32 v0, 1, v0
	ds_load_b32 v8, v0 offset:38816
	ds_load_b128 v[4:7], v1 offset:25344
	ds_load_b128 v[0:3], v1 offset:25360
	s_wait_dscnt 0x1
	v_bfe_i32 v27, v4, 0, 8
	v_bfe_i32 v28, v4, 8, 8
	;; [unrolled: 1-line block ×3, first 2 shown]
	v_ashrrev_i32_e32 v47, 24, v4
	v_bfe_i32 v30, v5, 0, 8
	v_mul_i32_i24_e32 v57, v170, v27
	v_bfe_i32 v48, v5, 8, 8
	v_mul_i32_i24_e32 v61, v171, v16
	v_mul_i32_i24_e32 v62, v172, v47
	v_bfe_i32 v53, v5, 16, 8
	v_mad_i32_i24 v57, v173, v28, v57
	v_ashrrev_i32_e32 v59, 24, v5
	s_wait_dscnt 0x0
	v_bfe_i32 v46, v0, 0, 8
	v_bfe_i32 v49, v0, 8, 8
	;; [unrolled: 1-line block ×3, first 2 shown]
	v_add3_u32 v57, v57, v61, v62
	v_mul_i32_i24_e32 v61, v177, v30
	v_mul_i32_i24_e32 v62, v176, v48
	v_ashrrev_i32_e32 v73, 24, v0
	v_mul_i32_i24_e32 v87, v175, v53
	v_mul_i32_i24_e32 v88, v174, v59
	v_bfe_i32 v32, v6, 0, 8
	v_add3_u32 v57, v57, v61, v62
	v_mul_i32_i24_e32 v61, v186, v46
	v_bfe_i32 v63, v6, 8, 8
	v_bfe_i32 v52, v1, 0, 8
	v_bfe_i32 v75, v1, 8, 8
	v_add3_u32 v57, v57, v87, v88
	v_mul_i32_i24_e32 v62, v187, v72
	v_mul_i32_i24_e32 v87, v188, v73
	v_mad_i32_i24 v61, v189, v49, v61
	v_bfe_i32 v65, v6, 16, 8
	v_ashrrev_i32_e32 v67, 24, v6
	v_bfe_i32 v76, v1, 16, 8
	v_ashrrev_i32_e32 v79, 24, v1
	v_mul_i32_i24_e32 v89, v181, v32
	v_mul_i32_i24_e32 v90, v180, v63
	v_add3_u32 v61, v61, v62, v87
	v_mul_i32_i24_e32 v62, v193, v52
	v_mul_i32_i24_e32 v87, v192, v75
	v_bfe_i32 v35, v7, 0, 8
	v_bfe_i32 v68, v7, 8, 8
	;; [unrolled: 1-line block ×4, first 2 shown]
	v_mul_i32_i24_e32 v91, v179, v65
	v_mul_i32_i24_e32 v92, v178, v67
	v_add3_u32 v57, v57, v89, v90
	v_mul_i32_i24_e32 v88, v191, v76
	v_mul_i32_i24_e32 v89, v190, v79
	v_add3_u32 v61, v61, v62, v87
	v_bfe_i32 v70, v7, 16, 8
	v_ashrrev_i32_e32 v71, 24, v7
	v_bfe_i32 v81, v2, 16, 8
	v_ashrrev_i32_e32 v82, 24, v2
	v_mul_i32_i24_e32 v93, v185, v35
	v_mul_i32_i24_e32 v94, v184, v68
	v_add3_u32 v57, v57, v91, v92
	v_mul_i32_i24_e32 v90, v197, v54
	v_mul_i32_i24_e32 v91, v196, v80
	v_add3_u32 v61, v61, v88, v89
	v_bfe_i32 v56, v3, 0, 8
	v_bfe_i32 v83, v3, 8, 8
	v_mul_i32_i24_e32 v95, v183, v70
	v_mul_i32_i24_e32 v96, v182, v71
	v_add3_u32 v57, v57, v93, v94
	v_mul_i32_i24_e32 v92, v195, v81
	v_mul_i32_i24_e32 v93, v194, v82
	v_add3_u32 v61, v61, v90, v91
	v_bfe_i32 v85, v3, 16, 8
	v_ashrrev_i32_e32 v86, 24, v3
	v_add3_u32 v57, v57, v95, v96
	v_mul_i32_i24_e32 v94, v201, v56
	v_mul_i32_i24_e32 v95, v200, v83
	v_add3_u32 v61, v61, v92, v93
	v_mul_i32_i24_e32 v96, v199, v85
	v_mul_i32_i24_e32 v117, v198, v86
	v_mul_lo_u32 v57, v57, v206
	v_mul_i32_i24_e32 v16, v241, v16
	v_add3_u32 v61, v61, v94, v95
	v_mul_i32_i24_e32 v47, v240, v47
	v_mul_i32_i24_e32 v48, v245, v48
	;; [unrolled: 1-line block ×3, first 2 shown]
	v_perm_b32 v5, v5, v5, 0xc030201
	v_add3_u32 v61, v61, v96, v117
	v_perm_b32 v6, v6, v6, 0xc030201
	v_perm_b32 v2, v2, v2, 0xc030201
	;; [unrolled: 1-line block ×4, first 2 shown]
	v_mad_co_u64_u32 v[61:62], null, v61, v202, v[57:58]
	v_mul_f32_e32 v57, v11, v8
	v_mul_i32_i24_e32 v62, v248, v65
	v_mul_i32_i24_e32 v65, v254, v35
	s_delay_alu instid0(VALU_DEP_4) | instskip(NEXT) | instid1(VALU_DEP_1)
	v_cvt_f32_i32_e32 v61, v61
	v_fmac_f32_e32 v50, v57, v61
	v_mul_i32_i24_e32 v57, v242, v27
	v_mul_i32_i24_e32 v61, v249, v63
	;; [unrolled: 1-line block ×5, first 2 shown]
	v_mad_i32_i24 v57, v239, v28, v57
	v_mul_i32_i24_e32 v70, v251, v71
	v_mul_i32_i24_e32 v71, v233, v86
	s_delay_alu instid0(VALU_DEP_3) | instskip(SKIP_3) | instid1(VALU_DEP_3)
	v_add3_u32 v16, v57, v16, v47
	v_mul_i32_i24_e32 v47, v246, v30
	v_mul_i32_i24_e32 v57, v243, v59
	;; [unrolled: 1-line block ×3, first 2 shown]
	v_add3_u32 v16, v16, v47, v48
	v_mul_i32_i24_e32 v47, v51, v72
	v_mul_i32_i24_e32 v48, v37, v73
	s_delay_alu instid0(VALU_DEP_3) | instskip(SKIP_1) | instid1(VALU_DEP_2)
	v_add3_u32 v16, v16, v53, v57
	v_mul_i32_i24_e32 v53, v227, v76
	v_add3_u32 v16, v16, v59, v61
	v_mul_i32_i24_e32 v59, v226, v79
	v_mul_i32_i24_e32 v61, v232, v54
	s_delay_alu instid0(VALU_DEP_3) | instskip(SKIP_2) | instid1(VALU_DEP_3)
	v_add3_u32 v16, v16, v62, v63
	v_mul_i32_i24_e32 v62, v231, v80
	v_mul_i32_i24_e32 v63, v230, v81
	v_add3_u32 v16, v16, v65, v67
	v_mul_i32_i24_e32 v65, v229, v82
	v_mul_i32_i24_e32 v67, v236, v56
	s_delay_alu instid0(VALU_DEP_3) | instskip(SKIP_2) | instid1(VALU_DEP_3)
	v_add3_u32 v16, v16, v68, v70
	v_mul_i32_i24_e32 v68, v235, v83
	v_mul_i32_i24_e32 v70, v234, v85
	v_mul_lo_u32 v57, v16, v64
	v_mul_i32_i24_e32 v16, v58, v46
	s_delay_alu instid0(VALU_DEP_1) | instskip(NEXT) | instid1(VALU_DEP_1)
	v_mad_i32_i24 v16, v255, v49, v16
	v_add3_u32 v16, v16, v47, v48
	v_mul_i32_i24_e32 v47, v237, v52
	v_mul_i32_i24_e32 v48, v228, v75
	s_delay_alu instid0(VALU_DEP_1) | instskip(SKIP_1) | instid1(VALU_DEP_2)
	v_add3_u32 v16, v16, v47, v48
	v_perm_b32 v48, v0, v0, 0xc0c0302
	v_add3_u32 v16, v16, v53, v59
	s_delay_alu instid0(VALU_DEP_1) | instskip(NEXT) | instid1(VALU_DEP_1)
	v_add3_u32 v16, v16, v61, v62
	v_add3_u32 v16, v16, v63, v65
	s_delay_alu instid0(VALU_DEP_1) | instskip(NEXT) | instid1(VALU_DEP_1)
	v_add3_u32 v16, v16, v67, v68
	v_add3_u32 v16, v16, v70, v71
	s_delay_alu instid0(VALU_DEP_1) | instskip(SKIP_1) | instid1(VALU_DEP_2)
	v_mad_co_u64_u32 v[61:62], null, v16, v238, v[57:58]
	v_mul_f32_e32 v16, v159, v8
	v_cvt_f32_i32_e32 v47, v61
	s_delay_alu instid0(VALU_DEP_1) | instskip(SKIP_2) | instid1(VALU_DEP_2)
	v_fmac_f32_e32 v45, v16, v47
	v_mul_i32_i24_e32 v16, v27, v160
	v_perm_b32 v47, v4, v4, 0xc0c0302
	v_mad_i32_i24 v16, v28, v161, v16
	s_delay_alu instid0(VALU_DEP_1) | instskip(SKIP_1) | instid1(VALU_DEP_2)
	v_dot4_i32_iu8 v4, v47, v216, v16 neg_lo:[1,1,0]
	v_mul_i32_i24_e32 v16, v46, v222
	v_mad_i32_i24 v4, v30, v217, v4
	s_delay_alu instid0(VALU_DEP_2) | instskip(NEXT) | instid1(VALU_DEP_2)
	v_mad_i32_i24 v16, v49, v223, v16
	v_dot4_i32_iu8 v4, v5, v218, v4 neg_lo:[1,1,0]
	s_delay_alu instid0(VALU_DEP_2) | instskip(SKIP_1) | instid1(VALU_DEP_3)
	v_dot4_i32_iu8 v0, v48, v164, v16 neg_lo:[1,1,0]
	v_perm_b32 v16, v1, v1, 0xc030201
	v_mad_i32_i24 v4, v32, v215, v4
	s_delay_alu instid0(VALU_DEP_3) | instskip(NEXT) | instid1(VALU_DEP_2)
	v_mad_i32_i24 v0, v52, v165, v0
	v_dot4_i32_iu8 v4, v6, v219, v4 neg_lo:[1,1,0]
	s_delay_alu instid0(VALU_DEP_2) | instskip(NEXT) | instid1(VALU_DEP_2)
	v_dot4_i32_iu8 v0, v16, v166, v0 neg_lo:[1,1,0]
	v_mad_i32_i24 v4, v35, v213, v4
	s_delay_alu instid0(VALU_DEP_2) | instskip(NEXT) | instid1(VALU_DEP_2)
	v_mad_i32_i24 v0, v54, v163, v0
	v_dot4_i32_iu8 v4, v7, v220, v4 neg_lo:[1,1,0]
	s_delay_alu instid0(VALU_DEP_2) | instskip(NEXT) | instid1(VALU_DEP_2)
	v_dot4_i32_iu8 v0, v2, v167, v0 neg_lo:[1,1,0]
	v_mul_lo_u32 v4, v4, v221
	s_delay_alu instid0(VALU_DEP_2) | instskip(NEXT) | instid1(VALU_DEP_1)
	v_mad_i32_i24 v0, v56, v162, v0
	v_dot4_i32_iu8 v0, v3, v168, v0 neg_lo:[1,1,0]
	s_delay_alu instid0(VALU_DEP_1) | instskip(SKIP_1) | instid1(VALU_DEP_2)
	v_mad_co_u64_u32 v[0:1], null, v0, v169, v[4:5]
	v_mul_f32_e32 v1, v156, v8
	v_cvt_f32_i32_e32 v0, v0
	s_delay_alu instid0(VALU_DEP_1) | instskip(SKIP_2) | instid1(VALU_DEP_2)
	v_fmac_f32_e32 v44, v1, v0
	v_mul_i32_i24_e32 v0, v27, v203
	v_mul_i32_i24_e32 v1, v46, v158
	v_mad_i32_i24 v0, v28, v204, v0
	s_delay_alu instid0(VALU_DEP_2) | instskip(NEXT) | instid1(VALU_DEP_2)
	v_mad_i32_i24 v1, v49, v157, v1
	v_dot4_i32_iu8 v0, v47, v207, v0 neg_lo:[1,1,0]
	s_delay_alu instid0(VALU_DEP_2) | instskip(NEXT) | instid1(VALU_DEP_2)
	v_dot4_i32_iu8 v1, v48, v155, v1 neg_lo:[1,1,0]
	v_mad_i32_i24 v0, v30, v209, v0
	s_delay_alu instid0(VALU_DEP_2) | instskip(NEXT) | instid1(VALU_DEP_2)
	v_mad_i32_i24 v1, v52, v154, v1
	v_dot4_i32_iu8 v0, v5, v210, v0 neg_lo:[1,1,0]
	s_delay_alu instid0(VALU_DEP_2) | instskip(NEXT) | instid1(VALU_DEP_2)
	v_dot4_i32_iu8 v1, v16, v153, v1 neg_lo:[1,1,0]
	;; [unrolled: 6-line block ×4, first 2 shown]
	v_mul_lo_u32 v0, v0, v214
	s_delay_alu instid0(VALU_DEP_1) | instskip(SKIP_1) | instid1(VALU_DEP_2)
	v_mad_co_u64_u32 v[0:1], null, v1, v148, v[0:1]
	v_mul_f32_e32 v1, v147, v8
	v_cvt_f32_i32_e32 v0, v0
	s_delay_alu instid0(VALU_DEP_1) | instskip(SKIP_1) | instid1(VALU_DEP_1)
	v_fmac_f32_e32 v43, v1, v0
	v_or_b32_e32 v0, s17, v104
	v_lshlrev_b32_e32 v1, 2, v0
	v_lshrrev_b32_e32 v0, 1, v0
	ds_load_b32 v8, v0 offset:38816
	ds_load_b128 v[4:7], v1 offset:25344
	ds_load_b128 v[0:3], v1 offset:25360
	s_wait_dscnt 0x1
	v_bfe_i32 v27, v4, 0, 8
	v_bfe_i32 v28, v4, 8, 8
	;; [unrolled: 1-line block ×3, first 2 shown]
	v_ashrrev_i32_e32 v47, 24, v4
	v_bfe_i32 v30, v5, 0, 8
	v_mul_i32_i24_e32 v57, v170, v27
	v_bfe_i32 v48, v5, 8, 8
	v_mul_i32_i24_e32 v61, v171, v16
	v_mul_i32_i24_e32 v62, v172, v47
	v_bfe_i32 v53, v5, 16, 8
	v_mad_i32_i24 v57, v173, v28, v57
	v_ashrrev_i32_e32 v59, 24, v5
	s_wait_dscnt 0x0
	v_bfe_i32 v46, v0, 0, 8
	v_bfe_i32 v49, v0, 8, 8
	;; [unrolled: 1-line block ×3, first 2 shown]
	v_add3_u32 v57, v57, v61, v62
	v_mul_i32_i24_e32 v61, v177, v30
	v_mul_i32_i24_e32 v62, v176, v48
	v_ashrrev_i32_e32 v73, 24, v0
	v_mul_i32_i24_e32 v87, v175, v53
	v_mul_i32_i24_e32 v88, v174, v59
	v_bfe_i32 v32, v6, 0, 8
	v_add3_u32 v57, v57, v61, v62
	v_mul_i32_i24_e32 v61, v186, v46
	v_bfe_i32 v63, v6, 8, 8
	v_bfe_i32 v52, v1, 0, 8
	;; [unrolled: 1-line block ×3, first 2 shown]
	v_add3_u32 v57, v57, v87, v88
	v_mul_i32_i24_e32 v62, v187, v72
	v_mul_i32_i24_e32 v87, v188, v73
	v_mad_i32_i24 v61, v189, v49, v61
	v_bfe_i32 v65, v6, 16, 8
	v_ashrrev_i32_e32 v67, 24, v6
	v_bfe_i32 v76, v1, 16, 8
	v_ashrrev_i32_e32 v79, 24, v1
	v_mul_i32_i24_e32 v89, v181, v32
	v_mul_i32_i24_e32 v90, v180, v63
	v_add3_u32 v61, v61, v62, v87
	v_mul_i32_i24_e32 v62, v193, v52
	v_mul_i32_i24_e32 v87, v192, v75
	v_bfe_i32 v35, v7, 0, 8
	v_bfe_i32 v68, v7, 8, 8
	;; [unrolled: 1-line block ×4, first 2 shown]
	v_mul_i32_i24_e32 v91, v179, v65
	v_mul_i32_i24_e32 v92, v178, v67
	v_add3_u32 v57, v57, v89, v90
	v_mul_i32_i24_e32 v88, v191, v76
	v_mul_i32_i24_e32 v89, v190, v79
	v_add3_u32 v61, v61, v62, v87
	v_bfe_i32 v70, v7, 16, 8
	v_ashrrev_i32_e32 v71, 24, v7
	v_bfe_i32 v81, v2, 16, 8
	v_ashrrev_i32_e32 v82, 24, v2
	v_mul_i32_i24_e32 v93, v185, v35
	v_mul_i32_i24_e32 v94, v184, v68
	v_add3_u32 v57, v57, v91, v92
	v_mul_i32_i24_e32 v90, v197, v54
	v_mul_i32_i24_e32 v91, v196, v80
	v_add3_u32 v61, v61, v88, v89
	v_bfe_i32 v56, v3, 0, 8
	v_bfe_i32 v83, v3, 8, 8
	v_mul_i32_i24_e32 v95, v183, v70
	v_mul_i32_i24_e32 v96, v182, v71
	v_add3_u32 v57, v57, v93, v94
	v_mul_i32_i24_e32 v92, v195, v81
	v_mul_i32_i24_e32 v93, v194, v82
	v_add3_u32 v61, v61, v90, v91
	v_bfe_i32 v85, v3, 16, 8
	v_ashrrev_i32_e32 v86, 24, v3
	v_add3_u32 v57, v57, v95, v96
	v_mul_i32_i24_e32 v94, v201, v56
	v_mul_i32_i24_e32 v95, v200, v83
	v_add3_u32 v61, v61, v92, v93
	v_mul_i32_i24_e32 v96, v199, v85
	v_mul_i32_i24_e32 v117, v198, v86
	v_mul_lo_u32 v57, v57, v206
	v_mul_i32_i24_e32 v16, v241, v16
	v_add3_u32 v61, v61, v94, v95
	v_mul_i32_i24_e32 v47, v240, v47
	v_mul_i32_i24_e32 v48, v245, v48
	v_mul_i32_i24_e32 v53, v244, v53
	v_perm_b32 v5, v5, v5, 0xc030201
	v_add3_u32 v61, v61, v96, v117
	v_perm_b32 v6, v6, v6, 0xc030201
	v_perm_b32 v2, v2, v2, 0xc030201
	;; [unrolled: 1-line block ×4, first 2 shown]
	v_mad_co_u64_u32 v[61:62], null, v61, v202, v[57:58]
	v_mul_f32_e32 v57, v11, v8
	v_mul_i32_i24_e32 v62, v248, v65
	v_mul_i32_i24_e32 v65, v254, v35
	s_delay_alu instid0(VALU_DEP_4) | instskip(NEXT) | instid1(VALU_DEP_1)
	v_cvt_f32_i32_e32 v61, v61
	v_fmac_f32_e32 v42, v57, v61
	v_mul_i32_i24_e32 v57, v242, v27
	v_mul_i32_i24_e32 v61, v249, v63
	;; [unrolled: 1-line block ×5, first 2 shown]
	v_mad_i32_i24 v57, v239, v28, v57
	v_mul_i32_i24_e32 v70, v251, v71
	v_mul_i32_i24_e32 v71, v233, v86
	s_delay_alu instid0(VALU_DEP_3) | instskip(SKIP_3) | instid1(VALU_DEP_3)
	v_add3_u32 v16, v57, v16, v47
	v_mul_i32_i24_e32 v47, v246, v30
	v_mul_i32_i24_e32 v57, v243, v59
	;; [unrolled: 1-line block ×3, first 2 shown]
	v_add3_u32 v16, v16, v47, v48
	v_mul_i32_i24_e32 v47, v51, v72
	v_mul_i32_i24_e32 v48, v37, v73
	s_delay_alu instid0(VALU_DEP_3) | instskip(SKIP_1) | instid1(VALU_DEP_2)
	v_add3_u32 v16, v16, v53, v57
	v_mul_i32_i24_e32 v53, v227, v76
	v_add3_u32 v16, v16, v59, v61
	v_mul_i32_i24_e32 v59, v226, v79
	v_mul_i32_i24_e32 v61, v232, v54
	s_delay_alu instid0(VALU_DEP_3) | instskip(SKIP_2) | instid1(VALU_DEP_3)
	v_add3_u32 v16, v16, v62, v63
	v_mul_i32_i24_e32 v62, v231, v80
	v_mul_i32_i24_e32 v63, v230, v81
	v_add3_u32 v16, v16, v65, v67
	v_mul_i32_i24_e32 v65, v229, v82
	v_mul_i32_i24_e32 v67, v236, v56
	s_delay_alu instid0(VALU_DEP_3) | instskip(SKIP_2) | instid1(VALU_DEP_3)
	v_add3_u32 v16, v16, v68, v70
	v_mul_i32_i24_e32 v68, v235, v83
	v_mul_i32_i24_e32 v70, v234, v85
	v_mul_lo_u32 v57, v16, v64
	v_mul_i32_i24_e32 v16, v58, v46
	s_delay_alu instid0(VALU_DEP_1) | instskip(NEXT) | instid1(VALU_DEP_1)
	v_mad_i32_i24 v16, v255, v49, v16
	v_add3_u32 v16, v16, v47, v48
	v_mul_i32_i24_e32 v47, v237, v52
	v_mul_i32_i24_e32 v48, v228, v75
	s_delay_alu instid0(VALU_DEP_1) | instskip(SKIP_1) | instid1(VALU_DEP_2)
	v_add3_u32 v16, v16, v47, v48
	v_perm_b32 v48, v0, v0, 0xc0c0302
	v_add3_u32 v16, v16, v53, v59
	s_delay_alu instid0(VALU_DEP_1) | instskip(NEXT) | instid1(VALU_DEP_1)
	v_add3_u32 v16, v16, v61, v62
	v_add3_u32 v16, v16, v63, v65
	s_delay_alu instid0(VALU_DEP_1) | instskip(NEXT) | instid1(VALU_DEP_1)
	v_add3_u32 v16, v16, v67, v68
	v_add3_u32 v16, v16, v70, v71
	s_delay_alu instid0(VALU_DEP_1) | instskip(SKIP_1) | instid1(VALU_DEP_2)
	v_mad_co_u64_u32 v[61:62], null, v16, v238, v[57:58]
	v_mul_f32_e32 v16, v159, v8
	v_cvt_f32_i32_e32 v47, v61
	s_delay_alu instid0(VALU_DEP_1) | instskip(SKIP_2) | instid1(VALU_DEP_2)
	v_fmac_f32_e32 v41, v16, v47
	v_mul_i32_i24_e32 v16, v27, v160
	v_perm_b32 v47, v4, v4, 0xc0c0302
	v_mad_i32_i24 v16, v28, v161, v16
	s_delay_alu instid0(VALU_DEP_1) | instskip(SKIP_1) | instid1(VALU_DEP_2)
	v_dot4_i32_iu8 v4, v47, v216, v16 neg_lo:[1,1,0]
	v_mul_i32_i24_e32 v16, v46, v222
	v_mad_i32_i24 v4, v30, v217, v4
	s_delay_alu instid0(VALU_DEP_2) | instskip(NEXT) | instid1(VALU_DEP_2)
	v_mad_i32_i24 v16, v49, v223, v16
	v_dot4_i32_iu8 v4, v5, v218, v4 neg_lo:[1,1,0]
	s_delay_alu instid0(VALU_DEP_2) | instskip(SKIP_1) | instid1(VALU_DEP_3)
	v_dot4_i32_iu8 v0, v48, v164, v16 neg_lo:[1,1,0]
	v_perm_b32 v16, v1, v1, 0xc030201
	v_mad_i32_i24 v4, v32, v215, v4
	s_delay_alu instid0(VALU_DEP_3) | instskip(NEXT) | instid1(VALU_DEP_2)
	v_mad_i32_i24 v0, v52, v165, v0
	v_dot4_i32_iu8 v4, v6, v219, v4 neg_lo:[1,1,0]
	s_delay_alu instid0(VALU_DEP_2) | instskip(NEXT) | instid1(VALU_DEP_2)
	v_dot4_i32_iu8 v0, v16, v166, v0 neg_lo:[1,1,0]
	v_mad_i32_i24 v4, v35, v213, v4
	s_delay_alu instid0(VALU_DEP_2) | instskip(NEXT) | instid1(VALU_DEP_2)
	v_mad_i32_i24 v0, v54, v163, v0
	v_dot4_i32_iu8 v4, v7, v220, v4 neg_lo:[1,1,0]
	s_delay_alu instid0(VALU_DEP_2) | instskip(NEXT) | instid1(VALU_DEP_2)
	v_dot4_i32_iu8 v0, v2, v167, v0 neg_lo:[1,1,0]
	v_mul_lo_u32 v4, v4, v221
	s_delay_alu instid0(VALU_DEP_2) | instskip(NEXT) | instid1(VALU_DEP_1)
	v_mad_i32_i24 v0, v56, v162, v0
	v_dot4_i32_iu8 v0, v3, v168, v0 neg_lo:[1,1,0]
	s_delay_alu instid0(VALU_DEP_1) | instskip(SKIP_1) | instid1(VALU_DEP_2)
	v_mad_co_u64_u32 v[0:1], null, v0, v169, v[4:5]
	v_mul_f32_e32 v1, v156, v8
	v_cvt_f32_i32_e32 v0, v0
	s_delay_alu instid0(VALU_DEP_1) | instskip(SKIP_2) | instid1(VALU_DEP_2)
	v_fmac_f32_e32 v40, v1, v0
	v_mul_i32_i24_e32 v0, v27, v203
	v_mul_i32_i24_e32 v1, v46, v158
	v_mad_i32_i24 v0, v28, v204, v0
	s_delay_alu instid0(VALU_DEP_2) | instskip(NEXT) | instid1(VALU_DEP_2)
	v_mad_i32_i24 v1, v49, v157, v1
	v_dot4_i32_iu8 v0, v47, v207, v0 neg_lo:[1,1,0]
	s_delay_alu instid0(VALU_DEP_2) | instskip(NEXT) | instid1(VALU_DEP_2)
	v_dot4_i32_iu8 v1, v48, v155, v1 neg_lo:[1,1,0]
	v_mad_i32_i24 v0, v30, v209, v0
	s_delay_alu instid0(VALU_DEP_2) | instskip(NEXT) | instid1(VALU_DEP_2)
	v_mad_i32_i24 v1, v52, v154, v1
	v_dot4_i32_iu8 v0, v5, v210, v0 neg_lo:[1,1,0]
	s_delay_alu instid0(VALU_DEP_2) | instskip(NEXT) | instid1(VALU_DEP_2)
	v_dot4_i32_iu8 v1, v16, v153, v1 neg_lo:[1,1,0]
	;; [unrolled: 6-line block ×4, first 2 shown]
	v_mul_lo_u32 v0, v0, v214
	s_delay_alu instid0(VALU_DEP_1) | instskip(SKIP_1) | instid1(VALU_DEP_2)
	v_mad_co_u64_u32 v[0:1], null, v1, v148, v[0:1]
	v_mul_f32_e32 v1, v147, v8
	v_cvt_f32_i32_e32 v0, v0
	s_delay_alu instid0(VALU_DEP_1) | instskip(SKIP_1) | instid1(VALU_DEP_1)
	v_fmac_f32_e32 v39, v1, v0
	v_or_b32_e32 v0, s17, v105
	v_lshlrev_b32_e32 v1, 2, v0
	v_lshrrev_b32_e32 v0, 1, v0
	ds_load_b32 v8, v0 offset:38816
	ds_load_b128 v[4:7], v1 offset:25344
	ds_load_b128 v[0:3], v1 offset:25360
	s_wait_dscnt 0x1
	v_bfe_i32 v27, v4, 0, 8
	v_bfe_i32 v28, v4, 8, 8
	;; [unrolled: 1-line block ×3, first 2 shown]
	v_ashrrev_i32_e32 v47, 24, v4
	v_bfe_i32 v30, v5, 0, 8
	v_mul_i32_i24_e32 v57, v170, v27
	v_bfe_i32 v48, v5, 8, 8
	v_mul_i32_i24_e32 v61, v171, v16
	v_mul_i32_i24_e32 v62, v172, v47
	v_bfe_i32 v53, v5, 16, 8
	v_mad_i32_i24 v57, v173, v28, v57
	v_ashrrev_i32_e32 v59, 24, v5
	s_wait_dscnt 0x0
	v_bfe_i32 v46, v0, 0, 8
	v_bfe_i32 v49, v0, 8, 8
	;; [unrolled: 1-line block ×3, first 2 shown]
	v_add3_u32 v57, v57, v61, v62
	v_mul_i32_i24_e32 v61, v177, v30
	v_mul_i32_i24_e32 v62, v176, v48
	v_ashrrev_i32_e32 v73, 24, v0
	v_mul_i32_i24_e32 v87, v175, v53
	v_mul_i32_i24_e32 v88, v174, v59
	v_bfe_i32 v32, v6, 0, 8
	v_add3_u32 v57, v57, v61, v62
	v_mul_i32_i24_e32 v61, v186, v46
	v_bfe_i32 v63, v6, 8, 8
	v_bfe_i32 v52, v1, 0, 8
	;; [unrolled: 1-line block ×3, first 2 shown]
	v_add3_u32 v57, v57, v87, v88
	v_mul_i32_i24_e32 v62, v187, v72
	v_mul_i32_i24_e32 v87, v188, v73
	v_mad_i32_i24 v61, v189, v49, v61
	v_bfe_i32 v65, v6, 16, 8
	v_ashrrev_i32_e32 v67, 24, v6
	v_bfe_i32 v76, v1, 16, 8
	v_ashrrev_i32_e32 v79, 24, v1
	v_mul_i32_i24_e32 v89, v181, v32
	v_mul_i32_i24_e32 v90, v180, v63
	v_add3_u32 v61, v61, v62, v87
	v_mul_i32_i24_e32 v62, v193, v52
	v_mul_i32_i24_e32 v87, v192, v75
	v_bfe_i32 v35, v7, 0, 8
	v_bfe_i32 v68, v7, 8, 8
	;; [unrolled: 1-line block ×4, first 2 shown]
	v_mul_i32_i24_e32 v91, v179, v65
	v_mul_i32_i24_e32 v92, v178, v67
	v_add3_u32 v57, v57, v89, v90
	v_mul_i32_i24_e32 v88, v191, v76
	v_mul_i32_i24_e32 v89, v190, v79
	v_add3_u32 v61, v61, v62, v87
	v_bfe_i32 v70, v7, 16, 8
	v_ashrrev_i32_e32 v71, 24, v7
	v_bfe_i32 v81, v2, 16, 8
	v_ashrrev_i32_e32 v82, 24, v2
	v_mul_i32_i24_e32 v93, v185, v35
	v_mul_i32_i24_e32 v94, v184, v68
	v_add3_u32 v57, v57, v91, v92
	v_mul_i32_i24_e32 v90, v197, v54
	v_mul_i32_i24_e32 v91, v196, v80
	v_add3_u32 v61, v61, v88, v89
	v_bfe_i32 v56, v3, 0, 8
	v_bfe_i32 v83, v3, 8, 8
	v_mul_i32_i24_e32 v95, v183, v70
	v_mul_i32_i24_e32 v96, v182, v71
	v_add3_u32 v57, v57, v93, v94
	v_mul_i32_i24_e32 v92, v195, v81
	v_mul_i32_i24_e32 v93, v194, v82
	v_add3_u32 v61, v61, v90, v91
	v_bfe_i32 v85, v3, 16, 8
	v_ashrrev_i32_e32 v86, 24, v3
	v_add3_u32 v57, v57, v95, v96
	v_mul_i32_i24_e32 v94, v201, v56
	v_mul_i32_i24_e32 v95, v200, v83
	v_add3_u32 v61, v61, v92, v93
	v_mul_i32_i24_e32 v96, v199, v85
	v_mul_i32_i24_e32 v117, v198, v86
	v_mul_lo_u32 v57, v57, v206
	v_mul_i32_i24_e32 v16, v241, v16
	v_add3_u32 v61, v61, v94, v95
	v_mul_i32_i24_e32 v47, v240, v47
	v_mul_i32_i24_e32 v48, v245, v48
	;; [unrolled: 1-line block ×3, first 2 shown]
	v_perm_b32 v5, v5, v5, 0xc030201
	v_add3_u32 v61, v61, v96, v117
	v_perm_b32 v6, v6, v6, 0xc030201
	v_perm_b32 v2, v2, v2, 0xc030201
	v_perm_b32 v7, v7, v7, 0xc030201
	v_perm_b32 v3, v3, v3, 0xc030201
	v_mad_co_u64_u32 v[61:62], null, v61, v202, v[57:58]
	v_mul_f32_e32 v57, v11, v8
	v_mul_i32_i24_e32 v62, v248, v65
	v_mul_i32_i24_e32 v65, v254, v35
	s_delay_alu instid0(VALU_DEP_4) | instskip(NEXT) | instid1(VALU_DEP_1)
	v_cvt_f32_i32_e32 v61, v61
	v_fmac_f32_e32 v38, v57, v61
	v_mul_i32_i24_e32 v57, v242, v27
	v_mul_i32_i24_e32 v61, v249, v63
	;; [unrolled: 1-line block ×5, first 2 shown]
	v_mad_i32_i24 v57, v239, v28, v57
	v_mul_i32_i24_e32 v70, v251, v71
	v_mul_i32_i24_e32 v71, v233, v86
	s_delay_alu instid0(VALU_DEP_3) | instskip(SKIP_3) | instid1(VALU_DEP_3)
	v_add3_u32 v16, v57, v16, v47
	v_mul_i32_i24_e32 v47, v246, v30
	v_mul_i32_i24_e32 v57, v243, v59
	;; [unrolled: 1-line block ×3, first 2 shown]
	v_add3_u32 v16, v16, v47, v48
	v_mul_i32_i24_e32 v47, v51, v72
	v_mul_i32_i24_e32 v48, v37, v73
	s_delay_alu instid0(VALU_DEP_3) | instskip(SKIP_1) | instid1(VALU_DEP_2)
	v_add3_u32 v16, v16, v53, v57
	v_mul_i32_i24_e32 v53, v227, v76
	v_add3_u32 v16, v16, v59, v61
	v_mul_i32_i24_e32 v59, v226, v79
	v_mul_i32_i24_e32 v61, v232, v54
	s_delay_alu instid0(VALU_DEP_3) | instskip(SKIP_2) | instid1(VALU_DEP_3)
	v_add3_u32 v16, v16, v62, v63
	v_mul_i32_i24_e32 v62, v231, v80
	v_mul_i32_i24_e32 v63, v230, v81
	v_add3_u32 v16, v16, v65, v67
	v_mul_i32_i24_e32 v65, v229, v82
	v_mul_i32_i24_e32 v67, v236, v56
	s_delay_alu instid0(VALU_DEP_3) | instskip(SKIP_2) | instid1(VALU_DEP_3)
	v_add3_u32 v16, v16, v68, v70
	v_mul_i32_i24_e32 v68, v235, v83
	v_mul_i32_i24_e32 v70, v234, v85
	v_mul_lo_u32 v57, v16, v64
	v_mul_i32_i24_e32 v16, v58, v46
	s_delay_alu instid0(VALU_DEP_1) | instskip(NEXT) | instid1(VALU_DEP_1)
	v_mad_i32_i24 v16, v255, v49, v16
	v_add3_u32 v16, v16, v47, v48
	v_mul_i32_i24_e32 v47, v237, v52
	v_mul_i32_i24_e32 v48, v228, v75
	s_delay_alu instid0(VALU_DEP_1) | instskip(SKIP_1) | instid1(VALU_DEP_2)
	v_add3_u32 v16, v16, v47, v48
	v_perm_b32 v48, v0, v0, 0xc0c0302
	v_add3_u32 v16, v16, v53, v59
	s_delay_alu instid0(VALU_DEP_1) | instskip(NEXT) | instid1(VALU_DEP_1)
	v_add3_u32 v16, v16, v61, v62
	v_add3_u32 v16, v16, v63, v65
	s_delay_alu instid0(VALU_DEP_1) | instskip(NEXT) | instid1(VALU_DEP_1)
	v_add3_u32 v16, v16, v67, v68
	v_add3_u32 v16, v16, v70, v71
	s_delay_alu instid0(VALU_DEP_1) | instskip(SKIP_1) | instid1(VALU_DEP_2)
	v_mad_co_u64_u32 v[61:62], null, v16, v238, v[57:58]
	v_mul_f32_e32 v16, v159, v8
	v_cvt_f32_i32_e32 v47, v61
	s_delay_alu instid0(VALU_DEP_1) | instskip(SKIP_2) | instid1(VALU_DEP_2)
	v_fmac_f32_e32 v36, v16, v47
	v_mul_i32_i24_e32 v16, v27, v160
	v_perm_b32 v47, v4, v4, 0xc0c0302
	v_mad_i32_i24 v16, v28, v161, v16
	s_delay_alu instid0(VALU_DEP_1) | instskip(SKIP_1) | instid1(VALU_DEP_2)
	v_dot4_i32_iu8 v4, v47, v216, v16 neg_lo:[1,1,0]
	v_mul_i32_i24_e32 v16, v46, v222
	v_mad_i32_i24 v4, v30, v217, v4
	s_delay_alu instid0(VALU_DEP_2) | instskip(NEXT) | instid1(VALU_DEP_2)
	v_mad_i32_i24 v16, v49, v223, v16
	v_dot4_i32_iu8 v4, v5, v218, v4 neg_lo:[1,1,0]
	s_delay_alu instid0(VALU_DEP_2) | instskip(SKIP_1) | instid1(VALU_DEP_3)
	v_dot4_i32_iu8 v0, v48, v164, v16 neg_lo:[1,1,0]
	v_perm_b32 v16, v1, v1, 0xc030201
	v_mad_i32_i24 v4, v32, v215, v4
	s_delay_alu instid0(VALU_DEP_3) | instskip(NEXT) | instid1(VALU_DEP_2)
	v_mad_i32_i24 v0, v52, v165, v0
	v_dot4_i32_iu8 v4, v6, v219, v4 neg_lo:[1,1,0]
	s_delay_alu instid0(VALU_DEP_2) | instskip(NEXT) | instid1(VALU_DEP_2)
	v_dot4_i32_iu8 v0, v16, v166, v0 neg_lo:[1,1,0]
	v_mad_i32_i24 v4, v35, v213, v4
	s_delay_alu instid0(VALU_DEP_2) | instskip(NEXT) | instid1(VALU_DEP_2)
	v_mad_i32_i24 v0, v54, v163, v0
	v_dot4_i32_iu8 v4, v7, v220, v4 neg_lo:[1,1,0]
	s_delay_alu instid0(VALU_DEP_2) | instskip(NEXT) | instid1(VALU_DEP_2)
	v_dot4_i32_iu8 v0, v2, v167, v0 neg_lo:[1,1,0]
	v_mul_lo_u32 v4, v4, v221
	s_delay_alu instid0(VALU_DEP_2) | instskip(NEXT) | instid1(VALU_DEP_1)
	v_mad_i32_i24 v0, v56, v162, v0
	v_dot4_i32_iu8 v0, v3, v168, v0 neg_lo:[1,1,0]
	s_delay_alu instid0(VALU_DEP_1) | instskip(SKIP_1) | instid1(VALU_DEP_2)
	v_mad_co_u64_u32 v[0:1], null, v0, v169, v[4:5]
	v_mul_f32_e32 v1, v156, v8
	v_cvt_f32_i32_e32 v0, v0
	s_delay_alu instid0(VALU_DEP_1) | instskip(SKIP_2) | instid1(VALU_DEP_2)
	v_fmac_f32_e32 v34, v1, v0
	v_mul_i32_i24_e32 v0, v27, v203
	v_mul_i32_i24_e32 v1, v46, v158
	v_mad_i32_i24 v0, v28, v204, v0
	s_delay_alu instid0(VALU_DEP_2) | instskip(NEXT) | instid1(VALU_DEP_2)
	v_mad_i32_i24 v1, v49, v157, v1
	v_dot4_i32_iu8 v0, v47, v207, v0 neg_lo:[1,1,0]
	s_delay_alu instid0(VALU_DEP_2) | instskip(NEXT) | instid1(VALU_DEP_2)
	v_dot4_i32_iu8 v1, v48, v155, v1 neg_lo:[1,1,0]
	v_mad_i32_i24 v0, v30, v209, v0
	s_delay_alu instid0(VALU_DEP_2) | instskip(NEXT) | instid1(VALU_DEP_2)
	v_mad_i32_i24 v1, v52, v154, v1
	v_dot4_i32_iu8 v0, v5, v210, v0 neg_lo:[1,1,0]
	s_delay_alu instid0(VALU_DEP_2) | instskip(NEXT) | instid1(VALU_DEP_2)
	v_dot4_i32_iu8 v1, v16, v153, v1 neg_lo:[1,1,0]
	;; [unrolled: 6-line block ×4, first 2 shown]
	v_mul_lo_u32 v0, v0, v214
	s_delay_alu instid0(VALU_DEP_1) | instskip(SKIP_1) | instid1(VALU_DEP_2)
	v_mad_co_u64_u32 v[0:1], null, v1, v148, v[0:1]
	v_mul_f32_e32 v1, v147, v8
	v_cvt_f32_i32_e32 v0, v0
	s_delay_alu instid0(VALU_DEP_1) | instskip(SKIP_1) | instid1(VALU_DEP_1)
	v_fmac_f32_e32 v31, v1, v0
	v_or_b32_e32 v0, s17, v106
	v_lshlrev_b32_e32 v1, 2, v0
	v_lshrrev_b32_e32 v0, 1, v0
	ds_load_b32 v8, v0 offset:38816
	ds_load_b128 v[4:7], v1 offset:25344
	ds_load_b128 v[0:3], v1 offset:25360
	s_wait_dscnt 0x1
	v_bfe_i32 v27, v4, 0, 8
	v_bfe_i32 v28, v4, 8, 8
	;; [unrolled: 1-line block ×3, first 2 shown]
	v_ashrrev_i32_e32 v47, 24, v4
	v_bfe_i32 v30, v5, 0, 8
	v_mul_i32_i24_e32 v57, v170, v27
	v_bfe_i32 v48, v5, 8, 8
	v_mul_i32_i24_e32 v61, v171, v16
	v_mul_i32_i24_e32 v62, v172, v47
	v_bfe_i32 v53, v5, 16, 8
	v_mad_i32_i24 v57, v173, v28, v57
	v_ashrrev_i32_e32 v59, 24, v5
	s_wait_dscnt 0x0
	v_bfe_i32 v46, v0, 0, 8
	v_bfe_i32 v49, v0, 8, 8
	;; [unrolled: 1-line block ×3, first 2 shown]
	v_add3_u32 v57, v57, v61, v62
	v_mul_i32_i24_e32 v61, v177, v30
	v_mul_i32_i24_e32 v62, v176, v48
	v_ashrrev_i32_e32 v73, 24, v0
	v_mul_i32_i24_e32 v87, v175, v53
	v_mul_i32_i24_e32 v88, v174, v59
	v_bfe_i32 v32, v6, 0, 8
	v_add3_u32 v57, v57, v61, v62
	v_mul_i32_i24_e32 v61, v186, v46
	v_bfe_i32 v63, v6, 8, 8
	v_bfe_i32 v52, v1, 0, 8
	;; [unrolled: 1-line block ×3, first 2 shown]
	v_add3_u32 v57, v57, v87, v88
	v_mul_i32_i24_e32 v62, v187, v72
	v_mul_i32_i24_e32 v87, v188, v73
	v_mad_i32_i24 v61, v189, v49, v61
	v_bfe_i32 v65, v6, 16, 8
	v_ashrrev_i32_e32 v67, 24, v6
	v_bfe_i32 v76, v1, 16, 8
	v_ashrrev_i32_e32 v79, 24, v1
	v_mul_i32_i24_e32 v89, v181, v32
	v_mul_i32_i24_e32 v90, v180, v63
	v_add3_u32 v61, v61, v62, v87
	v_mul_i32_i24_e32 v62, v193, v52
	v_mul_i32_i24_e32 v87, v192, v75
	v_bfe_i32 v35, v7, 0, 8
	v_bfe_i32 v68, v7, 8, 8
	;; [unrolled: 1-line block ×4, first 2 shown]
	v_mul_i32_i24_e32 v91, v179, v65
	v_mul_i32_i24_e32 v92, v178, v67
	v_add3_u32 v57, v57, v89, v90
	v_mul_i32_i24_e32 v88, v191, v76
	v_mul_i32_i24_e32 v89, v190, v79
	v_add3_u32 v61, v61, v62, v87
	v_bfe_i32 v70, v7, 16, 8
	v_ashrrev_i32_e32 v71, 24, v7
	v_bfe_i32 v81, v2, 16, 8
	v_ashrrev_i32_e32 v82, 24, v2
	v_mul_i32_i24_e32 v93, v185, v35
	v_mul_i32_i24_e32 v94, v184, v68
	v_add3_u32 v57, v57, v91, v92
	v_mul_i32_i24_e32 v90, v197, v54
	v_mul_i32_i24_e32 v91, v196, v80
	v_add3_u32 v61, v61, v88, v89
	v_bfe_i32 v56, v3, 0, 8
	v_bfe_i32 v83, v3, 8, 8
	v_mul_i32_i24_e32 v95, v183, v70
	v_mul_i32_i24_e32 v96, v182, v71
	v_add3_u32 v57, v57, v93, v94
	v_mul_i32_i24_e32 v92, v195, v81
	v_mul_i32_i24_e32 v93, v194, v82
	v_add3_u32 v61, v61, v90, v91
	v_bfe_i32 v85, v3, 16, 8
	v_ashrrev_i32_e32 v86, 24, v3
	v_add3_u32 v57, v57, v95, v96
	v_mul_i32_i24_e32 v94, v201, v56
	v_mul_i32_i24_e32 v95, v200, v83
	v_add3_u32 v61, v61, v92, v93
	v_mul_i32_i24_e32 v96, v199, v85
	v_mul_i32_i24_e32 v117, v198, v86
	v_mul_lo_u32 v57, v57, v206
	v_mul_i32_i24_e32 v16, v241, v16
	v_add3_u32 v61, v61, v94, v95
	v_mul_i32_i24_e32 v47, v240, v47
	v_mul_i32_i24_e32 v48, v245, v48
	;; [unrolled: 1-line block ×3, first 2 shown]
	v_perm_b32 v5, v5, v5, 0xc030201
	v_add3_u32 v61, v61, v96, v117
	v_perm_b32 v6, v6, v6, 0xc030201
	v_perm_b32 v2, v2, v2, 0xc030201
	;; [unrolled: 1-line block ×4, first 2 shown]
	v_mad_co_u64_u32 v[61:62], null, v61, v202, v[57:58]
	v_mul_f32_e32 v57, v11, v8
	v_mul_i32_i24_e32 v62, v248, v65
	v_mul_i32_i24_e32 v65, v254, v35
	s_delay_alu instid0(VALU_DEP_4) | instskip(NEXT) | instid1(VALU_DEP_1)
	v_cvt_f32_i32_e32 v61, v61
	v_fmac_f32_e32 v29, v57, v61
	v_mul_i32_i24_e32 v57, v242, v27
	v_mul_i32_i24_e32 v61, v249, v63
	;; [unrolled: 1-line block ×5, first 2 shown]
	v_mad_i32_i24 v57, v239, v28, v57
	v_mul_i32_i24_e32 v70, v251, v71
	v_mul_i32_i24_e32 v71, v233, v86
	s_delay_alu instid0(VALU_DEP_3) | instskip(SKIP_3) | instid1(VALU_DEP_3)
	v_add3_u32 v16, v57, v16, v47
	v_mul_i32_i24_e32 v47, v246, v30
	v_mul_i32_i24_e32 v57, v243, v59
	v_mul_i32_i24_e32 v59, v250, v32
	v_add3_u32 v16, v16, v47, v48
	v_mul_i32_i24_e32 v47, v51, v72
	v_mul_i32_i24_e32 v48, v37, v73
	s_delay_alu instid0(VALU_DEP_3) | instskip(SKIP_1) | instid1(VALU_DEP_2)
	v_add3_u32 v16, v16, v53, v57
	v_mul_i32_i24_e32 v53, v227, v76
	v_add3_u32 v16, v16, v59, v61
	v_mul_i32_i24_e32 v59, v226, v79
	v_mul_i32_i24_e32 v61, v232, v54
	s_delay_alu instid0(VALU_DEP_3) | instskip(SKIP_2) | instid1(VALU_DEP_3)
	v_add3_u32 v16, v16, v62, v63
	v_mul_i32_i24_e32 v62, v231, v80
	v_mul_i32_i24_e32 v63, v230, v81
	v_add3_u32 v16, v16, v65, v67
	v_mul_i32_i24_e32 v65, v229, v82
	v_mul_i32_i24_e32 v67, v236, v56
	s_delay_alu instid0(VALU_DEP_3) | instskip(SKIP_2) | instid1(VALU_DEP_3)
	v_add3_u32 v16, v16, v68, v70
	v_mul_i32_i24_e32 v68, v235, v83
	v_mul_i32_i24_e32 v70, v234, v85
	v_mul_lo_u32 v57, v16, v64
	v_mul_i32_i24_e32 v16, v58, v46
	s_delay_alu instid0(VALU_DEP_1) | instskip(NEXT) | instid1(VALU_DEP_1)
	v_mad_i32_i24 v16, v255, v49, v16
	v_add3_u32 v16, v16, v47, v48
	v_mul_i32_i24_e32 v47, v237, v52
	v_mul_i32_i24_e32 v48, v228, v75
	s_delay_alu instid0(VALU_DEP_1) | instskip(SKIP_1) | instid1(VALU_DEP_2)
	v_add3_u32 v16, v16, v47, v48
	v_perm_b32 v48, v0, v0, 0xc0c0302
	v_add3_u32 v16, v16, v53, v59
	s_delay_alu instid0(VALU_DEP_1) | instskip(NEXT) | instid1(VALU_DEP_1)
	v_add3_u32 v16, v16, v61, v62
	v_add3_u32 v16, v16, v63, v65
	s_delay_alu instid0(VALU_DEP_1) | instskip(NEXT) | instid1(VALU_DEP_1)
	v_add3_u32 v16, v16, v67, v68
	v_add3_u32 v16, v16, v70, v71
	s_delay_alu instid0(VALU_DEP_1) | instskip(SKIP_1) | instid1(VALU_DEP_2)
	v_mad_co_u64_u32 v[61:62], null, v16, v238, v[57:58]
	v_mul_f32_e32 v16, v159, v8
	v_cvt_f32_i32_e32 v47, v61
	s_delay_alu instid0(VALU_DEP_1) | instskip(SKIP_2) | instid1(VALU_DEP_2)
	v_fmac_f32_e32 v26, v16, v47
	v_mul_i32_i24_e32 v16, v27, v160
	v_perm_b32 v47, v4, v4, 0xc0c0302
	v_mad_i32_i24 v16, v28, v161, v16
	s_delay_alu instid0(VALU_DEP_1) | instskip(SKIP_1) | instid1(VALU_DEP_2)
	v_dot4_i32_iu8 v4, v47, v216, v16 neg_lo:[1,1,0]
	v_mul_i32_i24_e32 v16, v46, v222
	v_mad_i32_i24 v4, v30, v217, v4
	s_delay_alu instid0(VALU_DEP_2) | instskip(NEXT) | instid1(VALU_DEP_2)
	v_mad_i32_i24 v16, v49, v223, v16
	v_dot4_i32_iu8 v4, v5, v218, v4 neg_lo:[1,1,0]
	s_delay_alu instid0(VALU_DEP_2) | instskip(SKIP_1) | instid1(VALU_DEP_3)
	v_dot4_i32_iu8 v0, v48, v164, v16 neg_lo:[1,1,0]
	v_perm_b32 v16, v1, v1, 0xc030201
	v_mad_i32_i24 v4, v32, v215, v4
	s_delay_alu instid0(VALU_DEP_3) | instskip(NEXT) | instid1(VALU_DEP_2)
	v_mad_i32_i24 v0, v52, v165, v0
	v_dot4_i32_iu8 v4, v6, v219, v4 neg_lo:[1,1,0]
	s_delay_alu instid0(VALU_DEP_2) | instskip(NEXT) | instid1(VALU_DEP_2)
	v_dot4_i32_iu8 v0, v16, v166, v0 neg_lo:[1,1,0]
	v_mad_i32_i24 v4, v35, v213, v4
	s_delay_alu instid0(VALU_DEP_2) | instskip(NEXT) | instid1(VALU_DEP_2)
	v_mad_i32_i24 v0, v54, v163, v0
	v_dot4_i32_iu8 v4, v7, v220, v4 neg_lo:[1,1,0]
	s_delay_alu instid0(VALU_DEP_2) | instskip(NEXT) | instid1(VALU_DEP_2)
	v_dot4_i32_iu8 v0, v2, v167, v0 neg_lo:[1,1,0]
	v_mul_lo_u32 v4, v4, v221
	s_delay_alu instid0(VALU_DEP_2) | instskip(NEXT) | instid1(VALU_DEP_1)
	v_mad_i32_i24 v0, v56, v162, v0
	v_dot4_i32_iu8 v0, v3, v168, v0 neg_lo:[1,1,0]
	s_delay_alu instid0(VALU_DEP_1) | instskip(SKIP_1) | instid1(VALU_DEP_2)
	v_mad_co_u64_u32 v[0:1], null, v0, v169, v[4:5]
	v_mul_f32_e32 v1, v156, v8
	v_cvt_f32_i32_e32 v0, v0
	s_delay_alu instid0(VALU_DEP_1) | instskip(SKIP_2) | instid1(VALU_DEP_2)
	v_fmac_f32_e32 v24, v1, v0
	v_mul_i32_i24_e32 v0, v27, v203
	v_mul_i32_i24_e32 v1, v46, v158
	v_mad_i32_i24 v0, v28, v204, v0
	s_delay_alu instid0(VALU_DEP_2) | instskip(NEXT) | instid1(VALU_DEP_2)
	v_mad_i32_i24 v1, v49, v157, v1
	v_dot4_i32_iu8 v0, v47, v207, v0 neg_lo:[1,1,0]
	s_delay_alu instid0(VALU_DEP_2) | instskip(NEXT) | instid1(VALU_DEP_2)
	v_dot4_i32_iu8 v1, v48, v155, v1 neg_lo:[1,1,0]
	v_mad_i32_i24 v0, v30, v209, v0
	s_delay_alu instid0(VALU_DEP_2) | instskip(NEXT) | instid1(VALU_DEP_2)
	v_mad_i32_i24 v1, v52, v154, v1
	v_dot4_i32_iu8 v0, v5, v210, v0 neg_lo:[1,1,0]
	s_delay_alu instid0(VALU_DEP_2) | instskip(NEXT) | instid1(VALU_DEP_2)
	v_dot4_i32_iu8 v1, v16, v153, v1 neg_lo:[1,1,0]
	;; [unrolled: 6-line block ×4, first 2 shown]
	v_mul_lo_u32 v0, v0, v214
	s_delay_alu instid0(VALU_DEP_1) | instskip(SKIP_1) | instid1(VALU_DEP_2)
	v_mad_co_u64_u32 v[0:1], null, v1, v148, v[0:1]
	v_mul_f32_e32 v1, v147, v8
	v_cvt_f32_i32_e32 v0, v0
	s_delay_alu instid0(VALU_DEP_1) | instskip(SKIP_1) | instid1(VALU_DEP_1)
	v_fmac_f32_e32 v23, v1, v0
	v_or_b32_e32 v0, s17, v107
	v_lshlrev_b32_e32 v1, 2, v0
	v_lshrrev_b32_e32 v0, 1, v0
	ds_load_b32 v4, v0 offset:38816
	ds_load_b128 v[117:120], v1 offset:25344
	ds_load_b128 v[0:3], v1 offset:25360
	s_wait_dscnt 0x1
	v_bfe_i32 v5, v117, 0, 8
	v_bfe_i32 v6, v117, 8, 8
	v_bfe_i32 v16, v117, 16, 8
	v_ashrrev_i32_e32 v47, 24, v117
	v_bfe_i32 v7, v118, 0, 8
	v_mul_i32_i24_e32 v49, v170, v5
	v_bfe_i32 v48, v118, 8, 8
	v_mul_i32_i24_e32 v56, v171, v16
	v_mul_i32_i24_e32 v57, v172, v47
	v_bfe_i32 v52, v118, 16, 8
	v_mad_i32_i24 v49, v173, v6, v49
	v_ashrrev_i32_e32 v53, 24, v118
	s_wait_dscnt 0x0
	v_bfe_i32 v28, v0, 0, 8
	v_bfe_i32 v30, v0, 8, 8
	;; [unrolled: 1-line block ×3, first 2 shown]
	v_add3_u32 v49, v49, v56, v57
	v_mul_i32_i24_e32 v56, v177, v7
	v_mul_i32_i24_e32 v57, v176, v48
	v_ashrrev_i32_e32 v68, 24, v0
	v_mul_i32_i24_e32 v82, v175, v52
	v_mul_i32_i24_e32 v83, v174, v53
	v_bfe_i32 v8, v119, 0, 8
	v_add3_u32 v49, v49, v56, v57
	v_mul_i32_i24_e32 v56, v186, v28
	v_bfe_i32 v54, v119, 8, 8
	v_bfe_i32 v32, v1, 0, 8
	;; [unrolled: 1-line block ×3, first 2 shown]
	v_add3_u32 v49, v49, v82, v83
	v_mul_i32_i24_e32 v57, v187, v67
	v_mul_i32_i24_e32 v82, v188, v68
	v_mad_i32_i24 v56, v189, v30, v56
	v_bfe_i32 v59, v119, 16, 8
	v_ashrrev_i32_e32 v61, 24, v119
	v_bfe_i32 v71, v1, 16, 8
	v_ashrrev_i32_e32 v72, 24, v1
	v_mul_i32_i24_e32 v85, v181, v8
	v_mul_i32_i24_e32 v86, v180, v54
	v_add3_u32 v56, v56, v57, v82
	v_mul_i32_i24_e32 v57, v193, v32
	v_mul_i32_i24_e32 v82, v192, v70
	v_bfe_i32 v27, v120, 0, 8
	v_bfe_i32 v62, v120, 8, 8
	v_bfe_i32 v35, v2, 0, 8
	v_bfe_i32 v73, v2, 8, 8
	v_mul_i32_i24_e32 v87, v179, v59
	v_mul_i32_i24_e32 v88, v178, v61
	v_add3_u32 v49, v49, v85, v86
	v_mul_i32_i24_e32 v83, v191, v71
	v_mul_i32_i24_e32 v85, v190, v72
	v_add3_u32 v56, v56, v57, v82
	v_bfe_i32 v63, v120, 16, 8
	v_ashrrev_i32_e32 v65, 24, v120
	v_bfe_i32 v75, v2, 16, 8
	v_ashrrev_i32_e32 v76, 24, v2
	v_mul_i32_i24_e32 v89, v185, v27
	v_mul_i32_i24_e32 v90, v184, v62
	v_add3_u32 v49, v49, v87, v88
	v_mul_i32_i24_e32 v86, v197, v35
	v_mul_i32_i24_e32 v87, v196, v73
	v_add3_u32 v56, v56, v83, v85
	v_bfe_i32 v46, v3, 0, 8
	v_bfe_i32 v79, v3, 8, 8
	v_mul_i32_i24_e32 v91, v183, v63
	v_mul_i32_i24_e32 v92, v182, v65
	v_add3_u32 v49, v49, v89, v90
	v_mul_i32_i24_e32 v88, v195, v75
	v_mul_i32_i24_e32 v89, v194, v76
	v_add3_u32 v56, v56, v86, v87
	v_bfe_i32 v80, v3, 16, 8
	v_ashrrev_i32_e32 v81, 24, v3
	v_add3_u32 v49, v49, v91, v92
	v_mul_i32_i24_e32 v90, v201, v46
	v_mul_i32_i24_e32 v91, v200, v79
	v_add3_u32 v56, v56, v88, v89
	v_mul_i32_i24_e32 v92, v199, v80
	v_mul_i32_i24_e32 v93, v198, v81
	v_mul_lo_u32 v49, v49, v206
	v_mul_i32_i24_e32 v16, v241, v16
	v_add3_u32 v56, v56, v90, v91
	v_mul_i32_i24_e32 v47, v240, v47
	v_mul_i32_i24_e32 v48, v245, v48
	;; [unrolled: 1-line block ×3, first 2 shown]
	v_perm_b32 v2, v2, v2, 0xc030201
	v_add3_u32 v56, v56, v92, v93
	v_perm_b32 v3, v3, v3, 0xc030201
	s_delay_alu instid0(VALU_DEP_2)
	v_mad_co_u64_u32 v[56:57], null, v56, v202, v[49:50]
	v_mul_f32_e32 v49, v11, v4
	v_mul_i32_i24_e32 v57, v247, v61
	v_mul_i32_i24_e32 v61, v253, v62
	;; [unrolled: 1-line block ×5, first 2 shown]
	v_cvt_f32_i32_e32 v56, v56
	s_delay_alu instid0(VALU_DEP_1) | instskip(SKIP_3) | instid1(VALU_DEP_3)
	v_fmac_f32_e32 v22, v49, v56
	v_mul_i32_i24_e32 v49, v242, v5
	v_mul_i32_i24_e32 v56, v248, v59
	;; [unrolled: 1-line block ×3, first 2 shown]
	v_mad_i32_i24 v49, v239, v6, v49
	s_delay_alu instid0(VALU_DEP_1) | instskip(SKIP_4) | instid1(VALU_DEP_4)
	v_add3_u32 v16, v49, v16, v47
	v_mul_i32_i24_e32 v47, v246, v7
	v_mul_i32_i24_e32 v49, v244, v52
	;; [unrolled: 1-line block ×4, first 2 shown]
	v_add3_u32 v16, v16, v47, v48
	v_mul_i32_i24_e32 v47, v51, v67
	v_mul_i32_i24_e32 v48, v37, v68
	s_delay_alu instid0(VALU_DEP_3) | instskip(SKIP_1) | instid1(VALU_DEP_2)
	v_add3_u32 v16, v16, v49, v52
	v_mul_i32_i24_e32 v52, v227, v71
	v_add3_u32 v16, v16, v53, v54
	v_mul_i32_i24_e32 v53, v226, v72
	v_mul_i32_i24_e32 v54, v232, v35
	s_delay_alu instid0(VALU_DEP_3) | instskip(SKIP_2) | instid1(VALU_DEP_3)
	v_add3_u32 v16, v16, v56, v57
	v_mul_i32_i24_e32 v56, v231, v73
	v_mul_i32_i24_e32 v57, v230, v75
	v_add3_u32 v16, v16, v59, v61
	v_mul_i32_i24_e32 v59, v229, v76
	v_mul_i32_i24_e32 v61, v236, v46
	s_delay_alu instid0(VALU_DEP_3) | instskip(SKIP_2) | instid1(VALU_DEP_3)
	v_add3_u32 v16, v16, v62, v63
	v_mul_i32_i24_e32 v62, v235, v79
	v_mul_i32_i24_e32 v63, v234, v80
	v_mul_lo_u32 v49, v16, v64
	v_mul_i32_i24_e32 v16, v58, v28
	s_delay_alu instid0(VALU_DEP_1) | instskip(NEXT) | instid1(VALU_DEP_1)
	v_mad_i32_i24 v16, v255, v30, v16
	v_add3_u32 v16, v16, v47, v48
	v_mul_i32_i24_e32 v47, v237, v32
	v_mul_i32_i24_e32 v48, v228, v70
	s_delay_alu instid0(VALU_DEP_1) | instskip(SKIP_1) | instid1(VALU_DEP_2)
	v_add3_u32 v16, v16, v47, v48
	v_perm_b32 v48, v118, v118, 0xc030201
	v_add3_u32 v16, v16, v52, v53
	v_perm_b32 v52, v119, v119, 0xc030201
	v_perm_b32 v53, v120, v120, 0xc030201
	s_delay_alu instid0(VALU_DEP_3) | instskip(SKIP_1) | instid1(VALU_DEP_2)
	v_add3_u32 v16, v16, v54, v56
	v_perm_b32 v54, v0, v0, 0xc0c0302
	v_add3_u32 v16, v16, v57, v59
	s_delay_alu instid0(VALU_DEP_1) | instskip(NEXT) | instid1(VALU_DEP_1)
	v_add3_u32 v16, v16, v61, v62
	v_add3_u32 v16, v16, v63, v65
	s_delay_alu instid0(VALU_DEP_1) | instskip(SKIP_1) | instid1(VALU_DEP_2)
	v_mad_co_u64_u32 v[56:57], null, v16, v238, v[49:50]
	v_mul_f32_e32 v16, v159, v4
	v_cvt_f32_i32_e32 v47, v56
	s_delay_alu instid0(VALU_DEP_1) | instskip(SKIP_2) | instid1(VALU_DEP_2)
	v_fmac_f32_e32 v21, v16, v47
	v_mul_i32_i24_e32 v16, v5, v160
	v_perm_b32 v47, v117, v117, 0xc0c0302
	v_mad_i32_i24 v16, v6, v161, v16
	s_delay_alu instid0(VALU_DEP_1) | instskip(NEXT) | instid1(VALU_DEP_1)
	v_dot4_i32_iu8 v16, v47, v216, v16 neg_lo:[1,1,0]
	v_mad_i32_i24 v16, v7, v217, v16
	s_delay_alu instid0(VALU_DEP_1) | instskip(NEXT) | instid1(VALU_DEP_1)
	v_dot4_i32_iu8 v16, v48, v218, v16 neg_lo:[1,1,0]
	;; [unrolled: 3-line block ×4, first 2 shown]
	v_mul_lo_u32 v49, v16, v221
	v_mul_i32_i24_e32 v16, v28, v222
	s_delay_alu instid0(VALU_DEP_1) | instskip(NEXT) | instid1(VALU_DEP_1)
	v_mad_i32_i24 v16, v30, v223, v16
	v_dot4_i32_iu8 v0, v54, v164, v16 neg_lo:[1,1,0]
	v_perm_b32 v16, v1, v1, 0xc030201
	s_delay_alu instid0(VALU_DEP_2) | instskip(NEXT) | instid1(VALU_DEP_1)
	v_mad_i32_i24 v0, v32, v165, v0
	v_dot4_i32_iu8 v0, v16, v166, v0 neg_lo:[1,1,0]
	s_delay_alu instid0(VALU_DEP_1) | instskip(NEXT) | instid1(VALU_DEP_1)
	v_mad_i32_i24 v0, v35, v163, v0
	v_dot4_i32_iu8 v0, v2, v167, v0 neg_lo:[1,1,0]
	s_delay_alu instid0(VALU_DEP_1) | instskip(NEXT) | instid1(VALU_DEP_1)
	v_mad_i32_i24 v0, v46, v162, v0
	v_dot4_i32_iu8 v0, v3, v168, v0 neg_lo:[1,1,0]
	s_delay_alu instid0(VALU_DEP_1) | instskip(SKIP_1) | instid1(VALU_DEP_2)
	v_mad_co_u64_u32 v[0:1], null, v0, v169, v[49:50]
	v_mul_f32_e32 v1, v156, v4
	v_cvt_f32_i32_e32 v0, v0
	s_delay_alu instid0(VALU_DEP_1) | instskip(SKIP_2) | instid1(VALU_DEP_2)
	v_fmac_f32_e32 v20, v1, v0
	v_mul_i32_i24_e32 v0, v5, v203
	v_mul_i32_i24_e32 v1, v28, v158
	v_mad_i32_i24 v0, v6, v204, v0
	s_delay_alu instid0(VALU_DEP_2) | instskip(NEXT) | instid1(VALU_DEP_2)
	v_mad_i32_i24 v1, v30, v157, v1
	v_dot4_i32_iu8 v0, v47, v207, v0 neg_lo:[1,1,0]
	s_delay_alu instid0(VALU_DEP_2) | instskip(NEXT) | instid1(VALU_DEP_2)
	v_dot4_i32_iu8 v1, v54, v155, v1 neg_lo:[1,1,0]
	v_mad_i32_i24 v0, v7, v209, v0
	s_delay_alu instid0(VALU_DEP_2) | instskip(NEXT) | instid1(VALU_DEP_2)
	v_mad_i32_i24 v1, v32, v154, v1
	v_dot4_i32_iu8 v0, v48, v210, v0 neg_lo:[1,1,0]
	s_delay_alu instid0(VALU_DEP_2) | instskip(NEXT) | instid1(VALU_DEP_2)
	v_dot4_i32_iu8 v1, v16, v153, v1 neg_lo:[1,1,0]
	;; [unrolled: 6-line block ×4, first 2 shown]
	v_mul_lo_u32 v0, v0, v214
	s_delay_alu instid0(VALU_DEP_1) | instskip(SKIP_1) | instid1(VALU_DEP_2)
	v_mad_co_u64_u32 v[0:1], null, v1, v148, v[0:1]
	v_mul_f32_e32 v1, v147, v4
	v_cvt_f32_i32_e32 v0, v0
	s_delay_alu instid0(VALU_DEP_1) | instskip(SKIP_1) | instid1(VALU_DEP_1)
	v_fmac_f32_e32 v18, v1, v0
	v_or_b32_e32 v0, s17, v108
	v_lshlrev_b32_e32 v1, 2, v0
	v_lshrrev_b32_e32 v0, 1, v0
	ds_load_b32 v224, v0 offset:38816
	ds_load_b128 v[4:7], v1 offset:25344
	ds_load_b128 v[0:3], v1 offset:25360
	s_wait_dscnt 0x2
	v_mul_f32_e32 v11, v11, v224
	s_wait_dscnt 0x1
	v_bfe_i32 v28, v4, 0, 8
	v_bfe_i32 v30, v4, 8, 8
	;; [unrolled: 1-line block ×3, first 2 shown]
	v_ashrrev_i32_e32 v47, 24, v4
	v_bfe_i32 v32, v5, 0, 8
	v_mul_i32_i24_e32 v79, v170, v28
	v_bfe_i32 v48, v5, 8, 8
	v_mul_i32_i24_e32 v82, v171, v16
	v_mul_i32_i24_e32 v83, v172, v47
	v_bfe_i32 v53, v5, 16, 8
	v_mad_i32_i24 v79, v173, v30, v79
	v_ashrrev_i32_e32 v63, 24, v5
	s_wait_dscnt 0x0
	v_bfe_i32 v27, v0, 0, 8
	v_bfe_i32 v8, v0, 8, 8
	;; [unrolled: 1-line block ×3, first 2 shown]
	v_add3_u32 v79, v79, v82, v83
	v_mul_i32_i24_e32 v82, v177, v32
	v_mul_i32_i24_e32 v83, v176, v48
	v_ashrrev_i32_e32 v81, 24, v0
	v_mul_i32_i24_e32 v85, v175, v53
	v_mul_i32_i24_e32 v86, v174, v63
	v_bfe_i32 v35, v6, 0, 8
	v_add3_u32 v79, v79, v82, v83
	v_mul_i32_i24_e32 v82, v186, v27
	v_bfe_i32 v68, v6, 8, 8
	v_bfe_i32 v67, v1, 0, 8
	;; [unrolled: 1-line block ×3, first 2 shown]
	v_add3_u32 v79, v79, v85, v86
	v_mul_i32_i24_e32 v83, v187, v80
	v_mul_i32_i24_e32 v85, v188, v81
	v_mad_i32_i24 v82, v189, v8, v82
	v_bfe_i32 v70, v6, 16, 8
	v_ashrrev_i32_e32 v71, 24, v6
	v_bfe_i32 v52, v1, 16, 8
	v_ashrrev_i32_e32 v54, 24, v1
	v_mul_i32_i24_e32 v87, v181, v35
	v_mul_i32_i24_e32 v88, v180, v68
	v_add3_u32 v82, v82, v83, v85
	v_mul_i32_i24_e32 v83, v193, v67
	v_mul_i32_i24_e32 v85, v192, v49
	v_bfe_i32 v46, v7, 0, 8
	v_bfe_i32 v72, v7, 8, 8
	;; [unrolled: 1-line block ×4, first 2 shown]
	v_mul_i32_i24_e32 v89, v179, v70
	v_mul_i32_i24_e32 v90, v178, v71
	v_add3_u32 v79, v79, v87, v88
	v_mul_i32_i24_e32 v86, v191, v52
	v_mul_i32_i24_e32 v87, v190, v54
	v_add3_u32 v82, v82, v83, v85
	v_bfe_i32 v73, v7, 16, 8
	v_ashrrev_i32_e32 v75, 24, v7
	v_bfe_i32 v57, v2, 16, 8
	v_ashrrev_i32_e32 v59, 24, v2
	v_mul_i32_i24_e32 v91, v185, v46
	v_mul_i32_i24_e32 v92, v184, v72
	v_add3_u32 v79, v79, v89, v90
	v_mul_i32_i24_e32 v88, v197, v65
	v_mul_i32_i24_e32 v89, v196, v56
	v_add3_u32 v82, v82, v86, v87
	v_bfe_i32 v225, v3, 0, 8
	v_bfe_i32 v61, v3, 8, 8
	v_mul_i32_i24_e32 v93, v183, v73
	v_mul_i32_i24_e32 v94, v182, v75
	v_add3_u32 v79, v79, v91, v92
	v_mul_i32_i24_e32 v90, v195, v57
	v_mul_i32_i24_e32 v91, v194, v59
	v_add3_u32 v82, v82, v88, v89
	v_bfe_i32 v62, v3, 16, 8
	v_ashrrev_i32_e32 v76, 24, v3
	v_add3_u32 v79, v79, v93, v94
	v_mul_i32_i24_e32 v92, v201, v225
	v_mul_i32_i24_e32 v93, v200, v61
	v_add3_u32 v82, v82, v90, v91
	v_mul_i32_i24_e32 v94, v199, v62
	v_mul_i32_i24_e32 v95, v198, v76
	v_mul_lo_u32 v79, v79, v206
	v_mul_i32_i24_e32 v16, v241, v16
	v_add3_u32 v82, v82, v92, v93
	v_mul_i32_i24_e32 v47, v240, v47
	v_mul_i32_i24_e32 v37, v37, v81
	v_mul_i32_i24_e32 v68, v249, v68
	v_mul_i32_i24_e32 v70, v248, v70
	v_add3_u32 v82, v82, v94, v95
	v_mul_i32_i24_e32 v71, v247, v71
	v_mul_i32_i24_e32 v72, v253, v72
	;; [unrolled: 1-line block ×4, first 2 shown]
	v_mad_co_u64_u32 v[117:118], null, v82, v202, v[79:80]
	v_perm_b32 v2, v2, v2, 0xc030201
	s_delay_alu instid0(VALU_DEP_2) | instskip(NEXT) | instid1(VALU_DEP_1)
	v_cvt_f32_i32_e32 v79, v117
	v_fmac_f32_e32 v15, v11, v79
	v_mul_i32_i24_e32 v11, v242, v28
	v_mul_i32_i24_e32 v79, v254, v46
	s_delay_alu instid0(VALU_DEP_2) | instskip(NEXT) | instid1(VALU_DEP_1)
	v_mad_i32_i24 v11, v239, v30, v11
	v_add3_u32 v11, v11, v16, v47
	v_mul_i32_i24_e32 v16, v246, v32
	v_mul_i32_i24_e32 v47, v245, v48
	;; [unrolled: 1-line block ×5, first 2 shown]
	s_delay_alu instid0(VALU_DEP_4)
	v_add3_u32 v11, v11, v16, v47
	v_mul_i32_i24_e32 v16, v58, v27
	v_mul_i32_i24_e32 v47, v51, v80
	;; [unrolled: 1-line block ×4, first 2 shown]
	v_add3_u32 v11, v11, v48, v53
	v_mad_i32_i24 v16, v255, v8, v16
	v_mul_i32_i24_e32 v48, v227, v52
	v_mul_i32_i24_e32 v52, v231, v56
	;; [unrolled: 1-line block ×3, first 2 shown]
	v_add3_u32 v11, v11, v63, v68
	v_add3_u32 v37, v16, v47, v37
	v_mul_i32_i24_e32 v16, v237, v67
	v_mul_i32_i24_e32 v47, v228, v49
	;; [unrolled: 1-line block ×3, first 2 shown]
	v_add3_u32 v11, v11, v70, v71
	v_mul_i32_i24_e32 v54, v229, v59
	v_mul_i32_i24_e32 v56, v236, v225
	v_add3_u32 v16, v37, v16, v47
	v_mul_i32_i24_e32 v57, v235, v61
	v_add3_u32 v11, v11, v79, v72
	v_mul_i32_i24_e32 v59, v233, v76
	v_perm_b32 v37, v6, v6, 0xc030201
	v_add3_u32 v16, v16, v48, v49
	v_perm_b32 v47, v7, v7, 0xc030201
	v_add3_u32 v11, v11, v73, v75
	s_delay_alu instid0(VALU_DEP_3) | instskip(NEXT) | instid1(VALU_DEP_2)
	v_add3_u32 v16, v16, v51, v52
	v_mul_lo_u32 v11, v11, v64
	s_delay_alu instid0(VALU_DEP_2) | instskip(NEXT) | instid1(VALU_DEP_1)
	v_add3_u32 v16, v16, v53, v54
	v_add3_u32 v16, v16, v56, v57
	s_delay_alu instid0(VALU_DEP_1) | instskip(NEXT) | instid1(VALU_DEP_1)
	v_add3_u32 v16, v16, v58, v59
	v_mad_co_u64_u32 v[51:52], null, v16, v238, v[11:12]
	v_mul_f32_e32 v11, v159, v224
	s_delay_alu instid0(VALU_DEP_2) | instskip(NEXT) | instid1(VALU_DEP_1)
	v_cvt_f32_i32_e32 v16, v51
	v_fmac_f32_e32 v14, v11, v16
	v_mul_i32_i24_e32 v11, v28, v160
	v_perm_b32 v16, v4, v4, 0xc0c0302
	s_delay_alu instid0(VALU_DEP_2) | instskip(NEXT) | instid1(VALU_DEP_1)
	v_mad_i32_i24 v11, v30, v161, v11
	v_dot4_i32_iu8 v4, v16, v216, v11 neg_lo:[1,1,0]
	v_perm_b32 v11, v5, v5, 0xc030201
	v_perm_b32 v5, v0, v0, 0xc0c0302
	s_delay_alu instid0(VALU_DEP_3) | instskip(NEXT) | instid1(VALU_DEP_1)
	v_mad_i32_i24 v4, v32, v217, v4
	v_dot4_i32_iu8 v4, v11, v218, v4 neg_lo:[1,1,0]
	s_delay_alu instid0(VALU_DEP_1) | instskip(NEXT) | instid1(VALU_DEP_1)
	v_mad_i32_i24 v4, v35, v215, v4
	v_dot4_i32_iu8 v4, v37, v219, v4 neg_lo:[1,1,0]
	s_delay_alu instid0(VALU_DEP_1) | instskip(NEXT) | instid1(VALU_DEP_1)
	v_mad_i32_i24 v4, v46, v213, v4
	v_dot4_i32_iu8 v4, v47, v220, v4 neg_lo:[1,1,0]
	s_delay_alu instid0(VALU_DEP_1) | instskip(SKIP_1) | instid1(VALU_DEP_1)
	v_mul_lo_u32 v6, v4, v221
	v_mul_i32_i24_e32 v4, v27, v222
	v_mad_i32_i24 v4, v8, v223, v4
	s_delay_alu instid0(VALU_DEP_1) | instskip(SKIP_2) | instid1(VALU_DEP_3)
	v_dot4_i32_iu8 v0, v5, v164, v4 neg_lo:[1,1,0]
	v_perm_b32 v4, v1, v1, 0xc030201
	v_perm_b32 v1, v3, v3, 0xc030201
	v_mad_i32_i24 v0, v67, v165, v0
	s_delay_alu instid0(VALU_DEP_1) | instskip(NEXT) | instid1(VALU_DEP_1)
	v_dot4_i32_iu8 v0, v4, v166, v0 neg_lo:[1,1,0]
	v_mad_i32_i24 v0, v65, v163, v0
	s_delay_alu instid0(VALU_DEP_1) | instskip(NEXT) | instid1(VALU_DEP_1)
	v_dot4_i32_iu8 v0, v2, v167, v0 neg_lo:[1,1,0]
	;; [unrolled: 3-line block ×3, first 2 shown]
	v_mad_co_u64_u32 v[6:7], null, v0, v169, v[6:7]
	v_mul_f32_e32 v0, v156, v224
	s_delay_alu instid0(VALU_DEP_2) | instskip(NEXT) | instid1(VALU_DEP_1)
	v_cvt_f32_i32_e32 v3, v6
	v_fmac_f32_e32 v13, v0, v3
	v_mul_i32_i24_e32 v0, v28, v203
	v_mul_i32_i24_e32 v3, v27, v158
	s_delay_alu instid0(VALU_DEP_2) | instskip(NEXT) | instid1(VALU_DEP_2)
	v_mad_i32_i24 v0, v30, v204, v0
	v_mad_i32_i24 v3, v8, v157, v3
	s_delay_alu instid0(VALU_DEP_2) | instskip(NEXT) | instid1(VALU_DEP_2)
	v_dot4_i32_iu8 v0, v16, v207, v0 neg_lo:[1,1,0]
	v_dot4_i32_iu8 v3, v5, v155, v3 neg_lo:[1,1,0]
	s_delay_alu instid0(VALU_DEP_2) | instskip(NEXT) | instid1(VALU_DEP_2)
	v_mad_i32_i24 v0, v32, v209, v0
	v_mad_i32_i24 v3, v67, v154, v3
	s_delay_alu instid0(VALU_DEP_2) | instskip(NEXT) | instid1(VALU_DEP_2)
	v_dot4_i32_iu8 v0, v11, v210, v0 neg_lo:[1,1,0]
	v_dot4_i32_iu8 v3, v4, v153, v3 neg_lo:[1,1,0]
	;; [unrolled: 6-line block ×4, first 2 shown]
	s_delay_alu instid0(VALU_DEP_2) | instskip(NEXT) | instid1(VALU_DEP_1)
	v_mul_lo_u32 v0, v0, v214
	v_mad_co_u64_u32 v[0:1], null, v1, v148, v[0:1]
	v_mul_f32_e32 v1, v147, v224
	s_delay_alu instid0(VALU_DEP_2) | instskip(NEXT) | instid1(VALU_DEP_1)
	v_cvt_f32_i32_e32 v0, v0
	v_fmac_f32_e32 v12, v1, v0
	s_cbranch_scc1 .LBB129_12
; %bb.13:                               ;   in Loop: Header=BB129_8 Depth=2
	s_wait_loadcnt 0x0
	s_barrier_signal -1
	s_barrier_wait -1
	global_inv scope:SCOPE_SE
	v_dual_mov_b32 v90, v130 :: v_dual_mov_b32 v91, v131
	v_dual_mov_b32 v96, v136 :: v_dual_mov_b32 v129, v17
	s_clause 0x1
	scratch_load_b32 v17, off, off offset:36
	scratch_load_b32 v131, off, off offset:32
	s_cmp_eq_u32 s12, 4
	v_dual_mov_b32 v92, v132 :: v_dual_mov_b32 v93, v133
	s_cselect_b32 s13, -1, 0
	v_dual_mov_b32 v94, v134 :: v_dual_mov_b32 v95, v135
	v_mov_b32_e32 v130, v143
	s_wait_alu 0xfffe
	s_and_b32 vcc_lo, exec_lo, s13
	s_wait_alu 0xfffe
	s_cbranch_vccz .LBB129_8
	s_branch .LBB129_5
.LBB129_14:
	s_clause 0x1
	scratch_load_b32 v1, off, off offset:40 th:TH_LOAD_LU
	scratch_load_b32 v3, off, off offset:248
	s_wait_loadcnt 0x3
	v_mov_b32_e32 v2, v17
.LBB129_15:
	s_mov_b32 s0, exec_lo
	s_wait_loadcnt 0x0
	v_cmpx_gt_u32_e64 s4, v3
	s_cbranch_execz .LBB129_66
; %bb.16:
	v_add_nc_u32_e32 v0, s14, v2
	v_mul_lo_u32 v5, v3, s6
	s_delay_alu instid0(VALU_DEP_2)
	v_cmp_gt_u32_e32 vcc_lo, s6, v0
	s_and_saveexec_b32 s1, vcc_lo
	s_cbranch_execz .LBB129_18
; %bb.17:
	s_delay_alu instid0(VALU_DEP_2) | instskip(NEXT) | instid1(VALU_DEP_1)
	v_dual_mov_b32 v3, 0 :: v_dual_add_nc_u32 v2, v0, v5
	v_lshlrev_b64_e32 v[2:3], 2, v[2:3]
	s_wait_kmcnt 0x0
	s_delay_alu instid0(VALU_DEP_1) | instskip(NEXT) | instid1(VALU_DEP_1)
	v_add_co_u32 v2, s0, s8, v2
	v_add_co_ci_u32_e64 v3, null, s9, v3, s0
	global_store_b32 v[2:3], v19, off
.LBB129_18:
	s_or_b32 exec_lo, exec_lo, s1
	v_add_nc_u32_e32 v2, 32, v0
	s_delay_alu instid0(VALU_DEP_1)
	v_cmp_gt_u32_e64 s0, s6, v2
	s_and_saveexec_b32 s2, s0
	s_cbranch_execz .LBB129_20
; %bb.19:
	v_dual_mov_b32 v4, 0 :: v_dual_add_nc_u32 v3, v2, v5
	s_delay_alu instid0(VALU_DEP_1) | instskip(SKIP_1) | instid1(VALU_DEP_1)
	v_lshlrev_b64_e32 v[3:4], 2, v[3:4]
	s_wait_kmcnt 0x0
	v_add_co_u32 v3, s1, s8, v3
	s_wait_alu 0xf1ff
	s_delay_alu instid0(VALU_DEP_2)
	v_add_co_ci_u32_e64 v4, null, s9, v4, s1
	global_store_b32 v[3:4], v84, off
.LBB129_20:
	s_wait_alu 0xfffe
	s_or_b32 exec_lo, exec_lo, s2
	v_add_nc_u32_e32 v3, 64, v0
	s_delay_alu instid0(VALU_DEP_1)
	v_cmp_gt_u32_e64 s1, s6, v3
	s_and_saveexec_b32 s3, s1
	s_cbranch_execz .LBB129_22
; %bb.21:
	v_dual_mov_b32 v7, 0 :: v_dual_add_nc_u32 v6, v3, v5
	s_delay_alu instid0(VALU_DEP_1) | instskip(SKIP_1) | instid1(VALU_DEP_1)
	v_lshlrev_b64_e32 v[6:7], 2, v[6:7]
	s_wait_kmcnt 0x0
	v_add_co_u32 v6, s2, s8, v6
	s_wait_alu 0xf1ff
	s_delay_alu instid0(VALU_DEP_2)
	v_add_co_ci_u32_e64 v7, null, s9, v7, s2
	global_store_b32 v[6:7], v77, off
.LBB129_22:
	s_wait_alu 0xfffe
	;; [unrolled: 18-line block ×3, first 2 shown]
	s_or_b32 exec_lo, exec_lo, s5
	v_add3_u32 v5, v1, s7, 8
	s_delay_alu instid0(VALU_DEP_1)
	v_cmp_gt_u32_e64 s3, s4, v5
	s_and_b32 exec_lo, exec_lo, s3
	s_cbranch_execz .LBB129_66
; %bb.25:
	v_mul_lo_u32 v5, v5, s6
	s_and_saveexec_b32 s5, vcc_lo
	s_cbranch_execnz .LBB129_67
; %bb.26:
	s_wait_alu 0xfffe
	s_or_b32 exec_lo, exec_lo, s5
	s_and_saveexec_b32 s5, s0
	s_cbranch_execnz .LBB129_68
.LBB129_27:
	s_wait_alu 0xfffe
	s_or_b32 exec_lo, exec_lo, s5
	s_and_saveexec_b32 s5, s1
	s_cbranch_execnz .LBB129_69
.LBB129_28:
	s_wait_alu 0xfffe
	s_or_b32 exec_lo, exec_lo, s5
	s_and_saveexec_b32 s5, s2
	s_cbranch_execz .LBB129_30
.LBB129_29:
	v_dual_mov_b32 v6, 0 :: v_dual_add_nc_u32 v5, v5, v4
	s_delay_alu instid0(VALU_DEP_1) | instskip(SKIP_1) | instid1(VALU_DEP_1)
	v_lshlrev_b64_e32 v[5:6], 2, v[5:6]
	s_wait_kmcnt 0x0
	v_add_co_u32 v5, s3, s8, v5
	s_wait_alu 0xf1ff
	s_delay_alu instid0(VALU_DEP_2)
	v_add_co_ci_u32_e64 v6, null, s9, v6, s3
	global_store_b32 v[5:6], v55, off
.LBB129_30:
	s_wait_alu 0xfffe
	s_or_b32 exec_lo, exec_lo, s5
	v_add3_u32 v5, v1, s7, 16
	s_delay_alu instid0(VALU_DEP_1)
	v_cmp_gt_u32_e64 s3, s4, v5
	s_and_b32 exec_lo, exec_lo, s3
	s_cbranch_execz .LBB129_66
; %bb.31:
	v_mul_lo_u32 v5, v5, s6
	s_and_saveexec_b32 s5, vcc_lo
	s_cbranch_execnz .LBB129_70
; %bb.32:
	s_wait_alu 0xfffe
	s_or_b32 exec_lo, exec_lo, s5
	s_and_saveexec_b32 s5, s0
	s_cbranch_execnz .LBB129_71
.LBB129_33:
	s_wait_alu 0xfffe
	s_or_b32 exec_lo, exec_lo, s5
	s_and_saveexec_b32 s5, s1
	s_cbranch_execnz .LBB129_72
.LBB129_34:
	s_wait_alu 0xfffe
	s_or_b32 exec_lo, exec_lo, s5
	s_and_saveexec_b32 s5, s2
	s_cbranch_execz .LBB129_36
.LBB129_35:
	v_dual_mov_b32 v6, 0 :: v_dual_add_nc_u32 v5, v5, v4
	s_delay_alu instid0(VALU_DEP_1) | instskip(SKIP_1) | instid1(VALU_DEP_1)
	v_lshlrev_b64_e32 v[5:6], 2, v[5:6]
	s_wait_kmcnt 0x0
	v_add_co_u32 v5, s3, s8, v5
	s_wait_alu 0xf1ff
	s_delay_alu instid0(VALU_DEP_2)
	v_add_co_ci_u32_e64 v6, null, s9, v6, s3
	global_store_b32 v[5:6], v43, off
.LBB129_36:
	s_wait_alu 0xfffe
	s_or_b32 exec_lo, exec_lo, s5
	v_add3_u32 v5, v1, s7, 24
	s_delay_alu instid0(VALU_DEP_1)
	v_cmp_gt_u32_e64 s3, s4, v5
	s_and_b32 exec_lo, exec_lo, s3
	s_cbranch_execz .LBB129_66
; %bb.37:
	v_mul_lo_u32 v5, v5, s6
	s_and_saveexec_b32 s5, vcc_lo
	s_cbranch_execnz .LBB129_73
; %bb.38:
	s_wait_alu 0xfffe
	s_or_b32 exec_lo, exec_lo, s5
	s_and_saveexec_b32 s5, s0
	s_cbranch_execnz .LBB129_74
.LBB129_39:
	s_wait_alu 0xfffe
	s_or_b32 exec_lo, exec_lo, s5
	s_and_saveexec_b32 s5, s1
	s_cbranch_execnz .LBB129_75
.LBB129_40:
	s_wait_alu 0xfffe
	s_or_b32 exec_lo, exec_lo, s5
	s_and_saveexec_b32 s5, s2
	s_cbranch_execz .LBB129_42
.LBB129_41:
	v_dual_mov_b32 v6, 0 :: v_dual_add_nc_u32 v5, v5, v4
	s_delay_alu instid0(VALU_DEP_1) | instskip(SKIP_1) | instid1(VALU_DEP_1)
	v_lshlrev_b64_e32 v[5:6], 2, v[5:6]
	s_wait_kmcnt 0x0
	v_add_co_u32 v5, s3, s8, v5
	s_wait_alu 0xf1ff
	s_delay_alu instid0(VALU_DEP_2)
	v_add_co_ci_u32_e64 v6, null, s9, v6, s3
	global_store_b32 v[5:6], v39, off
.LBB129_42:
	s_wait_alu 0xfffe
	s_or_b32 exec_lo, exec_lo, s5
	v_add3_u32 v5, v1, s7, 32
	s_delay_alu instid0(VALU_DEP_1)
	v_cmp_gt_u32_e64 s3, s4, v5
	s_and_b32 exec_lo, exec_lo, s3
	s_cbranch_execz .LBB129_66
; %bb.43:
	v_mul_lo_u32 v5, v5, s6
	s_and_saveexec_b32 s5, vcc_lo
	s_cbranch_execnz .LBB129_76
; %bb.44:
	s_wait_alu 0xfffe
	s_or_b32 exec_lo, exec_lo, s5
	s_and_saveexec_b32 s5, s0
	s_cbranch_execnz .LBB129_77
.LBB129_45:
	s_wait_alu 0xfffe
	s_or_b32 exec_lo, exec_lo, s5
	s_and_saveexec_b32 s5, s1
	s_cbranch_execnz .LBB129_78
.LBB129_46:
	s_wait_alu 0xfffe
	s_or_b32 exec_lo, exec_lo, s5
	s_and_saveexec_b32 s5, s2
	s_cbranch_execz .LBB129_48
.LBB129_47:
	v_dual_mov_b32 v6, 0 :: v_dual_add_nc_u32 v5, v5, v4
	s_delay_alu instid0(VALU_DEP_1) | instskip(SKIP_1) | instid1(VALU_DEP_1)
	v_lshlrev_b64_e32 v[5:6], 2, v[5:6]
	s_wait_kmcnt 0x0
	v_add_co_u32 v5, s3, s8, v5
	s_wait_alu 0xf1ff
	s_delay_alu instid0(VALU_DEP_2)
	v_add_co_ci_u32_e64 v6, null, s9, v6, s3
	global_store_b32 v[5:6], v31, off
.LBB129_48:
	s_wait_alu 0xfffe
	s_or_b32 exec_lo, exec_lo, s5
	v_add3_u32 v5, v1, s7, 40
	s_delay_alu instid0(VALU_DEP_1)
	v_cmp_gt_u32_e64 s3, s4, v5
	s_and_b32 exec_lo, exec_lo, s3
	s_cbranch_execz .LBB129_66
; %bb.49:
	v_mul_lo_u32 v5, v5, s6
	s_and_saveexec_b32 s5, vcc_lo
	s_cbranch_execnz .LBB129_79
; %bb.50:
	s_wait_alu 0xfffe
	s_or_b32 exec_lo, exec_lo, s5
	s_and_saveexec_b32 s5, s0
	s_cbranch_execnz .LBB129_80
.LBB129_51:
	s_wait_alu 0xfffe
	s_or_b32 exec_lo, exec_lo, s5
	s_and_saveexec_b32 s5, s1
	s_cbranch_execnz .LBB129_81
.LBB129_52:
	s_wait_alu 0xfffe
	s_or_b32 exec_lo, exec_lo, s5
	s_and_saveexec_b32 s5, s2
	s_cbranch_execz .LBB129_54
.LBB129_53:
	v_dual_mov_b32 v6, 0 :: v_dual_add_nc_u32 v5, v5, v4
	s_delay_alu instid0(VALU_DEP_1) | instskip(SKIP_1) | instid1(VALU_DEP_1)
	v_lshlrev_b64_e32 v[5:6], 2, v[5:6]
	s_wait_kmcnt 0x0
	v_add_co_u32 v5, s3, s8, v5
	s_wait_alu 0xf1ff
	s_delay_alu instid0(VALU_DEP_2)
	v_add_co_ci_u32_e64 v6, null, s9, v6, s3
	global_store_b32 v[5:6], v23, off
.LBB129_54:
	s_wait_alu 0xfffe
	s_or_b32 exec_lo, exec_lo, s5
	v_add3_u32 v5, v1, s7, 48
	s_delay_alu instid0(VALU_DEP_1)
	v_cmp_gt_u32_e64 s3, s4, v5
	s_and_b32 exec_lo, exec_lo, s3
	s_cbranch_execz .LBB129_66
; %bb.55:
	v_mul_lo_u32 v5, v5, s6
	s_and_saveexec_b32 s5, vcc_lo
	s_cbranch_execnz .LBB129_82
; %bb.56:
	s_wait_alu 0xfffe
	s_or_b32 exec_lo, exec_lo, s5
	s_and_saveexec_b32 s5, s0
	s_cbranch_execnz .LBB129_83
.LBB129_57:
	s_wait_alu 0xfffe
	s_or_b32 exec_lo, exec_lo, s5
	s_and_saveexec_b32 s5, s1
	s_cbranch_execnz .LBB129_84
.LBB129_58:
	s_wait_alu 0xfffe
	s_or_b32 exec_lo, exec_lo, s5
	s_and_saveexec_b32 s5, s2
	s_cbranch_execz .LBB129_60
.LBB129_59:
	v_dual_mov_b32 v6, 0 :: v_dual_add_nc_u32 v5, v5, v4
	s_delay_alu instid0(VALU_DEP_1) | instskip(SKIP_1) | instid1(VALU_DEP_1)
	v_lshlrev_b64_e32 v[5:6], 2, v[5:6]
	s_wait_kmcnt 0x0
	v_add_co_u32 v5, s3, s8, v5
	s_wait_alu 0xf1ff
	s_delay_alu instid0(VALU_DEP_2)
	v_add_co_ci_u32_e64 v6, null, s9, v6, s3
	global_store_b32 v[5:6], v18, off
.LBB129_60:
	s_wait_alu 0xfffe
	s_or_b32 exec_lo, exec_lo, s5
	v_add3_u32 v1, v1, s7, 56
	s_delay_alu instid0(VALU_DEP_1)
	v_cmp_gt_u32_e64 s3, s4, v1
	s_and_b32 exec_lo, exec_lo, s3
	s_cbranch_execz .LBB129_66
; %bb.61:
	v_mul_lo_u32 v1, v1, s6
	s_and_saveexec_b32 s3, vcc_lo
	s_cbranch_execnz .LBB129_85
; %bb.62:
	s_wait_alu 0xfffe
	s_or_b32 exec_lo, exec_lo, s3
	s_and_saveexec_b32 s3, s0
	s_cbranch_execnz .LBB129_86
.LBB129_63:
	s_wait_alu 0xfffe
	s_or_b32 exec_lo, exec_lo, s3
	s_and_saveexec_b32 s0, s1
	s_cbranch_execnz .LBB129_87
.LBB129_64:
	s_wait_alu 0xfffe
	s_or_b32 exec_lo, exec_lo, s0
	s_delay_alu instid0(SALU_CYCLE_1)
	s_and_b32 exec_lo, exec_lo, s2
	s_cbranch_execz .LBB129_66
.LBB129_65:
	v_dual_mov_b32 v1, 0 :: v_dual_add_nc_u32 v0, v1, v4
	s_delay_alu instid0(VALU_DEP_1) | instskip(SKIP_1) | instid1(VALU_DEP_1)
	v_lshlrev_b64_e32 v[0:1], 2, v[0:1]
	s_wait_kmcnt 0x0
	v_add_co_u32 v0, vcc_lo, s8, v0
	s_wait_alu 0xfffd
	s_delay_alu instid0(VALU_DEP_2)
	v_add_co_ci_u32_e64 v1, null, s9, v1, vcc_lo
	global_store_b32 v[0:1], v12, off
.LBB129_66:
	s_nop 0
	s_sendmsg sendmsg(MSG_DEALLOC_VGPRS)
	s_endpgm
.LBB129_67:
	s_delay_alu instid0(VALU_DEP_1) | instskip(NEXT) | instid1(VALU_DEP_1)
	v_dual_mov_b32 v7, 0 :: v_dual_add_nc_u32 v6, v5, v0
	v_lshlrev_b64_e32 v[6:7], 2, v[6:7]
	s_wait_kmcnt 0x0
	s_delay_alu instid0(VALU_DEP_1) | instskip(SKIP_1) | instid1(VALU_DEP_2)
	v_add_co_u32 v6, s3, s8, v6
	s_wait_alu 0xf1ff
	v_add_co_ci_u32_e64 v7, null, s9, v7, s3
	global_store_b32 v[6:7], v69, off
	s_wait_alu 0xfffe
	s_or_b32 exec_lo, exec_lo, s5
	s_and_saveexec_b32 s5, s0
	s_cbranch_execz .LBB129_27
.LBB129_68:
	s_delay_alu instid0(VALU_DEP_1) | instskip(NEXT) | instid1(VALU_DEP_1)
	v_dual_mov_b32 v7, 0 :: v_dual_add_nc_u32 v6, v5, v2
	v_lshlrev_b64_e32 v[6:7], 2, v[6:7]
	s_wait_kmcnt 0x0
	s_delay_alu instid0(VALU_DEP_1) | instskip(SKIP_1) | instid1(VALU_DEP_2)
	v_add_co_u32 v6, s3, s8, v6
	s_wait_alu 0xf1ff
	v_add_co_ci_u32_e64 v7, null, s9, v7, s3
	global_store_b32 v[6:7], v66, off
	s_wait_alu 0xfffe
	s_or_b32 exec_lo, exec_lo, s5
	s_and_saveexec_b32 s5, s1
	s_cbranch_execz .LBB129_28
.LBB129_69:
	v_dual_mov_b32 v7, 0 :: v_dual_add_nc_u32 v6, v5, v3
	s_delay_alu instid0(VALU_DEP_1) | instskip(SKIP_1) | instid1(VALU_DEP_1)
	v_lshlrev_b64_e32 v[6:7], 2, v[6:7]
	s_wait_kmcnt 0x0
	v_add_co_u32 v6, s3, s8, v6
	s_wait_alu 0xf1ff
	s_delay_alu instid0(VALU_DEP_2)
	v_add_co_ci_u32_e64 v7, null, s9, v7, s3
	global_store_b32 v[6:7], v60, off
	s_wait_alu 0xfffe
	s_or_b32 exec_lo, exec_lo, s5
	s_and_saveexec_b32 s5, s2
	s_cbranch_execnz .LBB129_29
	s_branch .LBB129_30
.LBB129_70:
	s_delay_alu instid0(VALU_DEP_1) | instskip(NEXT) | instid1(VALU_DEP_1)
	v_dual_mov_b32 v7, 0 :: v_dual_add_nc_u32 v6, v5, v0
	v_lshlrev_b64_e32 v[6:7], 2, v[6:7]
	s_wait_kmcnt 0x0
	s_delay_alu instid0(VALU_DEP_1) | instskip(SKIP_1) | instid1(VALU_DEP_2)
	v_add_co_u32 v6, s3, s8, v6
	s_wait_alu 0xf1ff
	v_add_co_ci_u32_e64 v7, null, s9, v7, s3
	global_store_b32 v[6:7], v50, off
	s_wait_alu 0xfffe
	s_or_b32 exec_lo, exec_lo, s5
	s_and_saveexec_b32 s5, s0
	s_cbranch_execz .LBB129_33
.LBB129_71:
	s_delay_alu instid0(VALU_DEP_1) | instskip(NEXT) | instid1(VALU_DEP_1)
	v_dual_mov_b32 v7, 0 :: v_dual_add_nc_u32 v6, v5, v2
	v_lshlrev_b64_e32 v[6:7], 2, v[6:7]
	s_wait_kmcnt 0x0
	s_delay_alu instid0(VALU_DEP_1) | instskip(SKIP_1) | instid1(VALU_DEP_2)
	v_add_co_u32 v6, s3, s8, v6
	s_wait_alu 0xf1ff
	v_add_co_ci_u32_e64 v7, null, s9, v7, s3
	global_store_b32 v[6:7], v45, off
	s_wait_alu 0xfffe
	s_or_b32 exec_lo, exec_lo, s5
	s_and_saveexec_b32 s5, s1
	s_cbranch_execz .LBB129_34
.LBB129_72:
	v_dual_mov_b32 v7, 0 :: v_dual_add_nc_u32 v6, v5, v3
	s_delay_alu instid0(VALU_DEP_1) | instskip(SKIP_1) | instid1(VALU_DEP_1)
	v_lshlrev_b64_e32 v[6:7], 2, v[6:7]
	s_wait_kmcnt 0x0
	v_add_co_u32 v6, s3, s8, v6
	s_wait_alu 0xf1ff
	s_delay_alu instid0(VALU_DEP_2)
	v_add_co_ci_u32_e64 v7, null, s9, v7, s3
	global_store_b32 v[6:7], v44, off
	s_wait_alu 0xfffe
	s_or_b32 exec_lo, exec_lo, s5
	s_and_saveexec_b32 s5, s2
	s_cbranch_execnz .LBB129_35
	s_branch .LBB129_36
.LBB129_73:
	s_delay_alu instid0(VALU_DEP_1) | instskip(NEXT) | instid1(VALU_DEP_1)
	v_dual_mov_b32 v7, 0 :: v_dual_add_nc_u32 v6, v5, v0
	v_lshlrev_b64_e32 v[6:7], 2, v[6:7]
	s_wait_kmcnt 0x0
	s_delay_alu instid0(VALU_DEP_1) | instskip(SKIP_1) | instid1(VALU_DEP_2)
	v_add_co_u32 v6, s3, s8, v6
	s_wait_alu 0xf1ff
	v_add_co_ci_u32_e64 v7, null, s9, v7, s3
	global_store_b32 v[6:7], v42, off
	s_wait_alu 0xfffe
	s_or_b32 exec_lo, exec_lo, s5
	s_and_saveexec_b32 s5, s0
	s_cbranch_execz .LBB129_39
.LBB129_74:
	s_delay_alu instid0(VALU_DEP_1) | instskip(NEXT) | instid1(VALU_DEP_1)
	v_dual_mov_b32 v7, 0 :: v_dual_add_nc_u32 v6, v5, v2
	v_lshlrev_b64_e32 v[6:7], 2, v[6:7]
	s_wait_kmcnt 0x0
	s_delay_alu instid0(VALU_DEP_1) | instskip(SKIP_1) | instid1(VALU_DEP_2)
	v_add_co_u32 v6, s3, s8, v6
	s_wait_alu 0xf1ff
	v_add_co_ci_u32_e64 v7, null, s9, v7, s3
	global_store_b32 v[6:7], v41, off
	s_wait_alu 0xfffe
	s_or_b32 exec_lo, exec_lo, s5
	s_and_saveexec_b32 s5, s1
	s_cbranch_execz .LBB129_40
.LBB129_75:
	v_dual_mov_b32 v7, 0 :: v_dual_add_nc_u32 v6, v5, v3
	s_delay_alu instid0(VALU_DEP_1) | instskip(SKIP_1) | instid1(VALU_DEP_1)
	v_lshlrev_b64_e32 v[6:7], 2, v[6:7]
	s_wait_kmcnt 0x0
	v_add_co_u32 v6, s3, s8, v6
	s_wait_alu 0xf1ff
	s_delay_alu instid0(VALU_DEP_2)
	v_add_co_ci_u32_e64 v7, null, s9, v7, s3
	global_store_b32 v[6:7], v40, off
	s_wait_alu 0xfffe
	s_or_b32 exec_lo, exec_lo, s5
	s_and_saveexec_b32 s5, s2
	s_cbranch_execnz .LBB129_41
	s_branch .LBB129_42
.LBB129_76:
	s_delay_alu instid0(VALU_DEP_1) | instskip(NEXT) | instid1(VALU_DEP_1)
	v_dual_mov_b32 v7, 0 :: v_dual_add_nc_u32 v6, v5, v0
	v_lshlrev_b64_e32 v[6:7], 2, v[6:7]
	s_wait_kmcnt 0x0
	s_delay_alu instid0(VALU_DEP_1) | instskip(SKIP_1) | instid1(VALU_DEP_2)
	v_add_co_u32 v6, s3, s8, v6
	s_wait_alu 0xf1ff
	v_add_co_ci_u32_e64 v7, null, s9, v7, s3
	global_store_b32 v[6:7], v38, off
	s_wait_alu 0xfffe
	s_or_b32 exec_lo, exec_lo, s5
	s_and_saveexec_b32 s5, s0
	s_cbranch_execz .LBB129_45
.LBB129_77:
	s_delay_alu instid0(VALU_DEP_1) | instskip(NEXT) | instid1(VALU_DEP_1)
	v_dual_mov_b32 v7, 0 :: v_dual_add_nc_u32 v6, v5, v2
	v_lshlrev_b64_e32 v[6:7], 2, v[6:7]
	s_wait_kmcnt 0x0
	s_delay_alu instid0(VALU_DEP_1) | instskip(SKIP_1) | instid1(VALU_DEP_2)
	v_add_co_u32 v6, s3, s8, v6
	s_wait_alu 0xf1ff
	v_add_co_ci_u32_e64 v7, null, s9, v7, s3
	global_store_b32 v[6:7], v36, off
	s_wait_alu 0xfffe
	s_or_b32 exec_lo, exec_lo, s5
	s_and_saveexec_b32 s5, s1
	s_cbranch_execz .LBB129_46
.LBB129_78:
	v_dual_mov_b32 v7, 0 :: v_dual_add_nc_u32 v6, v5, v3
	s_delay_alu instid0(VALU_DEP_1) | instskip(SKIP_1) | instid1(VALU_DEP_1)
	v_lshlrev_b64_e32 v[6:7], 2, v[6:7]
	s_wait_kmcnt 0x0
	v_add_co_u32 v6, s3, s8, v6
	s_wait_alu 0xf1ff
	s_delay_alu instid0(VALU_DEP_2)
	v_add_co_ci_u32_e64 v7, null, s9, v7, s3
	global_store_b32 v[6:7], v34, off
	s_wait_alu 0xfffe
	s_or_b32 exec_lo, exec_lo, s5
	s_and_saveexec_b32 s5, s2
	s_cbranch_execnz .LBB129_47
	s_branch .LBB129_48
.LBB129_79:
	s_delay_alu instid0(VALU_DEP_1) | instskip(NEXT) | instid1(VALU_DEP_1)
	v_dual_mov_b32 v7, 0 :: v_dual_add_nc_u32 v6, v5, v0
	v_lshlrev_b64_e32 v[6:7], 2, v[6:7]
	s_wait_kmcnt 0x0
	s_delay_alu instid0(VALU_DEP_1) | instskip(SKIP_1) | instid1(VALU_DEP_2)
	v_add_co_u32 v6, s3, s8, v6
	s_wait_alu 0xf1ff
	v_add_co_ci_u32_e64 v7, null, s9, v7, s3
	global_store_b32 v[6:7], v29, off
	s_wait_alu 0xfffe
	s_or_b32 exec_lo, exec_lo, s5
	s_and_saveexec_b32 s5, s0
	s_cbranch_execz .LBB129_51
.LBB129_80:
	s_delay_alu instid0(VALU_DEP_1) | instskip(NEXT) | instid1(VALU_DEP_1)
	v_dual_mov_b32 v7, 0 :: v_dual_add_nc_u32 v6, v5, v2
	v_lshlrev_b64_e32 v[6:7], 2, v[6:7]
	s_wait_kmcnt 0x0
	s_delay_alu instid0(VALU_DEP_1) | instskip(SKIP_1) | instid1(VALU_DEP_2)
	v_add_co_u32 v6, s3, s8, v6
	s_wait_alu 0xf1ff
	v_add_co_ci_u32_e64 v7, null, s9, v7, s3
	global_store_b32 v[6:7], v26, off
	s_wait_alu 0xfffe
	s_or_b32 exec_lo, exec_lo, s5
	s_and_saveexec_b32 s5, s1
	s_cbranch_execz .LBB129_52
.LBB129_81:
	v_dual_mov_b32 v7, 0 :: v_dual_add_nc_u32 v6, v5, v3
	s_delay_alu instid0(VALU_DEP_1) | instskip(SKIP_1) | instid1(VALU_DEP_1)
	v_lshlrev_b64_e32 v[6:7], 2, v[6:7]
	s_wait_kmcnt 0x0
	v_add_co_u32 v6, s3, s8, v6
	s_wait_alu 0xf1ff
	s_delay_alu instid0(VALU_DEP_2)
	v_add_co_ci_u32_e64 v7, null, s9, v7, s3
	global_store_b32 v[6:7], v24, off
	s_wait_alu 0xfffe
	s_or_b32 exec_lo, exec_lo, s5
	s_and_saveexec_b32 s5, s2
	s_cbranch_execnz .LBB129_53
	s_branch .LBB129_54
.LBB129_82:
	s_delay_alu instid0(VALU_DEP_1) | instskip(NEXT) | instid1(VALU_DEP_1)
	v_dual_mov_b32 v7, 0 :: v_dual_add_nc_u32 v6, v5, v0
	v_lshlrev_b64_e32 v[6:7], 2, v[6:7]
	s_wait_kmcnt 0x0
	s_delay_alu instid0(VALU_DEP_1) | instskip(SKIP_1) | instid1(VALU_DEP_2)
	v_add_co_u32 v6, s3, s8, v6
	s_wait_alu 0xf1ff
	v_add_co_ci_u32_e64 v7, null, s9, v7, s3
	global_store_b32 v[6:7], v22, off
	s_wait_alu 0xfffe
	s_or_b32 exec_lo, exec_lo, s5
	s_and_saveexec_b32 s5, s0
	s_cbranch_execz .LBB129_57
.LBB129_83:
	s_delay_alu instid0(VALU_DEP_1) | instskip(NEXT) | instid1(VALU_DEP_1)
	v_dual_mov_b32 v7, 0 :: v_dual_add_nc_u32 v6, v5, v2
	v_lshlrev_b64_e32 v[6:7], 2, v[6:7]
	s_wait_kmcnt 0x0
	s_delay_alu instid0(VALU_DEP_1) | instskip(SKIP_1) | instid1(VALU_DEP_2)
	v_add_co_u32 v6, s3, s8, v6
	s_wait_alu 0xf1ff
	v_add_co_ci_u32_e64 v7, null, s9, v7, s3
	global_store_b32 v[6:7], v21, off
	s_wait_alu 0xfffe
	s_or_b32 exec_lo, exec_lo, s5
	s_and_saveexec_b32 s5, s1
	s_cbranch_execz .LBB129_58
.LBB129_84:
	v_dual_mov_b32 v7, 0 :: v_dual_add_nc_u32 v6, v5, v3
	s_delay_alu instid0(VALU_DEP_1) | instskip(SKIP_1) | instid1(VALU_DEP_1)
	v_lshlrev_b64_e32 v[6:7], 2, v[6:7]
	s_wait_kmcnt 0x0
	v_add_co_u32 v6, s3, s8, v6
	s_wait_alu 0xf1ff
	s_delay_alu instid0(VALU_DEP_2)
	v_add_co_ci_u32_e64 v7, null, s9, v7, s3
	global_store_b32 v[6:7], v20, off
	s_wait_alu 0xfffe
	s_or_b32 exec_lo, exec_lo, s5
	s_and_saveexec_b32 s5, s2
	s_cbranch_execnz .LBB129_59
	s_branch .LBB129_60
.LBB129_85:
	s_delay_alu instid0(VALU_DEP_1) | instskip(NEXT) | instid1(VALU_DEP_1)
	v_dual_mov_b32 v6, 0 :: v_dual_add_nc_u32 v5, v1, v0
	v_lshlrev_b64_e32 v[5:6], 2, v[5:6]
	s_wait_kmcnt 0x0
	s_delay_alu instid0(VALU_DEP_1) | instskip(SKIP_1) | instid1(VALU_DEP_2)
	v_add_co_u32 v5, vcc_lo, s8, v5
	s_wait_alu 0xfffd
	v_add_co_ci_u32_e64 v6, null, s9, v6, vcc_lo
	global_store_b32 v[5:6], v15, off
	s_wait_alu 0xfffe
	s_or_b32 exec_lo, exec_lo, s3
	s_and_saveexec_b32 s3, s0
	s_cbranch_execz .LBB129_63
.LBB129_86:
	s_delay_alu instid0(VALU_DEP_1) | instskip(NEXT) | instid1(VALU_DEP_1)
	v_dual_mov_b32 v6, 0 :: v_dual_add_nc_u32 v5, v1, v2
	v_lshlrev_b64_e32 v[5:6], 2, v[5:6]
	s_wait_kmcnt 0x0
	s_delay_alu instid0(VALU_DEP_1) | instskip(SKIP_1) | instid1(VALU_DEP_2)
	v_add_co_u32 v5, vcc_lo, s8, v5
	s_wait_alu 0xfffd
	v_add_co_ci_u32_e64 v6, null, s9, v6, vcc_lo
	global_store_b32 v[5:6], v14, off
	s_wait_alu 0xfffe
	s_or_b32 exec_lo, exec_lo, s3
	s_and_saveexec_b32 s0, s1
	s_cbranch_execz .LBB129_64
.LBB129_87:
	v_dual_mov_b32 v3, 0 :: v_dual_add_nc_u32 v2, v1, v3
	s_delay_alu instid0(VALU_DEP_1) | instskip(SKIP_1) | instid1(VALU_DEP_1)
	v_lshlrev_b64_e32 v[2:3], 2, v[2:3]
	s_wait_kmcnt 0x0
	v_add_co_u32 v2, vcc_lo, s8, v2
	s_wait_alu 0xfffd
	s_delay_alu instid0(VALU_DEP_2) | instskip(SKIP_3) | instid1(SALU_CYCLE_1)
	v_add_co_ci_u32_e64 v3, null, s9, v3, vcc_lo
	global_store_b32 v[2:3], v13, off
	s_wait_alu 0xfffe
	s_or_b32 exec_lo, exec_lo, s0
	s_and_b32 exec_lo, exec_lo, s2
	s_cbranch_execnz .LBB129_65
	s_branch .LBB129_66
	.section	.rodata,"a",@progbits
	.p2align	6, 0x0
	.amdhsa_kernel _ZL12mul_mat_q3_KIfLb0EEvPKvS1_PT_iiiii
		.amdhsa_group_segment_fixed_size 39840
		.amdhsa_private_segment_fixed_size 256
		.amdhsa_kernarg_size 44
		.amdhsa_user_sgpr_count 2
		.amdhsa_user_sgpr_dispatch_ptr 0
		.amdhsa_user_sgpr_queue_ptr 0
		.amdhsa_user_sgpr_kernarg_segment_ptr 1
		.amdhsa_user_sgpr_dispatch_id 0
		.amdhsa_user_sgpr_private_segment_size 0
		.amdhsa_wavefront_size32 1
		.amdhsa_uses_dynamic_stack 0
		.amdhsa_enable_private_segment 1
		.amdhsa_system_sgpr_workgroup_id_x 1
		.amdhsa_system_sgpr_workgroup_id_y 1
		.amdhsa_system_sgpr_workgroup_id_z 0
		.amdhsa_system_sgpr_workgroup_info 0
		.amdhsa_system_vgpr_workitem_id 1
		.amdhsa_next_free_vgpr 256
		.amdhsa_next_free_sgpr 25
		.amdhsa_reserve_vcc 1
		.amdhsa_float_round_mode_32 0
		.amdhsa_float_round_mode_16_64 0
		.amdhsa_float_denorm_mode_32 3
		.amdhsa_float_denorm_mode_16_64 3
		.amdhsa_fp16_overflow 0
		.amdhsa_workgroup_processor_mode 1
		.amdhsa_memory_ordered 1
		.amdhsa_forward_progress 1
		.amdhsa_inst_pref_size 255
		.amdhsa_round_robin_scheduling 0
		.amdhsa_exception_fp_ieee_invalid_op 0
		.amdhsa_exception_fp_denorm_src 0
		.amdhsa_exception_fp_ieee_div_zero 0
		.amdhsa_exception_fp_ieee_overflow 0
		.amdhsa_exception_fp_ieee_underflow 0
		.amdhsa_exception_fp_ieee_inexact 0
		.amdhsa_exception_int_div_zero 0
	.end_amdhsa_kernel
	.section	.text._ZL12mul_mat_q3_KIfLb0EEvPKvS1_PT_iiiii,"axG",@progbits,_ZL12mul_mat_q3_KIfLb0EEvPKvS1_PT_iiiii,comdat
.Lfunc_end129:
	.size	_ZL12mul_mat_q3_KIfLb0EEvPKvS1_PT_iiiii, .Lfunc_end129-_ZL12mul_mat_q3_KIfLb0EEvPKvS1_PT_iiiii
                                        ; -- End function
	.set _ZL12mul_mat_q3_KIfLb0EEvPKvS1_PT_iiiii.num_vgpr, 256
	.set _ZL12mul_mat_q3_KIfLb0EEvPKvS1_PT_iiiii.num_agpr, 0
	.set _ZL12mul_mat_q3_KIfLb0EEvPKvS1_PT_iiiii.numbered_sgpr, 25
	.set _ZL12mul_mat_q3_KIfLb0EEvPKvS1_PT_iiiii.num_named_barrier, 0
	.set _ZL12mul_mat_q3_KIfLb0EEvPKvS1_PT_iiiii.private_seg_size, 256
	.set _ZL12mul_mat_q3_KIfLb0EEvPKvS1_PT_iiiii.uses_vcc, 1
	.set _ZL12mul_mat_q3_KIfLb0EEvPKvS1_PT_iiiii.uses_flat_scratch, 1
	.set _ZL12mul_mat_q3_KIfLb0EEvPKvS1_PT_iiiii.has_dyn_sized_stack, 0
	.set _ZL12mul_mat_q3_KIfLb0EEvPKvS1_PT_iiiii.has_recursion, 0
	.set _ZL12mul_mat_q3_KIfLb0EEvPKvS1_PT_iiiii.has_indirect_call, 0
	.section	.AMDGPU.csdata,"",@progbits
; Kernel info:
; codeLenInByte = 43896
; TotalNumSgprs: 27
; NumVgprs: 256
; ScratchSize: 256
; MemoryBound: 0
; FloatMode: 240
; IeeeMode: 1
; LDSByteSize: 39840 bytes/workgroup (compile time only)
; SGPRBlocks: 0
; VGPRBlocks: 31
; NumSGPRsForWavesPerEU: 27
; NumVGPRsForWavesPerEU: 256
; Occupancy: 5
; WaveLimiterHint : 0
; COMPUTE_PGM_RSRC2:SCRATCH_EN: 1
; COMPUTE_PGM_RSRC2:USER_SGPR: 2
; COMPUTE_PGM_RSRC2:TRAP_HANDLER: 0
; COMPUTE_PGM_RSRC2:TGID_X_EN: 1
; COMPUTE_PGM_RSRC2:TGID_Y_EN: 1
; COMPUTE_PGM_RSRC2:TGID_Z_EN: 0
; COMPUTE_PGM_RSRC2:TIDIG_COMP_CNT: 1
	.section	.text._ZL12mul_mat_q3_KIfLb1EEvPKvS1_PT_iiiii,"axG",@progbits,_ZL12mul_mat_q3_KIfLb1EEvPKvS1_PT_iiiii,comdat
	.globl	_ZL12mul_mat_q3_KIfLb1EEvPKvS1_PT_iiiii ; -- Begin function _ZL12mul_mat_q3_KIfLb1EEvPKvS1_PT_iiiii
	.p2align	8
	.type	_ZL12mul_mat_q3_KIfLb1EEvPKvS1_PT_iiiii,@function
_ZL12mul_mat_q3_KIfLb1EEvPKvS1_PT_iiiii: ; @_ZL12mul_mat_q3_KIfLb1EEvPKvS1_PT_iiiii
; %bb.0:
	s_clause 0x1
	s_load_b128 s[4:7], s[0:1], 0x18
	s_load_b32 s12, s[0:1], 0x28
	v_bfe_u32 v29, v0, 10, 10
	v_and_b32_e32 v104, 0x3ff, v0
	s_lshl_b32 s13, ttmp7, 6
	s_wait_kmcnt 0x0
	s_cmp_gt_i32 s4, 0xff
	s_cbranch_scc1 .LBB130_2
; %bb.1:
	v_bfe_u32 v1, v0, 10, 10
	v_and_b32_e32 v2, 0x3ff, v0
	s_mov_b32 s2, 0
	s_delay_alu instid0(VALU_DEP_2)
	v_add_nc_u32_e32 v3, s13, v1
	s_branch .LBB130_3
.LBB130_2:
	s_mov_b32 s2, -1
                                        ; implicit-def: $vgpr1
                                        ; implicit-def: $vgpr2
                                        ; implicit-def: $vgpr3
.LBB130_3:
	s_load_b64 s[8:9], s[0:1], 0x10
	v_dual_mov_b32 v27, 0 :: v_dual_mov_b32 v34, 0
	v_dual_mov_b32 v39, 0 :: v_dual_mov_b32 v52, 0
	;; [unrolled: 1-line block ×14, first 2 shown]
	v_mov_b32_e32 v49, 0
	v_mov_b32_e32 v81, 0
	;; [unrolled: 1-line block ×4, first 2 shown]
	s_and_not1_b32 vcc_lo, exec_lo, s2
	s_lshl_b32 s14, ttmp9, 7
	s_cbranch_vccnz .LBB130_15
; %bb.4:
	s_not_b32 s16, s14
	s_ashr_i32 s10, s4, 31
	s_add_co_i32 s5, s5, s16
	s_lshr_b32 s10, s10, 24
	v_min_i32_e32 v3, s5, v29
	s_add_co_i32 s4, s4, s10
	v_and_b32_e32 v5, 15, v0
	s_wait_alu 0xfffe
	s_ashr_i32 s15, s4, 8
	v_dual_mov_b32 v85, 0 :: v_dual_lshlrev_b32 v4, 2, v104
	v_mul_lo_u32 v2, v3, s15
	v_dual_mov_b32 v76, 0 :: v_dual_add_nc_u32 v1, 8, v29
	s_delay_alu instid0(VALU_DEP_3) | instskip(SKIP_1) | instid1(VALU_DEP_3)
	v_mad_co_u64_u32 v[7:8], null, 0x84, v3, v[4:5]
	v_bfe_u32 v38, v0, 4, 6
	v_min_i32_e32 v6, s5, v1
	v_mov_b32_e32 v81, 0
	scratch_store_b32 off, v2, off offset:44 ; 4-byte Folded Spill
	v_add_nc_u32_e32 v2, 16, v29
	v_lshl_add_u32 v19, v29, 1, v38
	v_mul_lo_u32 v3, v6, s15
	scratch_store_b64 off, v[7:8], off offset:48 ; 8-byte Folded Spill
	v_mad_co_u64_u32 v[8:9], null, 0x84, v6, v[4:5]
	v_min_i32_e32 v7, s5, v2
	v_add_nc_u32_e32 v20, 0x60, v19
	v_mov_b32_e32 v64, 0
	v_add_nc_u32_e32 v24, 32, v29
	scratch_store_b32 off, v3, off offset:56 ; 4-byte Folded Spill
	v_mul_lo_u32 v6, v7, s15
	v_add_nc_u32_e32 v3, 24, v29
	scratch_store_b64 off, v[8:9], off offset:60 ; 8-byte Folded Spill
	v_mad_co_u64_u32 v[7:8], null, 0x84, v7, v[4:5]
	v_min_i32_e32 v46, s5, v20
	v_add_nc_u32_e32 v45, s13, v29
	v_add_nc_u32_e32 v25, 40, v29
	scratch_store_b32 off, v6, off offset:68 ; 4-byte Folded Spill
	v_min_i32_e32 v6, s5, v3
	v_mul_lo_u32 v51, v46, s15
	scratch_store_b64 off, v[7:8], off offset:72 ; 8-byte Folded Spill
	v_min_i32_e32 v7, s5, v24
	v_add_nc_u32_e32 v26, 48, v29
	v_mul_lo_u32 v8, v6, s15
	v_dual_mov_b32 v84, 0 :: v_dual_add_nc_u32 v27, 56, v29
	v_bfe_u32 v53, v0, 1, 9
	v_cmp_lt_u32_e32 vcc_lo, 7, v5
	v_dual_mov_b32 v33, 0 :: v_dual_lshlrev_b32 v40, 2, v5
	s_ashr_i32 s11, s7, 31
	s_clause 0x1
	scratch_store_b32 off, v8, off offset:80
	scratch_store_b32 off, v45, off offset:376
	v_mad_co_u64_u32 v[8:9], null, 0x84, v6, v[4:5]
	v_mul_lo_u32 v6, v7, s15
	s_lshr_b32 s4, s11, 27
	v_add_nc_u32_e32 v15, 32, v45
	s_wait_alu 0xfffe
	s_add_co_i32 s4, s7, s4
	s_add_co_i32 s7, s6, -1
	v_add_nc_u32_e32 v17, 40, v45
	scratch_store_b64 off, v[8:9], off offset:84 ; 8-byte Folded Spill
	v_mad_co_u64_u32 v[7:8], null, 0x84, v7, v[4:5]
	scratch_store_b32 off, v6, off offset:92 ; 4-byte Folded Spill
	v_min_i32_e32 v6, s5, v25
	v_cvt_f64_u32_e32 v[15:16], v15
	v_cvt_f64_u32_e32 v[17:18], v17
	v_add_nc_u32_e32 v22, 48, v45
	v_add_nc_u32_e32 v47, 0x70, v19
	scratch_store_b64 off, v[7:8], off offset:96 ; 8-byte Folded Spill
	v_mul_lo_u32 v7, v6, s15
	v_mad_co_u64_u32 v[8:9], null, 0x84, v6, v[4:5]
	v_min_i32_e32 v6, s5, v27
	v_mov_b32_e32 v99, 0
	scratch_store_b32 off, v51, off offset:276 ; 4-byte Folded Spill
	v_and_b32_e32 v31, 7, v0
	s_wait_alu 0xfffe
	s_ashr_i32 s4, s4, 5
	s_clause 0x1
	scratch_store_b32 off, v7, off offset:104
	scratch_store_b64 off, v[8:9], off offset:108
	v_min_i32_e32 v7, s5, v26
	v_add_nc_u32_e32 v8, 64, v29
	v_lshlrev_b32_e32 v56, 2, v31
	v_lshlrev_b32_e32 v116, 5, v1
	s_load_b128 s[0:3], s[0:1], 0x0
	v_mul_lo_u32 v9, v7, s15
	s_mul_i32 s10, s15, s14
	v_lshlrev_b32_e32 v91, 1, v104
	s_ashr_i32 s11, s10, 31
	v_lshlrev_b32_e32 v111, 5, v29
	v_lshlrev_b32_e32 v117, 5, v2
	v_dual_mov_b32 v73, 0 :: v_dual_lshlrev_b32 v118, 5, v3
	scratch_store_b32 off, v9, off offset:116 ; 4-byte Folded Spill
	v_mad_co_u64_u32 v[9:10], null, 0x84, v7, v[4:5]
	v_mul_lo_u32 v7, v6, s15
	v_lshlrev_b32_e32 v122, 5, v27
	v_mul_u32_u24_e32 v123, 0x84, v104
	v_lshlrev_b32_e32 v124, 6, v104
	s_mul_u64 s[10:11], s[10:11], 0x6e
	v_mov_b32_e32 v59, 0
	scratch_store_b64 off, v[9:10], off offset:120 ; 8-byte Folded Spill
	v_mad_co_u64_u32 v[9:10], null, 0x84, v6, v[4:5]
	scratch_store_b32 off, v7, off offset:128 ; 4-byte Folded Spill
	v_min_i32_e32 v7, s5, v8
	v_add_nc_u32_e32 v8, 0x48, v29
	v_mov_b32_e32 v80, 0
	s_wait_kmcnt 0x0
	s_add_nc_u64 s[0:1], s[0:1], s[10:11]
	v_mov_b32_e32 v95, 0
	v_mul_lo_u32 v6, v7, s15
	scratch_store_b64 off, v[9:10], off offset:132 ; 8-byte Folded Spill
	v_mad_co_u64_u32 v[10:11], null, 0x84, v7, v[4:5]
	v_lshl_add_u32 v9, v29, 4, v53
	v_mov_b32_e32 v83, 0
	v_mov_b32_e32 v79, 0
	;; [unrolled: 1-line block ×3, first 2 shown]
	scratch_store_b32 off, v6, off offset:140 ; 4-byte Folded Spill
	v_min_i32_e32 v6, s5, v8
	v_add_nc_u32_e32 v8, 0x50, v29
	v_dual_mov_b32 v90, 0 :: v_dual_and_b32 v9, 0x7f, v9
	v_mov_b32_e32 v67, 0
	s_delay_alu instid0(VALU_DEP_4)
	v_mul_lo_u32 v7, v6, s15
	scratch_store_b64 off, v[10:11], off offset:144 ; 8-byte Folded Spill
	v_mad_co_u64_u32 v[10:11], null, 0x84, v6, v[4:5]
	v_min_i32_e32 v9, s5, v9
	v_mov_b32_e32 v82, 0
	v_mov_b32_e32 v78, 0
	scratch_store_b32 off, v7, off offset:152 ; 4-byte Folded Spill
	v_min_i32_e32 v7, s5, v8
	v_add_nc_u32_e32 v8, 0x58, v29
	v_lshlrev_b32_e32 v30, 3, v9
	s_delay_alu instid0(VALU_DEP_3)
	v_mul_lo_u32 v6, v7, s15
	scratch_store_b64 off, v[10:11], off offset:156 ; 8-byte Folded Spill
	v_mad_co_u64_u32 v[10:11], null, 0x84, v7, v[4:5]
	scratch_store_b32 off, v6, off offset:164 ; 4-byte Folded Spill
	v_min_i32_e32 v6, s5, v8
	v_add_nc_u32_e32 v8, 0x60, v29
	s_delay_alu instid0(VALU_DEP_2)
	v_mul_lo_u32 v7, v6, s15
	scratch_store_b64 off, v[10:11], off offset:168 ; 8-byte Folded Spill
	v_mad_co_u64_u32 v[11:12], null, 0x84, v6, v[4:5]
	v_ashrrev_i32_e32 v10, 31, v9
	scratch_store_b32 off, v7, off offset:176 ; 4-byte Folded Spill
	v_min_i32_e32 v7, s5, v8
	v_add_nc_u32_e32 v8, 0x68, v29
	v_lshrrev_b32_e32 v10, 28, v10
	s_delay_alu instid0(VALU_DEP_3)
	v_mul_lo_u32 v6, v7, s15
	scratch_store_b64 off, v[11:12], off offset:180 ; 8-byte Folded Spill
	v_mad_co_u64_u32 v[11:12], null, 0x84, v7, v[4:5]
	v_add_nc_u32_e32 v10, v9, v10
	scratch_store_b32 off, v6, off offset:188 ; 4-byte Folded Spill
	v_min_i32_e32 v6, s5, v8
	v_add_nc_u32_e32 v8, 0x70, v29
	s_delay_alu instid0(VALU_DEP_2)
	v_mul_lo_u32 v7, v6, s15
	scratch_store_b64 off, v[11:12], off offset:192 ; 8-byte Folded Spill
	v_mad_co_u64_u32 v[11:12], null, 0x84, v6, v[4:5]
	scratch_store_b32 off, v7, off offset:200 ; 4-byte Folded Spill
	v_min_i32_e32 v7, s5, v8
	v_add_nc_u32_e32 v8, 0x78, v29
	s_delay_alu instid0(VALU_DEP_2)
	v_mul_lo_u32 v6, v7, s15
	scratch_store_b64 off, v[11:12], off offset:204 ; 8-byte Folded Spill
	v_mad_co_u64_u32 v[12:13], null, 0x84, v7, v[4:5]
	v_and_b32_e32 v11, 1, v0
	scratch_store_b32 off, v6, off offset:212 ; 4-byte Folded Spill
	v_min_i32_e32 v6, s5, v8
	v_ashrrev_i32_e32 v8, 4, v10
	scratch_store_b32 off, v11, off offset:216 ; 4-byte Folded Spill
	v_min_i32_e32 v10, s5, v19
	v_mul_lo_u32 v7, v6, s15
	scratch_store_b64 off, v[12:13], off offset:220 ; 8-byte Folded Spill
	v_add_nc_u32_e32 v13, 24, v45
	v_lshlrev_b32_e32 v34, 6, v10
	s_delay_alu instid0(VALU_DEP_2)
	v_cvt_f64_u32_e32 v[13:14], v13
	scratch_store_b32 off, v7, off offset:228 ; 4-byte Folded Spill
	v_lshlrev_b32_e32 v7, 2, v8
	v_lshlrev_b32_e32 v8, 2, v11
	v_mad_co_u64_u32 v[11:12], null, 0x84, v6, v[4:5]
	v_mul_lo_u32 v6, v9, s15
	v_cndmask_b32_e64 v5, 0, 1, vcc_lo
	s_delay_alu instid0(VALU_DEP_4)
	v_add3_u32 v28, v7, v8, 0x9380
	v_add_nc_u32_e32 v8, 32, v19
	v_add_nc_u32_e32 v9, 48, v19
	v_and_b32_e32 v4, 28, v4
	scratch_store_b64 off, v[11:12], off offset:232 ; 8-byte Folded Spill
	v_lshrrev_b32_e32 v11, 31, v10
	scratch_store_b32 off, v6, off offset:240 ; 4-byte Folded Spill
	v_add_nc_u32_e32 v6, 16, v19
	v_min_i32_e32 v8, s5, v8
	v_add_lshl_u32 v7, v10, v11, 1
	v_mul_lo_u32 v11, v10, s15
	s_delay_alu instid0(VALU_DEP_4)
	v_min_i32_e32 v6, s5, v6
	scratch_store_b32 off, v5, off offset:244 ; 4-byte Folded Spill
	v_lshlrev_b32_e32 v39, 6, v8
	v_and_b32_e32 v7, -4, v7
	v_lshrrev_b32_e32 v5, 31, v6
	v_mul_lo_u32 v10, v6, s15
	scratch_store_b32 off, v11, off offset:252 ; 4-byte Folded Spill
	v_lshrrev_b32_e32 v11, 31, v8
	v_add3_u32 v32, v7, v40, 0x4200
	v_add_lshl_u32 v5, v6, v5, 1
	v_min_i32_e32 v7, s5, v9
	v_lshlrev_b32_e32 v36, 6, v6
	v_add_lshl_u32 v9, v8, v11, 1
	v_add_nc_u32_e32 v11, 16, v45
	v_and_b32_e32 v5, -4, v5
	v_lshlrev_b32_e32 v43, 6, v7
	s_delay_alu instid0(VALU_DEP_4) | instskip(NEXT) | instid1(VALU_DEP_4)
	v_and_b32_e32 v9, -4, v9
	v_cvt_f64_u32_e32 v[11:12], v11
	s_delay_alu instid0(VALU_DEP_4) | instskip(SKIP_1) | instid1(VALU_DEP_4)
	v_add3_u32 v35, v5, v40, 0x4200
	v_add_nc_u32_e32 v5, 64, v19
	v_add3_u32 v37, v9, v40, 0x4200
	v_mul_lo_u32 v9, v7, s15
	scratch_store_b32 off, v10, off offset:256 ; 4-byte Folded Spill
	v_lshrrev_b32_e32 v10, 31, v7
	v_min_i32_e32 v23, s5, v5
	v_add_nc_u32_e32 v5, 0x50, v19
	v_cvt_f64_u32_e32 v[19:20], v22
	s_delay_alu instid0(VALU_DEP_4)
	v_add_lshl_u32 v6, v7, v10, 1
	v_mul_lo_u32 v10, v8, s15
	v_lshrrev_b32_e32 v8, 31, v23
	v_min_i32_e32 v41, s5, v5
	v_mul_lo_u32 v49, v23, s15
	v_and_b32_e32 v6, -4, v6
	v_lshlrev_b32_e32 v50, 6, v23
	v_add_lshl_u32 v21, v23, v8, 1
	v_mul_lo_u32 v23, v41, s15
	scratch_store_b32 off, v9, off offset:264 ; 4-byte Folded Spill
	v_add_nc_u32_e32 v9, 8, v45
	s_clause 0x1
	scratch_store_b32 off, v10, off offset:260
	scratch_store_b32 off, v49, off offset:268
	v_add3_u32 v42, v6, v40, 0x4200
	v_cvt_f64_i32_e32 v[5:6], s7
	v_cvt_f64_u32_e32 v[9:10], v9
	v_cvt_f64_u32_e32 v[7:8], v45
	v_add_nc_u32_e32 v45, 56, v45
	v_and_b32_e32 v48, -4, v21
	scratch_store_b32 off, v23, off offset:272 ; 4-byte Folded Spill
	v_lshrrev_b32_e32 v44, 31, v41
	v_cvt_f64_u32_e32 v[21:22], v45
	v_min_i32_e32 v45, s5, v47
	v_lshrrev_b32_e32 v47, 31, v46
	s_delay_alu instid0(VALU_DEP_4)
	v_add_lshl_u32 v44, v41, v44, 1
	v_add3_u32 v48, v48, v40, 0x4200
	v_lshlrev_b32_e32 v41, 6, v41
	v_lshrrev_b32_e32 v49, 31, v45
	v_mul_lo_u32 v51, v45, s15
	s_clause 0x1
	scratch_store_b32 off, v51, off offset:280
	scratch_store_b32 off, v40, off offset:40
	v_add_lshl_u32 v23, v45, v49, 1
	v_add_lshl_u32 v47, v46, v47, 1
	v_bfe_u32 v49, v0, 3, 7
	v_and_b32_e32 v44, -4, v44
	v_lshlrev_b32_e32 v46, 6, v46
	v_and_b32_e32 v23, -4, v23
	v_and_b32_e32 v47, -4, v47
	v_lshl_add_u32 v49, v29, 2, v49
	v_add3_u32 v44, v44, v40, 0x4200
	v_lshlrev_b32_e32 v45, 6, v45
	v_add3_u32 v51, v23, v40, 0x4200
	v_and_b32_e32 v23, 3, v0
	v_add3_u32 v47, v47, v40, 0x4200
	v_min_i32_e32 v52, s5, v49
	v_min_num_f64_e32 v[13:14], v[13:14], v[5:6]
	v_min_num_f64_e32 v[9:10], v[9:10], v[5:6]
	;; [unrolled: 1-line block ×4, first 2 shown]
	v_add_nc_u16 v54, v23, -2
	v_cmp_gt_u32_e32 vcc_lo, 2, v23
	v_min_num_f64_e32 v[19:20], v[19:20], v[5:6]
	v_min_num_f64_e32 v[7:8], v[7:8], v[5:6]
	;; [unrolled: 1-line block ×4, first 2 shown]
	s_wait_alu 0xfffd
	v_cndmask_b32_e32 v54, v54, v23, vcc_lo
	v_cmp_lt_u32_e32 vcc_lo, 3, v31
	v_lshlrev_b32_e32 v40, 1, v23
	v_ashrrev_i32_e32 v55, 31, v52
	s_delay_alu instid0(VALU_DEP_4)
	v_and_b32_e32 v22, 0xff, v54
	s_wait_alu 0xfffd
	v_cndmask_b32_e64 v31, 0, 1, vcc_lo
	v_add_nc_u32_e32 v54, 32, v49
	v_lshrrev_b32_e32 v21, 30, v55
	v_lshlrev_b32_e32 v22, 2, v22
	scratch_store_b32 off, v31, off offset:284 ; 4-byte Folded Spill
	v_min_i32_e32 v31, s5, v54
	v_add_nc_u32_e32 v21, v52, v21
	scratch_store_b32 off, v22, off offset:288 ; 4-byte Folded Spill
	v_add_nc_u32_e32 v22, 64, v49
	v_add_nc_u32_e32 v49, 0x60, v49
	v_ashrrev_i32_e32 v54, 31, v31
	v_and_b32_e32 v21, -4, v21
	s_delay_alu instid0(VALU_DEP_4) | instskip(NEXT) | instid1(VALU_DEP_4)
	v_min_i32_e32 v22, s5, v22
	v_min_i32_e32 v49, s5, v49
	s_delay_alu instid0(VALU_DEP_4) | instskip(NEXT) | instid1(VALU_DEP_4)
	v_lshrrev_b32_e32 v54, 30, v54
	v_add3_u32 v21, v21, v56, 0x8300
	s_mov_b32 s5, 0
	v_ashrrev_i32_e32 v55, 31, v22
	v_cvt_i32_f64_e32 v13, v[13:14]
	v_cvt_i32_f64_e32 v9, v[9:10]
	;; [unrolled: 1-line block ×4, first 2 shown]
	v_mul_lo_u32 v18, v22, s15
	scratch_store_b32 off, v40, off offset:292 ; 4-byte Folded Spill
	v_mul_lo_u32 v40, v52, s15
	v_cvt_i32_f64_e32 v17, v[19:20]
	v_mul_lo_u32 v19, v49, s15
	v_cvt_i32_f64_e32 v5, v[5:6]
	v_ashrrev_i32_e32 v10, 31, v49
	v_add_nc_u32_e32 v54, v31, v54
	scratch_store_b32 off, v18, off offset:304 ; 4-byte Folded Spill
	v_cvt_i32_f64_e32 v7, v[7:8]
	scratch_store_b32 off, v40, off offset:296 ; 4-byte Folded Spill
	v_mul_lo_u32 v40, v31, s15
	v_lshrrev_b32_e32 v8, 30, v55
	v_cvt_i32_f64_e32 v11, v[11:12]
	v_lshrrev_b32_e32 v10, 30, v10
	v_bfe_u32 v16, v0, 2, 8
	v_lshlrev_b32_e32 v52, 5, v52
	v_and_b32_e32 v12, -4, v54
	v_add_nc_u32_e32 v8, v22, v8
	s_clause 0x2
	scratch_store_b32 off, v40, off offset:300
	scratch_store_b32 off, v19, off offset:308
	;; [unrolled: 1-line block ×3, first 2 shown]
	v_add_nc_u32_e32 v6, v49, v10
	v_lshl_add_u32 v10, v29, 3, v16
	v_add3_u32 v12, v12, v56, 0x8300
	v_and_b32_e32 v8, -4, v8
	v_lshlrev_b32_e32 v16, 5, v31
	v_and_b32_e32 v6, -4, v6
	v_and_b32_e32 v10, 63, v10
	v_lshlrev_b32_e32 v18, 5, v22
	v_add3_u32 v8, v8, v56, 0x8300
	v_lshlrev_b32_e32 v20, 2, v23
	v_add3_u32 v6, v6, v56, 0x8300
	v_or_b32_e32 v19, s13, v10
	v_and_b32_e32 v22, 31, v0
	v_lshlrev_b32_e32 v31, 5, v49
	v_mul_lo_u32 v107, s4, v9
	v_lshlrev_b32_e32 v9, 7, v1
	v_add_nc_u32_e32 v1, v28, v30
	v_min_i32_e32 v19, s7, v19
	v_mul_lo_u32 v145, s4, v15
	v_lshl_or_b32 v10, v10, 4, v20
	v_mul_lo_u32 v15, s4, v17
	scratch_store_b32 off, v1, off offset:320 ; 4-byte Folded Spill
	v_add_nc_u32_e32 v1, v32, v34
	v_mul_lo_u32 v5, s4, v5
	v_lshl_or_b32 v20, v22, 2, 0x6300
	v_mad_co_u64_u32 v[22:23], null, v19, s4, v[23:24]
	scratch_store_b32 off, v1, off offset:324 ; 4-byte Folded Spill
	v_add_nc_u32_e32 v1, v35, v36
	v_add_nc_u32_e32 v105, 0x97a0, v10
	v_lshlrev_b32_e32 v10, 7, v2
	s_clause 0x2
	scratch_store_b32 off, v15, off
	scratch_store_b32 off, v104, off offset:36
	scratch_store_b32 off, v1, off offset:328
	v_add_nc_u32_e32 v1, v37, v39
	v_add_nc_u32_e32 v49, 64, v104
	v_mul_lo_u32 v108, s4, v11
	v_lshlrev_b32_e32 v11, 7, v3
	v_lshlrev_b32_e32 v19, 5, v104
	scratch_store_b32 off, v1, off offset:332 ; 4-byte Folded Spill
	v_add_nc_u32_e32 v1, v42, v43
	v_and_b32_e32 v0, 0xfc, v0
	v_mul_lo_u32 v109, s4, v13
	v_lshrrev_b32_e32 v57, 1, v49
	v_lshlrev_b32_e32 v127, 6, v49
	scratch_store_b32 off, v1, off offset:336 ; 4-byte Folded Spill
	v_add_nc_u32_e32 v1, v48, v50
	v_add3_u32 v112, v19, v0, 0x8300
	v_add_nc_u32_e32 v19, 0x60, v104
	v_lshlrev_b32_e32 v128, 3, v49
	v_mul_lo_u32 v110, s4, v14
	scratch_store_b32 off, v1, off offset:340 ; 4-byte Folded Spill
	v_add_nc_u32_e32 v1, v44, v41
	v_lshlrev_b32_e32 v55, 5, v19
	v_and_b32_e32 v56, 0x1fc, v19
	v_mov_b32_e32 v32, 0
	v_lshlrev_b32_e32 v14, 7, v25
	scratch_store_b32 off, v1, off offset:344 ; 4-byte Folded Spill
	v_add_nc_u32_e32 v1, v47, v46
	v_mul_lo_u32 v106, s4, v7
	v_lshlrev_b32_e32 v7, 7, v29
	v_lshlrev_b32_e32 v17, 7, v27
	v_add3_u32 v115, v55, v56, 0x8300
	scratch_store_b32 off, v1, off offset:348 ; 4-byte Folded Spill
	v_add_nc_u32_e32 v1, v51, v45
	v_lshrrev_b32_e32 v55, 4, v19
	v_mov_b32_e32 v37, 0
	v_lshlrev_b32_e32 v15, 7, v26
	v_lshlrev_b32_e32 v120, 5, v25
	scratch_store_b32 off, v1, off offset:352 ; 4-byte Folded Spill
	v_add_nc_u32_e32 v1, v21, v52
	v_add_co_u32 v25, s4, s2, v4
	v_lshlrev_b32_e32 v121, 5, v26
	v_lshlrev_b32_e32 v129, 6, v19
	scratch_store_b32 off, v1, off offset:356 ; 4-byte Folded Spill
	v_add_nc_u32_e32 v1, v12, v16
	v_lshlrev_b32_e32 v130, 3, v19
	s_wait_alu 0xf1ff
	v_add_co_ci_u32_e64 v26, null, s3, 0, s4
	v_add_nc_u32_e32 v158, v20, v17
	scratch_store_b32 off, v1, off offset:360 ; 4-byte Folded Spill
	v_add_nc_u32_e32 v1, v8, v18
	v_lshlrev_b32_e32 v154, 2, v57
	v_dual_mov_b32 v46, 0 :: v_dual_lshlrev_b32 v157, 2, v55
	v_mov_b32_e32 v36, 0
	scratch_store_b32 off, v1, off offset:364 ; 4-byte Folded Spill
	v_add_nc_u32_e32 v1, v6, v31
	v_mov_b32_e32 v31, 0
	v_mov_b32_e32 v43, 0
	v_dual_mov_b32 v35, 0 :: v_dual_mov_b32 v30, 0
	scratch_store_b32 off, v1, off offset:368 ; 4-byte Folded Spill
	v_add_nc_u32_e32 v1, v20, v9
	scratch_store_b32 off, v5, off offset:4 ; 4-byte Folded Spill
	v_dual_mov_b32 v52, 0 :: v_dual_add_nc_u32 v5, 32, v104
	v_mov_b32_e32 v39, 0
	scratch_store_b32 off, v1, off offset:8 ; 4-byte Folded Spill
	v_add_nc_u32_e32 v1, v20, v10
	scratch_store_b64 off, v[22:23], off offset:312 ; 8-byte Folded Spill
	v_lshlrev_b32_e32 v22, 5, v5
	v_and_b32_e32 v23, 0x1fc, v5
	v_lshrrev_b32_e32 v0, 1, v5
	scratch_store_b32 off, v1, off offset:12 ; 4-byte Folded Spill
	v_add_nc_u32_e32 v1, v20, v11
	scratch_store_b32 off, v29, off offset:372 ; 4-byte Folded Spill
	v_add3_u32 v113, v22, v23, 0x8300
	v_lshlrev_b32_e32 v22, 5, v49
	v_and_b32_e32 v23, 0x1fc, v49
	scratch_store_b32 off, v1, off offset:16 ; 4-byte Folded Spill
	v_lshrrev_b32_e32 v54, 4, v5
	v_lshlrev_b32_e32 v125, 6, v5
	v_lshlrev_b32_e32 v126, 3, v5
	v_add3_u32 v114, v22, v23, 0x8300
	v_lshrrev_b32_e32 v22, 4, v49
	v_mov_b32_e32 v49, 0
	v_lshlrev_b32_e32 v13, 7, v24
	v_lshrrev_b32_e32 v23, 1, v19
	v_lshlrev_b32_e32 v119, 5, v24
	v_add_nc_u32_e32 v29, v20, v7
	v_lshlrev_b32_e32 v152, 2, v0
	v_add_nc_u32_e32 v1, v20, v13
	v_lshlrev_b32_e32 v153, 2, v54
	v_lshlrev_b32_e32 v155, 2, v22
	;; [unrolled: 1-line block ×3, first 2 shown]
	v_mov_b32_e32 v54, 0
	scratch_store_b32 off, v1, off offset:20 ; 4-byte Folded Spill
	v_dual_mov_b32 v34, 0 :: v_dual_add_nc_u32 v1, v20, v14
	v_mov_b32_e32 v27, 0
	s_wait_alu 0xfffe
	s_mov_b32 s4, s5
	scratch_store_b32 off, v1, off offset:24 ; 4-byte Folded Spill
	v_add_nc_u32_e32 v1, v20, v15
	scratch_store_b32 off, v1, off offset:28 ; 4-byte Folded Spill
	s_branch .LBB130_6
.LBB130_5:                              ;   in Loop: Header=BB130_6 Depth=1
	s_add_co_i32 s4, s4, 2
	s_wait_alu 0xfffe
	s_cmp_ge_i32 s4, s15
	s_cbranch_scc1 .LBB130_14
.LBB130_6:                              ; =>This Loop Header: Depth=1
                                        ;     Child Loop BB130_8 Depth 2
                                        ;       Child Loop BB130_10 Depth 3
                                        ;       Child Loop BB130_12 Depth 3
	s_clause 0x9
	scratch_load_b32 v2, off, off offset:44
	scratch_load_b32 v4, off, off offset:56
	;; [unrolled: 1-line block ×10, first 2 shown]
	s_wait_alu 0xfffe
	s_mul_u64 s[10:11], s[4:5], 0x6e
	s_lshl_b32 s7, s4, 3
	s_wait_alu 0xfffe
	s_add_nc_u64 s[10:11], s[0:1], s[10:11]
	s_wait_alu 0xfffe
	v_mad_co_u64_u32 v[0:1], null, 0x6e, v38, s[10:11]
	s_wait_loadcnt 0x9
	s_delay_alu instid0(VALU_DEP_1)
	v_mad_co_i64_i32 v[2:3], null, 0x6e, v2, v[0:1]
	s_wait_loadcnt 0x8
	v_mad_co_i64_i32 v[4:5], null, 0x6e, v4, v[0:1]
	s_wait_loadcnt 0x7
	;; [unrolled: 2-line block ×4, first 2 shown]
	v_add_co_u32 v2, vcc_lo, v2, v20
	v_mad_co_i64_i32 v[10:11], null, 0x6e, v10, v[0:1]
	s_wait_alu 0xfffd
	v_add_co_ci_u32_e64 v3, null, 0, v3, vcc_lo
	v_add_co_u32 v4, vcc_lo, v4, v20
	v_mad_co_i64_i32 v[12:13], null, 0x6e, v12, v[0:1]
	s_wait_alu 0xfffd
	v_add_co_ci_u32_e64 v5, null, 0, v5, vcc_lo
	;; [unrolled: 4-line block ×3, first 2 shown]
	v_add_co_u32 v8, vcc_lo, v8, v20
	s_wait_loadcnt 0x1
	v_mad_co_i64_i32 v[16:17], null, 0x6e, v16, v[0:1]
	s_wait_alu 0xfffd
	v_add_co_ci_u32_e64 v9, null, 0, v9, vcc_lo
	v_add_co_u32 v10, vcc_lo, v10, v20
	s_wait_alu 0xfffd
	v_add_co_ci_u32_e64 v11, null, 0, v11, vcc_lo
	v_add_co_u32 v12, vcc_lo, v12, v20
	;; [unrolled: 3-line block ×4, first 2 shown]
	s_wait_alu 0xfffd
	v_add_co_ci_u32_e64 v17, null, 0, v17, vcc_lo
	s_clause 0x7
	global_load_b32 v22, v[2:3], off offset:32
	global_load_b32 v23, v[4:5], off offset:32
	;; [unrolled: 1-line block ×8, first 2 shown]
	s_clause 0x6
	scratch_load_b32 v2, off, off offset:152
	scratch_load_b32 v6, off, off offset:164
	;; [unrolled: 1-line block ×7, first 2 shown]
	s_wait_loadcnt 0xf
	v_mad_co_i64_i32 v[18:19], null, 0x6e, v18, v[0:1]
	s_delay_alu instid0(VALU_DEP_1)
	v_add_co_u32 v4, vcc_lo, v18, v20
	scratch_load_b32 v18, off, off offset:240 ; 4-byte Folded Reload
	s_wait_alu 0xfffd
	v_add_co_ci_u32_e64 v5, null, 0, v19, vcc_lo
	s_wait_loadcnt 0x7
	v_mad_co_i64_i32 v[2:3], null, 0x6e, v2, v[0:1]
	s_wait_loadcnt 0x6
	v_mad_co_i64_i32 v[6:7], null, 0x6e, v6, v[0:1]
	;; [unrolled: 2-line block ×4, first 2 shown]
	s_delay_alu instid0(VALU_DEP_4)
	v_add_co_u32 v2, vcc_lo, v2, v20
	s_wait_loadcnt 0x3
	v_mad_co_i64_i32 v[12:13], null, 0x6e, v12, v[0:1]
	s_wait_alu 0xfffd
	v_add_co_ci_u32_e64 v3, null, 0, v3, vcc_lo
	v_add_co_u32 v6, vcc_lo, v6, v20
	s_wait_loadcnt 0x2
	v_mad_co_i64_i32 v[14:15], null, 0x6e, v14, v[0:1]
	s_wait_alu 0xfffd
	v_add_co_ci_u32_e64 v7, null, 0, v7, vcc_lo
	;; [unrolled: 5-line block ×3, first 2 shown]
	v_add_co_u32 v10, vcc_lo, v10, v20
	s_wait_alu 0xfffd
	v_add_co_ci_u32_e64 v11, null, 0, v11, vcc_lo
	v_add_co_u32 v12, vcc_lo, v12, v20
	s_wait_alu 0xfffd
	v_add_co_ci_u32_e64 v13, null, 0, v13, vcc_lo
	v_add_co_u32 v14, vcc_lo, v14, v20
	s_wait_alu 0xfffd
	v_add_co_ci_u32_e64 v15, null, 0, v15, vcc_lo
	v_add_co_u32 v0, vcc_lo, v0, v20
	s_clause 0x1
	scratch_load_b32 v16, off, off offset:244
	scratch_load_b32 v20, off, off offset:248
	s_wait_alu 0xfffd
	v_add_co_ci_u32_e64 v1, null, 0, v1, vcc_lo
	s_clause 0x7
	global_load_b32 v47, v[4:5], off offset:32
	global_load_b32 v48, v[2:3], off offset:32
	global_load_b32 v50, v[6:7], off offset:32
	global_load_b32 v51, v[8:9], off offset:32
	global_load_b32 v55, v[10:11], off offset:32
	global_load_b32 v56, v[12:13], off offset:32
	global_load_b32 v57, v[14:15], off offset:32
	global_load_b32 v58, v[0:1], off offset:32
	scratch_load_b32 v0, off, off offset:216 ; 4-byte Folded Reload
	s_wait_loadcnt 0xb
	v_mad_co_i64_i32 v[18:19], null, 0x6e, v18, s[10:11]
	s_clause 0x6
	scratch_load_b32 v2, off, off offset:252
	scratch_load_b32 v4, off, off offset:256
	;; [unrolled: 1-line block ×7, first 2 shown]
	s_wait_loadcnt 0x11
	v_mad_co_u64_u32 v[16:17], null, 0x6e, v16, s[10:11]
	s_wait_loadcnt 0x7
	v_mad_co_u64_u32 v[0:1], null, 0x6e, v0, v[18:19]
	scratch_load_b32 v18, off, off offset:276 ; 4-byte Folded Reload
	v_add_co_u32 v16, vcc_lo, v16, v20
	s_wait_alu 0xfffd
	v_add_co_ci_u32_e64 v17, null, 0, v17, vcc_lo
	scratch_load_b32 v20, off, off offset:296 ; 4-byte Folded Reload
	s_wait_loadcnt 0x2
	v_mad_co_u64_u32 v[10:11], null, 0x6e, v10, s[10:11]
	v_mad_co_i64_i32 v[2:3], null, 0x6e, v2, v[16:17]
	v_mad_co_i64_i32 v[4:5], null, 0x6e, v4, v[16:17]
	;; [unrolled: 1-line block ×6, first 2 shown]
	s_mov_b32 s10, 0
	s_wait_loadcnt 0x1
	v_mad_co_i64_i32 v[18:19], null, 0x6e, v18, v[16:17]
	s_clause 0x7
	global_load_u16 v60, v[0:1], off offset:108
	global_load_b32 v61, v[2:3], off
	global_load_b32 v62, v[4:5], off
	;; [unrolled: 1-line block ×7, first 2 shown]
	s_clause 0x4
	scratch_load_b32 v0, off, off offset:280
	scratch_load_b32 v2, off, off offset:300
	;; [unrolled: 1-line block ×5, first 2 shown]
	s_wait_loadcnt 0xd
	v_mad_co_i64_i32 v[20:21], null, 0x6e, v20, v[10:11]
	s_wait_loadcnt 0x4
	v_mad_co_i64_i32 v[0:1], null, 0x6e, v0, v[16:17]
	s_wait_loadcnt 0x3
	v_mad_co_i64_i32 v[2:3], null, 0x6e, v2, v[10:11]
	s_wait_loadcnt 0x2
	v_mad_co_i64_i32 v[6:7], null, 0x6e, v6, v[10:11]
	s_wait_loadcnt 0x1
	v_mad_co_i64_i32 v[8:9], null, 0x6e, v8, v[10:11]
	s_wait_loadcnt 0x0
	v_add_co_u32 v4, vcc_lo, v20, v14
	s_wait_alu 0xfffd
	v_add_co_ci_u32_e64 v5, null, 0, v21, vcc_lo
	v_add_co_u32 v10, vcc_lo, v2, v14
	s_wait_alu 0xfffd
	v_add_co_ci_u32_e64 v11, null, 0, v3, vcc_lo
	;; [unrolled: 3-line block ×4, first 2 shown]
	s_clause 0x8
	global_load_b32 v0, v[0:1], off
	global_load_b32 v1, v[4:5], off offset:96
	global_load_b32 v4, v[8:9], off offset:104
	;; [unrolled: 1-line block ×8, first 2 shown]
	scratch_load_b64 v[9:10], off, off offset:312 ; 8-byte Folded Reload
	s_wait_loadcnt 0x0
	scratch_load_b64 v[10:11], off, off offset:48 ; 8-byte Folded Reload
	v_not_b32_e32 v16, v18
	scratch_load_b32 v18, off, off offset:292 ; 4-byte Folded Reload
	v_and_b32_e32 v17, 4, v91
	v_not_b32_e32 v12, v65
	v_not_b32_e32 v13, v66
	;; [unrolled: 1-line block ×5, first 2 shown]
	v_ashrrev_i32_e32 v1, v17, v1
	v_ashrrev_i32_e32 v6, v17, v6
	;; [unrolled: 1-line block ×4, first 2 shown]
	v_add_nc_u32_e32 v144, s7, v9
	s_wait_loadcnt 0x1
	ds_store_b32 v10, v22
	s_clause 0x1
	scratch_load_b64 v[10:11], off, off offset:60
	scratch_load_b32 v17, off, off offset:320
	v_cvt_f32_f16_e32 v9, v60
	s_wait_loadcnt 0x2
	v_ashrrev_i32_e32 v3, v18, v3
	v_and_b32_e32 v1, 0xf0f0f0f, v1
	v_ashrrev_i32_e32 v5, v18, v5
	v_ashrrev_i32_e32 v2, v18, v2
	v_and_b32_e32 v7, 0xf0f0f0f, v7
	v_lshlrev_b32_e32 v3, 4, v3
	v_and_b32_e32 v6, 0xf0f0f0f, v6
	v_lshlrev_b32_e32 v5, 4, v5
	v_lshlrev_b32_e32 v2, 4, v2
	v_ashrrev_i32_e32 v4, v18, v4
	v_and_or_b32 v1, 0x30303030, v3, v1
	v_and_b32_e32 v8, 0xf0f0f0f, v8
	scratch_store_b32 off, v144, off offset:32 ; 4-byte Folded Spill
	v_and_or_b32 v2, 0x30303030, v2, v6
	v_lshlrev_b32_e32 v4, 4, v4
	v_and_b32_e32 v6, 0x3f00, v1
	scratch_load_b32 v3, off, off offset:344 ; 4-byte Folded Reload
	v_and_or_b32 v4, 0x30303030, v4, v8
	v_and_b32_e32 v8, 0x3f00, v2
	s_wait_loadcnt 0x2
	ds_store_b32 v10, v23
	s_wait_loadcnt 0x1
	ds_store_b32 v17, v9
	s_clause 0x1
	scratch_load_b64 v[10:11], off, off offset:72
	scratch_load_b32 v9, off, off offset:324
	s_wait_loadcnt 0x1
	ds_store_b32 v10, v24
	scratch_load_b64 v[10:11], off, off offset:84 ; 8-byte Folded Reload
	s_wait_loadcnt 0x0
	ds_store_b32 v10, v28
	scratch_load_b64 v[10:11], off, off offset:96 ; 8-byte Folded Reload
	;; [unrolled: 3-line block ×13, first 2 shown]
	s_wait_loadcnt 0x0
	v_not_b32_e32 v11, v62
	ds_store_b32 v10, v58
	v_not_b32_e32 v10, v61
	ds_store_b32 v9, v10
	scratch_load_b32 v9, off, off offset:328 ; 4-byte Folded Reload
	s_wait_loadcnt 0x0
	ds_store_b32 v9, v11
	scratch_load_b32 v9, off, off offset:332 ; 4-byte Folded Reload
	v_lshrrev_b32_e32 v11, 16, v4
	s_delay_alu instid0(VALU_DEP_1) | instskip(SKIP_1) | instid1(VALU_DEP_1)
	v_and_b32_e32 v17, 0x3f00, v11
	v_lshlrev_b16 v11, 8, v11
	v_add_nc_u16 v11, 0xe000, v11
	s_wait_loadcnt 0x0
	ds_store_b32 v9, v12
	scratch_load_b32 v9, off, off offset:336 ; 4-byte Folded Reload
	v_and_b32_e32 v12, 0x3f00, v4
	v_lshlrev_b16 v4, 8, v4
	s_delay_alu instid0(VALU_DEP_1) | instskip(NEXT) | instid1(VALU_DEP_1)
	v_add_nc_u16 v4, 0xe000, v4
	v_lshrrev_b16 v4, 8, v4
	s_delay_alu instid0(VALU_DEP_1) | instskip(NEXT) | instid1(VALU_DEP_1)
	v_or_b32_e32 v4, v12, v4
	v_add_nc_u16 v4, 0xe000, v4
	s_delay_alu instid0(VALU_DEP_1)
	v_and_b32_e32 v4, 0xffff, v4
	s_wait_loadcnt 0x0
	ds_store_b32 v9, v13
	scratch_load_b32 v9, off, off offset:340 ; 4-byte Folded Reload
	s_wait_loadcnt 0x0
	ds_store_b32 v9, v14
	ds_store_b32 v3, v15
	v_and_or_b32 v3, 0x30303030, v5, v7
	v_lshrrev_b32_e32 v5, 16, v1
	v_lshlrev_b16 v1, 8, v1
	v_lshrrev_b32_e32 v7, 16, v2
	v_lshlrev_b16 v2, 8, v2
	v_lshrrev_b32_e32 v9, 16, v3
	v_and_b32_e32 v13, 0x3f00, v5
	v_lshlrev_b16 v5, 8, v5
	v_add_nc_u16 v1, 0xe000, v1
	v_and_b32_e32 v14, 0x3f00, v7
	v_lshlrev_b16 v7, 8, v7
	v_and_b32_e32 v15, 0x3f00, v9
	v_add_nc_u16 v5, 0xe000, v5
	v_lshrrev_b16 v1, 8, v1
	v_lshlrev_b16 v9, 8, v9
	v_add_nc_u16 v7, 0xe000, v7
	v_add_nc_u16 v2, 0xe000, v2
	v_lshrrev_b16 v5, 8, v5
	v_or_b32_e32 v1, v6, v1
	v_add_nc_u16 v9, 0xe000, v9
	v_lshrrev_b16 v6, 8, v7
	v_lshrrev_b16 v2, 8, v2
	v_or_b32_e32 v5, v13, v5
	v_add_nc_u16 v1, 0xe000, v1
	v_lshrrev_b16 v7, 8, v9
	scratch_load_b32 v9, off, off offset:348 ; 4-byte Folded Reload
	v_or_b32_e32 v2, v8, v2
	v_add_nc_u16 v5, 0xe000, v5
	v_and_b32_e32 v1, 0xffff, v1
	v_or_b32_e32 v6, v14, v6
	v_and_b32_e32 v10, 0x3f00, v3
	v_add_nc_u16 v2, 0xe000, v2
	v_lshlrev_b32_e32 v5, 16, v5
	v_lshlrev_b16 v3, 8, v3
	v_add_nc_u16 v6, 0xe000, v6
	v_or_b32_e32 v7, v15, v7
	v_and_b32_e32 v2, 0xffff, v2
	v_or_b32_e32 v1, v1, v5
	scratch_load_b32 v5, off, off offset:352 ; 4-byte Folded Reload
	v_lshlrev_b32_e32 v6, 16, v6
	v_add_nc_u16 v3, 0xe000, v3
	v_add_nc_u16 v7, 0xe000, v7
	v_lshrrev_b16 v8, 8, v11
	s_delay_alu instid0(VALU_DEP_4) | instskip(NEXT) | instid1(VALU_DEP_4)
	v_or_b32_e32 v2, v2, v6
	v_lshrrev_b16 v3, 8, v3
	s_delay_alu instid0(VALU_DEP_4) | instskip(NEXT) | instid1(VALU_DEP_4)
	v_lshlrev_b32_e32 v7, 16, v7
	v_or_b32_e32 v8, v17, v8
	s_delay_alu instid0(VALU_DEP_3) | instskip(NEXT) | instid1(VALU_DEP_2)
	v_or_b32_e32 v3, v10, v3
	v_add_nc_u16 v8, 0xe000, v8
	s_delay_alu instid0(VALU_DEP_2) | instskip(NEXT) | instid1(VALU_DEP_2)
	v_add_nc_u16 v3, 0xe000, v3
	v_lshlrev_b32_e32 v8, 16, v8
	s_delay_alu instid0(VALU_DEP_2) | instskip(NEXT) | instid1(VALU_DEP_2)
	v_and_b32_e32 v3, 0xffff, v3
	v_or_b32_e32 v4, v4, v8
	s_delay_alu instid0(VALU_DEP_2)
	v_or_b32_e32 v3, v3, v7
	s_wait_loadcnt 0x1
	ds_store_b32 v9, v16
	s_wait_loadcnt 0x0
	ds_store_b32 v5, v0
	scratch_load_b32 v0, off, off offset:356 ; 4-byte Folded Reload
	s_wait_loadcnt 0x0
	ds_store_b32 v0, v1
	scratch_load_b32 v0, off, off offset:360 ; 4-byte Folded Reload
	;; [unrolled: 3-line block ×4, first 2 shown]
	s_wait_loadcnt 0x0
	ds_store_b32 v0, v4
	s_branch .LBB130_8
.LBB130_7:                              ;   in Loop: Header=BB130_8 Depth=2
                                        ; implicit-def: $sgpr10
	s_wait_alu 0xfffe
	s_and_b32 vcc_lo, exec_lo, s11
	s_wait_alu 0xfffe
	s_cbranch_vccnz .LBB130_5
.LBB130_8:                              ;   Parent Loop BB130_6 Depth=1
                                        ; =>  This Loop Header: Depth=2
                                        ;       Child Loop BB130_10 Depth 3
                                        ;       Child Loop BB130_12 Depth 3
	s_wait_alu 0xfffe
	s_lshr_b32 s11, s10, 1
	s_wait_alu 0xfffe
	s_or_b32 s11, s11, s4
	s_wait_alu 0xfffe
	s_cmp_lt_i32 s11, s15
	s_mov_b32 s11, -1
	s_cbranch_scc0 .LBB130_7
; %bb.9:                                ;   in Loop: Header=BB130_8 Depth=2
	scratch_load_b32 v3, off, off           ; 4-byte Folded Reload
	s_wait_loadcnt 0x2
	v_lshl_add_u32 v0, s10, 5, v104
	s_wait_loadcnt 0x1
	v_lshl_add_u32 v8, s10, 2, v144
	s_or_b32 s16, s10, 1
	s_lshl_b32 s17, s10, 3
	s_wait_alu 0xfffe
	s_lshl_b32 s11, s16, 3
	v_lshrrev_b32_e32 v0, 3, v0
	v_mad_co_u64_u32 v[8:9], null, v8, 36, s[2:3]
	s_delay_alu instid0(VALU_DEP_2) | instskip(NEXT) | instid1(VALU_DEP_1)
	v_add_nc_u32_e32 v0, s7, v0
	v_add_nc_u32_e32 v1, v0, v106
	;; [unrolled: 1-line block ×7, first 2 shown]
	s_delay_alu instid0(VALU_DEP_4) | instskip(NEXT) | instid1(VALU_DEP_4)
	v_mad_co_i64_i32 v[4:5], null, v4, 36, v[25:26]
	v_mad_co_i64_i32 v[6:7], null, v6, 36, v[25:26]
	s_delay_alu instid0(VALU_DEP_4) | instskip(NEXT) | instid1(VALU_DEP_4)
	v_mad_co_i64_i32 v[12:13], null, v12, 36, v[25:26]
	v_mad_co_i64_i32 v[14:15], null, v14, 36, v[25:26]
	s_wait_loadcnt 0x0
	v_add_nc_u32_e32 v16, v0, v3
	scratch_load_b32 v3, off, off offset:4  ; 4-byte Folded Reload
	v_mad_co_i64_i32 v[16:17], null, v16, 36, v[25:26]
	s_wait_loadcnt 0x0
	v_add_nc_u32_e32 v10, v0, v3
	v_mad_co_i64_i32 v[0:1], null, v1, 36, v[25:26]
	v_mad_co_i64_i32 v[2:3], null, v2, 36, v[25:26]
	s_delay_alu instid0(VALU_DEP_3)
	v_mad_co_i64_i32 v[10:11], null, v10, 36, v[25:26]
	s_clause 0x8
	global_load_b32 v8, v[8:9], off
	global_load_b32 v9, v[10:11], off offset:4
	global_load_b32 v0, v[0:1], off offset:4
	;; [unrolled: 1-line block ×8, first 2 shown]
	s_wait_loadcnt 0x7
	ds_store_b32 v158, v9
	s_wait_loadcnt 0x6
	ds_store_b32 v29, v0
	scratch_load_b32 v0, off, off offset:8  ; 4-byte Folded Reload
	v_cvt_f32_f16_e32 v7, v8
	s_wait_loadcnt 0x0
	ds_store_b32 v0, v1
	scratch_load_b32 v0, off, off offset:12 ; 4-byte Folded Reload
	s_wait_loadcnt 0x0
	ds_store_b32 v0, v2
	scratch_load_b32 v0, off, off offset:16 ; 4-byte Folded Reload
	;; [unrolled: 3-line block ×5, first 2 shown]
	s_wait_loadcnt 0x0
	ds_store_b32 v0, v6
	ds_store_b32 v105, v7
	s_wait_storecnt_dscnt 0x0
	s_barrier_signal -1
	s_barrier_wait -1
	global_inv scope:SCOPE_SE
.LBB130_10:                             ;   Parent Loop BB130_6 Depth=1
                                        ;     Parent Loop BB130_8 Depth=2
                                        ; =>    This Inner Loop Header: Depth=3
	s_lshl_b32 s18, s17, 2
	s_lshr_b32 s21, s17, 4
	s_wait_alu 0xfffe
	s_and_b32 s18, s18, 24
	v_lshlrev_b32_e32 v159, 2, v53
	s_wait_alu 0xfffe
	v_or_b32_e32 v0, s18, v111
	s_lshl_b32 s23, s21, 5
	s_and_b32 s22, s17, 0x3ffffff8
	s_wait_alu 0xfffe
	s_addk_co_i32 s23, 0x4200
	v_lshl_add_u32 v162, s22, 2, v123
	v_lshlrev_b32_e32 v8, 2, v0
	v_lshrrev_b32_e32 v0, 1, v0
	s_wait_alu 0xfffe
	v_add3_u32 v7, s23, v159, v124
	s_bfe_u32 s19, s17, 0x30001
	s_and_b32 s20, s17, 6
	v_lshlrev_b32_e32 v160, 2, v38
	ds_load_b32 v131, v0 offset:38816
	ds_load_2addr_b32 v[2:3], v7 offset1:1
	ds_load_2addr_b32 v[0:1], v162 offset1:1
	v_lshlrev_b32_e32 v161, 2, v91
	s_lshl_b32 s24, s21, 2
	s_and_b32 s21, s17, -2
	s_add_co_i32 s22, s24, 0x9380
	v_add3_u32 v168, s23, v154, v127
	s_wait_alu 0xfffe
	v_add_nc_u32_e32 v236, s21, v114
	s_add_co_i32 s17, s17, 2
	s_wait_alu 0xfffe
	s_cmp_lt_u32 s17, s11
	s_wait_dscnt 0x1
	v_ashrrev_i32_e32 v2, s19, v2
	s_wait_dscnt 0x0
	v_ashrrev_i32_e32 v0, s20, v0
	v_ashrrev_i32_e32 v3, s19, v3
	s_delay_alu instid0(VALU_DEP_3) | instskip(NEXT) | instid1(VALU_DEP_3)
	v_lshlrev_b32_e32 v2, 2, v2
	v_and_b32_e32 v4, 0x3030303, v0
	v_bfe_u32 v0, v0, 24, 2
	s_delay_alu instid0(VALU_DEP_4) | instskip(NEXT) | instid1(VALU_DEP_4)
	v_lshlrev_b32_e32 v3, 2, v3
	v_and_b32_e32 v2, 0x4040404, v2
	s_delay_alu instid0(VALU_DEP_4) | instskip(SKIP_1) | instid1(VALU_DEP_4)
	v_lshrrev_b32_e32 v5, 16, v4
	v_lshrrev_b16 v6, 8, v4
	v_and_b32_e32 v3, 0x4040404, v3
	s_delay_alu instid0(VALU_DEP_4) | instskip(SKIP_3) | instid1(VALU_DEP_4)
	v_lshrrev_b32_e32 v10, 24, v2
	v_lshrrev_b32_e32 v9, 16, v2
	v_lshrrev_b16 v11, 8, v2
	v_sub_nc_u16 v13, v4, v2
	v_sub_nc_u16 v10, v0, v10
	v_ashrrev_i32_e32 v0, s20, v1
	s_delay_alu instid0(VALU_DEP_4)
	v_sub_nc_u16 v11, v6, v11
	v_sub_nc_u16 v12, v5, v9
	v_lshrrev_b32_e32 v5, 24, v3
	v_lshrrev_b32_e32 v6, 16, v3
	v_bfe_u32 v1, v0, 24, 2
	v_and_b32_e32 v0, 0x3030303, v0
	v_lshrrev_b16 v9, 8, v3
	v_bfe_i32 v188, v10, 0, 16
	v_bfe_i32 v187, v12, 0, 8
	v_sub_nc_u16 v17, v1, v5
	v_lshrrev_b32_e32 v2, 16, v0
	v_lshrrev_b16 v4, 8, v0
	v_sub_nc_u16 v14, v0, v3
	ds_load_2addr_b32 v[0:1], v162 offset0:2 offset1:3
	v_bfe_i32 v190, v17, 0, 16
	v_sub_nc_u16 v16, v2, v6
	ds_load_2addr_b32 v[2:3], v7 offset0:2 offset1:3
	v_sub_nc_u16 v15, v4, v9
	v_bfe_i32 v189, v11, 0, 16
	v_bfe_i32 v193, v14, 0, 8
	;; [unrolled: 1-line block ×5, first 2 shown]
	s_wait_dscnt 0x1
	v_ashrrev_i32_e32 v0, s20, v0
	s_wait_dscnt 0x0
	v_ashrrev_i32_e32 v2, s19, v2
	v_ashrrev_i32_e32 v3, s19, v3
	s_delay_alu instid0(VALU_DEP_3) | instskip(SKIP_1) | instid1(VALU_DEP_4)
	v_bfe_u32 v4, v0, 24, 2
	v_and_b32_e32 v0, 0x3030303, v0
	v_lshlrev_b32_e32 v2, 2, v2
	s_delay_alu instid0(VALU_DEP_4) | instskip(NEXT) | instid1(VALU_DEP_3)
	v_lshlrev_b32_e32 v3, 2, v3
	v_lshrrev_b32_e32 v5, 16, v0
	v_lshrrev_b16 v6, 8, v0
	s_delay_alu instid0(VALU_DEP_4) | instskip(NEXT) | instid1(VALU_DEP_4)
	v_and_b32_e32 v2, 0x4040404, v2
	v_and_b32_e32 v3, 0x4040404, v3
	s_delay_alu instid0(VALU_DEP_2)
	v_sub_nc_u16 v20, v0, v2
	v_ashrrev_i32_e32 v0, s20, v1
	v_lshrrev_b32_e32 v18, 16, v2
	v_lshrrev_b16 v19, 8, v2
	v_lshrrev_b32_e32 v9, 24, v2
	v_bfe_i32 v197, v20, 0, 8
	v_bfe_u32 v1, v0, 24, 2
	v_and_b32_e32 v0, 0x3030303, v0
	v_sub_nc_u16 v19, v6, v19
	v_sub_nc_u16 v18, v5, v18
	v_lshrrev_b32_e32 v5, 24, v3
	v_lshrrev_b32_e32 v6, 16, v3
	;; [unrolled: 1-line block ×3, first 2 shown]
	v_sub_nc_u16 v21, v4, v9
	v_lshrrev_b16 v4, 8, v0
	v_lshrrev_b16 v9, 8, v3
	v_sub_nc_u16 v22, v0, v3
	v_sub_nc_u16 v24, v2, v6
	;; [unrolled: 1-line block ×3, first 2 shown]
	ds_load_2addr_b32 v[0:1], v162 offset0:4 offset1:5
	ds_load_2addr_b32 v[2:3], v7 offset0:4 offset1:5
	v_sub_nc_u16 v23, v4, v9
	v_bfe_i32 v194, v21, 0, 16
	v_bfe_i32 v196, v19, 0, 16
	;; [unrolled: 1-line block ×7, first 2 shown]
	s_wait_dscnt 0x1
	v_ashrrev_i32_e32 v0, s20, v0
	s_wait_dscnt 0x0
	v_ashrrev_i32_e32 v2, s19, v2
	v_ashrrev_i32_e32 v3, s19, v3
	s_delay_alu instid0(VALU_DEP_3) | instskip(NEXT) | instid1(VALU_DEP_3)
	v_and_b32_e32 v4, 0x3030303, v0
	v_lshlrev_b32_e32 v2, 2, v2
	v_bfe_u32 v0, v0, 24, 2
	s_delay_alu instid0(VALU_DEP_4) | instskip(NEXT) | instid1(VALU_DEP_4)
	v_lshlrev_b32_e32 v3, 2, v3
	v_lshrrev_b32_e32 v5, 16, v4
	s_delay_alu instid0(VALU_DEP_4) | instskip(SKIP_1) | instid1(VALU_DEP_4)
	v_and_b32_e32 v2, 0x4040404, v2
	v_lshrrev_b16 v6, 8, v4
	v_and_b32_e32 v3, 0x4040404, v3
	s_delay_alu instid0(VALU_DEP_3) | instskip(SKIP_3) | instid1(VALU_DEP_4)
	v_lshrrev_b32_e32 v41, 24, v2
	v_lshrrev_b32_e32 v9, 16, v2
	v_lshrrev_b16 v42, 8, v2
	v_sub_nc_u16 v58, v4, v2
	v_sub_nc_u16 v41, v0, v41
	v_ashrrev_i32_e32 v0, s20, v1
	s_delay_alu instid0(VALU_DEP_4)
	v_sub_nc_u16 v56, v6, v42
	v_sub_nc_u16 v57, v5, v9
	v_lshrrev_b32_e32 v5, 24, v3
	v_lshrrev_b32_e32 v6, 16, v3
	v_bfe_u32 v1, v0, 24, 2
	v_and_b32_e32 v0, 0x3030303, v0
	v_lshrrev_b16 v9, 8, v3
	v_bfe_i32 v202, v58, 0, 8
	v_bfe_i32 v204, v41, 0, 16
	v_sub_nc_u16 v65, v1, v5
	v_lshrrev_b32_e32 v2, 16, v0
	v_lshrrev_b16 v4, 8, v0
	v_sub_nc_u16 v60, v0, v3
	ds_load_2addr_b32 v[0:1], v162 offset0:6 offset1:7
	v_bfe_i32 v206, v65, 0, 16
	v_sub_nc_u16 v62, v2, v6
	ds_load_2addr_b32 v[2:3], v7 offset0:6 offset1:7
	v_sub_nc_u16 v61, v4, v9
	v_bfe_i32 v209, v60, 0, 8
	v_bfe_i32 v205, v56, 0, 16
	;; [unrolled: 1-line block ×5, first 2 shown]
	s_wait_dscnt 0x1
	v_ashrrev_i32_e32 v0, s20, v0
	s_wait_dscnt 0x0
	v_ashrrev_i32_e32 v2, s19, v2
	v_ashrrev_i32_e32 v3, s19, v3
	s_delay_alu instid0(VALU_DEP_3) | instskip(SKIP_1) | instid1(VALU_DEP_4)
	v_bfe_u32 v4, v0, 24, 2
	v_and_b32_e32 v0, 0x3030303, v0
	v_lshlrev_b32_e32 v2, 2, v2
	s_delay_alu instid0(VALU_DEP_4) | instskip(NEXT) | instid1(VALU_DEP_3)
	v_lshlrev_b32_e32 v3, 2, v3
	v_lshrrev_b32_e32 v5, 16, v0
	v_lshrrev_b16 v6, 8, v0
	s_delay_alu instid0(VALU_DEP_4) | instskip(NEXT) | instid1(VALU_DEP_4)
	v_and_b32_e32 v2, 0x4040404, v2
	v_and_b32_e32 v3, 0x4040404, v3
	s_delay_alu instid0(VALU_DEP_2)
	v_sub_nc_u16 v66, v0, v2
	v_ashrrev_i32_e32 v0, s20, v1
	v_lshrrev_b32_e32 v7, 24, v2
	v_lshrrev_b32_e32 v9, 16, v2
	v_lshrrev_b16 v42, 8, v2
	v_bfe_i32 v213, v66, 0, 8
	v_bfe_u32 v1, v0, 24, 2
	v_and_b32_e32 v0, 0x3030303, v0
	v_sub_nc_u16 v69, v5, v9
	v_sub_nc_u16 v68, v6, v42
	;; [unrolled: 1-line block ×3, first 2 shown]
	v_lshrrev_b32_e32 v5, 24, v3
	v_lshrrev_b32_e32 v2, 16, v0
	v_lshrrev_b16 v4, 8, v0
	v_lshrrev_b32_e32 v6, 16, v3
	v_lshrrev_b16 v7, 8, v3
	v_sub_nc_u16 v74, v0, v3
	v_add3_u32 v0, s22, v160, v161
	v_sub_nc_u16 v86, v1, v5
	v_sub_nc_u16 v77, v2, v6
	;; [unrolled: 1-line block ×3, first 2 shown]
	ds_load_b32 v174, v0
	ds_load_b128 v[4:7], v8 offset:25344
	ds_load_b128 v[0:3], v8 offset:25360
	v_bfe_i32 v210, v72, 0, 16
	v_bfe_i32 v212, v68, 0, 16
	v_bfe_i32 v214, v86, 0, 16
	v_bfe_i32 v217, v74, 0, 8
	v_bfe_i32 v211, v69, 0, 8
	v_bfe_i32 v215, v77, 0, 8
	v_bfe_i32 v216, v75, 0, 16
	v_add_nc_u32_e32 v87, s21, v112
	s_wait_dscnt 0x1
	v_lshrrev_b16 v44, 8, v4
	v_lshrrev_b16 v45, 8, v5
	;; [unrolled: 1-line block ×3, first 2 shown]
	v_ashrrev_i32_e32 v10, 24, v5
	v_lshrrev_b16 v51, 8, v7
	v_ashrrev_i32_e32 v42, 24, v4
	v_bfe_i32 v44, v44, 0, 8
	v_bfe_i32 v11, v5, 16, 8
	;; [unrolled: 1-line block ×4, first 2 shown]
	v_mul_i32_i24_e32 v92, v190, v10
	v_ashrrev_i32_e32 v12, 24, v6
	v_bfe_i32 v48, v48, 0, 8
	v_ashrrev_i32_e32 v14, 24, v7
	v_bfe_i32 v8, v4, 0, 8
	v_bfe_i32 v9, v4, 16, 8
	v_mul_i32_i24_e32 v88, v189, v44
	v_mul_i32_i24_e32 v16, v193, v47
	;; [unrolled: 1-line block ×4, first 2 shown]
	v_bfe_i32 v13, v6, 16, 8
	v_bfe_i32 v50, v6, 0, 8
	v_mul_i32_i24_e32 v19, v196, v48
	v_mul_i32_i24_e32 v21, v194, v12
	v_bfe_i32 v15, v7, 16, 8
	v_bfe_i32 v51, v51, 0, 8
	;; [unrolled: 1-line block ×3, first 2 shown]
	v_mul_i32_i24_e32 v28, v198, v14
	v_mad_i32_i24 v92, v188, v42, v92
	v_mul_i32_i24_e32 v18, v197, v50
	v_mul_i32_i24_e32 v20, v195, v13
	;; [unrolled: 1-line block ×5, first 2 shown]
	v_mad_i32_i24 v89, v187, v9, v89
	v_mad_i32_i24 v16, v186, v8, v16
	v_add3_u32 v17, v88, v17, v19
	v_add3_u32 v19, v92, v21, v28
	s_wait_dscnt 0x0
	v_ashrrev_i32_e32 v244, 24, v1
	v_bfe_i32 v247, v1, 0, 8
	v_add3_u32 v16, v16, v18, v22
	v_add3_u32 v18, v89, v20, v24
	;; [unrolled: 1-line block ×3, first 2 shown]
	v_lshrrev_b16 v19, 8, v2
	v_lshrrev_b16 v20, 8, v3
	v_bfe_i32 v241, v0, 0, 8
	v_ashrrev_i32_e32 v243, 24, v0
	v_add3_u32 v18, v16, v18, v17
	v_lshrrev_b16 v16, 8, v0
	v_lshrrev_b16 v17, 8, v1
	v_bfe_i32 v245, v1, 16, 8
	v_mul_i32_i24_e32 v22, v209, v247
	v_mul_i32_i24_e32 v28, v206, v244
	v_bfe_i32 v250, v16, 0, 8
	v_bfe_i32 v246, v17, 0, 8
	v_ashrrev_i32_e32 v248, 24, v2
	v_bfe_i32 v251, v19, 0, 8
	v_bfe_i32 v252, v2, 0, 8
	v_ashrrev_i32_e32 v16, 24, v3
	v_bfe_i32 v240, v3, 0, 8
	v_bfe_i32 v242, v0, 16, 8
	v_mul_i32_i24_e32 v21, v205, v250
	v_mul_i32_i24_e32 v23, v208, v246
	;; [unrolled: 1-line block ×3, first 2 shown]
	v_bfe_i32 v249, v2, 16, 8
	v_mul_i32_i24_e32 v19, v213, v252
	v_mul_i32_i24_e32 v41, v212, v251
	;; [unrolled: 1-line block ×3, first 2 shown]
	v_bfe_i32 v17, v3, 16, 8
	v_bfe_i32 v56, v20, 0, 8
	v_mul_i32_i24_e32 v20, v217, v240
	v_mul_i32_i24_e32 v62, v214, v16
	v_mad_i32_i24 v28, v204, v243, v28
	v_mad_i32_i24 v22, v202, v241, v22
	v_mul_i32_i24_e32 v57, v211, v249
	v_mul_i32_i24_e32 v60, v216, v56
	;; [unrolled: 1-line block ×3, first 2 shown]
	v_mad_i32_i24 v24, v203, v242, v24
	v_add3_u32 v21, v21, v23, v41
	v_add3_u32 v19, v22, v19, v20
	;; [unrolled: 1-line block ×3, first 2 shown]
	v_perm_b32 v134, v0, v0, 0xc0c0302
	v_add3_u32 v20, v24, v57, v61
	v_add3_u32 v57, s23, v152, v125
	v_perm_b32 v5, v5, v5, 0xc030201
	v_add3_u32 v21, v21, v60, v22
	v_perm_b32 v6, v6, v6, 0xc030201
	v_perm_b32 v7, v7, v7, 0xc030201
	;; [unrolled: 1-line block ×3, first 2 shown]
	s_delay_alu instid0(VALU_DEP_4) | instskip(SKIP_4) | instid1(VALU_DEP_2)
	v_add3_u32 v19, v19, v20, v21
	ds_load_u16 v20, v87
	s_wait_dscnt 0x0
	v_bfe_i32 v224, v20, 0, 8
	v_lshrrev_b16 v21, 8, v20
	v_mul_lo_u32 v18, v18, v224
	s_delay_alu instid0(VALU_DEP_2) | instskip(SKIP_3) | instid1(VALU_DEP_2)
	v_bfe_i32 v218, v21, 0, 8
	ds_load_2addr_b32 v[20:21], v57 offset1:1
	v_mad_co_u64_u32 v[18:19], null, v19, v218, v[18:19]
	v_mul_f32_e32 v19, v131, v174
	v_cvt_f32_i32_e32 v18, v18
	s_delay_alu instid0(VALU_DEP_1)
	v_fmac_f32_e32 v33, v19, v18
	v_add_nc_u32_e32 v18, 0x1080, v162
	s_wait_dscnt 0x0
	v_ashrrev_i32_e32 v20, s19, v20
	v_ashrrev_i32_e32 v21, s19, v21
	ds_load_2addr_b32 v[18:19], v18 offset1:1
	v_lshlrev_b32_e32 v20, 2, v20
	v_lshlrev_b32_e32 v21, 2, v21
	s_delay_alu instid0(VALU_DEP_2) | instskip(NEXT) | instid1(VALU_DEP_2)
	v_and_b32_e32 v20, 0x4040404, v20
	v_and_b32_e32 v21, 0x4040404, v21
	s_delay_alu instid0(VALU_DEP_2) | instskip(SKIP_4) | instid1(VALU_DEP_1)
	v_lshrrev_b32_e32 v60, 24, v20
	v_lshrrev_b16 v58, 8, v20
	v_lshrrev_b32_e32 v28, 16, v20
	s_wait_dscnt 0x0
	v_ashrrev_i32_e32 v18, s20, v18
	v_and_b32_e32 v22, 0x3030303, v18
	v_bfe_u32 v18, v18, 24, 2
	s_delay_alu instid0(VALU_DEP_2) | instskip(NEXT) | instid1(VALU_DEP_2)
	v_lshrrev_b16 v23, 8, v22
	v_sub_nc_u16 v68, v18, v60
	v_ashrrev_i32_e32 v18, s20, v19
	v_lshrrev_b32_e32 v24, 16, v22
	v_sub_nc_u16 v41, v22, v20
	v_sub_nc_u16 v255, v23, v58
	v_lshrrev_b32_e32 v23, 24, v21
	v_bfe_u32 v19, v18, 24, 2
	v_and_b32_e32 v18, 0x3030303, v18
	v_sub_nc_u16 v28, v24, v28
	v_lshrrev_b32_e32 v24, 16, v21
	v_lshrrev_b16 v58, 8, v21
	v_bfe_i32 v41, v41, 0, 8
	v_lshrrev_b32_e32 v20, 16, v18
	v_lshrrev_b16 v22, 8, v18
	v_sub_nc_u16 v98, v18, v21
	v_add_nc_u32_e32 v18, 0x1088, v162
	v_bfe_i32 v255, v255, 0, 16
	v_sub_nc_u16 v101, v20, v24
	v_sub_nc_u16 v24, v19, v23
	ds_load_2addr_b32 v[20:21], v57 offset0:2 offset1:3
	ds_load_2addr_b32 v[18:19], v18 offset1:1
	v_sub_nc_u16 v100, v22, v58
	v_bfe_i32 v68, v68, 0, 16
	v_bfe_i32 v28, v28, 0, 8
	s_wait_dscnt 0x1
	v_ashrrev_i32_e32 v20, s19, v20
	s_wait_dscnt 0x0
	v_ashrrev_i32_e32 v18, s20, v18
	v_ashrrev_i32_e32 v21, s19, v21
	s_delay_alu instid0(VALU_DEP_3) | instskip(NEXT) | instid1(VALU_DEP_3)
	v_lshlrev_b32_e32 v20, 2, v20
	v_bfe_u32 v22, v18, 24, 2
	v_and_b32_e32 v18, 0x3030303, v18
	s_delay_alu instid0(VALU_DEP_4) | instskip(NEXT) | instid1(VALU_DEP_4)
	v_lshlrev_b32_e32 v21, 2, v21
	v_and_b32_e32 v20, 0x4040404, v20
	s_delay_alu instid0(VALU_DEP_3) | instskip(SKIP_1) | instid1(VALU_DEP_4)
	v_lshrrev_b32_e32 v23, 16, v18
	v_lshrrev_b16 v58, 8, v18
	v_and_b32_e32 v21, 0x4040404, v21
	s_delay_alu instid0(VALU_DEP_4) | instskip(SKIP_4) | instid1(VALU_DEP_4)
	v_sub_nc_u16 v88, v18, v20
	v_ashrrev_i32_e32 v18, s20, v19
	v_lshrrev_b32_e32 v60, 24, v20
	v_lshrrev_b32_e32 v61, 16, v20
	v_lshrrev_b16 v62, 8, v20
	v_bfe_u32 v19, v18, 24, 2
	v_and_b32_e32 v18, 0x3030303, v18
	s_delay_alu instid0(VALU_DEP_4) | instskip(NEXT) | instid1(VALU_DEP_4)
	v_sub_nc_u16 v92, v23, v61
	v_sub_nc_u16 v89, v58, v62
	v_sub_nc_u16 v97, v22, v60
	v_lshrrev_b32_e32 v23, 24, v21
	v_lshrrev_b32_e32 v20, 16, v18
	v_lshrrev_b16 v22, 8, v18
	v_lshrrev_b32_e32 v58, 16, v21
	v_sub_nc_u16 v75, v18, v21
	v_add_nc_u32_e32 v18, 0x1090, v162
	v_lshrrev_b16 v60, 8, v21
	v_sub_nc_u16 v87, v19, v23
	v_sub_nc_u16 v86, v20, v58
	ds_load_2addr_b32 v[20:21], v57 offset0:4 offset1:5
	ds_load_2addr_b32 v[18:19], v18 offset1:1
	v_sub_nc_u16 v77, v22, v60
	s_wait_dscnt 0x1
	v_ashrrev_i32_e32 v20, s19, v20
	s_wait_dscnt 0x0
	v_ashrrev_i32_e32 v18, s20, v18
	v_ashrrev_i32_e32 v21, s19, v21
	s_delay_alu instid0(VALU_DEP_3) | instskip(NEXT) | instid1(VALU_DEP_3)
	v_lshlrev_b32_e32 v20, 2, v20
	v_and_b32_e32 v22, 0x3030303, v18
	v_bfe_u32 v18, v18, 24, 2
	s_delay_alu instid0(VALU_DEP_4) | instskip(NEXT) | instid1(VALU_DEP_4)
	v_lshlrev_b32_e32 v21, 2, v21
	v_and_b32_e32 v20, 0x4040404, v20
	s_delay_alu instid0(VALU_DEP_4) | instskip(SKIP_1) | instid1(VALU_DEP_4)
	v_lshrrev_b16 v23, 8, v22
	v_lshrrev_b32_e32 v58, 16, v22
	v_and_b32_e32 v21, 0x4040404, v21
	s_delay_alu instid0(VALU_DEP_4) | instskip(SKIP_3) | instid1(VALU_DEP_4)
	v_lshrrev_b32_e32 v61, 24, v20
	v_lshrrev_b16 v60, 8, v20
	v_lshrrev_b32_e32 v62, 16, v20
	v_sub_nc_u16 v66, v22, v20
	v_sub_nc_u16 v72, v18, v61
	v_ashrrev_i32_e32 v18, s20, v19
	s_delay_alu instid0(VALU_DEP_4)
	v_sub_nc_u16 v69, v58, v62
	v_sub_nc_u16 v74, v23, v60
	v_lshrrev_b32_e32 v23, 24, v21
	v_lshrrev_b32_e32 v58, 16, v21
	v_bfe_u32 v19, v18, 24, 2
	v_and_b32_e32 v18, 0x3030303, v18
	v_lshrrev_b16 v60, 8, v21
	s_delay_alu instid0(VALU_DEP_3) | instskip(NEXT) | instid1(VALU_DEP_3)
	v_sub_nc_u16 v23, v19, v23
	v_lshrrev_b32_e32 v20, 16, v18
	v_lshrrev_b16 v22, 8, v18
	v_sub_nc_u16 v21, v18, v21
	v_add_nc_u32_e32 v18, 0x1098, v162
	s_delay_alu instid0(VALU_DEP_4)
	v_sub_nc_u16 v65, v20, v58
	ds_load_2addr_b32 v[57:58], v57 offset0:6 offset1:7
	v_sub_nc_u16 v22, v22, v60
	ds_load_2addr_b32 v[18:19], v18 offset1:1
	s_wait_dscnt 0x1
	v_ashrrev_i32_e32 v57, s19, v57
	v_ashrrev_i32_e32 v58, s19, v58
	s_wait_dscnt 0x0
	v_ashrrev_i32_e32 v18, s20, v18
	s_delay_alu instid0(VALU_DEP_3) | instskip(NEXT) | instid1(VALU_DEP_3)
	v_lshlrev_b32_e32 v57, 2, v57
	v_lshlrev_b32_e32 v58, 2, v58
	s_delay_alu instid0(VALU_DEP_3) | instskip(SKIP_1) | instid1(VALU_DEP_4)
	v_bfe_u32 v62, v18, 24, 2
	v_and_b32_e32 v18, 0x3030303, v18
	v_and_b32_e32 v57, 0x4040404, v57
	s_delay_alu instid0(VALU_DEP_4) | instskip(NEXT) | instid1(VALU_DEP_3)
	v_and_b32_e32 v58, 0x4040404, v58
	v_lshrrev_b32_e32 v61, 16, v18
	v_lshrrev_b16 v20, 8, v18
	s_delay_alu instid0(VALU_DEP_4)
	v_sub_nc_u16 v60, v18, v57
	v_ashrrev_i32_e32 v18, s20, v19
	v_lshrrev_b32_e32 v132, 24, v57
	v_lshrrev_b16 v163, 8, v57
	v_lshrrev_b16 v164, 8, v58
	v_lshrrev_b32_e32 v133, 16, v57
	v_bfe_u32 v19, v18, 24, 2
	v_and_b32_e32 v18, 0x3030303, v18
	v_sub_nc_u16 v62, v62, v132
	v_sub_nc_u16 v20, v20, v163
	v_lshrrev_b32_e32 v163, 16, v58
	v_sub_nc_u16 v61, v61, v133
	v_lshrrev_b16 v132, 8, v18
	v_lshrrev_b32_e32 v57, 16, v18
	v_sub_nc_u16 v254, v18, v58
	v_lshrrev_b32_e32 v133, 24, v58
	s_delay_alu instid0(VALU_DEP_4)
	v_sub_nc_u16 v18, v132, v164
	v_add3_u32 v132, s22, v153, v126
	v_sub_nc_u16 v58, v57, v163
	ds_load_2addr_b32 v[163:164], v168 offset1:1
	v_sub_nc_u16 v19, v19, v133
	v_add_nc_u32_e32 v57, s21, v113
	ds_load_b32 v175, v132
	v_add_nc_u32_e32 v132, 0x2100, v162
	ds_load_2addr_b32 v[132:133], v132 offset1:1
	s_wait_dscnt 0x2
	v_ashrrev_i32_e32 v163, s19, v163
	v_ashrrev_i32_e32 v164, s19, v164
	s_wait_dscnt 0x1
	v_mul_f32_e32 v253, v131, v175
	s_delay_alu instid0(VALU_DEP_3) | instskip(NEXT) | instid1(VALU_DEP_3)
	v_lshlrev_b32_e32 v163, 2, v163
	v_lshlrev_b32_e32 v164, 2, v164
	s_wait_dscnt 0x0
	v_ashrrev_i32_e32 v132, s20, v132
	s_delay_alu instid0(VALU_DEP_3) | instskip(NEXT) | instid1(VALU_DEP_3)
	v_and_b32_e32 v163, 0x4040404, v163
	v_and_b32_e32 v164, 0x4040404, v164
	s_delay_alu instid0(VALU_DEP_3) | instskip(SKIP_1) | instid1(VALU_DEP_4)
	v_and_b32_e32 v165, 0x3030303, v132
	v_bfe_u32 v132, v132, 24, 2
	v_lshrrev_b32_e32 v170, 16, v163
	v_lshrrev_b32_e32 v171, 24, v163
	v_lshrrev_b16 v169, 8, v163
	v_lshrrev_b32_e32 v167, 16, v165
	v_lshrrev_b16 v166, 8, v165
	v_sub_nc_u16 v177, v165, v163
	v_sub_nc_u16 v132, v132, v171
	s_delay_alu instid0(VALU_DEP_4) | instskip(NEXT) | instid1(VALU_DEP_3)
	v_sub_nc_u16 v179, v167, v170
	v_bfe_i32 v177, v177, 0, 8
	s_delay_alu instid0(VALU_DEP_3) | instskip(NEXT) | instid1(VALU_DEP_3)
	v_lshlrev_b16 v132, 8, v132
	v_and_b32_e32 v167, 0xff, v179
	s_delay_alu instid0(VALU_DEP_1) | instskip(SKIP_4) | instid1(VALU_DEP_4)
	v_or_b32_e32 v181, v167, v132
	v_sub_nc_u16 v132, v166, v169
	v_lshrrev_b32_e32 v167, 16, v164
	v_lshrrev_b32_e32 v169, 24, v164
	v_lshrrev_b16 v166, 8, v164
	v_lshlrev_b16 v178, 8, v132
	v_ashrrev_i32_e32 v132, s20, v133
	s_delay_alu instid0(VALU_DEP_2) | instskip(NEXT) | instid1(VALU_DEP_2)
	v_bfe_i32 v178, v178, 8, 8
	v_and_b32_e32 v133, 0x3030303, v132
	v_bfe_u32 v132, v132, 24, 2
	s_delay_alu instid0(VALU_DEP_2) | instskip(NEXT) | instid1(VALU_DEP_2)
	v_lshrrev_b32_e32 v165, 16, v133
	v_sub_nc_u16 v132, v132, v169
	v_lshrrev_b16 v163, 8, v133
	v_sub_nc_u16 v219, v133, v164
	s_delay_alu instid0(VALU_DEP_4) | instskip(NEXT) | instid1(VALU_DEP_4)
	v_sub_nc_u16 v180, v165, v167
	v_lshlrev_b16 v132, 8, v132
	s_delay_alu instid0(VALU_DEP_2) | instskip(NEXT) | instid1(VALU_DEP_1)
	v_and_b32_e32 v165, 0xff, v180
	v_or_b32_e32 v182, v165, v132
	v_sub_nc_u16 v132, v163, v166
	ds_load_2addr_b32 v[163:164], v168 offset0:2 offset1:3
	v_lshlrev_b16 v183, 8, v132
	v_add_nc_u32_e32 v132, 0x2108, v162
	ds_load_2addr_b32 v[132:133], v132 offset1:1
	s_wait_dscnt 0x1
	v_ashrrev_i32_e32 v163, s19, v163
	v_ashrrev_i32_e32 v164, s19, v164
	s_delay_alu instid0(VALU_DEP_2) | instskip(NEXT) | instid1(VALU_DEP_2)
	v_lshlrev_b32_e32 v163, 2, v163
	v_lshlrev_b32_e32 v164, 2, v164
	s_wait_dscnt 0x0
	v_ashrrev_i32_e32 v132, s20, v132
	s_delay_alu instid0(VALU_DEP_3) | instskip(NEXT) | instid1(VALU_DEP_3)
	v_and_b32_e32 v163, 0x4040404, v163
	v_and_b32_e32 v164, 0x4040404, v164
	s_delay_alu instid0(VALU_DEP_3) | instskip(SKIP_1) | instid1(VALU_DEP_4)
	v_and_b32_e32 v165, 0x3030303, v132
	v_bfe_u32 v132, v132, 24, 2
	v_lshrrev_b32_e32 v170, 16, v163
	v_lshrrev_b32_e32 v171, 24, v163
	v_lshrrev_b16 v169, 8, v163
	v_lshrrev_b32_e32 v167, 16, v165
	v_lshrrev_b16 v166, 8, v165
	v_sub_nc_u16 v220, v165, v163
	v_sub_nc_u16 v132, v132, v171
	s_delay_alu instid0(VALU_DEP_4) | instskip(NEXT) | instid1(VALU_DEP_3)
	v_sub_nc_u16 v223, v167, v170
	v_bfe_i32 v220, v220, 0, 8
	s_delay_alu instid0(VALU_DEP_3) | instskip(NEXT) | instid1(VALU_DEP_3)
	v_lshlrev_b16 v132, 8, v132
	v_and_b32_e32 v167, 0xff, v223
	s_delay_alu instid0(VALU_DEP_1) | instskip(SKIP_4) | instid1(VALU_DEP_4)
	v_or_b32_e32 v225, v167, v132
	v_sub_nc_u16 v132, v166, v169
	v_lshrrev_b32_e32 v167, 16, v164
	v_lshrrev_b32_e32 v169, 24, v164
	v_lshrrev_b16 v166, 8, v164
	v_lshlrev_b16 v226, 8, v132
	v_ashrrev_i32_e32 v132, s20, v133
	s_delay_alu instid0(VALU_DEP_1) | instskip(SKIP_1) | instid1(VALU_DEP_2)
	v_and_b32_e32 v133, 0x3030303, v132
	v_bfe_u32 v132, v132, 24, 2
	v_lshrrev_b32_e32 v165, 16, v133
	s_delay_alu instid0(VALU_DEP_2) | instskip(SKIP_2) | instid1(VALU_DEP_4)
	v_sub_nc_u16 v132, v132, v169
	v_lshrrev_b16 v163, 8, v133
	v_sub_nc_u16 v230, v133, v164
	v_sub_nc_u16 v227, v165, v167
	s_delay_alu instid0(VALU_DEP_4) | instskip(NEXT) | instid1(VALU_DEP_2)
	v_lshlrev_b16 v132, 8, v132
	v_and_b32_e32 v165, 0xff, v227
	s_delay_alu instid0(VALU_DEP_1)
	v_or_b32_e32 v228, v165, v132
	v_sub_nc_u16 v132, v163, v166
	ds_load_2addr_b32 v[163:164], v168 offset0:4 offset1:5
	v_lshlrev_b16 v229, 8, v132
	v_add_nc_u32_e32 v132, 0x2110, v162
	ds_load_2addr_b32 v[132:133], v132 offset1:1
	s_wait_dscnt 0x1
	v_ashrrev_i32_e32 v163, s19, v163
	v_ashrrev_i32_e32 v164, s19, v164
	s_delay_alu instid0(VALU_DEP_2) | instskip(NEXT) | instid1(VALU_DEP_2)
	v_lshlrev_b32_e32 v163, 2, v163
	v_lshlrev_b32_e32 v164, 2, v164
	s_wait_dscnt 0x0
	v_ashrrev_i32_e32 v132, s20, v132
	s_delay_alu instid0(VALU_DEP_3) | instskip(NEXT) | instid1(VALU_DEP_2)
	v_and_b32_e32 v169, 0x4040404, v163
	v_and_b32_e32 v166, 0x3030303, v132
	v_bfe_u32 v132, v132, 24, 2
	s_delay_alu instid0(VALU_DEP_3)
	v_lshrrev_b32_e32 v163, 16, v169
	v_lshrrev_b32_e32 v171, 24, v169
	v_lshrrev_b16 v170, 8, v169
	v_lshrrev_b32_e32 v165, 16, v166
	v_lshrrev_b16 v167, 8, v166
	v_sub_nc_u16 v234, v166, v169
	v_sub_nc_u16 v132, v132, v171
	v_and_b32_e32 v169, 0x4040404, v164
	v_sub_nc_u16 v163, v165, v163
	s_delay_alu instid0(VALU_DEP_4) | instskip(NEXT) | instid1(VALU_DEP_4)
	v_bfe_i32 v238, v234, 0, 8
	v_lshlrev_b16 v132, 8, v132
	s_delay_alu instid0(VALU_DEP_4) | instskip(NEXT) | instid1(VALU_DEP_4)
	v_lshrrev_b32_e32 v164, 16, v169
	v_and_b32_e32 v165, 0xff, v163
	v_lshrrev_b32_e32 v171, 24, v169
	s_delay_alu instid0(VALU_DEP_2) | instskip(SKIP_2) | instid1(VALU_DEP_2)
	v_or_b32_e32 v165, v165, v132
	v_sub_nc_u16 v132, v167, v170
	v_lshrrev_b16 v170, 8, v169
	v_lshlrev_b16 v233, 8, v132
	v_ashrrev_i32_e32 v132, s20, v133
	s_delay_alu instid0(VALU_DEP_2) | instskip(NEXT) | instid1(VALU_DEP_2)
	v_bfe_i32 v239, v233, 8, 8
	v_and_b32_e32 v133, 0x3030303, v132
	v_bfe_u32 v132, v132, 24, 2
	s_delay_alu instid0(VALU_DEP_2) | instskip(NEXT) | instid1(VALU_DEP_2)
	v_lshrrev_b32_e32 v166, 16, v133
	v_sub_nc_u16 v132, v132, v171
	v_lshrrev_b16 v167, 8, v133
	v_sub_nc_u16 v176, v133, v169
	s_delay_alu instid0(VALU_DEP_4) | instskip(NEXT) | instid1(VALU_DEP_4)
	v_sub_nc_u16 v164, v166, v164
	v_lshlrev_b16 v132, 8, v132
	s_delay_alu instid0(VALU_DEP_2) | instskip(NEXT) | instid1(VALU_DEP_1)
	v_and_b32_e32 v166, 0xff, v164
	v_or_b32_e32 v166, v166, v132
	v_sub_nc_u16 v132, v167, v170
	ds_load_2addr_b32 v[170:171], v168 offset0:6 offset1:7
	v_lshlrev_b16 v167, 8, v132
	v_add_nc_u32_e32 v132, 0x2118, v162
	ds_load_2addr_b32 v[132:133], v132 offset1:1
	s_wait_dscnt 0x1
	v_ashrrev_i32_e32 v168, s19, v170
	v_ashrrev_i32_e32 v171, s19, v171
	s_delay_alu instid0(VALU_DEP_2) | instskip(NEXT) | instid1(VALU_DEP_2)
	v_lshlrev_b32_e32 v168, 2, v168
	v_lshlrev_b32_e32 v171, 2, v171
	s_wait_dscnt 0x0
	v_ashrrev_i32_e32 v132, s20, v132
	s_delay_alu instid0(VALU_DEP_3) | instskip(NEXT) | instid1(VALU_DEP_3)
	v_and_b32_e32 v184, 0x4040404, v168
	v_and_b32_e32 v171, 0x4040404, v171
	s_delay_alu instid0(VALU_DEP_3) | instskip(SKIP_1) | instid1(VALU_DEP_4)
	v_and_b32_e32 v172, 0x3030303, v132
	v_bfe_u32 v132, v132, 24, 2
	v_lshrrev_b32_e32 v168, 16, v184
	v_lshrrev_b32_e32 v185, 24, v184
	v_lshrrev_b16 v170, 8, v184
	v_lshrrev_b32_e32 v169, 16, v172
	v_lshrrev_b16 v173, 8, v172
	v_lshrrev_b32_e32 v222, 24, v171
	v_sub_nc_u16 v132, v132, v185
	v_sub_nc_u16 v185, v172, v184
	;; [unrolled: 1-line block ×3, first 2 shown]
	v_lshrrev_b16 v221, 8, v171
	s_delay_alu instid0(VALU_DEP_4) | instskip(NEXT) | instid1(VALU_DEP_3)
	v_lshlrev_b16 v132, 8, v132
	v_and_b32_e32 v169, 0xff, v168
	s_delay_alu instid0(VALU_DEP_1) | instskip(SKIP_2) | instid1(VALU_DEP_2)
	v_or_b32_e32 v169, v169, v132
	v_sub_nc_u16 v132, v173, v170
	v_lshrrev_b32_e32 v173, 16, v171
	v_lshlrev_b16 v170, 8, v132
	v_ashrrev_i32_e32 v132, s20, v133
	s_delay_alu instid0(VALU_DEP_1) | instskip(SKIP_1) | instid1(VALU_DEP_2)
	v_and_b32_e32 v133, 0x3030303, v132
	v_bfe_u32 v132, v132, 24, 2
	v_lshrrev_b32_e32 v172, 16, v133
	s_delay_alu instid0(VALU_DEP_2)
	v_sub_nc_u16 v132, v132, v222
	v_lshrrev_b16 v184, 8, v133
	v_sub_nc_u16 v231, v133, v171
	v_perm_b32 v133, v182, v180, 0xc05000c
	v_sub_nc_u16 v172, v172, v173
	v_lshlrev_b16 v132, 8, v132
	v_perm_b32 v180, v165, v163, 0xc0c0500
	v_perm_b32 v163, v167, v167, 0xc0c0c01
	s_delay_alu instid0(VALU_DEP_4) | instskip(NEXT) | instid1(VALU_DEP_1)
	v_and_b32_e32 v173, 0xff, v172
	v_or_b32_e32 v173, v173, v132
	v_sub_nc_u16 v132, v184, v221
	v_perm_b32 v221, v181, v179, 0xc0c0500
	v_perm_b32 v179, v183, v183, 0xc0c0c01
	v_bfe_i32 v181, v176, 0, 8
	v_bfe_i32 v176, v231, 0, 8
	v_lshlrev_b16 v184, 8, v132
	v_add3_u32 v132, s22, v155, v128
	ds_load_b32 v171, v132
	v_mul_i32_i24_e32 v132, v8, v177
	s_delay_alu instid0(VALU_DEP_1) | instskip(SKIP_1) | instid1(VALU_DEP_1)
	v_mad_i32_i24 v222, v44, v178, v132
	v_perm_b32 v132, v4, v4, 0xc0c0302
	v_dot4_i32_iu8 v4, v132, v221, v222 neg_lo:[1,1,0]
	v_bfe_i32 v222, v219, 0, 8
	v_bfe_i32 v219, v230, 0, 8
	v_or_b32_e32 v230, v133, v179
	v_perm_b32 v133, v225, v223, 0xc05000c
	v_perm_b32 v179, v226, v226, 0xc0c0c01
	v_mad_i32_i24 v4, v47, v222, v4
	s_delay_alu instid0(VALU_DEP_2) | instskip(SKIP_2) | instid1(VALU_DEP_4)
	v_or_b32_e32 v232, v133, v179
	v_perm_b32 v133, v228, v227, 0xc05000c
	v_perm_b32 v179, v229, v229, 0xc0c0c01
	v_dot4_i32_iu8 v4, v5, v230, v4 neg_lo:[1,1,0]
	s_delay_alu instid0(VALU_DEP_2) | instskip(SKIP_3) | instid1(VALU_DEP_2)
	v_or_b32_e32 v235, v133, v179
	ds_load_u16 v133, v236
	v_mad_i32_i24 v4, v50, v220, v4
	v_bfe_i32 v179, v185, 0, 8
	v_dot4_i32_iu8 v4, v6, v232, v4 neg_lo:[1,1,0]
	s_delay_alu instid0(VALU_DEP_1) | instskip(NEXT) | instid1(VALU_DEP_1)
	v_mad_i32_i24 v4, v55, v219, v4
	v_dot4_i32_iu8 v4, v7, v235, v4 neg_lo:[1,1,0]
	s_wait_dscnt 0x0
	v_lshrrev_b16 v223, 8, v133
	v_bfe_i32 v237, v133, 0, 8
	v_mul_i32_i24_e32 v133, v241, v238
	s_delay_alu instid0(VALU_DEP_3) | instskip(NEXT) | instid1(VALU_DEP_3)
	v_bfe_i32 v185, v223, 0, 8
	v_mul_lo_u32 v4, v4, v237
	s_delay_alu instid0(VALU_DEP_3) | instskip(NEXT) | instid1(VALU_DEP_1)
	v_mad_i32_i24 v133, v250, v239, v133
	v_dot4_i32_iu8 v0, v134, v180, v133 neg_lo:[1,1,0]
	v_perm_b32 v133, v1, v1, 0xc030201
	v_perm_b32 v1, v166, v164, 0xc05000c
	v_add3_u32 v166, s23, v156, v129
	s_delay_alu instid0(VALU_DEP_4) | instskip(NEXT) | instid1(VALU_DEP_3)
	v_mad_i32_i24 v0, v247, v181, v0
	v_or_b32_e32 v182, v1, v163
	v_perm_b32 v163, v2, v2, 0xc030201
	v_perm_b32 v1, v169, v168, 0xc05000c
	;; [unrolled: 1-line block ×3, first 2 shown]
	s_delay_alu instid0(VALU_DEP_4) | instskip(NEXT) | instid1(VALU_DEP_2)
	v_dot4_i32_iu8 v0, v133, v182, v0 neg_lo:[1,1,0]
	v_or_b32_e32 v183, v1, v2
	v_perm_b32 v1, v173, v172, 0xc05000c
	s_delay_alu instid0(VALU_DEP_3) | instskip(SKIP_1) | instid1(VALU_DEP_2)
	v_mad_i32_i24 v0, v252, v179, v0
	v_perm_b32 v2, v184, v184, 0xc0c0c01
	v_dot4_i32_iu8 v0, v163, v183, v0 neg_lo:[1,1,0]
	s_delay_alu instid0(VALU_DEP_2) | instskip(SKIP_2) | instid1(VALU_DEP_1)
	v_or_b32_e32 v184, v1, v2
	ds_load_2addr_b32 v[2:3], v166 offset1:1
	v_mad_i32_i24 v0, v240, v176, v0
	v_dot4_i32_iu8 v0, v135, v184, v0 neg_lo:[1,1,0]
	s_delay_alu instid0(VALU_DEP_1) | instskip(SKIP_3) | instid1(VALU_DEP_3)
	v_mad_co_u64_u32 v[0:1], null, v0, v185, v[4:5]
	v_mul_f32_e32 v1, v131, v171
	s_wait_dscnt 0x0
	v_ashrrev_i32_e32 v2, s19, v2
	v_cvt_f32_i32_e32 v0, v0
	v_ashrrev_i32_e32 v3, s19, v3
	s_delay_alu instid0(VALU_DEP_2) | instskip(SKIP_1) | instid1(VALU_DEP_3)
	v_dual_fmac_f32 v95, v1, v0 :: v_dual_lshlrev_b32 v2, 2, v2
	v_add_nc_u32_e32 v0, 0x3180, v162
	v_lshlrev_b32_e32 v3, 2, v3
	s_delay_alu instid0(VALU_DEP_3)
	v_and_b32_e32 v2, 0x4040404, v2
	ds_load_2addr_b32 v[0:1], v0 offset1:1
	v_and_b32_e32 v3, 0x4040404, v3
	v_lshrrev_b32_e32 v168, 16, v2
	v_lshrrev_b32_e32 v169, 24, v2
	v_lshrrev_b16 v167, 8, v2
	s_delay_alu instid0(VALU_DEP_4) | instskip(SKIP_3) | instid1(VALU_DEP_1)
	v_lshrrev_b32_e32 v170, 16, v3
	v_lshrrev_b32_e32 v172, 24, v3
	s_wait_dscnt 0x0
	v_ashrrev_i32_e32 v0, s20, v0
	v_and_b32_e32 v4, 0x3030303, v0
	v_bfe_u32 v0, v0, 24, 2
	s_delay_alu instid0(VALU_DEP_2) | instskip(NEXT) | instid1(VALU_DEP_2)
	v_lshrrev_b32_e32 v165, 16, v4
	v_sub_nc_u16 v0, v0, v169
	v_lshrrev_b16 v164, 8, v4
	v_sub_nc_u16 v4, v4, v2
	v_lshrrev_b16 v169, 8, v3
	v_sub_nc_u16 v165, v165, v168
	v_lshlrev_b16 v0, 8, v0
	s_delay_alu instid0(VALU_DEP_2) | instskip(NEXT) | instid1(VALU_DEP_1)
	v_and_b32_e32 v168, 0xff, v165
	v_or_b32_e32 v168, v168, v0
	v_sub_nc_u16 v0, v164, v167
	s_delay_alu instid0(VALU_DEP_1) | instskip(SKIP_1) | instid1(VALU_DEP_1)
	v_lshlrev_b16 v164, 8, v0
	v_ashrrev_i32_e32 v0, s20, v1
	v_and_b32_e32 v1, 0x3030303, v0
	v_bfe_u32 v0, v0, 24, 2
	s_delay_alu instid0(VALU_DEP_2) | instskip(NEXT) | instid1(VALU_DEP_2)
	v_lshrrev_b32_e32 v167, 16, v1
	v_sub_nc_u16 v0, v0, v172
	v_lshrrev_b16 v2, 8, v1
	v_sub_nc_u16 v172, v1, v3
	s_delay_alu instid0(VALU_DEP_4) | instskip(NEXT) | instid1(VALU_DEP_4)
	v_sub_nc_u16 v167, v167, v170
	v_lshlrev_b16 v0, 8, v0
	s_delay_alu instid0(VALU_DEP_2) | instskip(NEXT) | instid1(VALU_DEP_1)
	v_and_b32_e32 v170, 0xff, v167
	v_or_b32_e32 v170, v170, v0
	v_sub_nc_u16 v0, v2, v169
	ds_load_2addr_b32 v[2:3], v166 offset0:2 offset1:3
	v_lshlrev_b16 v169, 8, v0
	v_add_nc_u32_e32 v0, 0x3188, v162
	ds_load_2addr_b32 v[0:1], v0 offset1:1
	s_wait_dscnt 0x1
	v_ashrrev_i32_e32 v2, s19, v2
	v_ashrrev_i32_e32 v3, s19, v3
	s_delay_alu instid0(VALU_DEP_2) | instskip(NEXT) | instid1(VALU_DEP_2)
	v_lshlrev_b32_e32 v2, 2, v2
	v_lshlrev_b32_e32 v3, 2, v3
	s_wait_dscnt 0x0
	v_ashrrev_i32_e32 v0, s20, v0
	s_delay_alu instid0(VALU_DEP_3) | instskip(NEXT) | instid1(VALU_DEP_3)
	v_and_b32_e32 v2, 0x4040404, v2
	v_and_b32_e32 v3, 0x4040404, v3
	s_delay_alu instid0(VALU_DEP_3) | instskip(SKIP_1) | instid1(VALU_DEP_4)
	v_and_b32_e32 v173, 0x3030303, v0
	v_bfe_u32 v0, v0, 24, 2
	v_lshrrev_b32_e32 v227, 16, v2
	v_lshrrev_b32_e32 v228, 24, v2
	v_lshrrev_b16 v226, 8, v2
	v_lshrrev_b32_e32 v225, 16, v173
	v_lshrrev_b16 v223, 8, v173
	v_sub_nc_u16 v173, v173, v2
	v_sub_nc_u16 v0, v0, v228
	s_delay_alu instid0(VALU_DEP_4) | instskip(SKIP_1) | instid1(VALU_DEP_3)
	v_sub_nc_u16 v233, v225, v227
	v_lshrrev_b32_e32 v227, 24, v3
	v_lshlrev_b16 v0, 8, v0
	s_delay_alu instid0(VALU_DEP_3) | instskip(NEXT) | instid1(VALU_DEP_1)
	v_and_b32_e32 v225, 0xff, v233
	v_or_b32_e32 v234, v225, v0
	v_sub_nc_u16 v0, v223, v226
	v_lshrrev_b32_e32 v226, 16, v3
	v_lshrrev_b16 v225, 8, v3
	s_delay_alu instid0(VALU_DEP_3) | instskip(SKIP_1) | instid1(VALU_DEP_1)
	v_lshlrev_b16 v236, 8, v0
	v_ashrrev_i32_e32 v0, s20, v1
	v_and_b32_e32 v1, 0x3030303, v0
	v_bfe_u32 v0, v0, 24, 2
	s_delay_alu instid0(VALU_DEP_2) | instskip(NEXT) | instid1(VALU_DEP_2)
	v_lshrrev_b32_e32 v223, 16, v1
	v_sub_nc_u16 v0, v0, v227
	v_lshrrev_b16 v2, 8, v1
	s_delay_alu instid0(VALU_DEP_3) | instskip(NEXT) | instid1(VALU_DEP_3)
	v_sub_nc_u16 v136, v223, v226
	v_lshlrev_b16 v0, 8, v0
	v_sub_nc_u16 v226, v1, v3
	s_delay_alu instid0(VALU_DEP_3) | instskip(NEXT) | instid1(VALU_DEP_2)
	v_and_b32_e32 v223, 0xff, v136
	v_bfe_i32 v226, v226, 0, 8
	s_delay_alu instid0(VALU_DEP_2)
	v_or_b32_e32 v137, v223, v0
	v_sub_nc_u16 v0, v2, v225
	ds_load_2addr_b32 v[2:3], v166 offset0:4 offset1:5
	v_lshlrev_b16 v138, 8, v0
	v_add_nc_u32_e32 v0, 0x3190, v162
	ds_load_2addr_b32 v[0:1], v0 offset1:1
	s_wait_dscnt 0x1
	v_ashrrev_i32_e32 v2, s19, v2
	v_ashrrev_i32_e32 v3, s19, v3
	s_delay_alu instid0(VALU_DEP_2) | instskip(NEXT) | instid1(VALU_DEP_2)
	v_lshlrev_b32_e32 v2, 2, v2
	v_lshlrev_b32_e32 v3, 2, v3
	s_wait_dscnt 0x0
	v_ashrrev_i32_e32 v0, s20, v0
	s_delay_alu instid0(VALU_DEP_3) | instskip(NEXT) | instid1(VALU_DEP_3)
	v_and_b32_e32 v2, 0x4040404, v2
	v_and_b32_e32 v3, 0x4040404, v3
	s_delay_alu instid0(VALU_DEP_3) | instskip(SKIP_1) | instid1(VALU_DEP_4)
	v_and_b32_e32 v223, 0x3030303, v0
	v_bfe_u32 v0, v0, 24, 2
	v_lshrrev_b32_e32 v229, 16, v2
	v_lshrrev_b32_e32 v231, 24, v2
	v_lshrrev_b16 v228, 8, v2
	v_lshrrev_b32_e32 v227, 16, v223
	v_lshrrev_b16 v225, 8, v223
	v_sub_nc_u16 v142, v223, v2
	v_sub_nc_u16 v0, v0, v231
	s_delay_alu instid0(VALU_DEP_4) | instskip(SKIP_1) | instid1(VALU_DEP_3)
	v_sub_nc_u16 v139, v227, v229
	v_bfe_i32 v229, v172, 0, 8
	v_lshlrev_b16 v0, 8, v0
	s_delay_alu instid0(VALU_DEP_3) | instskip(NEXT) | instid1(VALU_DEP_1)
	v_and_b32_e32 v227, 0xff, v139
	v_or_b32_e32 v140, v227, v0
	v_sub_nc_u16 v0, v225, v228
	v_lshrrev_b32_e32 v227, 16, v3
	v_lshrrev_b32_e32 v228, 24, v3
	v_lshrrev_b16 v225, 8, v3
	s_delay_alu instid0(VALU_DEP_4) | instskip(SKIP_1) | instid1(VALU_DEP_2)
	v_lshlrev_b16 v141, 8, v0
	v_ashrrev_i32_e32 v0, s20, v1
	v_bfe_i32 v172, v141, 8, 8
	s_delay_alu instid0(VALU_DEP_2) | instskip(SKIP_1) | instid1(VALU_DEP_2)
	v_and_b32_e32 v1, 0x3030303, v0
	v_bfe_u32 v0, v0, 24, 2
	v_lshrrev_b32_e32 v223, 16, v1
	s_delay_alu instid0(VALU_DEP_2) | instskip(SKIP_2) | instid1(VALU_DEP_4)
	v_sub_nc_u16 v0, v0, v228
	v_lshrrev_b16 v2, 8, v1
	v_sub_nc_u16 v93, v1, v3
	v_sub_nc_u16 v143, v223, v227
	s_delay_alu instid0(VALU_DEP_4) | instskip(NEXT) | instid1(VALU_DEP_2)
	v_lshlrev_b16 v0, 8, v0
	v_and_b32_e32 v223, 0xff, v143
	s_delay_alu instid0(VALU_DEP_1)
	v_or_b32_e32 v63, v223, v0
	v_sub_nc_u16 v0, v2, v225
	ds_load_2addr_b32 v[2:3], v166 offset0:6 offset1:7
	v_lshlrev_b16 v70, 8, v0
	v_add_nc_u32_e32 v0, 0x3198, v162
	ds_load_2addr_b32 v[0:1], v0 offset1:1
	s_wait_dscnt 0x1
	v_ashrrev_i32_e32 v2, s19, v2
	v_ashrrev_i32_e32 v3, s19, v3
	s_delay_alu instid0(VALU_DEP_2) | instskip(NEXT) | instid1(VALU_DEP_2)
	v_lshlrev_b32_e32 v2, 2, v2
	v_lshlrev_b32_e32 v3, 2, v3
	s_wait_dscnt 0x0
	v_ashrrev_i32_e32 v0, s20, v0
	s_delay_alu instid0(VALU_DEP_3) | instskip(NEXT) | instid1(VALU_DEP_3)
	v_and_b32_e32 v2, 0x4040404, v2
	v_and_b32_e32 v3, 0x4040404, v3
	s_delay_alu instid0(VALU_DEP_3) | instskip(SKIP_1) | instid1(VALU_DEP_4)
	v_and_b32_e32 v162, 0x3030303, v0
	v_bfe_u32 v0, v0, 24, 2
	v_lshrrev_b32_e32 v227, 16, v2
	v_lshrrev_b32_e32 v228, 24, v2
	v_lshrrev_b16 v166, 8, v2
	v_lshrrev_b32_e32 v225, 16, v162
	v_lshrrev_b16 v223, 8, v162
	v_sub_nc_u16 v2, v162, v2
	v_sub_nc_u16 v0, v0, v228
	v_lshrrev_b32_e32 v228, 24, v3
	v_sub_nc_u16 v94, v225, v227
	v_lshrrev_b32_e32 v227, 16, v3
	s_delay_alu instid0(VALU_DEP_4) | instskip(NEXT) | instid1(VALU_DEP_3)
	v_lshlrev_b16 v0, 8, v0
	v_and_b32_e32 v225, 0xff, v94
	s_delay_alu instid0(VALU_DEP_1) | instskip(SKIP_2) | instid1(VALU_DEP_2)
	v_or_b32_e32 v96, v225, v0
	v_sub_nc_u16 v0, v223, v166
	v_lshrrev_b16 v225, 8, v3
	v_lshlrev_b16 v166, 8, v0
	v_ashrrev_i32_e32 v0, s20, v1
	s_delay_alu instid0(VALU_DEP_1) | instskip(SKIP_1) | instid1(VALU_DEP_2)
	v_and_b32_e32 v1, 0x3030303, v0
	v_bfe_u32 v0, v0, 24, 2
	v_lshrrev_b32_e32 v223, 16, v1
	s_delay_alu instid0(VALU_DEP_2)
	v_sub_nc_u16 v0, v0, v228
	v_lshrrev_b16 v162, 8, v1
	v_sub_nc_u16 v1, v1, v3
	v_add3_u32 v3, s22, v157, v130
	v_sub_nc_u16 v40, v223, v227
	v_lshlrev_b16 v0, 8, v0
	v_perm_b32 v227, v168, v165, 0xc0c0500
	v_bfe_i32 v228, v173, 0, 8
	v_bfe_i32 v173, v142, 0, 8
	v_and_b32_e32 v223, 0xff, v40
	v_bfe_i32 v165, v1, 0, 8
	s_delay_alu instid0(VALU_DEP_2)
	v_or_b32_e32 v102, v223, v0
	v_sub_nc_u16 v0, v162, v225
	v_bfe_i32 v223, v4, 0, 8
	ds_load_b32 v162, v3
	v_bfe_i32 v225, v164, 8, 8
	v_perm_b32 v4, v170, v167, 0xc05000c
	v_lshlrev_b16 v103, 8, v0
	v_add_nc_u32_e32 v0, s21, v115
	v_perm_b32 v170, v140, v139, 0xc0c0500
	v_bfe_i32 v167, v2, 0, 8
	v_perm_b32 v2, v63, v143, 0xc05000c
	ds_load_u16 v0, v0
	v_mul_i32_i24_e32 v3, v8, v223
	s_delay_alu instid0(VALU_DEP_1) | instskip(NEXT) | instid1(VALU_DEP_1)
	v_mad_i32_i24 v3, v44, v225, v3
	v_dot4_i32_iu8 v3, v132, v227, v3 neg_lo:[1,1,0]
	v_perm_b32 v132, v169, v169, 0xc0c0c01
	v_bfe_i32 v169, v93, 0, 8
	s_delay_alu instid0(VALU_DEP_3) | instskip(NEXT) | instid1(VALU_DEP_3)
	v_mad_i32_i24 v3, v47, v229, v3
	v_or_b32_e32 v231, v4, v132
	v_perm_b32 v4, v234, v233, 0xc05000c
	s_delay_alu instid0(VALU_DEP_2) | instskip(SKIP_3) | instid1(VALU_DEP_3)
	v_dot4_i32_iu8 v3, v5, v231, v3 neg_lo:[1,1,0]
	v_perm_b32 v5, v236, v236, 0xc0c0c01
	s_wait_dscnt 0x0
	v_bfe_i32 v236, v0, 0, 8
	v_mad_i32_i24 v3, v50, v228, v3
	s_delay_alu instid0(VALU_DEP_3) | instskip(SKIP_2) | instid1(VALU_DEP_3)
	v_or_b32_e32 v233, v4, v5
	v_perm_b32 v4, v137, v136, 0xc05000c
	v_perm_b32 v5, v138, v138, 0xc0c0c01
	v_dot4_i32_iu8 v3, v6, v233, v3 neg_lo:[1,1,0]
	s_delay_alu instid0(VALU_DEP_2) | instskip(SKIP_1) | instid1(VALU_DEP_3)
	v_or_b32_e32 v234, v4, v5
	v_lshrrev_b16 v4, 8, v0
	v_mad_i32_i24 v3, v55, v226, v3
	s_delay_alu instid0(VALU_DEP_1) | instskip(NEXT) | instid1(VALU_DEP_1)
	v_dot4_i32_iu8 v3, v7, v234, v3 neg_lo:[1,1,0]
	v_mul_lo_u32 v0, v3, v236
	v_mul_i32_i24_e32 v3, v241, v173
	s_delay_alu instid0(VALU_DEP_1) | instskip(NEXT) | instid1(VALU_DEP_1)
	v_mad_i32_i24 v3, v250, v172, v3
	v_dot4_i32_iu8 v3, v134, v170, v3 neg_lo:[1,1,0]
	s_delay_alu instid0(VALU_DEP_1) | instskip(SKIP_1) | instid1(VALU_DEP_1)
	v_mad_i32_i24 v1, v247, v169, v3
	v_perm_b32 v3, v70, v70, 0xc0c0c01
	v_or_b32_e32 v168, v2, v3
	v_perm_b32 v2, v96, v94, 0xc05000c
	v_perm_b32 v3, v166, v166, 0xc0c0c01
	s_delay_alu instid0(VALU_DEP_3) | instskip(NEXT) | instid1(VALU_DEP_2)
	v_dot4_i32_iu8 v1, v133, v168, v1 neg_lo:[1,1,0]
	v_or_b32_e32 v166, v2, v3
	v_perm_b32 v2, v102, v40, 0xc05000c
	v_perm_b32 v3, v103, v103, 0xc0c0c01
	s_delay_alu instid0(VALU_DEP_4) | instskip(NEXT) | instid1(VALU_DEP_2)
	v_mad_i32_i24 v1, v252, v167, v1
	v_or_b32_e32 v164, v2, v3
	s_delay_alu instid0(VALU_DEP_2) | instskip(SKIP_3) | instid1(VALU_DEP_4)
	v_dot4_i32_iu8 v1, v163, v166, v1 neg_lo:[1,1,0]
	v_bfe_i32 v163, v4, 0, 8
	v_mul_i32_i24_e32 v2, v28, v9
	v_mul_i32_i24_e32 v3, v68, v42
	v_mad_i32_i24 v1, v240, v165, v1
	s_delay_alu instid0(VALU_DEP_1) | instskip(NEXT) | instid1(VALU_DEP_1)
	v_dot4_i32_iu8 v1, v135, v164, v1 neg_lo:[1,1,0]
	v_mad_co_u64_u32 v[0:1], null, v1, v163, v[0:1]
	v_mul_f32_e32 v1, v131, v162
	s_delay_alu instid0(VALU_DEP_2) | instskip(NEXT) | instid1(VALU_DEP_1)
	v_cvt_f32_i32_e32 v0, v0
	v_fmac_f32_e32 v90, v1, v0
	v_or_b32_e32 v0, s18, v116
	s_delay_alu instid0(VALU_DEP_1) | instskip(SKIP_3) | instid1(VALU_DEP_1)
	v_lshlrev_b32_e32 v1, 2, v0
	v_lshrrev_b32_e32 v0, 1, v0
	ds_load_b32 v131, v0 offset:38816
	v_mul_i32_i24_e32 v0, v41, v8
	v_mad_i32_i24 v0, v255, v44, v0
	v_bfe_i32 v44, v98, 0, 8
	s_delay_alu instid0(VALU_DEP_2)
	v_add3_u32 v63, v0, v2, v3
	ds_load_b128 v[4:7], v1 offset:25344
	ds_load_b128 v[0:3], v1 offset:25360
	v_mul_i32_i24_e32 v47, v44, v47
	s_wait_dscnt 0x2
	v_mul_f32_e32 v40, v174, v131
	s_wait_dscnt 0x1
	v_lshrrev_b16 v8, 8, v4
	v_bfe_i32 v133, v4, 0, 8
	v_ashrrev_i32_e32 v96, 24, v4
	v_bfe_i32 v102, v4, 16, 8
	v_lshrrev_b16 v70, 8, v5
	v_bfe_i32 v132, v8, 0, 8
	v_mul_i32_i24_e32 v8, v133, v186
	v_mul_i32_i24_e32 v42, v96, v188
	;; [unrolled: 1-line block ×3, first 2 shown]
	v_bfe_i32 v70, v70, 0, 8
	v_ashrrev_i32_e32 v98, 24, v5
	v_mad_i32_i24 v8, v132, v189, v8
	v_lshrrev_b16 v93, 8, v6
	v_lshrrev_b16 v94, 8, v7
	v_mul_i32_i24_e32 v135, v70, v192
	v_mul_i32_i24_e32 v137, v98, v190
	v_add3_u32 v103, v8, v9, v42
	v_bfe_i32 v9, v100, 0, 16
	v_bfe_i32 v8, v24, 0, 16
	;; [unrolled: 1-line block ×5, first 2 shown]
	v_mul_i32_i24_e32 v45, v9, v45
	v_mul_i32_i24_e32 v10, v8, v10
	;; [unrolled: 1-line block ×5, first 2 shown]
	v_add3_u32 v45, v63, v47, v45
	v_bfe_i32 v47, v88, 0, 8
	v_bfe_i32 v93, v93, 0, 8
	;; [unrolled: 1-line block ×4, first 2 shown]
	v_add3_u32 v63, v45, v11, v10
	v_add3_u32 v10, v103, v101, v135
	v_bfe_i32 v11, v89, 0, 16
	v_bfe_i32 v45, v92, 0, 8
	v_mul_i32_i24_e32 v50, v47, v50
	v_ashrrev_i32_e32 v89, 24, v6
	v_add3_u32 v101, v10, v136, v137
	v_bfe_i32 v10, v97, 0, 16
	v_mul_i32_i24_e32 v48, v11, v48
	v_mul_i32_i24_e32 v13, v45, v13
	v_bfe_i32 v92, v6, 16, 8
	v_mul_i32_i24_e32 v97, v88, v197
	v_mul_i32_i24_e32 v12, v10, v12
	;; [unrolled: 1-line block ×3, first 2 shown]
	v_add3_u32 v48, v63, v50, v48
	v_mul_i32_i24_e32 v136, v92, v195
	v_mul_i32_i24_e32 v137, v89, v194
	v_bfe_i32 v50, v75, 0, 8
	v_bfe_i32 v75, v7, 0, 8
	v_add3_u32 v63, v48, v13, v12
	v_add3_u32 v12, v101, v97, v135
	v_bfe_i32 v13, v77, 0, 16
	v_bfe_i32 v48, v86, 0, 8
	v_mul_i32_i24_e32 v55, v50, v55
	v_ashrrev_i32_e32 v86, 24, v7
	v_add3_u32 v97, v12, v136, v137
	v_bfe_i32 v12, v87, 0, 16
	v_mul_i32_i24_e32 v51, v13, v51
	v_mul_i32_i24_e32 v15, v48, v15
	v_bfe_i32 v87, v7, 16, 8
	v_mul_i32_i24_e32 v77, v75, v201
	v_mul_i32_i24_e32 v14, v12, v14
	;; [unrolled: 1-line block ×3, first 2 shown]
	v_add3_u32 v51, v63, v55, v51
	v_mul_i32_i24_e32 v98, v98, v8
	v_mul_i32_i24_e32 v136, v87, v199
	;; [unrolled: 1-line block ×4, first 2 shown]
	v_add3_u32 v63, v51, v15, v14
	v_add3_u32 v14, v97, v77, v135
	v_mul_i32_i24_e32 v103, v24, v44
	v_mul_i32_i24_e32 v70, v70, v9
	;; [unrolled: 1-line block ×5, first 2 shown]
	v_add3_u32 v14, v14, v136, v137
	v_mul_i32_i24_e32 v55, v86, v12
	v_mad_i32_i24 v86, v96, v68, v98
	v_mul_i32_i24_e32 v101, v88, v47
	v_mul_i32_i24_e32 v92, v92, v45
	v_mul_lo_u32 v77, v14, v224
	v_mul_i32_i24_e32 v14, v75, v50
	v_mul_i32_i24_e32 v15, v94, v13
	;; [unrolled: 1-line block ×3, first 2 shown]
	v_mad_i32_i24 v87, v102, v28, v100
	v_mad_i32_i24 v94, v133, v41, v103
	v_add3_u32 v70, v134, v70, v93
	v_add3_u32 v55, v86, v89, v55
	s_wait_dscnt 0x0
	v_bfe_i32 v89, v0, 16, 8
	v_add3_u32 v51, v87, v92, v51
	v_add3_u32 v14, v94, v101, v14
	v_bfe_i32 v92, v0, 0, 8
	v_add3_u32 v15, v70, v15, v55
	v_bfe_i32 v55, v66, 0, 8
	v_ashrrev_i32_e32 v87, 24, v0
	v_mul_i32_i24_e32 v94, v89, v203
	v_mul_i32_i24_e32 v93, v92, v202
	v_add3_u32 v70, v14, v51, v15
	v_bfe_i32 v14, v74, 0, 16
	v_bfe_i32 v51, v72, 0, 16
	;; [unrolled: 1-line block ×3, first 2 shown]
	v_mul_i32_i24_e32 v66, v55, v241
	v_mul_i32_i24_e32 v96, v87, v204
	v_bfe_i32 v241, v23, 0, 16
	v_mul_i32_i24_e32 v72, v51, v243
	v_mul_i32_i24_e32 v69, v15, v242
	v_mad_i32_i24 v66, v14, v250, v66
	v_bfe_i32 v243, v22, 0, 16
	v_bfe_i32 v250, v21, 0, 8
	;; [unrolled: 1-line block ×4, first 2 shown]
	v_add3_u32 v69, v66, v69, v72
	v_lshrrev_b16 v66, 8, v0
	v_lshrrev_b16 v72, 8, v1
	v_mul_i32_i24_e32 v21, v250, v247
	v_mul_i32_i24_e32 v22, v243, v246
	v_lshrrev_b16 v74, 8, v2
	v_bfe_i32 v66, v66, 0, 8
	v_bfe_i32 v72, v72, 0, 8
	v_mul_i32_i24_e32 v23, v242, v245
	v_mul_i32_i24_e32 v65, v241, v244
	v_bfe_i32 v97, v1, 16, 8
	v_mad_i32_i24 v93, v66, v205, v93
	v_mul_i32_i24_e32 v100, v98, v209
	v_mul_i32_i24_e32 v101, v72, v208
	v_add3_u32 v21, v69, v21, v22
	v_bfe_i32 v246, v20, 0, 16
	v_add3_u32 v93, v93, v94, v96
	v_ashrrev_i32_e32 v96, 24, v1
	v_bfe_i32 v247, v60, 0, 8
	v_mul_i32_i24_e32 v102, v97, v207
	v_add3_u32 v21, v21, v23, v65
	v_add3_u32 v22, v93, v100, v101
	v_mul_i32_i24_e32 v103, v96, v206
	v_mul_i32_i24_e32 v69, v97, v242
	v_bfe_i32 v244, v62, 0, 16
	v_bfe_i32 v245, v61, 0, 8
	v_mul_i32_i24_e32 v20, v247, v252
	v_mul_i32_i24_e32 v60, v246, v251
	v_bfe_i32 v74, v74, 0, 8
	v_bfe_i32 v97, v2, 0, 8
	v_lshrrev_b16 v86, 8, v3
	v_add3_u32 v22, v22, v102, v103
	v_mul_i32_i24_e32 v65, v72, v243
	v_mul_i32_i24_e32 v72, v96, v241
	;; [unrolled: 1-line block ×4, first 2 shown]
	v_ashrrev_i32_e32 v93, 24, v2
	v_bfe_i32 v96, v2, 16, 8
	v_mul_i32_i24_e32 v100, v97, v213
	v_mul_i32_i24_e32 v101, v74, v212
	v_add3_u32 v20, v21, v20, v60
	v_bfe_i32 v251, v18, 0, 16
	v_bfe_i32 v252, v254, 0, 8
	v_mul_i32_i24_e32 v102, v96, v211
	v_mul_i32_i24_e32 v103, v93, v210
	v_add3_u32 v20, v20, v61, v62
	v_add3_u32 v21, v22, v100, v101
	v_mul_i32_i24_e32 v60, v74, v246
	v_bfe_i32 v248, v19, 0, 16
	v_bfe_i32 v249, v58, 0, 8
	v_mul_i32_i24_e32 v18, v252, v240
	v_mul_i32_i24_e32 v19, v251, v56
	v_bfe_i32 v74, v86, 0, 8
	v_bfe_i32 v86, v3, 0, 8
	v_add3_u32 v21, v21, v102, v103
	v_mul_i32_i24_e32 v61, v96, v245
	v_mul_i32_i24_e32 v62, v93, v244
	v_mul_i32_i24_e32 v17, v249, v17
	v_mul_i32_i24_e32 v16, v248, v16
	v_ashrrev_i32_e32 v56, 24, v3
	v_bfe_i32 v58, v3, 16, 8
	v_mul_i32_i24_e32 v93, v86, v217
	v_mul_i32_i24_e32 v96, v74, v216
	v_add3_u32 v18, v20, v18, v19
	v_mul_i32_i24_e32 v101, v56, v214
	v_mul_i32_i24_e32 v100, v58, v215
	;; [unrolled: 1-line block ×4, first 2 shown]
	v_add3_u32 v18, v18, v17, v16
	v_add3_u32 v16, v21, v93, v96
	v_mul_i32_i24_e32 v20, v56, v248
	v_mad_i32_i24 v21, v87, v51, v72
	v_mul_i32_i24_e32 v22, v97, v247
	v_mul_i32_i24_e32 v19, v58, v249
	v_add3_u32 v16, v16, v100, v101
	v_mad_i32_i24 v23, v92, v55, v23
	v_add3_u32 v56, v94, v65, v60
	v_add3_u32 v20, v21, v62, v20
	v_perm_b32 v5, v5, v5, 0xc030201
	v_mad_co_u64_u32 v[16:17], null, v16, v218, v[77:78]
	v_mul_i32_i24_e32 v17, v74, v251
	v_perm_b32 v6, v6, v6, 0xc030201
	v_perm_b32 v2, v2, v2, 0xc030201
	;; [unrolled: 1-line block ×4, first 2 shown]
	v_add3_u32 v17, v56, v17, v20
	v_cvt_f32_i32_e32 v16, v16
	s_delay_alu instid0(VALU_DEP_1) | instskip(SKIP_2) | instid1(VALU_DEP_2)
	v_fmac_f32_e32 v85, v40, v16
	v_mul_i32_i24_e32 v16, v86, v252
	v_mad_i32_i24 v40, v89, v15, v69
	v_add3_u32 v16, v23, v22, v16
	s_delay_alu instid0(VALU_DEP_2) | instskip(NEXT) | instid1(VALU_DEP_1)
	v_add3_u32 v19, v40, v61, v19
	v_add3_u32 v19, v16, v19, v17
	ds_load_u16 v16, v57
	s_wait_dscnt 0x0
	v_lshrrev_b16 v17, 8, v16
	v_bfe_i32 v16, v16, 0, 8
	s_delay_alu instid0(VALU_DEP_2) | instskip(NEXT) | instid1(VALU_DEP_2)
	v_bfe_i32 v254, v17, 0, 8
	v_mul_lo_u32 v17, v63, v16
	s_delay_alu instid0(VALU_DEP_1) | instskip(NEXT) | instid1(VALU_DEP_1)
	v_mad_co_u64_u32 v[17:18], null, v18, v254, v[17:18]
                                        ; kill: def $vgpr18 killed $sgpr0 killed $exec
	v_cvt_f32_i32_e32 v17, v17
	s_delay_alu instid0(VALU_DEP_1) | instskip(SKIP_1) | instid1(VALU_DEP_1)
	v_fmac_f32_e32 v99, v253, v17
	v_mul_lo_u32 v17, v70, v16
	v_mad_co_u64_u32 v[17:18], null, v19, v254, v[17:18]
	v_mul_f32_e32 v18, v175, v131
	v_perm_b32 v19, v0, v0, 0xc0c0302
	s_delay_alu instid0(VALU_DEP_3) | instskip(NEXT) | instid1(VALU_DEP_1)
	v_cvt_f32_i32_e32 v17, v17
	v_fmac_f32_e32 v84, v18, v17
	v_mul_i32_i24_e32 v17, v133, v177
	v_perm_b32 v18, v4, v4, 0xc0c0302
	s_delay_alu instid0(VALU_DEP_2) | instskip(NEXT) | instid1(VALU_DEP_1)
	v_mad_i32_i24 v17, v132, v178, v17
	v_dot4_i32_iu8 v4, v18, v221, v17 neg_lo:[1,1,0]
	v_mul_i32_i24_e32 v17, v92, v238
	s_delay_alu instid0(VALU_DEP_2) | instskip(NEXT) | instid1(VALU_DEP_2)
	v_mad_i32_i24 v4, v24, v222, v4
	v_mad_i32_i24 v17, v66, v239, v17
	s_delay_alu instid0(VALU_DEP_2) | instskip(NEXT) | instid1(VALU_DEP_2)
	v_dot4_i32_iu8 v4, v5, v230, v4 neg_lo:[1,1,0]
	v_dot4_i32_iu8 v0, v19, v180, v17 neg_lo:[1,1,0]
	v_perm_b32 v17, v1, v1, 0xc030201
	s_delay_alu instid0(VALU_DEP_3) | instskip(NEXT) | instid1(VALU_DEP_3)
	v_mad_i32_i24 v4, v88, v220, v4
	v_mad_i32_i24 v0, v98, v181, v0
	s_delay_alu instid0(VALU_DEP_2) | instskip(NEXT) | instid1(VALU_DEP_2)
	v_dot4_i32_iu8 v4, v6, v232, v4 neg_lo:[1,1,0]
	v_dot4_i32_iu8 v0, v17, v182, v0 neg_lo:[1,1,0]
	s_delay_alu instid0(VALU_DEP_2) | instskip(NEXT) | instid1(VALU_DEP_2)
	v_mad_i32_i24 v4, v75, v219, v4
	v_mad_i32_i24 v0, v97, v179, v0
	s_delay_alu instid0(VALU_DEP_2) | instskip(NEXT) | instid1(VALU_DEP_2)
	v_dot4_i32_iu8 v4, v7, v235, v4 neg_lo:[1,1,0]
	v_dot4_i32_iu8 v0, v2, v183, v0 neg_lo:[1,1,0]
	s_delay_alu instid0(VALU_DEP_2) | instskip(NEXT) | instid1(VALU_DEP_2)
	v_mul_lo_u32 v4, v4, v237
	v_mad_i32_i24 v0, v86, v176, v0
	s_delay_alu instid0(VALU_DEP_1) | instskip(NEXT) | instid1(VALU_DEP_1)
	v_dot4_i32_iu8 v0, v3, v184, v0 neg_lo:[1,1,0]
	v_mad_co_u64_u32 v[0:1], null, v0, v185, v[4:5]
	v_mul_f32_e32 v1, v171, v131
	s_delay_alu instid0(VALU_DEP_2) | instskip(NEXT) | instid1(VALU_DEP_1)
	v_cvt_f32_i32_e32 v0, v0
	v_fmac_f32_e32 v83, v1, v0
	v_mul_i32_i24_e32 v0, v133, v223
	v_mul_i32_i24_e32 v1, v92, v173
	s_delay_alu instid0(VALU_DEP_2) | instskip(NEXT) | instid1(VALU_DEP_2)
	v_mad_i32_i24 v0, v132, v225, v0
	v_mad_i32_i24 v1, v66, v172, v1
	s_delay_alu instid0(VALU_DEP_2) | instskip(NEXT) | instid1(VALU_DEP_2)
	v_dot4_i32_iu8 v0, v18, v227, v0 neg_lo:[1,1,0]
	v_dot4_i32_iu8 v1, v19, v170, v1 neg_lo:[1,1,0]
	s_delay_alu instid0(VALU_DEP_2) | instskip(NEXT) | instid1(VALU_DEP_2)
	v_mad_i32_i24 v0, v24, v229, v0
	v_mad_i32_i24 v1, v98, v169, v1
	s_delay_alu instid0(VALU_DEP_2) | instskip(NEXT) | instid1(VALU_DEP_2)
	v_dot4_i32_iu8 v0, v5, v231, v0 neg_lo:[1,1,0]
	v_dot4_i32_iu8 v1, v17, v168, v1 neg_lo:[1,1,0]
	;; [unrolled: 6-line block ×4, first 2 shown]
	s_delay_alu instid0(VALU_DEP_2) | instskip(NEXT) | instid1(VALU_DEP_1)
	v_mul_lo_u32 v0, v0, v236
	v_mad_co_u64_u32 v[0:1], null, v1, v163, v[0:1]
	v_mul_f32_e32 v1, v162, v131
	s_delay_alu instid0(VALU_DEP_2) | instskip(NEXT) | instid1(VALU_DEP_1)
	v_cvt_f32_i32_e32 v0, v0
	v_fmac_f32_e32 v82, v1, v0
	v_or_b32_e32 v0, s18, v117
	s_delay_alu instid0(VALU_DEP_1)
	v_lshlrev_b32_e32 v4, 2, v0
	v_lshrrev_b32_e32 v0, 1, v0
	ds_load_b32 v19, v0 offset:38816
	ds_load_b128 v[0:3], v4 offset:25344
	ds_load_b128 v[4:7], v4 offset:25360
	s_wait_dscnt 0x1
	v_bfe_i32 v20, v0, 0, 8
	v_bfe_i32 v21, v0, 8, 8
	;; [unrolled: 1-line block ×3, first 2 shown]
	v_ashrrev_i32_e32 v23, 24, v0
	v_bfe_i32 v24, v1, 0, 8
	v_mul_i32_i24_e32 v17, v186, v20
	v_bfe_i32 v40, v1, 8, 8
	v_mul_i32_i24_e32 v18, v187, v22
	v_mul_i32_i24_e32 v101, v188, v23
	v_bfe_i32 v56, v1, 16, 8
	v_mad_i32_i24 v17, v189, v21, v17
	v_ashrrev_i32_e32 v57, 24, v1
	s_wait_dscnt 0x0
	v_bfe_i32 v70, v4, 0, 8
	v_bfe_i32 v72, v4, 8, 8
	;; [unrolled: 1-line block ×3, first 2 shown]
	v_add3_u32 v17, v17, v18, v101
	v_mul_i32_i24_e32 v18, v193, v24
	v_mul_i32_i24_e32 v101, v192, v40
	v_ashrrev_i32_e32 v75, 24, v4
	v_mul_i32_i24_e32 v102, v191, v56
	v_mul_i32_i24_e32 v103, v190, v57
	v_bfe_i32 v58, v2, 0, 8
	v_add3_u32 v17, v17, v18, v101
	v_mul_i32_i24_e32 v18, v202, v70
	v_bfe_i32 v60, v2, 8, 8
	v_bfe_i32 v77, v5, 0, 8
	;; [unrolled: 1-line block ×3, first 2 shown]
	v_add3_u32 v17, v17, v102, v103
	v_mul_i32_i24_e32 v101, v203, v74
	v_mul_i32_i24_e32 v102, v204, v75
	v_mad_i32_i24 v18, v205, v72, v18
	v_bfe_i32 v61, v2, 16, 8
	v_ashrrev_i32_e32 v62, 24, v2
	v_bfe_i32 v87, v5, 16, 8
	v_ashrrev_i32_e32 v88, 24, v5
	v_mul_i32_i24_e32 v131, v197, v58
	v_mul_i32_i24_e32 v132, v196, v60
	v_add3_u32 v18, v18, v101, v102
	v_mul_i32_i24_e32 v101, v209, v77
	v_mul_i32_i24_e32 v102, v208, v86
	v_bfe_i32 v63, v3, 0, 8
	v_bfe_i32 v65, v3, 8, 8
	;; [unrolled: 1-line block ×4, first 2 shown]
	v_mul_i32_i24_e32 v133, v195, v61
	v_mul_i32_i24_e32 v134, v194, v62
	v_add3_u32 v17, v17, v131, v132
	v_mul_i32_i24_e32 v103, v207, v87
	v_mul_i32_i24_e32 v131, v206, v88
	v_add3_u32 v18, v18, v101, v102
	v_bfe_i32 v66, v3, 16, 8
	v_ashrrev_i32_e32 v69, 24, v3
	v_bfe_i32 v93, v6, 16, 8
	v_ashrrev_i32_e32 v94, 24, v6
	v_mul_i32_i24_e32 v135, v201, v63
	v_mul_i32_i24_e32 v136, v200, v65
	v_add3_u32 v17, v17, v133, v134
	v_mul_i32_i24_e32 v132, v213, v89
	v_mul_i32_i24_e32 v133, v212, v92
	v_add3_u32 v18, v18, v103, v131
	v_bfe_i32 v96, v7, 0, 8
	v_bfe_i32 v97, v7, 8, 8
	v_mul_i32_i24_e32 v137, v199, v66
	v_mul_i32_i24_e32 v138, v198, v69
	v_add3_u32 v17, v17, v135, v136
	v_mul_i32_i24_e32 v134, v211, v93
	v_mul_i32_i24_e32 v135, v210, v94
	v_add3_u32 v18, v18, v132, v133
	v_bfe_i32 v98, v7, 16, 8
	v_ashrrev_i32_e32 v100, 24, v7
	v_add3_u32 v17, v17, v137, v138
	v_mul_i32_i24_e32 v136, v217, v96
	v_mul_i32_i24_e32 v137, v216, v97
	v_add3_u32 v18, v18, v134, v135
	v_mul_i32_i24_e32 v138, v215, v98
	v_mul_i32_i24_e32 v139, v214, v100
	v_mul_lo_u32 v17, v17, v224
	v_mul_i32_i24_e32 v65, v13, v65
	v_add3_u32 v18, v18, v136, v137
	v_mul_i32_i24_e32 v66, v48, v66
	v_mul_i32_i24_e32 v69, v12, v69
	v_perm_b32 v4, v4, v4, 0xc0c0302
	v_perm_b32 v5, v5, v5, 0xc030201
	v_add3_u32 v18, v18, v138, v139
	v_perm_b32 v2, v2, v2, 0xc030201
	v_perm_b32 v6, v6, v6, 0xc030201
	v_perm_b32 v3, v3, v3, 0xc030201
	v_perm_b32 v7, v7, v7, 0xc030201
	v_mad_co_u64_u32 v[17:18], null, v18, v218, v[17:18]
	v_mul_f32_e32 v18, v174, v19
	s_delay_alu instid0(VALU_DEP_2) | instskip(NEXT) | instid1(VALU_DEP_1)
	v_cvt_f32_i32_e32 v17, v17
	v_fmac_f32_e32 v81, v18, v17
	v_mul_i32_i24_e32 v17, v41, v20
	v_mul_i32_i24_e32 v18, v28, v22
	;; [unrolled: 1-line block ×5, first 2 shown]
	v_mad_i32_i24 v17, v255, v21, v17
	s_delay_alu instid0(VALU_DEP_1)
	v_add3_u32 v17, v17, v18, v22
	v_mul_i32_i24_e32 v18, v44, v24
	v_mul_i32_i24_e32 v22, v9, v40
	;; [unrolled: 1-line block ×6, first 2 shown]
	v_add3_u32 v17, v17, v18, v22
	v_mul_i32_i24_e32 v18, v55, v70
	v_mul_i32_i24_e32 v22, v15, v74
	;; [unrolled: 1-line block ×4, first 2 shown]
	v_add3_u32 v17, v17, v23, v40
	v_mul_i32_i24_e32 v23, v51, v75
	v_mad_i32_i24 v18, v14, v72, v18
	v_mul_i32_i24_e32 v40, v242, v87
	s_delay_alu instid0(VALU_DEP_4) | instskip(SKIP_1) | instid1(VALU_DEP_4)
	v_add3_u32 v17, v17, v56, v57
	v_mul_i32_i24_e32 v56, v241, v88
	v_add3_u32 v18, v18, v22, v23
	v_mul_i32_i24_e32 v22, v250, v77
	v_mul_i32_i24_e32 v23, v243, v86
	v_add3_u32 v17, v17, v60, v61
	v_mul_i32_i24_e32 v57, v247, v89
	v_mul_i32_i24_e32 v60, v246, v92
	;; [unrolled: 1-line block ×3, first 2 shown]
	v_add3_u32 v18, v18, v22, v23
	v_add3_u32 v17, v17, v62, v65
	v_mul_i32_i24_e32 v62, v244, v94
	v_mul_i32_i24_e32 v65, v252, v96
	s_delay_alu instid0(VALU_DEP_4) | instskip(NEXT) | instid1(VALU_DEP_4)
	v_add3_u32 v18, v18, v40, v56
	v_add3_u32 v17, v17, v66, v69
	v_mul_i32_i24_e32 v66, v251, v97
	v_mul_i32_i24_e32 v69, v249, v98
	s_delay_alu instid0(VALU_DEP_4) | instskip(NEXT) | instid1(VALU_DEP_4)
	v_add3_u32 v18, v18, v57, v60
	v_mul_lo_u32 v17, v17, v16
	s_delay_alu instid0(VALU_DEP_2) | instskip(NEXT) | instid1(VALU_DEP_1)
	v_add3_u32 v18, v18, v61, v62
	v_add3_u32 v18, v18, v65, v66
	s_delay_alu instid0(VALU_DEP_1) | instskip(NEXT) | instid1(VALU_DEP_1)
	v_add3_u32 v18, v18, v69, v74
	v_mad_co_u64_u32 v[17:18], null, v18, v254, v[17:18]
	v_mul_f32_e32 v18, v175, v19
	s_delay_alu instid0(VALU_DEP_2) | instskip(NEXT) | instid1(VALU_DEP_1)
	v_cvt_f32_i32_e32 v17, v17
	v_fmac_f32_e32 v80, v18, v17
	v_mul_i32_i24_e32 v17, v20, v177
	v_perm_b32 v18, v0, v0, 0xc0c0302
	s_delay_alu instid0(VALU_DEP_2) | instskip(NEXT) | instid1(VALU_DEP_1)
	v_mad_i32_i24 v17, v21, v178, v17
	v_dot4_i32_iu8 v0, v18, v221, v17 neg_lo:[1,1,0]
	v_perm_b32 v17, v1, v1, 0xc030201
	v_mul_i32_i24_e32 v1, v70, v238
	s_delay_alu instid0(VALU_DEP_3) | instskip(NEXT) | instid1(VALU_DEP_2)
	v_mad_i32_i24 v0, v24, v222, v0
	v_mad_i32_i24 v1, v72, v239, v1
	s_delay_alu instid0(VALU_DEP_2) | instskip(NEXT) | instid1(VALU_DEP_2)
	v_dot4_i32_iu8 v0, v17, v230, v0 neg_lo:[1,1,0]
	v_dot4_i32_iu8 v1, v4, v180, v1 neg_lo:[1,1,0]
	s_delay_alu instid0(VALU_DEP_2) | instskip(NEXT) | instid1(VALU_DEP_2)
	v_mad_i32_i24 v0, v58, v220, v0
	v_mad_i32_i24 v1, v77, v181, v1
	s_delay_alu instid0(VALU_DEP_2) | instskip(NEXT) | instid1(VALU_DEP_2)
	v_dot4_i32_iu8 v0, v2, v232, v0 neg_lo:[1,1,0]
	v_dot4_i32_iu8 v1, v5, v182, v1 neg_lo:[1,1,0]
	s_delay_alu instid0(VALU_DEP_2) | instskip(NEXT) | instid1(VALU_DEP_2)
	;; [unrolled: 6-line block ×3, first 2 shown]
	v_mul_lo_u32 v0, v0, v237
	v_mad_i32_i24 v1, v96, v176, v1
	s_delay_alu instid0(VALU_DEP_1) | instskip(NEXT) | instid1(VALU_DEP_1)
	v_dot4_i32_iu8 v1, v7, v184, v1 neg_lo:[1,1,0]
	v_mad_co_u64_u32 v[0:1], null, v1, v185, v[0:1]
	v_mul_f32_e32 v1, v171, v19
	s_delay_alu instid0(VALU_DEP_2) | instskip(NEXT) | instid1(VALU_DEP_1)
	v_cvt_f32_i32_e32 v0, v0
	v_fmac_f32_e32 v79, v1, v0
	v_mul_i32_i24_e32 v0, v20, v223
	v_mul_i32_i24_e32 v1, v70, v173
	s_delay_alu instid0(VALU_DEP_2) | instskip(NEXT) | instid1(VALU_DEP_2)
	v_mad_i32_i24 v0, v21, v225, v0
	v_mad_i32_i24 v1, v72, v172, v1
	s_delay_alu instid0(VALU_DEP_2) | instskip(NEXT) | instid1(VALU_DEP_2)
	v_dot4_i32_iu8 v0, v18, v227, v0 neg_lo:[1,1,0]
	v_dot4_i32_iu8 v1, v4, v170, v1 neg_lo:[1,1,0]
	s_delay_alu instid0(VALU_DEP_2) | instskip(NEXT) | instid1(VALU_DEP_2)
	v_mad_i32_i24 v0, v24, v229, v0
	v_mad_i32_i24 v1, v77, v169, v1
	s_delay_alu instid0(VALU_DEP_2) | instskip(NEXT) | instid1(VALU_DEP_2)
	v_dot4_i32_iu8 v0, v17, v231, v0 neg_lo:[1,1,0]
	v_dot4_i32_iu8 v1, v5, v168, v1 neg_lo:[1,1,0]
	;; [unrolled: 6-line block ×4, first 2 shown]
	s_delay_alu instid0(VALU_DEP_2) | instskip(NEXT) | instid1(VALU_DEP_1)
	v_mul_lo_u32 v0, v0, v236
	v_mad_co_u64_u32 v[0:1], null, v1, v163, v[0:1]
	v_mul_f32_e32 v1, v162, v19
	s_delay_alu instid0(VALU_DEP_2) | instskip(NEXT) | instid1(VALU_DEP_1)
	v_cvt_f32_i32_e32 v0, v0
	v_fmac_f32_e32 v78, v1, v0
	v_or_b32_e32 v0, s18, v118
	s_delay_alu instid0(VALU_DEP_1)
	v_lshlrev_b32_e32 v4, 2, v0
	v_lshrrev_b32_e32 v0, 1, v0
	ds_load_b32 v19, v0 offset:38816
	ds_load_b128 v[0:3], v4 offset:25344
	ds_load_b128 v[4:7], v4 offset:25360
	s_wait_dscnt 0x1
	v_bfe_i32 v20, v0, 0, 8
	v_bfe_i32 v21, v0, 8, 8
	;; [unrolled: 1-line block ×3, first 2 shown]
	v_ashrrev_i32_e32 v23, 24, v0
	v_bfe_i32 v24, v1, 0, 8
	v_mul_i32_i24_e32 v17, v186, v20
	v_bfe_i32 v40, v1, 8, 8
	v_mul_i32_i24_e32 v18, v187, v22
	v_mul_i32_i24_e32 v101, v188, v23
	v_bfe_i32 v56, v1, 16, 8
	v_mad_i32_i24 v17, v189, v21, v17
	v_ashrrev_i32_e32 v57, 24, v1
	s_wait_dscnt 0x0
	v_bfe_i32 v70, v4, 0, 8
	v_bfe_i32 v72, v4, 8, 8
	;; [unrolled: 1-line block ×3, first 2 shown]
	v_add3_u32 v17, v17, v18, v101
	v_mul_i32_i24_e32 v18, v193, v24
	v_mul_i32_i24_e32 v101, v192, v40
	v_ashrrev_i32_e32 v75, 24, v4
	v_mul_i32_i24_e32 v102, v191, v56
	v_mul_i32_i24_e32 v103, v190, v57
	v_bfe_i32 v58, v2, 0, 8
	v_add3_u32 v17, v17, v18, v101
	v_mul_i32_i24_e32 v18, v202, v70
	v_bfe_i32 v60, v2, 8, 8
	v_bfe_i32 v77, v5, 0, 8
	;; [unrolled: 1-line block ×3, first 2 shown]
	v_add3_u32 v17, v17, v102, v103
	v_mul_i32_i24_e32 v101, v203, v74
	v_mul_i32_i24_e32 v102, v204, v75
	v_mad_i32_i24 v18, v205, v72, v18
	v_bfe_i32 v61, v2, 16, 8
	v_ashrrev_i32_e32 v62, 24, v2
	v_bfe_i32 v87, v5, 16, 8
	v_ashrrev_i32_e32 v88, 24, v5
	v_mul_i32_i24_e32 v131, v197, v58
	v_mul_i32_i24_e32 v132, v196, v60
	v_add3_u32 v18, v18, v101, v102
	v_mul_i32_i24_e32 v101, v209, v77
	v_mul_i32_i24_e32 v102, v208, v86
	v_bfe_i32 v63, v3, 0, 8
	v_bfe_i32 v65, v3, 8, 8
	;; [unrolled: 1-line block ×4, first 2 shown]
	v_mul_i32_i24_e32 v133, v195, v61
	v_mul_i32_i24_e32 v134, v194, v62
	v_add3_u32 v17, v17, v131, v132
	v_mul_i32_i24_e32 v103, v207, v87
	v_mul_i32_i24_e32 v131, v206, v88
	v_add3_u32 v18, v18, v101, v102
	v_bfe_i32 v66, v3, 16, 8
	v_ashrrev_i32_e32 v69, 24, v3
	v_bfe_i32 v93, v6, 16, 8
	v_ashrrev_i32_e32 v94, 24, v6
	v_mul_i32_i24_e32 v135, v201, v63
	v_mul_i32_i24_e32 v136, v200, v65
	v_add3_u32 v17, v17, v133, v134
	v_mul_i32_i24_e32 v132, v213, v89
	v_mul_i32_i24_e32 v133, v212, v92
	v_add3_u32 v18, v18, v103, v131
	v_bfe_i32 v96, v7, 0, 8
	v_bfe_i32 v97, v7, 8, 8
	v_mul_i32_i24_e32 v137, v199, v66
	v_mul_i32_i24_e32 v138, v198, v69
	v_add3_u32 v17, v17, v135, v136
	v_mul_i32_i24_e32 v134, v211, v93
	v_mul_i32_i24_e32 v135, v210, v94
	v_add3_u32 v18, v18, v132, v133
	v_bfe_i32 v98, v7, 16, 8
	v_ashrrev_i32_e32 v100, 24, v7
	v_add3_u32 v17, v17, v137, v138
	v_mul_i32_i24_e32 v136, v217, v96
	v_mul_i32_i24_e32 v137, v216, v97
	v_add3_u32 v18, v18, v134, v135
	v_mul_i32_i24_e32 v138, v215, v98
	v_mul_i32_i24_e32 v139, v214, v100
	v_mul_lo_u32 v17, v17, v224
	v_mul_i32_i24_e32 v65, v13, v65
	v_add3_u32 v18, v18, v136, v137
	v_mul_i32_i24_e32 v66, v48, v66
	v_mul_i32_i24_e32 v69, v12, v69
	v_perm_b32 v4, v4, v4, 0xc0c0302
	v_perm_b32 v5, v5, v5, 0xc030201
	v_add3_u32 v18, v18, v138, v139
	v_perm_b32 v2, v2, v2, 0xc030201
	v_perm_b32 v6, v6, v6, 0xc030201
	;; [unrolled: 1-line block ×4, first 2 shown]
	v_mad_co_u64_u32 v[17:18], null, v18, v218, v[17:18]
	v_mul_f32_e32 v18, v174, v19
	s_delay_alu instid0(VALU_DEP_2) | instskip(NEXT) | instid1(VALU_DEP_1)
	v_cvt_f32_i32_e32 v17, v17
	v_fmac_f32_e32 v76, v18, v17
	v_mul_i32_i24_e32 v17, v41, v20
	v_mul_i32_i24_e32 v18, v28, v22
	;; [unrolled: 1-line block ×5, first 2 shown]
	v_mad_i32_i24 v17, v255, v21, v17
	s_delay_alu instid0(VALU_DEP_1)
	v_add3_u32 v17, v17, v18, v22
	v_mul_i32_i24_e32 v18, v44, v24
	v_mul_i32_i24_e32 v22, v9, v40
	;; [unrolled: 1-line block ×6, first 2 shown]
	v_add3_u32 v17, v17, v18, v22
	v_mul_i32_i24_e32 v18, v55, v70
	v_mul_i32_i24_e32 v22, v15, v74
	;; [unrolled: 1-line block ×4, first 2 shown]
	v_add3_u32 v17, v17, v23, v40
	v_mul_i32_i24_e32 v23, v51, v75
	v_mad_i32_i24 v18, v14, v72, v18
	v_mul_i32_i24_e32 v40, v242, v87
	s_delay_alu instid0(VALU_DEP_4) | instskip(SKIP_1) | instid1(VALU_DEP_4)
	v_add3_u32 v17, v17, v56, v57
	v_mul_i32_i24_e32 v56, v241, v88
	v_add3_u32 v18, v18, v22, v23
	v_mul_i32_i24_e32 v22, v250, v77
	v_mul_i32_i24_e32 v23, v243, v86
	v_add3_u32 v17, v17, v60, v61
	v_mul_i32_i24_e32 v57, v247, v89
	v_mul_i32_i24_e32 v60, v246, v92
	;; [unrolled: 1-line block ×3, first 2 shown]
	v_add3_u32 v18, v18, v22, v23
	v_add3_u32 v17, v17, v62, v65
	v_mul_i32_i24_e32 v62, v244, v94
	v_mul_i32_i24_e32 v65, v252, v96
	s_delay_alu instid0(VALU_DEP_4) | instskip(NEXT) | instid1(VALU_DEP_4)
	v_add3_u32 v18, v18, v40, v56
	v_add3_u32 v17, v17, v66, v69
	v_mul_i32_i24_e32 v66, v251, v97
	v_mul_i32_i24_e32 v69, v249, v98
	s_delay_alu instid0(VALU_DEP_4) | instskip(NEXT) | instid1(VALU_DEP_4)
	v_add3_u32 v18, v18, v57, v60
	v_mul_lo_u32 v17, v17, v16
	s_delay_alu instid0(VALU_DEP_2) | instskip(NEXT) | instid1(VALU_DEP_1)
	v_add3_u32 v18, v18, v61, v62
	v_add3_u32 v18, v18, v65, v66
	s_delay_alu instid0(VALU_DEP_1) | instskip(NEXT) | instid1(VALU_DEP_1)
	v_add3_u32 v18, v18, v69, v74
	v_mad_co_u64_u32 v[17:18], null, v18, v254, v[17:18]
	v_mul_f32_e32 v18, v175, v19
	s_delay_alu instid0(VALU_DEP_2) | instskip(NEXT) | instid1(VALU_DEP_1)
	v_cvt_f32_i32_e32 v17, v17
	v_fmac_f32_e32 v73, v18, v17
	v_mul_i32_i24_e32 v17, v20, v177
	v_perm_b32 v18, v0, v0, 0xc0c0302
	s_delay_alu instid0(VALU_DEP_2) | instskip(NEXT) | instid1(VALU_DEP_1)
	v_mad_i32_i24 v17, v21, v178, v17
	v_dot4_i32_iu8 v0, v18, v221, v17 neg_lo:[1,1,0]
	v_perm_b32 v17, v1, v1, 0xc030201
	v_mul_i32_i24_e32 v1, v70, v238
	s_delay_alu instid0(VALU_DEP_3) | instskip(NEXT) | instid1(VALU_DEP_2)
	v_mad_i32_i24 v0, v24, v222, v0
	v_mad_i32_i24 v1, v72, v239, v1
	s_delay_alu instid0(VALU_DEP_2) | instskip(NEXT) | instid1(VALU_DEP_2)
	v_dot4_i32_iu8 v0, v17, v230, v0 neg_lo:[1,1,0]
	v_dot4_i32_iu8 v1, v4, v180, v1 neg_lo:[1,1,0]
	s_delay_alu instid0(VALU_DEP_2) | instskip(NEXT) | instid1(VALU_DEP_2)
	v_mad_i32_i24 v0, v58, v220, v0
	v_mad_i32_i24 v1, v77, v181, v1
	s_delay_alu instid0(VALU_DEP_2) | instskip(NEXT) | instid1(VALU_DEP_2)
	v_dot4_i32_iu8 v0, v2, v232, v0 neg_lo:[1,1,0]
	v_dot4_i32_iu8 v1, v5, v182, v1 neg_lo:[1,1,0]
	s_delay_alu instid0(VALU_DEP_2) | instskip(NEXT) | instid1(VALU_DEP_2)
	;; [unrolled: 6-line block ×3, first 2 shown]
	v_mul_lo_u32 v0, v0, v237
	v_mad_i32_i24 v1, v96, v176, v1
	s_delay_alu instid0(VALU_DEP_1) | instskip(NEXT) | instid1(VALU_DEP_1)
	v_dot4_i32_iu8 v1, v7, v184, v1 neg_lo:[1,1,0]
	v_mad_co_u64_u32 v[0:1], null, v1, v185, v[0:1]
	v_mul_f32_e32 v1, v171, v19
	s_delay_alu instid0(VALU_DEP_2) | instskip(NEXT) | instid1(VALU_DEP_1)
	v_cvt_f32_i32_e32 v0, v0
	v_fmac_f32_e32 v71, v1, v0
	v_mul_i32_i24_e32 v0, v20, v223
	v_mul_i32_i24_e32 v1, v70, v173
	s_delay_alu instid0(VALU_DEP_2) | instskip(NEXT) | instid1(VALU_DEP_2)
	v_mad_i32_i24 v0, v21, v225, v0
	v_mad_i32_i24 v1, v72, v172, v1
	s_delay_alu instid0(VALU_DEP_2) | instskip(NEXT) | instid1(VALU_DEP_2)
	v_dot4_i32_iu8 v0, v18, v227, v0 neg_lo:[1,1,0]
	v_dot4_i32_iu8 v1, v4, v170, v1 neg_lo:[1,1,0]
	s_delay_alu instid0(VALU_DEP_2) | instskip(NEXT) | instid1(VALU_DEP_2)
	v_mad_i32_i24 v0, v24, v229, v0
	v_mad_i32_i24 v1, v77, v169, v1
	s_delay_alu instid0(VALU_DEP_2) | instskip(NEXT) | instid1(VALU_DEP_2)
	v_dot4_i32_iu8 v0, v17, v231, v0 neg_lo:[1,1,0]
	v_dot4_i32_iu8 v1, v5, v168, v1 neg_lo:[1,1,0]
	;; [unrolled: 6-line block ×4, first 2 shown]
	s_delay_alu instid0(VALU_DEP_2) | instskip(NEXT) | instid1(VALU_DEP_1)
	v_mul_lo_u32 v0, v0, v236
	v_mad_co_u64_u32 v[0:1], null, v1, v163, v[0:1]
	v_mul_f32_e32 v1, v162, v19
	s_delay_alu instid0(VALU_DEP_2) | instskip(NEXT) | instid1(VALU_DEP_1)
	v_cvt_f32_i32_e32 v0, v0
	v_fmac_f32_e32 v67, v1, v0
	v_or_b32_e32 v0, s18, v119
	s_delay_alu instid0(VALU_DEP_1)
	v_lshlrev_b32_e32 v1, 2, v0
	v_lshrrev_b32_e32 v0, 1, v0
	ds_load_b32 v17, v0 offset:38816
	ds_load_b128 v[4:7], v1 offset:25344
	ds_load_b128 v[0:3], v1 offset:25360
	s_wait_dscnt 0x1
	v_bfe_i32 v18, v4, 0, 8
	v_bfe_i32 v19, v4, 8, 8
	;; [unrolled: 1-line block ×3, first 2 shown]
	v_ashrrev_i32_e32 v62, 24, v4
	v_bfe_i32 v20, v5, 0, 8
	v_mul_i32_i24_e32 v60, v186, v18
	v_bfe_i32 v63, v5, 8, 8
	v_mul_i32_i24_e32 v61, v187, v40
	v_mul_i32_i24_e32 v101, v188, v62
	v_bfe_i32 v65, v5, 16, 8
	v_mad_i32_i24 v60, v189, v19, v60
	v_ashrrev_i32_e32 v66, 24, v5
	s_wait_dscnt 0x0
	v_bfe_i32 v23, v0, 0, 8
	v_bfe_i32 v24, v0, 8, 8
	v_bfe_i32 v86, v0, 16, 8
	v_add3_u32 v60, v60, v61, v101
	v_mul_i32_i24_e32 v61, v193, v20
	v_mul_i32_i24_e32 v101, v192, v63
	v_ashrrev_i32_e32 v87, 24, v0
	v_mul_i32_i24_e32 v102, v191, v65
	v_mul_i32_i24_e32 v103, v190, v66
	v_bfe_i32 v21, v6, 0, 8
	v_add3_u32 v60, v60, v61, v101
	v_mul_i32_i24_e32 v61, v202, v23
	v_bfe_i32 v69, v6, 8, 8
	v_bfe_i32 v56, v1, 0, 8
	;; [unrolled: 1-line block ×3, first 2 shown]
	v_add3_u32 v60, v60, v102, v103
	v_mul_i32_i24_e32 v101, v203, v86
	v_mul_i32_i24_e32 v102, v204, v87
	v_mad_i32_i24 v61, v205, v24, v61
	v_bfe_i32 v70, v6, 16, 8
	v_ashrrev_i32_e32 v72, 24, v6
	v_bfe_i32 v89, v1, 16, 8
	v_ashrrev_i32_e32 v92, 24, v1
	v_mul_i32_i24_e32 v131, v197, v21
	v_mul_i32_i24_e32 v132, v196, v69
	v_add3_u32 v61, v61, v101, v102
	v_mul_i32_i24_e32 v101, v209, v56
	v_mul_i32_i24_e32 v102, v208, v88
	v_bfe_i32 v22, v7, 0, 8
	v_bfe_i32 v74, v7, 8, 8
	;; [unrolled: 1-line block ×4, first 2 shown]
	v_mul_i32_i24_e32 v133, v195, v70
	v_mul_i32_i24_e32 v134, v194, v72
	v_add3_u32 v60, v60, v131, v132
	v_mul_i32_i24_e32 v103, v207, v89
	v_mul_i32_i24_e32 v131, v206, v92
	v_add3_u32 v61, v61, v101, v102
	v_bfe_i32 v75, v7, 16, 8
	v_ashrrev_i32_e32 v77, 24, v7
	v_bfe_i32 v94, v2, 16, 8
	v_ashrrev_i32_e32 v96, 24, v2
	v_mul_i32_i24_e32 v135, v201, v22
	v_mul_i32_i24_e32 v136, v200, v74
	v_add3_u32 v60, v60, v133, v134
	v_mul_i32_i24_e32 v132, v213, v57
	v_mul_i32_i24_e32 v133, v212, v93
	v_add3_u32 v61, v61, v103, v131
	v_bfe_i32 v58, v3, 0, 8
	v_bfe_i32 v97, v3, 8, 8
	v_mul_i32_i24_e32 v137, v199, v75
	v_mul_i32_i24_e32 v138, v198, v77
	v_add3_u32 v60, v60, v135, v136
	v_mul_i32_i24_e32 v134, v211, v94
	v_mul_i32_i24_e32 v135, v210, v96
	v_add3_u32 v61, v61, v132, v133
	v_bfe_i32 v98, v3, 16, 8
	v_ashrrev_i32_e32 v100, 24, v3
	v_add3_u32 v60, v60, v137, v138
	v_mul_i32_i24_e32 v136, v217, v58
	v_mul_i32_i24_e32 v137, v216, v97
	v_add3_u32 v61, v61, v134, v135
	v_mul_i32_i24_e32 v138, v215, v98
	v_mul_i32_i24_e32 v139, v214, v100
	v_mul_lo_u32 v60, v60, v224
	v_mul_i32_i24_e32 v40, v28, v40
	v_add3_u32 v61, v61, v136, v137
	v_mul_i32_i24_e32 v74, v13, v74
	v_mul_i32_i24_e32 v75, v48, v75
	;; [unrolled: 1-line block ×3, first 2 shown]
	v_perm_b32 v5, v5, v5, 0xc030201
	v_add3_u32 v61, v61, v138, v139
	v_perm_b32 v6, v6, v6, 0xc030201
	v_perm_b32 v2, v2, v2, 0xc030201
	;; [unrolled: 1-line block ×4, first 2 shown]
	v_mad_co_u64_u32 v[60:61], null, v61, v218, v[60:61]
	v_mul_f32_e32 v61, v174, v17
	s_delay_alu instid0(VALU_DEP_2) | instskip(NEXT) | instid1(VALU_DEP_1)
	v_cvt_f32_i32_e32 v60, v60
	v_fmac_f32_e32 v64, v61, v60
	v_mul_i32_i24_e32 v60, v41, v18
	v_mul_i32_i24_e32 v61, v68, v62
	;; [unrolled: 1-line block ×4, first 2 shown]
	s_delay_alu instid0(VALU_DEP_4) | instskip(NEXT) | instid1(VALU_DEP_1)
	v_mad_i32_i24 v60, v255, v19, v60
	v_add3_u32 v40, v60, v40, v61
	v_mul_i32_i24_e32 v60, v44, v20
	v_mul_i32_i24_e32 v61, v9, v63
	;; [unrolled: 1-line block ×6, first 2 shown]
	v_add3_u32 v40, v40, v60, v61
	v_mul_i32_i24_e32 v72, v50, v22
	v_mul_i32_i24_e32 v61, v15, v86
	;; [unrolled: 1-line block ×3, first 2 shown]
	s_delay_alu instid0(VALU_DEP_4) | instskip(SKIP_2) | instid1(VALU_DEP_3)
	v_add3_u32 v40, v40, v62, v63
	v_mul_i32_i24_e32 v62, v51, v87
	v_mul_i32_i24_e32 v63, v242, v89
	v_add3_u32 v40, v40, v65, v66
	v_mul_i32_i24_e32 v65, v241, v92
	v_mul_i32_i24_e32 v66, v247, v57
	s_delay_alu instid0(VALU_DEP_3) | instskip(SKIP_2) | instid1(VALU_DEP_3)
	v_add3_u32 v40, v40, v69, v70
	v_mul_i32_i24_e32 v69, v246, v93
	v_mul_i32_i24_e32 v70, v245, v94
	v_add3_u32 v40, v40, v72, v74
	v_mul_i32_i24_e32 v72, v244, v96
	v_mul_i32_i24_e32 v74, v252, v58
	s_delay_alu instid0(VALU_DEP_3) | instskip(SKIP_2) | instid1(VALU_DEP_3)
	v_add3_u32 v40, v40, v75, v77
	v_mul_i32_i24_e32 v75, v251, v97
	v_mul_i32_i24_e32 v77, v249, v98
	v_mul_lo_u32 v60, v40, v16
	v_mul_i32_i24_e32 v40, v55, v23
	s_delay_alu instid0(VALU_DEP_1) | instskip(NEXT) | instid1(VALU_DEP_1)
	v_mad_i32_i24 v40, v14, v24, v40
	v_add3_u32 v40, v40, v61, v62
	v_mul_i32_i24_e32 v61, v250, v56
	v_mul_i32_i24_e32 v62, v243, v88
	s_delay_alu instid0(VALU_DEP_1) | instskip(NEXT) | instid1(VALU_DEP_1)
	v_add3_u32 v40, v40, v61, v62
                                        ; kill: def $vgpr61 killed $sgpr0 killed $exec
	v_add3_u32 v40, v40, v63, v65
	s_delay_alu instid0(VALU_DEP_1) | instskip(NEXT) | instid1(VALU_DEP_1)
	v_add3_u32 v40, v40, v66, v69
	v_add3_u32 v40, v40, v70, v72
	s_delay_alu instid0(VALU_DEP_1) | instskip(NEXT) | instid1(VALU_DEP_1)
	v_add3_u32 v40, v40, v74, v75
	v_add3_u32 v40, v40, v77, v86
	s_delay_alu instid0(VALU_DEP_1) | instskip(SKIP_2) | instid1(VALU_DEP_3)
	v_mad_co_u64_u32 v[60:61], null, v40, v254, v[60:61]
	v_mul_f32_e32 v40, v175, v17
	v_perm_b32 v61, v0, v0, 0xc0c0302
	v_cvt_f32_i32_e32 v60, v60
	s_delay_alu instid0(VALU_DEP_1) | instskip(SKIP_2) | instid1(VALU_DEP_2)
	v_fmac_f32_e32 v59, v40, v60
	v_mul_i32_i24_e32 v40, v18, v177
	v_perm_b32 v60, v4, v4, 0xc0c0302
	v_mad_i32_i24 v40, v19, v178, v40
	s_delay_alu instid0(VALU_DEP_1) | instskip(SKIP_1) | instid1(VALU_DEP_2)
	v_dot4_i32_iu8 v4, v60, v221, v40 neg_lo:[1,1,0]
	v_mul_i32_i24_e32 v40, v23, v238
	v_mad_i32_i24 v4, v20, v222, v4
	s_delay_alu instid0(VALU_DEP_2) | instskip(NEXT) | instid1(VALU_DEP_2)
	v_mad_i32_i24 v40, v24, v239, v40
	v_dot4_i32_iu8 v4, v5, v230, v4 neg_lo:[1,1,0]
	s_delay_alu instid0(VALU_DEP_2) | instskip(SKIP_1) | instid1(VALU_DEP_3)
	v_dot4_i32_iu8 v0, v61, v180, v40 neg_lo:[1,1,0]
	v_perm_b32 v40, v1, v1, 0xc030201
	v_mad_i32_i24 v4, v21, v220, v4
	s_delay_alu instid0(VALU_DEP_3) | instskip(NEXT) | instid1(VALU_DEP_2)
	v_mad_i32_i24 v0, v56, v181, v0
	v_dot4_i32_iu8 v4, v6, v232, v4 neg_lo:[1,1,0]
	s_delay_alu instid0(VALU_DEP_2) | instskip(NEXT) | instid1(VALU_DEP_2)
	v_dot4_i32_iu8 v0, v40, v182, v0 neg_lo:[1,1,0]
	v_mad_i32_i24 v4, v22, v219, v4
	s_delay_alu instid0(VALU_DEP_2) | instskip(NEXT) | instid1(VALU_DEP_2)
	v_mad_i32_i24 v0, v57, v179, v0
	v_dot4_i32_iu8 v4, v7, v235, v4 neg_lo:[1,1,0]
	s_delay_alu instid0(VALU_DEP_2) | instskip(NEXT) | instid1(VALU_DEP_2)
	v_dot4_i32_iu8 v0, v2, v183, v0 neg_lo:[1,1,0]
	v_mul_lo_u32 v4, v4, v237
	s_delay_alu instid0(VALU_DEP_2) | instskip(NEXT) | instid1(VALU_DEP_1)
	v_mad_i32_i24 v0, v58, v176, v0
	v_dot4_i32_iu8 v0, v3, v184, v0 neg_lo:[1,1,0]
	s_delay_alu instid0(VALU_DEP_1) | instskip(SKIP_1) | instid1(VALU_DEP_2)
	v_mad_co_u64_u32 v[0:1], null, v0, v185, v[4:5]
	v_mul_f32_e32 v1, v171, v17
	v_cvt_f32_i32_e32 v0, v0
	s_delay_alu instid0(VALU_DEP_1) | instskip(SKIP_2) | instid1(VALU_DEP_2)
	v_fmac_f32_e32 v54, v1, v0
	v_mul_i32_i24_e32 v0, v18, v223
	v_mul_i32_i24_e32 v1, v23, v173
	v_mad_i32_i24 v0, v19, v225, v0
	s_delay_alu instid0(VALU_DEP_2) | instskip(NEXT) | instid1(VALU_DEP_2)
	v_mad_i32_i24 v1, v24, v172, v1
	v_dot4_i32_iu8 v0, v60, v227, v0 neg_lo:[1,1,0]
	s_delay_alu instid0(VALU_DEP_2) | instskip(NEXT) | instid1(VALU_DEP_2)
	v_dot4_i32_iu8 v1, v61, v170, v1 neg_lo:[1,1,0]
	v_mad_i32_i24 v0, v20, v229, v0
	s_delay_alu instid0(VALU_DEP_2) | instskip(NEXT) | instid1(VALU_DEP_2)
	v_mad_i32_i24 v1, v56, v169, v1
	v_dot4_i32_iu8 v0, v5, v231, v0 neg_lo:[1,1,0]
	s_delay_alu instid0(VALU_DEP_2) | instskip(NEXT) | instid1(VALU_DEP_2)
	v_dot4_i32_iu8 v1, v40, v168, v1 neg_lo:[1,1,0]
	v_mad_i32_i24 v0, v21, v228, v0
	s_delay_alu instid0(VALU_DEP_2) | instskip(NEXT) | instid1(VALU_DEP_2)
	v_mad_i32_i24 v1, v57, v167, v1
	v_dot4_i32_iu8 v0, v6, v233, v0 neg_lo:[1,1,0]
	s_delay_alu instid0(VALU_DEP_2) | instskip(NEXT) | instid1(VALU_DEP_2)
	v_dot4_i32_iu8 v1, v2, v166, v1 neg_lo:[1,1,0]
	v_mad_i32_i24 v0, v22, v226, v0
	s_delay_alu instid0(VALU_DEP_2) | instskip(NEXT) | instid1(VALU_DEP_2)
	v_mad_i32_i24 v1, v58, v165, v1
	v_dot4_i32_iu8 v0, v7, v234, v0 neg_lo:[1,1,0]
	s_delay_alu instid0(VALU_DEP_2) | instskip(NEXT) | instid1(VALU_DEP_2)
	v_dot4_i32_iu8 v1, v3, v164, v1 neg_lo:[1,1,0]
	v_mul_lo_u32 v0, v0, v236
	s_delay_alu instid0(VALU_DEP_1) | instskip(SKIP_1) | instid1(VALU_DEP_2)
	v_mad_co_u64_u32 v[0:1], null, v1, v163, v[0:1]
	v_mul_f32_e32 v1, v162, v17
	v_cvt_f32_i32_e32 v0, v0
	s_delay_alu instid0(VALU_DEP_1) | instskip(SKIP_1) | instid1(VALU_DEP_1)
	v_fmac_f32_e32 v52, v1, v0
	v_or_b32_e32 v0, s18, v120
	v_lshlrev_b32_e32 v1, 2, v0
	v_lshrrev_b32_e32 v0, 1, v0
	ds_load_b32 v17, v0 offset:38816
	ds_load_b128 v[4:7], v1 offset:25344
	ds_load_b128 v[0:3], v1 offset:25360
	s_wait_dscnt 0x1
	v_bfe_i32 v18, v4, 0, 8
	v_bfe_i32 v19, v4, 8, 8
	;; [unrolled: 1-line block ×3, first 2 shown]
	v_ashrrev_i32_e32 v62, 24, v4
	v_bfe_i32 v20, v5, 0, 8
	v_mul_i32_i24_e32 v60, v186, v18
	v_bfe_i32 v63, v5, 8, 8
	v_mul_i32_i24_e32 v61, v187, v40
	v_mul_i32_i24_e32 v101, v188, v62
	v_bfe_i32 v65, v5, 16, 8
	v_mad_i32_i24 v60, v189, v19, v60
	v_ashrrev_i32_e32 v66, 24, v5
	s_wait_dscnt 0x0
	v_bfe_i32 v23, v0, 0, 8
	v_bfe_i32 v24, v0, 8, 8
	;; [unrolled: 1-line block ×3, first 2 shown]
	v_add3_u32 v60, v60, v61, v101
	v_mul_i32_i24_e32 v61, v193, v20
	v_mul_i32_i24_e32 v101, v192, v63
	v_ashrrev_i32_e32 v87, 24, v0
	v_mul_i32_i24_e32 v102, v191, v65
	v_mul_i32_i24_e32 v103, v190, v66
	v_bfe_i32 v21, v6, 0, 8
	v_add3_u32 v60, v60, v61, v101
	v_mul_i32_i24_e32 v61, v202, v23
	v_bfe_i32 v69, v6, 8, 8
	v_bfe_i32 v56, v1, 0, 8
	;; [unrolled: 1-line block ×3, first 2 shown]
	v_add3_u32 v60, v60, v102, v103
	v_mul_i32_i24_e32 v101, v203, v86
	v_mul_i32_i24_e32 v102, v204, v87
	v_mad_i32_i24 v61, v205, v24, v61
	v_bfe_i32 v70, v6, 16, 8
	v_ashrrev_i32_e32 v72, 24, v6
	v_bfe_i32 v89, v1, 16, 8
	v_ashrrev_i32_e32 v92, 24, v1
	v_mul_i32_i24_e32 v131, v197, v21
	v_mul_i32_i24_e32 v132, v196, v69
	v_add3_u32 v61, v61, v101, v102
	v_mul_i32_i24_e32 v101, v209, v56
	v_mul_i32_i24_e32 v102, v208, v88
	v_bfe_i32 v22, v7, 0, 8
	v_bfe_i32 v74, v7, 8, 8
	;; [unrolled: 1-line block ×4, first 2 shown]
	v_mul_i32_i24_e32 v133, v195, v70
	v_mul_i32_i24_e32 v134, v194, v72
	v_add3_u32 v60, v60, v131, v132
	v_mul_i32_i24_e32 v103, v207, v89
	v_mul_i32_i24_e32 v131, v206, v92
	v_add3_u32 v61, v61, v101, v102
	v_bfe_i32 v75, v7, 16, 8
	v_ashrrev_i32_e32 v77, 24, v7
	v_bfe_i32 v94, v2, 16, 8
	v_ashrrev_i32_e32 v96, 24, v2
	v_mul_i32_i24_e32 v135, v201, v22
	v_mul_i32_i24_e32 v136, v200, v74
	v_add3_u32 v60, v60, v133, v134
	v_mul_i32_i24_e32 v132, v213, v57
	v_mul_i32_i24_e32 v133, v212, v93
	v_add3_u32 v61, v61, v103, v131
	v_bfe_i32 v58, v3, 0, 8
	v_bfe_i32 v97, v3, 8, 8
	v_mul_i32_i24_e32 v137, v199, v75
	v_mul_i32_i24_e32 v138, v198, v77
	v_add3_u32 v60, v60, v135, v136
	v_mul_i32_i24_e32 v134, v211, v94
	v_mul_i32_i24_e32 v135, v210, v96
	v_add3_u32 v61, v61, v132, v133
	v_bfe_i32 v98, v3, 16, 8
	v_ashrrev_i32_e32 v100, 24, v3
	v_add3_u32 v60, v60, v137, v138
	v_mul_i32_i24_e32 v136, v217, v58
	v_mul_i32_i24_e32 v137, v216, v97
	v_add3_u32 v61, v61, v134, v135
	v_mul_i32_i24_e32 v138, v215, v98
	v_mul_i32_i24_e32 v139, v214, v100
	v_mul_lo_u32 v60, v60, v224
	v_mul_i32_i24_e32 v40, v28, v40
	v_add3_u32 v61, v61, v136, v137
	v_mul_i32_i24_e32 v74, v13, v74
	v_mul_i32_i24_e32 v75, v48, v75
	;; [unrolled: 1-line block ×3, first 2 shown]
	v_perm_b32 v5, v5, v5, 0xc030201
	v_add3_u32 v61, v61, v138, v139
	v_perm_b32 v6, v6, v6, 0xc030201
	v_perm_b32 v2, v2, v2, 0xc030201
	;; [unrolled: 1-line block ×4, first 2 shown]
	v_mad_co_u64_u32 v[60:61], null, v61, v218, v[60:61]
	v_mul_f32_e32 v61, v174, v17
	s_delay_alu instid0(VALU_DEP_2) | instskip(NEXT) | instid1(VALU_DEP_1)
	v_cvt_f32_i32_e32 v60, v60
	v_fmac_f32_e32 v49, v61, v60
	v_mul_i32_i24_e32 v60, v41, v18
	v_mul_i32_i24_e32 v61, v68, v62
	;; [unrolled: 1-line block ×4, first 2 shown]
	s_delay_alu instid0(VALU_DEP_4) | instskip(NEXT) | instid1(VALU_DEP_1)
	v_mad_i32_i24 v60, v255, v19, v60
	v_add3_u32 v40, v60, v40, v61
	v_mul_i32_i24_e32 v60, v44, v20
	v_mul_i32_i24_e32 v61, v9, v63
	;; [unrolled: 1-line block ×6, first 2 shown]
	v_add3_u32 v40, v40, v60, v61
	v_mul_i32_i24_e32 v72, v50, v22
	v_mul_i32_i24_e32 v61, v15, v86
	;; [unrolled: 1-line block ×3, first 2 shown]
	s_delay_alu instid0(VALU_DEP_4) | instskip(SKIP_2) | instid1(VALU_DEP_3)
	v_add3_u32 v40, v40, v62, v63
	v_mul_i32_i24_e32 v62, v51, v87
	v_mul_i32_i24_e32 v63, v242, v89
	v_add3_u32 v40, v40, v65, v66
	v_mul_i32_i24_e32 v65, v241, v92
	v_mul_i32_i24_e32 v66, v247, v57
	s_delay_alu instid0(VALU_DEP_3) | instskip(SKIP_2) | instid1(VALU_DEP_3)
	v_add3_u32 v40, v40, v69, v70
	v_mul_i32_i24_e32 v69, v246, v93
	v_mul_i32_i24_e32 v70, v245, v94
	v_add3_u32 v40, v40, v72, v74
	v_mul_i32_i24_e32 v72, v244, v96
	v_mul_i32_i24_e32 v74, v252, v58
	s_delay_alu instid0(VALU_DEP_3) | instskip(SKIP_2) | instid1(VALU_DEP_3)
	v_add3_u32 v40, v40, v75, v77
	v_mul_i32_i24_e32 v75, v251, v97
	v_mul_i32_i24_e32 v77, v249, v98
	v_mul_lo_u32 v60, v40, v16
	v_mul_i32_i24_e32 v40, v55, v23
	s_delay_alu instid0(VALU_DEP_1) | instskip(NEXT) | instid1(VALU_DEP_1)
	v_mad_i32_i24 v40, v14, v24, v40
	v_add3_u32 v40, v40, v61, v62
	v_mul_i32_i24_e32 v61, v250, v56
	v_mul_i32_i24_e32 v62, v243, v88
	s_delay_alu instid0(VALU_DEP_1) | instskip(NEXT) | instid1(VALU_DEP_1)
	v_add3_u32 v40, v40, v61, v62
                                        ; kill: def $vgpr61 killed $sgpr0 killed $exec
	v_add3_u32 v40, v40, v63, v65
	s_delay_alu instid0(VALU_DEP_1) | instskip(NEXT) | instid1(VALU_DEP_1)
	v_add3_u32 v40, v40, v66, v69
	v_add3_u32 v40, v40, v70, v72
	s_delay_alu instid0(VALU_DEP_1) | instskip(NEXT) | instid1(VALU_DEP_1)
	v_add3_u32 v40, v40, v74, v75
	v_add3_u32 v40, v40, v77, v86
	s_delay_alu instid0(VALU_DEP_1) | instskip(SKIP_2) | instid1(VALU_DEP_3)
	v_mad_co_u64_u32 v[60:61], null, v40, v254, v[60:61]
	v_mul_f32_e32 v40, v175, v17
	v_perm_b32 v61, v0, v0, 0xc0c0302
	v_cvt_f32_i32_e32 v60, v60
	s_delay_alu instid0(VALU_DEP_1) | instskip(SKIP_2) | instid1(VALU_DEP_2)
	v_fmac_f32_e32 v46, v40, v60
	v_mul_i32_i24_e32 v40, v18, v177
	v_perm_b32 v60, v4, v4, 0xc0c0302
	v_mad_i32_i24 v40, v19, v178, v40
	s_delay_alu instid0(VALU_DEP_1) | instskip(SKIP_1) | instid1(VALU_DEP_2)
	v_dot4_i32_iu8 v4, v60, v221, v40 neg_lo:[1,1,0]
	v_mul_i32_i24_e32 v40, v23, v238
	v_mad_i32_i24 v4, v20, v222, v4
	s_delay_alu instid0(VALU_DEP_2) | instskip(NEXT) | instid1(VALU_DEP_2)
	v_mad_i32_i24 v40, v24, v239, v40
	v_dot4_i32_iu8 v4, v5, v230, v4 neg_lo:[1,1,0]
	s_delay_alu instid0(VALU_DEP_2) | instskip(SKIP_1) | instid1(VALU_DEP_3)
	v_dot4_i32_iu8 v0, v61, v180, v40 neg_lo:[1,1,0]
	v_perm_b32 v40, v1, v1, 0xc030201
	v_mad_i32_i24 v4, v21, v220, v4
	s_delay_alu instid0(VALU_DEP_3) | instskip(NEXT) | instid1(VALU_DEP_2)
	v_mad_i32_i24 v0, v56, v181, v0
	v_dot4_i32_iu8 v4, v6, v232, v4 neg_lo:[1,1,0]
	s_delay_alu instid0(VALU_DEP_2) | instskip(NEXT) | instid1(VALU_DEP_2)
	v_dot4_i32_iu8 v0, v40, v182, v0 neg_lo:[1,1,0]
	v_mad_i32_i24 v4, v22, v219, v4
	s_delay_alu instid0(VALU_DEP_2) | instskip(NEXT) | instid1(VALU_DEP_2)
	v_mad_i32_i24 v0, v57, v179, v0
	v_dot4_i32_iu8 v4, v7, v235, v4 neg_lo:[1,1,0]
	s_delay_alu instid0(VALU_DEP_2) | instskip(NEXT) | instid1(VALU_DEP_2)
	v_dot4_i32_iu8 v0, v2, v183, v0 neg_lo:[1,1,0]
	v_mul_lo_u32 v4, v4, v237
	s_delay_alu instid0(VALU_DEP_2) | instskip(NEXT) | instid1(VALU_DEP_1)
	v_mad_i32_i24 v0, v58, v176, v0
	v_dot4_i32_iu8 v0, v3, v184, v0 neg_lo:[1,1,0]
	s_delay_alu instid0(VALU_DEP_1) | instskip(SKIP_1) | instid1(VALU_DEP_2)
	v_mad_co_u64_u32 v[0:1], null, v0, v185, v[4:5]
	v_mul_f32_e32 v1, v171, v17
	v_cvt_f32_i32_e32 v0, v0
	s_delay_alu instid0(VALU_DEP_1) | instskip(SKIP_2) | instid1(VALU_DEP_2)
	v_fmac_f32_e32 v43, v1, v0
	v_mul_i32_i24_e32 v0, v18, v223
	v_mul_i32_i24_e32 v1, v23, v173
	v_mad_i32_i24 v0, v19, v225, v0
	s_delay_alu instid0(VALU_DEP_2) | instskip(NEXT) | instid1(VALU_DEP_2)
	v_mad_i32_i24 v1, v24, v172, v1
	v_dot4_i32_iu8 v0, v60, v227, v0 neg_lo:[1,1,0]
	s_delay_alu instid0(VALU_DEP_2) | instskip(NEXT) | instid1(VALU_DEP_2)
	v_dot4_i32_iu8 v1, v61, v170, v1 neg_lo:[1,1,0]
	v_mad_i32_i24 v0, v20, v229, v0
	s_delay_alu instid0(VALU_DEP_2) | instskip(NEXT) | instid1(VALU_DEP_2)
	v_mad_i32_i24 v1, v56, v169, v1
	v_dot4_i32_iu8 v0, v5, v231, v0 neg_lo:[1,1,0]
	s_delay_alu instid0(VALU_DEP_2) | instskip(NEXT) | instid1(VALU_DEP_2)
	v_dot4_i32_iu8 v1, v40, v168, v1 neg_lo:[1,1,0]
	;; [unrolled: 6-line block ×4, first 2 shown]
	v_mul_lo_u32 v0, v0, v236
	s_delay_alu instid0(VALU_DEP_1) | instskip(SKIP_1) | instid1(VALU_DEP_2)
	v_mad_co_u64_u32 v[0:1], null, v1, v163, v[0:1]
	v_mul_f32_e32 v1, v162, v17
	v_cvt_f32_i32_e32 v0, v0
	s_delay_alu instid0(VALU_DEP_1) | instskip(SKIP_1) | instid1(VALU_DEP_1)
	v_fmac_f32_e32 v39, v1, v0
	v_or_b32_e32 v0, s18, v121
	v_lshlrev_b32_e32 v4, 2, v0
	v_lshrrev_b32_e32 v0, 1, v0
	ds_load_b32 v19, v0 offset:38816
	ds_load_b128 v[0:3], v4 offset:25344
	ds_load_b128 v[4:7], v4 offset:25360
	s_wait_dscnt 0x1
	v_bfe_i32 v20, v0, 0, 8
	v_bfe_i32 v21, v0, 8, 8
	;; [unrolled: 1-line block ×3, first 2 shown]
	v_ashrrev_i32_e32 v23, 24, v0
	v_bfe_i32 v24, v1, 0, 8
	v_mul_i32_i24_e32 v17, v186, v20
	v_bfe_i32 v40, v1, 8, 8
	v_mul_i32_i24_e32 v18, v187, v22
	v_mul_i32_i24_e32 v101, v188, v23
	v_bfe_i32 v56, v1, 16, 8
	v_mad_i32_i24 v17, v189, v21, v17
	v_ashrrev_i32_e32 v57, 24, v1
	s_wait_dscnt 0x0
	v_bfe_i32 v70, v4, 0, 8
	v_bfe_i32 v72, v4, 8, 8
	;; [unrolled: 1-line block ×3, first 2 shown]
	v_add3_u32 v17, v17, v18, v101
	v_mul_i32_i24_e32 v18, v193, v24
	v_mul_i32_i24_e32 v101, v192, v40
	v_ashrrev_i32_e32 v75, 24, v4
	v_mul_i32_i24_e32 v102, v191, v56
	v_mul_i32_i24_e32 v103, v190, v57
	v_bfe_i32 v58, v2, 0, 8
	v_add3_u32 v17, v17, v18, v101
	v_mul_i32_i24_e32 v18, v202, v70
	v_bfe_i32 v60, v2, 8, 8
	v_bfe_i32 v77, v5, 0, 8
	;; [unrolled: 1-line block ×3, first 2 shown]
	v_add3_u32 v17, v17, v102, v103
	v_mul_i32_i24_e32 v101, v203, v74
	v_mul_i32_i24_e32 v102, v204, v75
	v_mad_i32_i24 v18, v205, v72, v18
	v_bfe_i32 v61, v2, 16, 8
	v_ashrrev_i32_e32 v62, 24, v2
	v_bfe_i32 v87, v5, 16, 8
	v_ashrrev_i32_e32 v88, 24, v5
	v_mul_i32_i24_e32 v131, v197, v58
	v_mul_i32_i24_e32 v132, v196, v60
	v_add3_u32 v18, v18, v101, v102
	v_mul_i32_i24_e32 v101, v209, v77
	v_mul_i32_i24_e32 v102, v208, v86
	v_bfe_i32 v63, v3, 0, 8
	v_bfe_i32 v65, v3, 8, 8
	v_bfe_i32 v89, v6, 0, 8
	v_bfe_i32 v92, v6, 8, 8
	v_mul_i32_i24_e32 v133, v195, v61
	v_mul_i32_i24_e32 v134, v194, v62
	v_add3_u32 v17, v17, v131, v132
	v_mul_i32_i24_e32 v103, v207, v87
	v_mul_i32_i24_e32 v131, v206, v88
	v_add3_u32 v18, v18, v101, v102
	v_bfe_i32 v66, v3, 16, 8
	v_ashrrev_i32_e32 v69, 24, v3
	v_bfe_i32 v93, v6, 16, 8
	v_ashrrev_i32_e32 v94, 24, v6
	v_mul_i32_i24_e32 v135, v201, v63
	v_mul_i32_i24_e32 v136, v200, v65
	v_add3_u32 v17, v17, v133, v134
	v_mul_i32_i24_e32 v132, v213, v89
	v_mul_i32_i24_e32 v133, v212, v92
	v_add3_u32 v18, v18, v103, v131
	v_bfe_i32 v96, v7, 0, 8
	v_bfe_i32 v97, v7, 8, 8
	v_mul_i32_i24_e32 v137, v199, v66
	v_mul_i32_i24_e32 v138, v198, v69
	v_add3_u32 v17, v17, v135, v136
	v_mul_i32_i24_e32 v134, v211, v93
	v_mul_i32_i24_e32 v135, v210, v94
	v_add3_u32 v18, v18, v132, v133
	v_bfe_i32 v98, v7, 16, 8
	v_ashrrev_i32_e32 v100, 24, v7
	v_add3_u32 v17, v17, v137, v138
	v_mul_i32_i24_e32 v136, v217, v96
	v_mul_i32_i24_e32 v137, v216, v97
	v_add3_u32 v18, v18, v134, v135
	v_mul_i32_i24_e32 v138, v215, v98
	v_mul_i32_i24_e32 v139, v214, v100
	v_mul_lo_u32 v17, v17, v224
	v_mul_i32_i24_e32 v65, v13, v65
	v_add3_u32 v18, v18, v136, v137
	v_mul_i32_i24_e32 v66, v48, v66
	v_mul_i32_i24_e32 v69, v12, v69
	v_perm_b32 v4, v4, v4, 0xc0c0302
	v_perm_b32 v5, v5, v5, 0xc030201
	v_add3_u32 v18, v18, v138, v139
	v_perm_b32 v2, v2, v2, 0xc030201
	v_perm_b32 v6, v6, v6, 0xc030201
	;; [unrolled: 1-line block ×4, first 2 shown]
	v_mad_co_u64_u32 v[17:18], null, v18, v218, v[17:18]
	v_mul_f32_e32 v18, v174, v19
	s_delay_alu instid0(VALU_DEP_2) | instskip(NEXT) | instid1(VALU_DEP_1)
	v_cvt_f32_i32_e32 v17, v17
	v_fmac_f32_e32 v37, v18, v17
	v_mul_i32_i24_e32 v17, v41, v20
	v_mul_i32_i24_e32 v18, v28, v22
	;; [unrolled: 1-line block ×5, first 2 shown]
	v_mad_i32_i24 v17, v255, v21, v17
	s_delay_alu instid0(VALU_DEP_1)
	v_add3_u32 v17, v17, v18, v22
	v_mul_i32_i24_e32 v18, v44, v24
	v_mul_i32_i24_e32 v22, v9, v40
	;; [unrolled: 1-line block ×6, first 2 shown]
	v_add3_u32 v17, v17, v18, v22
	v_mul_i32_i24_e32 v18, v55, v70
	v_mul_i32_i24_e32 v22, v15, v74
	;; [unrolled: 1-line block ×4, first 2 shown]
	v_add3_u32 v17, v17, v23, v40
	v_mul_i32_i24_e32 v23, v51, v75
	v_mad_i32_i24 v18, v14, v72, v18
	v_mul_i32_i24_e32 v40, v242, v87
	s_delay_alu instid0(VALU_DEP_4) | instskip(SKIP_1) | instid1(VALU_DEP_4)
	v_add3_u32 v17, v17, v56, v57
	v_mul_i32_i24_e32 v56, v241, v88
	v_add3_u32 v18, v18, v22, v23
	v_mul_i32_i24_e32 v22, v250, v77
	v_mul_i32_i24_e32 v23, v243, v86
	v_add3_u32 v17, v17, v60, v61
	v_mul_i32_i24_e32 v57, v247, v89
	v_mul_i32_i24_e32 v60, v246, v92
	;; [unrolled: 1-line block ×3, first 2 shown]
	v_add3_u32 v18, v18, v22, v23
	v_add3_u32 v17, v17, v62, v65
	v_mul_i32_i24_e32 v62, v244, v94
	v_mul_i32_i24_e32 v65, v252, v96
	s_delay_alu instid0(VALU_DEP_4) | instskip(NEXT) | instid1(VALU_DEP_4)
	v_add3_u32 v18, v18, v40, v56
	v_add3_u32 v17, v17, v66, v69
	v_mul_i32_i24_e32 v66, v251, v97
	v_mul_i32_i24_e32 v69, v249, v98
	s_delay_alu instid0(VALU_DEP_4) | instskip(NEXT) | instid1(VALU_DEP_4)
	v_add3_u32 v18, v18, v57, v60
	v_mul_lo_u32 v17, v17, v16
	s_delay_alu instid0(VALU_DEP_2) | instskip(NEXT) | instid1(VALU_DEP_1)
	v_add3_u32 v18, v18, v61, v62
	v_add3_u32 v18, v18, v65, v66
	s_delay_alu instid0(VALU_DEP_1) | instskip(NEXT) | instid1(VALU_DEP_1)
	v_add3_u32 v18, v18, v69, v74
	v_mad_co_u64_u32 v[17:18], null, v18, v254, v[17:18]
	v_mul_f32_e32 v18, v175, v19
	s_delay_alu instid0(VALU_DEP_2) | instskip(NEXT) | instid1(VALU_DEP_1)
	v_cvt_f32_i32_e32 v17, v17
	v_fmac_f32_e32 v36, v18, v17
	v_mul_i32_i24_e32 v17, v20, v177
	v_perm_b32 v18, v0, v0, 0xc0c0302
	s_delay_alu instid0(VALU_DEP_2) | instskip(NEXT) | instid1(VALU_DEP_1)
	v_mad_i32_i24 v17, v21, v178, v17
	v_dot4_i32_iu8 v0, v18, v221, v17 neg_lo:[1,1,0]
	v_perm_b32 v17, v1, v1, 0xc030201
	v_mul_i32_i24_e32 v1, v70, v238
	s_delay_alu instid0(VALU_DEP_3) | instskip(NEXT) | instid1(VALU_DEP_2)
	v_mad_i32_i24 v0, v24, v222, v0
	v_mad_i32_i24 v1, v72, v239, v1
	s_delay_alu instid0(VALU_DEP_2) | instskip(NEXT) | instid1(VALU_DEP_2)
	v_dot4_i32_iu8 v0, v17, v230, v0 neg_lo:[1,1,0]
	v_dot4_i32_iu8 v1, v4, v180, v1 neg_lo:[1,1,0]
	s_delay_alu instid0(VALU_DEP_2) | instskip(NEXT) | instid1(VALU_DEP_2)
	v_mad_i32_i24 v0, v58, v220, v0
	v_mad_i32_i24 v1, v77, v181, v1
	s_delay_alu instid0(VALU_DEP_2) | instskip(NEXT) | instid1(VALU_DEP_2)
	v_dot4_i32_iu8 v0, v2, v232, v0 neg_lo:[1,1,0]
	v_dot4_i32_iu8 v1, v5, v182, v1 neg_lo:[1,1,0]
	s_delay_alu instid0(VALU_DEP_2) | instskip(NEXT) | instid1(VALU_DEP_2)
	;; [unrolled: 6-line block ×3, first 2 shown]
	v_mul_lo_u32 v0, v0, v237
	v_mad_i32_i24 v1, v96, v176, v1
	s_delay_alu instid0(VALU_DEP_1) | instskip(NEXT) | instid1(VALU_DEP_1)
	v_dot4_i32_iu8 v1, v7, v184, v1 neg_lo:[1,1,0]
	v_mad_co_u64_u32 v[0:1], null, v1, v185, v[0:1]
	v_mul_f32_e32 v1, v171, v19
	s_delay_alu instid0(VALU_DEP_2) | instskip(NEXT) | instid1(VALU_DEP_1)
	v_cvt_f32_i32_e32 v0, v0
	v_fmac_f32_e32 v35, v1, v0
	v_mul_i32_i24_e32 v0, v20, v223
	v_mul_i32_i24_e32 v1, v70, v173
	s_delay_alu instid0(VALU_DEP_2) | instskip(NEXT) | instid1(VALU_DEP_2)
	v_mad_i32_i24 v0, v21, v225, v0
	v_mad_i32_i24 v1, v72, v172, v1
	s_delay_alu instid0(VALU_DEP_2) | instskip(NEXT) | instid1(VALU_DEP_2)
	v_dot4_i32_iu8 v0, v18, v227, v0 neg_lo:[1,1,0]
	v_dot4_i32_iu8 v1, v4, v170, v1 neg_lo:[1,1,0]
	s_delay_alu instid0(VALU_DEP_2) | instskip(NEXT) | instid1(VALU_DEP_2)
	v_mad_i32_i24 v0, v24, v229, v0
	v_mad_i32_i24 v1, v77, v169, v1
	s_delay_alu instid0(VALU_DEP_2) | instskip(NEXT) | instid1(VALU_DEP_2)
	v_dot4_i32_iu8 v0, v17, v231, v0 neg_lo:[1,1,0]
	v_dot4_i32_iu8 v1, v5, v168, v1 neg_lo:[1,1,0]
	s_delay_alu instid0(VALU_DEP_2) | instskip(NEXT) | instid1(VALU_DEP_2)
	v_mad_i32_i24 v0, v58, v228, v0
	v_mad_i32_i24 v1, v89, v167, v1
	s_delay_alu instid0(VALU_DEP_2) | instskip(NEXT) | instid1(VALU_DEP_2)
	v_dot4_i32_iu8 v0, v2, v233, v0 neg_lo:[1,1,0]
	v_dot4_i32_iu8 v1, v6, v166, v1 neg_lo:[1,1,0]
	s_delay_alu instid0(VALU_DEP_2) | instskip(NEXT) | instid1(VALU_DEP_2)
	v_mad_i32_i24 v0, v63, v226, v0
	v_mad_i32_i24 v1, v96, v165, v1
	s_delay_alu instid0(VALU_DEP_2) | instskip(NEXT) | instid1(VALU_DEP_2)
	v_dot4_i32_iu8 v0, v3, v234, v0 neg_lo:[1,1,0]
	v_dot4_i32_iu8 v1, v7, v164, v1 neg_lo:[1,1,0]
	s_delay_alu instid0(VALU_DEP_2) | instskip(NEXT) | instid1(VALU_DEP_1)
	v_mul_lo_u32 v0, v0, v236
	v_mad_co_u64_u32 v[0:1], null, v1, v163, v[0:1]
	v_mul_f32_e32 v1, v162, v19
	s_delay_alu instid0(VALU_DEP_2) | instskip(NEXT) | instid1(VALU_DEP_1)
	v_cvt_f32_i32_e32 v0, v0
	v_fmac_f32_e32 v34, v1, v0
	v_or_b32_e32 v0, s18, v122
	s_delay_alu instid0(VALU_DEP_1)
	v_lshlrev_b32_e32 v1, 2, v0
	v_lshrrev_b32_e32 v0, 1, v0
	ds_load_b32 v240, v0 offset:38816
	ds_load_b128 v[4:7], v1 offset:25344
	ds_load_b128 v[0:3], v1 offset:25360
	s_wait_dscnt 0x1
	v_bfe_i32 v20, v4, 0, 8
	v_bfe_i32 v21, v4, 8, 8
	;; [unrolled: 1-line block ×3, first 2 shown]
	v_ashrrev_i32_e32 v63, 24, v4
	v_bfe_i32 v22, v5, 0, 8
	v_mul_i32_i24_e32 v41, v41, v20
	v_bfe_i32 v70, v5, 8, 8
	v_mul_i32_i24_e32 v75, v187, v40
	v_mul_i32_i24_e32 v28, v28, v40
	;; [unrolled: 1-line block ×3, first 2 shown]
	v_mad_i32_i24 v41, v255, v21, v41
	v_bfe_i32 v77, v5, 16, 8
	v_ashrrev_i32_e32 v86, 24, v5
	v_mul_i32_i24_e32 v9, v9, v70
	v_bfe_i32 v23, v6, 0, 8
	v_add3_u32 v28, v41, v28, v40
	v_mul_i32_i24_e32 v40, v44, v22
	v_bfe_i32 v87, v6, 8, 8
	v_mul_i32_i24_e32 v41, v42, v77
	v_mul_i32_i24_e32 v8, v8, v86
	v_bfe_i32 v88, v6, 16, 8
	v_add3_u32 v9, v28, v40, v9
	v_ashrrev_i32_e32 v89, 24, v6
	s_wait_dscnt 0x0
	v_bfe_i32 v19, v0, 0, 8
	v_mul_i32_i24_e32 v42, v47, v23
	v_mul_i32_i24_e32 v11, v11, v87
	v_add3_u32 v8, v9, v41, v8
	v_bfe_i32 v24, v7, 0, 8
	v_bfe_i32 v92, v7, 8, 8
	;; [unrolled: 1-line block ×4, first 2 shown]
	v_ashrrev_i32_e32 v97, 24, v0
	v_mul_i32_i24_e32 v44, v45, v88
	v_mul_i32_i24_e32 v10, v10, v89
	v_add3_u32 v8, v8, v42, v11
	v_mul_i32_i24_e32 v9, v55, v19
	v_bfe_i32 v93, v7, 16, 8
	v_ashrrev_i32_e32 v94, 24, v7
	v_bfe_i32 v17, v1, 0, 8
	v_bfe_i32 v57, v1, 8, 8
	v_mul_i32_i24_e32 v45, v50, v24
	v_mul_i32_i24_e32 v13, v13, v92
	v_add3_u32 v8, v8, v44, v10
	v_mul_i32_i24_e32 v10, v15, v96
	v_mul_i32_i24_e32 v11, v51, v97
	v_mad_i32_i24 v9, v14, v18, v9
	v_bfe_i32 v58, v1, 16, 8
	v_ashrrev_i32_e32 v60, 24, v1
	v_mul_i32_i24_e32 v47, v48, v93
	v_mul_i32_i24_e32 v12, v12, v94
	v_add3_u32 v8, v8, v45, v13
	v_add3_u32 v9, v9, v10, v11
	v_mul_i32_i24_e32 v10, v250, v17
	v_mul_i32_i24_e32 v11, v243, v57
	v_bfe_i32 v56, v2, 0, 8
	v_bfe_i32 v61, v2, 8, 8
	v_add3_u32 v8, v8, v47, v12
	v_mul_i32_i24_e32 v12, v242, v58
	v_mul_i32_i24_e32 v13, v241, v60
	v_add3_u32 v9, v9, v10, v11
	v_bfe_i32 v62, v2, 16, 8
	v_ashrrev_i32_e32 v65, 24, v2
	v_mul_i32_i24_e32 v14, v247, v56
	v_mul_i32_i24_e32 v15, v246, v61
	v_add3_u32 v9, v9, v12, v13
	v_bfe_i32 v253, v3, 0, 8
	v_bfe_i32 v66, v3, 8, 8
	v_mul_lo_u32 v8, v8, v16
	v_mul_i32_i24_e32 v16, v245, v62
	v_mul_i32_i24_e32 v28, v244, v65
	v_add3_u32 v9, v9, v14, v15
	v_bfe_i32 v69, v3, 16, 8
	v_ashrrev_i32_e32 v72, 24, v3
	v_mul_i32_i24_e32 v40, v252, v253
	v_mul_i32_i24_e32 v41, v251, v66
	v_add3_u32 v9, v9, v16, v28
	v_mul_i32_i24_e32 v42, v249, v69
	v_mul_i32_i24_e32 v44, v248, v72
	v_perm_b32 v10, v6, v6, 0xc030201
	v_perm_b32 v11, v7, v7, 0xc030201
	v_add3_u32 v9, v9, v40, v41
	v_perm_b32 v2, v2, v2, 0xc030201
	v_mul_i32_i24_e32 v74, v186, v20
	v_mul_i32_i24_e32 v98, v188, v63
	;; [unrolled: 1-line block ×3, first 2 shown]
	v_add3_u32 v9, v9, v42, v44
	v_mul_i32_i24_e32 v101, v190, v86
	v_mad_i32_i24 v74, v189, v21, v74
	v_mul_i32_i24_e32 v102, v197, v23
	v_mul_i32_i24_e32 v103, v196, v87
	v_mad_co_u64_u32 v[8:9], null, v9, v254, v[8:9]
	v_mul_f32_e32 v9, v175, v240
	v_add3_u32 v74, v74, v75, v98
	v_mul_i32_i24_e32 v75, v193, v22
	v_mul_i32_i24_e32 v98, v192, v70
	;; [unrolled: 1-line block ×4, first 2 shown]
	v_cvt_f32_i32_e32 v8, v8
	v_mul_i32_i24_e32 v133, v201, v24
	v_add3_u32 v74, v74, v75, v98
	v_mul_i32_i24_e32 v75, v202, v19
	v_mul_i32_i24_e32 v98, v203, v96
	v_fmac_f32_e32 v31, v9, v8
	v_mul_i32_i24_e32 v8, v20, v177
	v_perm_b32 v9, v4, v4, 0xc0c0302
	v_add3_u32 v74, v74, v100, v101
	v_mul_i32_i24_e32 v100, v204, v97
	v_mad_i32_i24 v75, v205, v18, v75
	v_mad_i32_i24 v8, v21, v178, v8
	v_mul_i32_i24_e32 v101, v207, v58
	v_add3_u32 v74, v74, v102, v103
	v_mul_i32_i24_e32 v102, v206, v60
	v_add3_u32 v75, v75, v98, v100
	v_dot4_i32_iu8 v4, v9, v221, v8 neg_lo:[1,1,0]
	v_perm_b32 v8, v5, v5, 0xc030201
	v_perm_b32 v5, v0, v0, 0xc0c0302
	v_mul_i32_i24_e32 v98, v209, v17
	v_mul_i32_i24_e32 v100, v208, v57
	v_mad_i32_i24 v4, v22, v222, v4
	v_mul_i32_i24_e32 v134, v200, v92
	v_add3_u32 v74, v74, v131, v132
	v_mul_i32_i24_e32 v103, v213, v56
	v_add3_u32 v75, v75, v98, v100
	v_dot4_i32_iu8 v4, v8, v230, v4 neg_lo:[1,1,0]
	v_mul_i32_i24_e32 v131, v212, v61
	v_mul_i32_i24_e32 v135, v199, v93
	;; [unrolled: 1-line block ×3, first 2 shown]
	v_add3_u32 v75, v75, v101, v102
	v_mad_i32_i24 v4, v23, v220, v4
	v_add3_u32 v74, v74, v133, v134
	v_mul_i32_i24_e32 v132, v211, v62
	v_mul_i32_i24_e32 v133, v210, v65
	v_add3_u32 v75, v75, v103, v131
	v_dot4_i32_iu8 v4, v10, v232, v4 neg_lo:[1,1,0]
	v_add3_u32 v74, v74, v135, v136
	v_mul_i32_i24_e32 v134, v217, v253
	v_mul_i32_i24_e32 v135, v216, v66
	v_add3_u32 v75, v75, v132, v133
	v_mad_i32_i24 v4, v24, v219, v4
	v_mul_i32_i24_e32 v136, v215, v69
	v_mul_i32_i24_e32 v137, v214, v72
	v_mul_lo_u32 v74, v74, v224
	v_add3_u32 v75, v75, v134, v135
	v_dot4_i32_iu8 v4, v11, v235, v4 neg_lo:[1,1,0]
	s_delay_alu instid0(VALU_DEP_2) | instskip(NEXT) | instid1(VALU_DEP_2)
	v_add3_u32 v75, v75, v136, v137
	v_mul_lo_u32 v6, v4, v237
	v_mul_i32_i24_e32 v4, v19, v238
	s_delay_alu instid0(VALU_DEP_3) | instskip(NEXT) | instid1(VALU_DEP_2)
	v_mad_co_u64_u32 v[74:75], null, v75, v218, v[74:75]
	v_mad_i32_i24 v4, v18, v239, v4
	v_mul_f32_e32 v75, v174, v240
	s_delay_alu instid0(VALU_DEP_2) | instskip(SKIP_3) | instid1(VALU_DEP_4)
	v_dot4_i32_iu8 v0, v5, v180, v4 neg_lo:[1,1,0]
	v_perm_b32 v4, v1, v1, 0xc030201
	v_perm_b32 v1, v3, v3, 0xc030201
	v_cvt_f32_i32_e32 v74, v74
	v_mad_i32_i24 v0, v17, v181, v0
	s_delay_alu instid0(VALU_DEP_2) | instskip(NEXT) | instid1(VALU_DEP_2)
	v_fmac_f32_e32 v32, v75, v74
	v_dot4_i32_iu8 v0, v4, v182, v0 neg_lo:[1,1,0]
	s_delay_alu instid0(VALU_DEP_1) | instskip(NEXT) | instid1(VALU_DEP_1)
	v_mad_i32_i24 v0, v56, v179, v0
	v_dot4_i32_iu8 v0, v2, v183, v0 neg_lo:[1,1,0]
	s_delay_alu instid0(VALU_DEP_1) | instskip(NEXT) | instid1(VALU_DEP_1)
	v_mad_i32_i24 v0, v253, v176, v0
	v_dot4_i32_iu8 v0, v1, v184, v0 neg_lo:[1,1,0]
	s_delay_alu instid0(VALU_DEP_1) | instskip(SKIP_1) | instid1(VALU_DEP_2)
	v_mad_co_u64_u32 v[6:7], null, v0, v185, v[6:7]
	v_mul_f32_e32 v0, v171, v240
	v_cvt_f32_i32_e32 v3, v6
	s_delay_alu instid0(VALU_DEP_1) | instskip(SKIP_2) | instid1(VALU_DEP_2)
	v_fmac_f32_e32 v30, v0, v3
	v_mul_i32_i24_e32 v0, v20, v223
	v_mul_i32_i24_e32 v3, v19, v173
	v_mad_i32_i24 v0, v21, v225, v0
	s_delay_alu instid0(VALU_DEP_2) | instskip(NEXT) | instid1(VALU_DEP_2)
	v_mad_i32_i24 v3, v18, v172, v3
	v_dot4_i32_iu8 v0, v9, v227, v0 neg_lo:[1,1,0]
	s_delay_alu instid0(VALU_DEP_2) | instskip(NEXT) | instid1(VALU_DEP_2)
	v_dot4_i32_iu8 v3, v5, v170, v3 neg_lo:[1,1,0]
	v_mad_i32_i24 v0, v22, v229, v0
	s_delay_alu instid0(VALU_DEP_2) | instskip(NEXT) | instid1(VALU_DEP_2)
	v_mad_i32_i24 v3, v17, v169, v3
	v_dot4_i32_iu8 v0, v8, v231, v0 neg_lo:[1,1,0]
	s_delay_alu instid0(VALU_DEP_2) | instskip(NEXT) | instid1(VALU_DEP_2)
	v_dot4_i32_iu8 v3, v4, v168, v3 neg_lo:[1,1,0]
	;; [unrolled: 6-line block ×4, first 2 shown]
	v_mul_lo_u32 v0, v0, v236
	s_delay_alu instid0(VALU_DEP_1) | instskip(SKIP_1) | instid1(VALU_DEP_2)
	v_mad_co_u64_u32 v[0:1], null, v1, v163, v[0:1]
	v_mul_f32_e32 v1, v162, v240
	v_cvt_f32_i32_e32 v0, v0
	s_delay_alu instid0(VALU_DEP_1)
	v_fmac_f32_e32 v27, v1, v0
	s_cbranch_scc1 .LBB130_10
; %bb.11:                               ;   in Loop: Header=BB130_8 Depth=2
	s_wait_loadcnt 0x0
	s_barrier_signal -1
	s_barrier_wait -1
	global_inv scope:SCOPE_SE
	s_clause 0x1
	scratch_load_b32 v10, off, off offset:4
	scratch_load_b32 v11, off, off
	v_lshl_add_u32 v0, s16, 5, v104
	v_lshl_add_u32 v9, s16, 2, v144
	v_dual_mov_b32 v146, v106 :: v_dual_mov_b32 v149, v109
	v_mov_b32_e32 v147, v107
	s_delay_alu instid0(VALU_DEP_4) | instskip(SKIP_3) | instid1(VALU_DEP_4)
	v_lshrrev_b32_e32 v0, 3, v0
	v_mov_b32_e32 v148, v108
	v_mov_b32_e32 v150, v110
	v_dual_mov_b32 v144, v158 :: v_dual_mov_b32 v151, v145
	v_add_nc_u32_e32 v8, s7, v0
	s_add_co_i32 s10, s10, 2
	s_wait_alu 0xfffe
	s_lshl_b32 s16, s10, 3
	s_delay_alu instid0(VALU_DEP_1)
	v_add_nc_u32_e32 v0, v8, v106
	v_add_nc_u32_e32 v2, v8, v107
	;; [unrolled: 1-line block ×6, first 2 shown]
	v_mad_co_i64_i32 v[0:1], null, v0, 36, v[25:26]
	v_mov_b32_e32 v145, v105
	v_mad_co_i64_i32 v[2:3], null, v2, 36, v[25:26]
	v_mad_co_i64_i32 v[4:5], null, v4, 36, v[25:26]
	;; [unrolled: 1-line block ×5, first 2 shown]
	s_wait_loadcnt 0x1
	v_add_nc_u32_e32 v10, v8, v10
	s_wait_loadcnt 0x0
	v_add_nc_u32_e32 v16, v8, v11
	v_mad_co_u64_u32 v[8:9], null, v9, 36, s[2:3]
	s_delay_alu instid0(VALU_DEP_3) | instskip(NEXT) | instid1(VALU_DEP_3)
	v_mad_co_i64_i32 v[10:11], null, v10, 36, v[25:26]
	v_mad_co_i64_i32 v[16:17], null, v16, 36, v[25:26]
	s_clause 0x8
	global_load_b32 v8, v[8:9], off
	global_load_b32 v9, v[10:11], off offset:4
	global_load_b32 v0, v[0:1], off offset:4
	;; [unrolled: 1-line block ×8, first 2 shown]
	s_wait_loadcnt 0x8
	v_cvt_f32_f16_e32 v7, v8
	s_wait_loadcnt 0x6
	ds_store_b32 v29, v0
	scratch_load_b32 v0, off, off offset:8  ; 4-byte Folded Reload
	ds_store_b32 v105, v7
	s_wait_loadcnt 0x0
	ds_store_b32 v0, v1
	scratch_load_b32 v0, off, off offset:12 ; 4-byte Folded Reload
	ds_store_b32 v158, v9
	v_mov_b32_e32 v158, v29
	s_wait_loadcnt 0x0
	ds_store_b32 v0, v2
	scratch_load_b32 v0, off, off offset:16 ; 4-byte Folded Reload
	s_wait_loadcnt 0x0
	ds_store_b32 v0, v3
	scratch_load_b32 v0, off, off offset:20 ; 4-byte Folded Reload
	;; [unrolled: 3-line block ×4, first 2 shown]
	s_wait_loadcnt 0x0
	ds_store_b32 v0, v6
	s_wait_dscnt 0x0
	s_barrier_signal -1
	s_barrier_wait -1
	global_inv scope:SCOPE_SE
.LBB130_12:                             ;   Parent Loop BB130_6 Depth=1
                                        ;     Parent Loop BB130_8 Depth=2
                                        ; =>    This Inner Loop Header: Depth=3
	s_lshl_b32 s17, s11, 2
	s_lshr_b32 s20, s11, 4
	s_wait_alu 0xfffe
	s_and_b32 s17, s17, 24
	s_lshl_b32 s22, s20, 5
	s_wait_alu 0xfffe
	v_or_b32_e32 v0, s17, v111
	s_addk_co_i32 s22, 0x4200
	s_and_b32 s21, s11, 0x3ffffff8
	s_wait_alu 0xfffe
	v_add3_u32 v7, s22, v159, v124
	v_lshl_add_u32 v162, s21, 2, v123
	v_lshlrev_b32_e32 v8, 2, v0
	v_lshrrev_b32_e32 v0, 1, v0
	s_bfe_u32 s18, s11, 0x30001
	s_and_b32 s19, s11, 6
	s_lshl_b32 s23, s20, 2
	ds_load_2addr_b32 v[2:3], v7 offset1:1
	ds_load_b32 v131, v0 offset:38816
	ds_load_2addr_b32 v[0:1], v162 offset1:1
	s_wait_alu 0xfffe
	s_add_co_i32 s21, s23, 0x9380
	s_and_b32 s20, s11, -2
	v_add3_u32 v94, s22, v154, v127
	s_wait_alu 0xfffe
	v_add_nc_u32_e32 v75, s20, v112
	v_add_nc_u32_e32 v236, s20, v114
	;; [unrolled: 1-line block ×3, first 2 shown]
	s_add_co_i32 s11, s11, 2
	s_wait_alu 0xfffe
	s_cmp_lt_u32 s11, s16
	s_wait_dscnt 0x2
	v_ashrrev_i32_e32 v2, s18, v2
	v_ashrrev_i32_e32 v3, s18, v3
	s_wait_dscnt 0x0
	v_ashrrev_i32_e32 v0, s19, v0
	s_delay_alu instid0(VALU_DEP_3) | instskip(NEXT) | instid1(VALU_DEP_3)
	v_lshlrev_b32_e32 v2, 2, v2
	v_lshlrev_b32_e32 v3, 2, v3
	s_delay_alu instid0(VALU_DEP_3) | instskip(SKIP_1) | instid1(VALU_DEP_4)
	v_and_b32_e32 v4, 0x3030303, v0
	v_bfe_u32 v0, v0, 24, 2
	v_and_b32_e32 v2, 0x4040404, v2
	s_delay_alu instid0(VALU_DEP_4) | instskip(NEXT) | instid1(VALU_DEP_4)
	v_and_b32_e32 v3, 0x4040404, v3
	v_lshrrev_b32_e32 v5, 16, v4
	v_lshrrev_b16 v6, 8, v4
	s_delay_alu instid0(VALU_DEP_4) | instskip(SKIP_3) | instid1(VALU_DEP_4)
	v_lshrrev_b32_e32 v10, 24, v2
	v_lshrrev_b32_e32 v9, 16, v2
	v_lshrrev_b16 v11, 8, v2
	v_sub_nc_u16 v13, v4, v2
	v_sub_nc_u16 v10, v0, v10
	v_ashrrev_i32_e32 v0, s19, v1
	s_delay_alu instid0(VALU_DEP_4)
	v_sub_nc_u16 v11, v6, v11
	v_sub_nc_u16 v12, v5, v9
	v_lshrrev_b32_e32 v5, 24, v3
	v_lshrrev_b32_e32 v6, 16, v3
	v_bfe_u32 v1, v0, 24, 2
	v_and_b32_e32 v0, 0x3030303, v0
	v_lshrrev_b16 v9, 8, v3
	v_bfe_i32 v188, v10, 0, 16
	v_bfe_i32 v187, v12, 0, 8
	v_sub_nc_u16 v17, v1, v5
	v_lshrrev_b32_e32 v2, 16, v0
	v_lshrrev_b16 v4, 8, v0
	v_sub_nc_u16 v14, v0, v3
	ds_load_2addr_b32 v[0:1], v162 offset0:2 offset1:3
	v_bfe_i32 v190, v17, 0, 16
	v_sub_nc_u16 v16, v2, v6
	ds_load_2addr_b32 v[2:3], v7 offset0:2 offset1:3
	v_sub_nc_u16 v15, v4, v9
	v_bfe_i32 v189, v11, 0, 16
	v_bfe_i32 v193, v14, 0, 8
	;; [unrolled: 1-line block ×5, first 2 shown]
	s_wait_dscnt 0x1
	v_ashrrev_i32_e32 v0, s19, v0
	s_wait_dscnt 0x0
	v_ashrrev_i32_e32 v2, s18, v2
	v_ashrrev_i32_e32 v3, s18, v3
	s_delay_alu instid0(VALU_DEP_3) | instskip(SKIP_1) | instid1(VALU_DEP_4)
	v_bfe_u32 v4, v0, 24, 2
	v_and_b32_e32 v0, 0x3030303, v0
	v_lshlrev_b32_e32 v2, 2, v2
	s_delay_alu instid0(VALU_DEP_4) | instskip(NEXT) | instid1(VALU_DEP_3)
	v_lshlrev_b32_e32 v3, 2, v3
	v_lshrrev_b32_e32 v5, 16, v0
	v_lshrrev_b16 v6, 8, v0
	s_delay_alu instid0(VALU_DEP_4) | instskip(NEXT) | instid1(VALU_DEP_4)
	v_and_b32_e32 v2, 0x4040404, v2
	v_and_b32_e32 v3, 0x4040404, v3
	s_delay_alu instid0(VALU_DEP_2)
	v_sub_nc_u16 v20, v0, v2
	v_ashrrev_i32_e32 v0, s19, v1
	v_lshrrev_b32_e32 v18, 16, v2
	v_lshrrev_b16 v19, 8, v2
	v_lshrrev_b32_e32 v9, 24, v2
	v_bfe_i32 v197, v20, 0, 8
	v_bfe_u32 v1, v0, 24, 2
	v_and_b32_e32 v0, 0x3030303, v0
	v_sub_nc_u16 v19, v6, v19
	v_sub_nc_u16 v18, v5, v18
	v_lshrrev_b32_e32 v5, 24, v3
	v_lshrrev_b32_e32 v6, 16, v3
	;; [unrolled: 1-line block ×3, first 2 shown]
	v_sub_nc_u16 v21, v4, v9
	v_lshrrev_b16 v4, 8, v0
	v_lshrrev_b16 v9, 8, v3
	v_sub_nc_u16 v22, v0, v3
	v_sub_nc_u16 v28, v2, v6
	;; [unrolled: 1-line block ×3, first 2 shown]
	ds_load_2addr_b32 v[0:1], v162 offset0:4 offset1:5
	ds_load_2addr_b32 v[2:3], v7 offset0:4 offset1:5
	v_sub_nc_u16 v24, v4, v9
	v_bfe_i32 v194, v21, 0, 16
	v_bfe_i32 v196, v19, 0, 16
	;; [unrolled: 1-line block ×7, first 2 shown]
	s_wait_dscnt 0x1
	v_ashrrev_i32_e32 v0, s19, v0
	s_wait_dscnt 0x0
	v_ashrrev_i32_e32 v2, s18, v2
	v_ashrrev_i32_e32 v3, s18, v3
	s_delay_alu instid0(VALU_DEP_3) | instskip(NEXT) | instid1(VALU_DEP_3)
	v_and_b32_e32 v4, 0x3030303, v0
	v_lshlrev_b32_e32 v2, 2, v2
	v_bfe_u32 v0, v0, 24, 2
	s_delay_alu instid0(VALU_DEP_4) | instskip(NEXT) | instid1(VALU_DEP_4)
	v_lshlrev_b32_e32 v3, 2, v3
	v_lshrrev_b32_e32 v5, 16, v4
	s_delay_alu instid0(VALU_DEP_4) | instskip(SKIP_1) | instid1(VALU_DEP_4)
	v_and_b32_e32 v2, 0x4040404, v2
	v_lshrrev_b16 v6, 8, v4
	v_and_b32_e32 v3, 0x4040404, v3
	s_delay_alu instid0(VALU_DEP_3) | instskip(SKIP_3) | instid1(VALU_DEP_4)
	v_lshrrev_b32_e32 v23, 24, v2
	v_lshrrev_b32_e32 v9, 16, v2
	v_lshrrev_b16 v41, 8, v2
	v_sub_nc_u16 v57, v4, v2
	v_sub_nc_u16 v44, v0, v23
	v_ashrrev_i32_e32 v0, s19, v1
	s_delay_alu instid0(VALU_DEP_4)
	v_sub_nc_u16 v41, v6, v41
	v_sub_nc_u16 v56, v5, v9
	v_lshrrev_b32_e32 v5, 24, v3
	v_lshrrev_b32_e32 v6, 16, v3
	v_bfe_u32 v1, v0, 24, 2
	v_and_b32_e32 v0, 0x3030303, v0
	v_lshrrev_b16 v9, 8, v3
	v_bfe_i32 v202, v57, 0, 8
	v_bfe_i32 v204, v44, 0, 16
	v_sub_nc_u16 v62, v1, v5
	v_lshrrev_b32_e32 v2, 16, v0
	v_lshrrev_b16 v4, 8, v0
	v_sub_nc_u16 v58, v0, v3
	ds_load_2addr_b32 v[0:1], v162 offset0:6 offset1:7
	v_bfe_i32 v206, v62, 0, 16
	v_sub_nc_u16 v61, v2, v6
	ds_load_2addr_b32 v[2:3], v7 offset0:6 offset1:7
	v_sub_nc_u16 v60, v4, v9
	v_bfe_i32 v209, v58, 0, 8
	v_bfe_i32 v205, v41, 0, 16
	;; [unrolled: 1-line block ×5, first 2 shown]
	s_wait_dscnt 0x1
	v_ashrrev_i32_e32 v0, s19, v0
	s_wait_dscnt 0x0
	v_ashrrev_i32_e32 v2, s18, v2
	v_ashrrev_i32_e32 v3, s18, v3
	s_delay_alu instid0(VALU_DEP_3) | instskip(SKIP_1) | instid1(VALU_DEP_4)
	v_bfe_u32 v4, v0, 24, 2
	v_and_b32_e32 v0, 0x3030303, v0
	v_lshlrev_b32_e32 v2, 2, v2
	s_delay_alu instid0(VALU_DEP_4) | instskip(NEXT) | instid1(VALU_DEP_3)
	v_lshlrev_b32_e32 v3, 2, v3
	v_lshrrev_b32_e32 v5, 16, v0
	v_lshrrev_b16 v6, 8, v0
	s_delay_alu instid0(VALU_DEP_4) | instskip(NEXT) | instid1(VALU_DEP_4)
	v_and_b32_e32 v2, 0x4040404, v2
	v_and_b32_e32 v3, 0x4040404, v3
	s_delay_alu instid0(VALU_DEP_2)
	v_sub_nc_u16 v63, v0, v2
	v_ashrrev_i32_e32 v0, s19, v1
	v_lshrrev_b32_e32 v7, 24, v2
	v_lshrrev_b32_e32 v9, 16, v2
	v_lshrrev_b16 v23, 8, v2
	v_bfe_i32 v213, v63, 0, 8
	v_bfe_u32 v1, v0, 24, 2
	v_and_b32_e32 v0, 0x3030303, v0
	v_sub_nc_u16 v66, v5, v9
	v_sub_nc_u16 v65, v6, v23
	;; [unrolled: 1-line block ×3, first 2 shown]
	v_lshrrev_b32_e32 v5, 24, v3
	v_lshrrev_b32_e32 v2, 16, v0
	v_lshrrev_b16 v4, 8, v0
	v_lshrrev_b32_e32 v6, 16, v3
	v_lshrrev_b16 v7, 8, v3
	v_sub_nc_u16 v69, v0, v3
	v_add3_u32 v0, s21, v160, v161
	v_sub_nc_u16 v74, v1, v5
	v_sub_nc_u16 v72, v2, v6
	;; [unrolled: 1-line block ×3, first 2 shown]
	ds_load_b32 v174, v0
	ds_load_b128 v[4:7], v8 offset:25344
	ds_load_b128 v[0:3], v8 offset:25360
	v_bfe_i32 v210, v68, 0, 16
	v_bfe_i32 v212, v65, 0, 16
	;; [unrolled: 1-line block ×7, first 2 shown]
	ds_load_2addr_b32 v[163:164], v94 offset1:1
	ds_load_2addr_b32 v[170:171], v94 offset0:6 offset1:7
	s_wait_dscnt 0x3
	v_lshrrev_b16 v42, 8, v4
	v_lshrrev_b16 v45, 8, v5
	;; [unrolled: 1-line block ×3, first 2 shown]
	v_ashrrev_i32_e32 v10, 24, v5
	v_lshrrev_b16 v51, 8, v7
	v_ashrrev_i32_e32 v23, 24, v4
	v_bfe_i32 v42, v42, 0, 8
	v_bfe_i32 v11, v5, 16, 8
	;; [unrolled: 1-line block ×4, first 2 shown]
	v_mul_i32_i24_e32 v87, v190, v10
	v_ashrrev_i32_e32 v12, 24, v6
	v_bfe_i32 v48, v48, 0, 8
	v_ashrrev_i32_e32 v14, 24, v7
	v_bfe_i32 v8, v4, 0, 8
	v_bfe_i32 v9, v4, 16, 8
	v_mul_i32_i24_e32 v77, v189, v42
	v_mul_i32_i24_e32 v16, v193, v47
	;; [unrolled: 1-line block ×4, first 2 shown]
	v_bfe_i32 v13, v6, 16, 8
	v_bfe_i32 v50, v6, 0, 8
	v_mul_i32_i24_e32 v19, v196, v48
	v_mul_i32_i24_e32 v21, v194, v12
	v_bfe_i32 v15, v7, 16, 8
	v_bfe_i32 v51, v51, 0, 8
	;; [unrolled: 1-line block ×3, first 2 shown]
	v_mul_i32_i24_e32 v40, v198, v14
	v_mad_i32_i24 v87, v188, v23, v87
	v_mul_i32_i24_e32 v18, v197, v50
	v_mul_i32_i24_e32 v20, v195, v13
	;; [unrolled: 1-line block ×5, first 2 shown]
	v_mad_i32_i24 v86, v187, v9, v86
	v_mad_i32_i24 v16, v186, v8, v16
	v_add3_u32 v17, v77, v17, v19
	v_add3_u32 v19, v87, v21, v40
	s_wait_dscnt 0x2
	v_ashrrev_i32_e32 v245, 24, v1
	v_bfe_i32 v248, v1, 0, 8
	v_add3_u32 v16, v16, v18, v22
	v_add3_u32 v18, v86, v20, v28
	v_add3_u32 v17, v17, v24, v19
	v_lshrrev_b16 v19, 8, v2
	v_lshrrev_b16 v20, 8, v3
	v_bfe_i32 v241, v0, 0, 8
	v_ashrrev_i32_e32 v243, 24, v0
	v_add3_u32 v18, v16, v18, v17
	v_lshrrev_b16 v16, 8, v0
	v_lshrrev_b16 v17, 8, v1
	v_bfe_i32 v246, v1, 16, 8
	v_mul_i32_i24_e32 v22, v209, v248
	v_mul_i32_i24_e32 v40, v206, v245
	v_bfe_i32 v251, v16, 0, 8
	v_bfe_i32 v247, v17, 0, 8
	v_ashrrev_i32_e32 v244, 24, v2
	v_bfe_i32 v250, v19, 0, 8
	v_bfe_i32 v252, v2, 0, 8
	v_ashrrev_i32_e32 v16, 24, v3
	v_bfe_i32 v240, v3, 0, 8
	v_bfe_i32 v242, v0, 16, 8
	v_mul_i32_i24_e32 v21, v205, v251
	v_mul_i32_i24_e32 v24, v208, v247
	;; [unrolled: 1-line block ×3, first 2 shown]
	v_bfe_i32 v249, v2, 16, 8
	v_mul_i32_i24_e32 v19, v213, v252
	v_mul_i32_i24_e32 v41, v212, v250
	;; [unrolled: 1-line block ×3, first 2 shown]
	v_bfe_i32 v17, v3, 16, 8
	v_bfe_i32 v56, v20, 0, 8
	v_mul_i32_i24_e32 v20, v217, v240
	v_mul_i32_i24_e32 v61, v214, v16
	v_mad_i32_i24 v40, v204, v243, v40
	v_mad_i32_i24 v22, v202, v241, v22
	v_mul_i32_i24_e32 v44, v211, v249
	v_mul_i32_i24_e32 v58, v216, v56
	v_mul_i32_i24_e32 v60, v215, v17
	v_mad_i32_i24 v28, v203, v242, v28
	v_add3_u32 v21, v21, v24, v41
	v_add3_u32 v19, v22, v19, v20
	;; [unrolled: 1-line block ×5, first 2 shown]
	s_wait_dscnt 0x1
	v_ashrrev_i32_e32 v96, s18, v163
	v_perm_b32 v5, v5, v5, 0xc030201
	v_add3_u32 v21, v21, v58, v22
	v_perm_b32 v6, v6, v6, 0xc030201
	v_perm_b32 v7, v7, v7, 0xc030201
	v_lshlrev_b32_e32 v96, 2, v96
	s_delay_alu instid0(VALU_DEP_4) | instskip(SKIP_2) | instid1(VALU_DEP_1)
	v_add3_u32 v19, v19, v20, v21
	ds_load_u16 v20, v75
	v_and_b32_e32 v96, 0x4040404, v96
	v_lshrrev_b32_e32 v103, 16, v96
	v_lshrrev_b16 v102, 8, v96
	s_wait_dscnt 0x0
	v_bfe_i32 v222, v20, 0, 8
	v_lshrrev_b16 v21, 8, v20
	s_delay_alu instid0(VALU_DEP_2) | instskip(NEXT) | instid1(VALU_DEP_2)
	v_mul_lo_u32 v18, v18, v222
	v_bfe_i32 v218, v21, 0, 8
	ds_load_2addr_b32 v[20:21], v40 offset1:1
	v_mad_co_u64_u32 v[18:19], null, v19, v218, v[18:19]
	v_mul_f32_e32 v19, v131, v174
	s_delay_alu instid0(VALU_DEP_2) | instskip(NEXT) | instid1(VALU_DEP_1)
	v_cvt_f32_i32_e32 v18, v18
	v_fmac_f32_e32 v33, v19, v18
	v_add_nc_u32_e32 v18, 0x1080, v162
	s_wait_dscnt 0x0
	v_ashrrev_i32_e32 v20, s18, v20
	v_ashrrev_i32_e32 v21, s18, v21
	ds_load_2addr_b32 v[18:19], v18 offset1:1
	v_lshlrev_b32_e32 v20, 2, v20
	v_lshlrev_b32_e32 v21, 2, v21
	s_delay_alu instid0(VALU_DEP_2) | instskip(NEXT) | instid1(VALU_DEP_2)
	v_and_b32_e32 v20, 0x4040404, v20
	v_and_b32_e32 v21, 0x4040404, v21
	s_delay_alu instid0(VALU_DEP_2) | instskip(SKIP_4) | instid1(VALU_DEP_1)
	v_lshrrev_b32_e32 v57, 24, v20
	v_lshrrev_b16 v44, 8, v20
	v_lshrrev_b32_e32 v58, 16, v20
	s_wait_dscnt 0x0
	v_ashrrev_i32_e32 v18, s19, v18
	v_and_b32_e32 v22, 0x3030303, v18
	v_bfe_u32 v18, v18, 24, 2
	s_delay_alu instid0(VALU_DEP_2) | instskip(NEXT) | instid1(VALU_DEP_2)
	v_lshrrev_b16 v24, 8, v22
	v_sub_nc_u16 v68, v18, v57
	v_ashrrev_i32_e32 v18, s19, v19
	v_lshrrev_b32_e32 v28, 16, v22
	v_sub_nc_u16 v41, v22, v20
	v_sub_nc_u16 v255, v24, v44
	v_lshrrev_b32_e32 v57, 24, v21
	v_bfe_u32 v19, v18, 24, 2
	v_and_b32_e32 v18, 0x3030303, v18
	v_lshrrev_b32_e32 v24, 16, v21
	v_sub_nc_u16 v28, v28, v58
	v_lshrrev_b16 v58, 8, v21
	v_sub_nc_u16 v101, v19, v57
	v_lshrrev_b32_e32 v20, 16, v18
	v_lshrrev_b16 v22, 8, v18
	v_sub_nc_u16 v44, v18, v21
	v_add_nc_u32_e32 v18, 0x1088, v162
	v_bfe_i32 v41, v41, 0, 8
	v_sub_nc_u16 v24, v20, v24
	ds_load_2addr_b32 v[20:21], v40 offset0:2 offset1:3
	v_sub_nc_u16 v100, v22, v58
	ds_load_2addr_b32 v[18:19], v18 offset1:1
	v_bfe_i32 v255, v255, 0, 16
	v_bfe_i32 v68, v68, 0, 16
	;; [unrolled: 1-line block ×4, first 2 shown]
	s_wait_dscnt 0x1
	v_ashrrev_i32_e32 v20, s18, v20
	v_ashrrev_i32_e32 v21, s18, v21
	s_wait_dscnt 0x0
	v_ashrrev_i32_e32 v18, s19, v18
	s_delay_alu instid0(VALU_DEP_3) | instskip(NEXT) | instid1(VALU_DEP_3)
	v_lshlrev_b32_e32 v20, 2, v20
	v_lshlrev_b32_e32 v21, 2, v21
	s_delay_alu instid0(VALU_DEP_3) | instskip(SKIP_1) | instid1(VALU_DEP_4)
	v_bfe_u32 v22, v18, 24, 2
	v_and_b32_e32 v18, 0x3030303, v18
	v_and_b32_e32 v20, 0x4040404, v20
	s_delay_alu instid0(VALU_DEP_4) | instskip(NEXT) | instid1(VALU_DEP_3)
	v_and_b32_e32 v21, 0x4040404, v21
	v_lshrrev_b32_e32 v57, 16, v18
	v_lshrrev_b16 v58, 8, v18
	s_delay_alu instid0(VALU_DEP_4) | instskip(SKIP_4) | instid1(VALU_DEP_4)
	v_sub_nc_u16 v89, v18, v20
	v_ashrrev_i32_e32 v18, s19, v19
	v_lshrrev_b32_e32 v60, 24, v20
	v_lshrrev_b32_e32 v61, 16, v20
	v_lshrrev_b16 v62, 8, v20
	v_bfe_u32 v19, v18, 24, 2
	v_and_b32_e32 v18, 0x3030303, v18
	s_delay_alu instid0(VALU_DEP_4) | instskip(NEXT) | instid1(VALU_DEP_4)
	v_sub_nc_u16 v97, v57, v61
	v_sub_nc_u16 v92, v58, v62
	;; [unrolled: 1-line block ×3, first 2 shown]
	v_lshrrev_b32_e32 v57, 24, v21
	v_lshrrev_b32_e32 v20, 16, v18
	v_lshrrev_b16 v22, 8, v18
	v_lshrrev_b32_e32 v58, 16, v21
	v_sub_nc_u16 v77, v18, v21
	v_add_nc_u32_e32 v18, 0x1090, v162
	v_lshrrev_b16 v60, 8, v21
	v_sub_nc_u16 v88, v19, v57
	v_sub_nc_u16 v87, v20, v58
	ds_load_2addr_b32 v[20:21], v40 offset0:4 offset1:5
	ds_load_2addr_b32 v[18:19], v18 offset1:1
	v_sub_nc_u16 v86, v22, v60
	s_wait_dscnt 0x1
	v_ashrrev_i32_e32 v20, s18, v20
	s_wait_dscnt 0x0
	v_ashrrev_i32_e32 v18, s19, v18
	v_ashrrev_i32_e32 v21, s18, v21
	s_delay_alu instid0(VALU_DEP_3) | instskip(NEXT) | instid1(VALU_DEP_3)
	v_lshlrev_b32_e32 v20, 2, v20
	v_and_b32_e32 v22, 0x3030303, v18
	v_bfe_u32 v18, v18, 24, 2
	s_delay_alu instid0(VALU_DEP_4) | instskip(NEXT) | instid1(VALU_DEP_4)
	v_lshlrev_b32_e32 v21, 2, v21
	v_and_b32_e32 v20, 0x4040404, v20
	s_delay_alu instid0(VALU_DEP_4) | instskip(SKIP_1) | instid1(VALU_DEP_4)
	v_lshrrev_b16 v57, 8, v22
	v_lshrrev_b32_e32 v58, 16, v22
	v_and_b32_e32 v21, 0x4040404, v21
	s_delay_alu instid0(VALU_DEP_4) | instskip(SKIP_3) | instid1(VALU_DEP_4)
	v_lshrrev_b32_e32 v61, 24, v20
	v_lshrrev_b16 v60, 8, v20
	v_lshrrev_b32_e32 v62, 16, v20
	v_sub_nc_u16 v69, v22, v20
	v_sub_nc_u16 v74, v18, v61
	v_ashrrev_i32_e32 v18, s19, v19
	s_delay_alu instid0(VALU_DEP_4)
	v_sub_nc_u16 v72, v58, v62
	v_sub_nc_u16 v75, v57, v60
	v_lshrrev_b32_e32 v58, 24, v21
	v_lshrrev_b16 v61, 8, v21
	v_bfe_u32 v19, v18, 24, 2
	v_and_b32_e32 v18, 0x3030303, v18
	v_lshrrev_b32_e32 v60, 16, v21
	s_delay_alu instid0(VALU_DEP_3) | instskip(NEXT) | instid1(VALU_DEP_3)
	v_sub_nc_u16 v66, v19, v58
	v_lshrrev_b32_e32 v20, 16, v18
	v_lshrrev_b16 v57, 8, v18
	v_sub_nc_u16 v22, v18, v21
	v_add_nc_u32_e32 v18, 0x1098, v162
	s_delay_alu instid0(VALU_DEP_4) | instskip(NEXT) | instid1(VALU_DEP_4)
	v_sub_nc_u16 v253, v20, v60
	v_sub_nc_u16 v65, v57, v61
	ds_load_2addr_b32 v[57:58], v40 offset0:6 offset1:7
	ds_load_2addr_b32 v[18:19], v18 offset1:1
	s_wait_dscnt 0x1
	v_ashrrev_i32_e32 v20, s18, v57
	s_wait_dscnt 0x0
	v_ashrrev_i32_e32 v18, s19, v18
	v_ashrrev_i32_e32 v58, s18, v58
	s_delay_alu instid0(VALU_DEP_3) | instskip(NEXT) | instid1(VALU_DEP_3)
	v_lshlrev_b32_e32 v20, 2, v20
	v_bfe_u32 v60, v18, 24, 2
	v_and_b32_e32 v18, 0x3030303, v18
	s_delay_alu instid0(VALU_DEP_4) | instskip(NEXT) | instid1(VALU_DEP_4)
	v_lshlrev_b32_e32 v58, 2, v58
	v_and_b32_e32 v20, 0x4040404, v20
	s_delay_alu instid0(VALU_DEP_3) | instskip(SKIP_1) | instid1(VALU_DEP_4)
	v_lshrrev_b32_e32 v21, 16, v18
	v_lshrrev_b16 v61, 8, v18
	v_and_b32_e32 v58, 0x4040404, v58
	s_delay_alu instid0(VALU_DEP_4)
	v_lshrrev_b32_e32 v40, 24, v20
	v_lshrrev_b32_e32 v57, 16, v20
	v_lshrrev_b16 v62, 8, v20
	v_sub_nc_u16 v20, v18, v20
	v_ashrrev_i32_e32 v18, s19, v19
	v_lshrrev_b32_e32 v63, 16, v58
	v_sub_nc_u16 v21, v21, v57
	v_sub_nc_u16 v61, v61, v62
	v_sub_nc_u16 v62, v60, v40
	v_bfe_u32 v40, v18, 24, 2
	v_lshrrev_b32_e32 v60, 24, v58
	v_and_b32_e32 v18, 0x3030303, v18
	v_lshrrev_b16 v70, 8, v58
	s_delay_alu instid0(VALU_DEP_3) | instskip(SKIP_1) | instid1(VALU_DEP_4)
	v_sub_nc_u16 v60, v40, v60
	v_add3_u32 v40, s21, v153, v126
	v_lshrrev_b32_e32 v19, 16, v18
	v_lshrrev_b16 v57, 8, v18
	v_sub_nc_u16 v18, v18, v58
	ds_load_b32 v175, v40
	v_add_nc_u32_e32 v40, 0x2100, v162
	v_sub_nc_u16 v19, v19, v63
	v_sub_nc_u16 v58, v57, v70
	ds_load_2addr_b32 v[132:133], v40 offset1:1
	s_wait_dscnt 0x1
	v_mul_f32_e32 v57, v131, v175
	s_wait_dscnt 0x0
	v_ashrrev_i32_e32 v40, s19, v132
	v_lshrrev_b32_e32 v132, 24, v96
	s_delay_alu instid0(VALU_DEP_2) | instskip(SKIP_1) | instid1(VALU_DEP_2)
	v_and_b32_e32 v63, 0x3030303, v40
	v_bfe_u32 v40, v40, 24, 2
	v_lshrrev_b32_e32 v93, 16, v63
	s_delay_alu instid0(VALU_DEP_2) | instskip(SKIP_2) | instid1(VALU_DEP_4)
	v_sub_nc_u16 v40, v40, v132
	v_lshrrev_b16 v70, 8, v63
	v_sub_nc_u16 v63, v63, v96
	v_sub_nc_u16 v179, v93, v103
	s_delay_alu instid0(VALU_DEP_4)
	v_lshlrev_b16 v40, 8, v40
	v_ashrrev_i32_e32 v103, s18, v164
	ds_load_2addr_b32 v[163:164], v94 offset0:2 offset1:3
	v_bfe_i32 v177, v63, 0, 8
	v_and_b32_e32 v93, 0xff, v179
	v_lshlrev_b32_e32 v103, 2, v103
	s_delay_alu instid0(VALU_DEP_3) | instskip(NEXT) | instid1(VALU_DEP_3)
	v_mul_i32_i24_e32 v63, v8, v177
	v_or_b32_e32 v181, v93, v40
	v_sub_nc_u16 v40, v70, v102
	v_ashrrev_i32_e32 v70, s19, v133
	v_and_b32_e32 v103, 0x4040404, v103
	s_delay_alu instid0(VALU_DEP_4) | instskip(NEXT) | instid1(VALU_DEP_4)
	v_perm_b32 v221, v181, v179, 0xc0c0500
	v_lshlrev_b16 v40, 8, v40
	s_delay_alu instid0(VALU_DEP_4)
	v_and_b32_e32 v93, 0x3030303, v70
	v_bfe_u32 v70, v70, 24, 2
	v_lshrrev_b32_e32 v133, 16, v103
	v_lshrrev_b32_e32 v134, 24, v103
	v_lshrrev_b16 v132, 8, v103
	v_lshrrev_b32_e32 v102, 16, v93
	v_lshrrev_b16 v96, 8, v93
	v_sub_nc_u16 v219, v93, v103
	v_sub_nc_u16 v70, v70, v134
	s_wait_dscnt 0x0
	v_ashrrev_i32_e32 v103, s18, v163
	v_sub_nc_u16 v180, v102, v133
	v_bfe_i32 v178, v40, 8, 8
	v_perm_b32 v40, v4, v4, 0xc0c0302
	v_lshlrev_b16 v70, 8, v70
	v_lshlrev_b32_e32 v103, 2, v103
	v_and_b32_e32 v102, 0xff, v180
	v_mad_i32_i24 v223, v42, v178, v63
	s_delay_alu instid0(VALU_DEP_3) | instskip(NEXT) | instid1(VALU_DEP_3)
	v_and_b32_e32 v103, 0x4040404, v103
	v_or_b32_e32 v182, v102, v70
	v_sub_nc_u16 v70, v96, v132
	s_delay_alu instid0(VALU_DEP_4)
	v_dot4_i32_iu8 v4, v40, v221, v223 neg_lo:[1,1,0]
	v_bfe_i32 v223, v219, 0, 8
	v_lshrrev_b32_e32 v134, 16, v103
	v_lshrrev_b32_e32 v135, 24, v103
	v_lshlrev_b16 v183, 8, v70
	v_add_nc_u32_e32 v70, 0x2108, v162
	v_perm_b32 v63, v182, v180, 0xc05000c
	v_mad_i32_i24 v4, v47, v223, v4
	ds_load_2addr_b32 v[132:133], v70 offset1:1
	s_wait_dscnt 0x0
	v_ashrrev_i32_e32 v70, s19, v132
	v_lshrrev_b16 v132, 8, v103
	s_delay_alu instid0(VALU_DEP_2) | instskip(SKIP_1) | instid1(VALU_DEP_2)
	v_and_b32_e32 v93, 0x3030303, v70
	v_bfe_u32 v70, v70, 24, 2
	v_lshrrev_b32_e32 v102, 16, v93
	s_delay_alu instid0(VALU_DEP_2)
	v_sub_nc_u16 v70, v70, v135
	v_lshrrev_b16 v96, 8, v93
	v_sub_nc_u16 v220, v93, v103
	v_ashrrev_i32_e32 v103, s18, v164
	v_sub_nc_u16 v224, v102, v134
	v_lshlrev_b16 v70, 8, v70
	ds_load_2addr_b32 v[163:164], v94 offset0:4 offset1:5
	v_ashrrev_i32_e32 v94, s18, v170
	v_lshlrev_b32_e32 v103, 2, v103
	v_and_b32_e32 v102, 0xff, v224
	v_bfe_i32 v220, v220, 0, 8
	s_delay_alu instid0(VALU_DEP_4) | instskip(NEXT) | instid1(VALU_DEP_4)
	v_lshlrev_b32_e32 v94, 2, v94
	v_and_b32_e32 v103, 0x4040404, v103
	s_delay_alu instid0(VALU_DEP_4) | instskip(SKIP_1) | instid1(VALU_DEP_4)
	v_or_b32_e32 v225, v102, v70
	v_sub_nc_u16 v70, v96, v132
	v_and_b32_e32 v94, 0x4040404, v94
	s_delay_alu instid0(VALU_DEP_4) | instskip(SKIP_1) | instid1(VALU_DEP_4)
	v_lshrrev_b32_e32 v134, 24, v103
	v_lshrrev_b16 v132, 8, v103
	v_lshlrev_b16 v226, 8, v70
	v_ashrrev_i32_e32 v70, s19, v133
	v_lshrrev_b32_e32 v133, 16, v103
	s_delay_alu instid0(VALU_DEP_2) | instskip(SKIP_1) | instid1(VALU_DEP_2)
	v_and_b32_e32 v93, 0x3030303, v70
	v_bfe_u32 v70, v70, 24, 2
	v_lshrrev_b32_e32 v102, 16, v93
	s_delay_alu instid0(VALU_DEP_2)
	v_sub_nc_u16 v70, v70, v134
	v_lshrrev_b16 v96, 8, v93
	v_sub_nc_u16 v230, v93, v103
	s_wait_dscnt 0x0
	v_ashrrev_i32_e32 v103, s18, v163
	v_sub_nc_u16 v227, v102, v133
	v_lshlrev_b16 v70, 8, v70
	v_bfe_i32 v219, v230, 0, 8
	s_delay_alu instid0(VALU_DEP_4) | instskip(NEXT) | instid1(VALU_DEP_4)
	v_lshlrev_b32_e32 v103, 2, v103
	v_and_b32_e32 v102, 0xff, v227
	s_delay_alu instid0(VALU_DEP_2) | instskip(NEXT) | instid1(VALU_DEP_2)
	v_and_b32_e32 v103, 0x4040404, v103
	v_or_b32_e32 v228, v102, v70
	v_sub_nc_u16 v70, v96, v132
	s_delay_alu instid0(VALU_DEP_3) | instskip(SKIP_1) | instid1(VALU_DEP_3)
	v_lshrrev_b32_e32 v134, 16, v103
	v_lshrrev_b32_e32 v135, 24, v103
	v_lshlrev_b16 v229, 8, v70
	v_add_nc_u32_e32 v70, 0x2110, v162
	ds_load_2addr_b32 v[132:133], v70 offset1:1
	s_wait_dscnt 0x0
	v_ashrrev_i32_e32 v70, s19, v132
	v_lshrrev_b16 v132, 8, v103
	s_delay_alu instid0(VALU_DEP_2) | instskip(SKIP_1) | instid1(VALU_DEP_2)
	v_and_b32_e32 v93, 0x3030303, v70
	v_bfe_u32 v70, v70, 24, 2
	v_lshrrev_b32_e32 v102, 16, v93
	s_delay_alu instid0(VALU_DEP_2)
	v_sub_nc_u16 v70, v70, v135
	v_lshrrev_b16 v96, 8, v93
	v_sub_nc_u16 v234, v93, v103
	v_ashrrev_i32_e32 v103, s18, v164
	v_sub_nc_u16 v163, v102, v134
	v_lshlrev_b16 v70, 8, v70
	s_delay_alu instid0(VALU_DEP_4) | instskip(NEXT) | instid1(VALU_DEP_4)
	v_bfe_i32 v238, v234, 0, 8
	v_lshlrev_b32_e32 v103, 2, v103
	s_delay_alu instid0(VALU_DEP_4) | instskip(NEXT) | instid1(VALU_DEP_2)
	v_and_b32_e32 v102, 0xff, v163
	v_and_b32_e32 v103, 0x4040404, v103
	s_delay_alu instid0(VALU_DEP_2) | instskip(SKIP_1) | instid1(VALU_DEP_3)
	v_or_b32_e32 v165, v102, v70
	v_sub_nc_u16 v70, v96, v132
	v_lshrrev_b32_e32 v134, 24, v103
	v_lshrrev_b16 v132, 8, v103
	s_delay_alu instid0(VALU_DEP_3) | instskip(SKIP_3) | instid1(VALU_DEP_4)
	v_lshlrev_b16 v233, 8, v70
	v_ashrrev_i32_e32 v70, s19, v133
	v_lshrrev_b32_e32 v133, 16, v103
	v_perm_b32 v180, v165, v163, 0xc0c0500
	v_bfe_i32 v239, v233, 8, 8
	s_delay_alu instid0(VALU_DEP_4) | instskip(SKIP_1) | instid1(VALU_DEP_2)
	v_and_b32_e32 v93, 0x3030303, v70
	v_bfe_u32 v70, v70, 24, 2
	v_lshrrev_b32_e32 v102, 16, v93
	s_delay_alu instid0(VALU_DEP_2)
	v_sub_nc_u16 v70, v70, v134
	v_lshrrev_b16 v96, 8, v93
	v_sub_nc_u16 v176, v93, v103
	v_lshrrev_b32_e32 v134, 24, v94
	v_sub_nc_u16 v164, v102, v133
	v_lshlrev_b16 v70, 8, v70
	v_lshrrev_b16 v103, 8, v94
	v_bfe_i32 v181, v176, 0, 8
	s_delay_alu instid0(VALU_DEP_4) | instskip(NEXT) | instid1(VALU_DEP_1)
	v_and_b32_e32 v102, 0xff, v164
	v_or_b32_e32 v166, v102, v70
	v_sub_nc_u16 v70, v96, v132
	s_delay_alu instid0(VALU_DEP_1)
	v_lshlrev_b16 v167, 8, v70
	v_add_nc_u32_e32 v70, 0x2118, v162
	ds_load_2addr_b32 v[132:133], v70 offset1:1
	s_wait_dscnt 0x0
	v_ashrrev_i32_e32 v70, s19, v132
	v_lshrrev_b32_e32 v132, 16, v94
	s_delay_alu instid0(VALU_DEP_2) | instskip(SKIP_1) | instid1(VALU_DEP_2)
	v_and_b32_e32 v93, 0x3030303, v70
	v_bfe_u32 v70, v70, 24, 2
	v_lshrrev_b32_e32 v102, 16, v93
	s_delay_alu instid0(VALU_DEP_2) | instskip(SKIP_2) | instid1(VALU_DEP_4)
	v_sub_nc_u16 v70, v70, v134
	v_lshrrev_b16 v96, 8, v93
	v_sub_nc_u16 v185, v93, v94
	v_sub_nc_u16 v168, v102, v132
	s_delay_alu instid0(VALU_DEP_4) | instskip(NEXT) | instid1(VALU_DEP_3)
	v_lshlrev_b16 v70, 8, v70
	v_bfe_i32 v179, v185, 0, 8
	s_delay_alu instid0(VALU_DEP_3) | instskip(NEXT) | instid1(VALU_DEP_1)
	v_and_b32_e32 v102, 0xff, v168
	v_or_b32_e32 v169, v102, v70
	v_sub_nc_u16 v70, v96, v103
	v_ashrrev_i32_e32 v102, s18, v171
	s_delay_alu instid0(VALU_DEP_2) | instskip(SKIP_1) | instid1(VALU_DEP_3)
	v_lshlrev_b16 v170, 8, v70
	v_ashrrev_i32_e32 v70, s19, v133
	v_lshlrev_b32_e32 v102, 2, v102
	s_delay_alu instid0(VALU_DEP_2) | instskip(NEXT) | instid1(VALU_DEP_2)
	v_and_b32_e32 v93, 0x3030303, v70
	v_and_b32_e32 v102, 0x4040404, v102
	v_bfe_u32 v70, v70, 24, 2
	s_delay_alu instid0(VALU_DEP_3) | instskip(NEXT) | instid1(VALU_DEP_3)
	v_lshrrev_b32_e32 v96, 16, v93
	v_lshrrev_b32_e32 v132, 16, v102
	;; [unrolled: 1-line block ×3, first 2 shown]
	v_lshrrev_b16 v94, 8, v93
	v_lshrrev_b16 v103, 8, v102
	v_sub_nc_u16 v231, v93, v102
	v_sub_nc_u16 v172, v96, v132
	;; [unrolled: 1-line block ×3, first 2 shown]
	v_perm_b32 v93, v0, v0, 0xc0c0302
	s_delay_alu instid0(VALU_DEP_4) | instskip(NEXT) | instid1(VALU_DEP_4)
	v_bfe_i32 v176, v231, 0, 8
	v_and_b32_e32 v96, 0xff, v172
	s_delay_alu instid0(VALU_DEP_4) | instskip(NEXT) | instid1(VALU_DEP_1)
	v_lshlrev_b16 v70, 8, v70
	v_or_b32_e32 v173, v96, v70
	v_sub_nc_u16 v70, v94, v103
	v_perm_b32 v94, v167, v167, 0xc0c0c01
	v_perm_b32 v96, v3, v3, 0xc030201
	v_add3_u32 v103, s22, v156, v129
	s_delay_alu instid0(VALU_DEP_4) | instskip(SKIP_3) | instid1(VALU_DEP_1)
	v_lshlrev_b16 v184, 8, v70
	v_add3_u32 v70, s21, v155, v128
	ds_load_b32 v171, v70
	v_perm_b32 v70, v183, v183, 0xc0c0c01
	v_or_b32_e32 v230, v63, v70
	v_perm_b32 v63, v225, v224, 0xc05000c
	v_perm_b32 v70, v226, v226, 0xc0c0c01
	s_delay_alu instid0(VALU_DEP_3) | instskip(NEXT) | instid1(VALU_DEP_2)
	v_dot4_i32_iu8 v4, v5, v230, v4 neg_lo:[1,1,0]
	v_or_b32_e32 v232, v63, v70
	v_perm_b32 v63, v228, v227, 0xc05000c
	v_perm_b32 v70, v229, v229, 0xc0c0c01
	s_delay_alu instid0(VALU_DEP_4) | instskip(NEXT) | instid1(VALU_DEP_2)
	v_mad_i32_i24 v4, v50, v220, v4
	v_or_b32_e32 v235, v63, v70
	ds_load_u16 v63, v236
	v_dot4_i32_iu8 v4, v6, v232, v4 neg_lo:[1,1,0]
	s_delay_alu instid0(VALU_DEP_1) | instskip(NEXT) | instid1(VALU_DEP_1)
	v_mad_i32_i24 v4, v55, v219, v4
	v_dot4_i32_iu8 v4, v7, v235, v4 neg_lo:[1,1,0]
	s_wait_dscnt 0x0
	v_lshrrev_b16 v70, 8, v63
	v_bfe_i32 v237, v63, 0, 8
	v_mul_i32_i24_e32 v63, v241, v238
	s_delay_alu instid0(VALU_DEP_3) | instskip(NEXT) | instid1(VALU_DEP_3)
	v_bfe_i32 v185, v70, 0, 8
	v_mul_lo_u32 v4, v4, v237
	s_delay_alu instid0(VALU_DEP_3) | instskip(NEXT) | instid1(VALU_DEP_1)
	v_mad_i32_i24 v63, v251, v239, v63
	v_dot4_i32_iu8 v0, v93, v180, v63 neg_lo:[1,1,0]
	v_perm_b32 v63, v1, v1, 0xc030201
	v_perm_b32 v1, v166, v164, 0xc05000c
	s_delay_alu instid0(VALU_DEP_3) | instskip(NEXT) | instid1(VALU_DEP_2)
	v_mad_i32_i24 v0, v248, v181, v0
	v_or_b32_e32 v182, v1, v94
	v_perm_b32 v94, v2, v2, 0xc030201
	v_perm_b32 v1, v169, v168, 0xc05000c
	;; [unrolled: 1-line block ×3, first 2 shown]
	s_delay_alu instid0(VALU_DEP_4) | instskip(NEXT) | instid1(VALU_DEP_2)
	v_dot4_i32_iu8 v0, v63, v182, v0 neg_lo:[1,1,0]
	v_or_b32_e32 v183, v1, v2
	v_perm_b32 v1, v173, v172, 0xc05000c
	s_delay_alu instid0(VALU_DEP_3) | instskip(SKIP_1) | instid1(VALU_DEP_2)
	v_mad_i32_i24 v0, v252, v179, v0
	v_perm_b32 v2, v184, v184, 0xc0c0c01
	v_dot4_i32_iu8 v0, v94, v183, v0 neg_lo:[1,1,0]
	s_delay_alu instid0(VALU_DEP_2) | instskip(SKIP_2) | instid1(VALU_DEP_1)
	v_or_b32_e32 v184, v1, v2
	ds_load_2addr_b32 v[2:3], v103 offset1:1
	v_mad_i32_i24 v0, v240, v176, v0
	v_dot4_i32_iu8 v0, v96, v184, v0 neg_lo:[1,1,0]
	s_delay_alu instid0(VALU_DEP_1) | instskip(SKIP_3) | instid1(VALU_DEP_3)
	v_mad_co_u64_u32 v[0:1], null, v0, v185, v[4:5]
	v_mul_f32_e32 v1, v131, v171
	s_wait_dscnt 0x0
	v_ashrrev_i32_e32 v2, s18, v2
	v_cvt_f32_i32_e32 v0, v0
	v_ashrrev_i32_e32 v3, s18, v3
	s_delay_alu instid0(VALU_DEP_2) | instskip(SKIP_1) | instid1(VALU_DEP_3)
	v_dual_fmac_f32 v95, v1, v0 :: v_dual_lshlrev_b32 v2, 2, v2
	v_add_nc_u32_e32 v0, 0x3180, v162
	v_lshlrev_b32_e32 v3, 2, v3
	s_delay_alu instid0(VALU_DEP_3)
	v_and_b32_e32 v2, 0x4040404, v2
	ds_load_2addr_b32 v[0:1], v0 offset1:1
	v_and_b32_e32 v3, 0x4040404, v3
	v_lshrrev_b32_e32 v133, 16, v2
	v_lshrrev_b32_e32 v134, 24, v2
	v_lshrrev_b16 v132, 8, v2
	s_delay_alu instid0(VALU_DEP_4) | instskip(SKIP_3) | instid1(VALU_DEP_1)
	v_lshrrev_b32_e32 v135, 16, v3
	v_lshrrev_b32_e32 v136, 24, v3
	s_wait_dscnt 0x0
	v_ashrrev_i32_e32 v0, s19, v0
	v_and_b32_e32 v4, 0x3030303, v0
	v_bfe_u32 v0, v0, 24, 2
	s_delay_alu instid0(VALU_DEP_2) | instskip(NEXT) | instid1(VALU_DEP_2)
	v_lshrrev_b32_e32 v102, 16, v4
	v_sub_nc_u16 v0, v0, v134
	v_lshrrev_b16 v70, 8, v4
	v_sub_nc_u16 v4, v4, v2
	v_lshrrev_b16 v134, 8, v3
	v_sub_nc_u16 v102, v102, v133
	v_lshlrev_b16 v0, 8, v0
	s_delay_alu instid0(VALU_DEP_4) | instskip(NEXT) | instid1(VALU_DEP_3)
	v_bfe_i32 v224, v4, 0, 8
	v_and_b32_e32 v133, 0xff, v102
	s_delay_alu instid0(VALU_DEP_1) | instskip(SKIP_1) | instid1(VALU_DEP_2)
	v_or_b32_e32 v133, v133, v0
	v_sub_nc_u16 v0, v70, v132
	v_perm_b32 v227, v133, v102, 0xc0c0500
	s_delay_alu instid0(VALU_DEP_2) | instskip(SKIP_1) | instid1(VALU_DEP_2)
	v_lshlrev_b16 v70, 8, v0
	v_ashrrev_i32_e32 v0, s19, v1
	v_bfe_i32 v225, v70, 8, 8
	s_delay_alu instid0(VALU_DEP_2) | instskip(SKIP_1) | instid1(VALU_DEP_2)
	v_and_b32_e32 v1, 0x3030303, v0
	v_bfe_u32 v0, v0, 24, 2
	v_lshrrev_b32_e32 v132, 16, v1
	s_delay_alu instid0(VALU_DEP_2) | instskip(SKIP_2) | instid1(VALU_DEP_4)
	v_sub_nc_u16 v0, v0, v136
	v_lshrrev_b16 v2, 8, v1
	v_sub_nc_u16 v136, v1, v3
	v_sub_nc_u16 v132, v132, v135
	s_delay_alu instid0(VALU_DEP_4) | instskip(NEXT) | instid1(VALU_DEP_3)
	v_lshlrev_b16 v0, 8, v0
	v_bfe_i32 v229, v136, 0, 8
	s_delay_alu instid0(VALU_DEP_3) | instskip(NEXT) | instid1(VALU_DEP_1)
	v_and_b32_e32 v135, 0xff, v132
	v_or_b32_e32 v135, v135, v0
	v_sub_nc_u16 v0, v2, v134
	ds_load_2addr_b32 v[2:3], v103 offset0:2 offset1:3
	v_perm_b32 v4, v135, v132, 0xc05000c
	v_lshlrev_b16 v134, 8, v0
	v_add_nc_u32_e32 v0, 0x3188, v162
	ds_load_2addr_b32 v[0:1], v0 offset1:1
	s_wait_dscnt 0x1
	v_ashrrev_i32_e32 v2, s18, v2
	v_ashrrev_i32_e32 v3, s18, v3
	s_delay_alu instid0(VALU_DEP_2) | instskip(NEXT) | instid1(VALU_DEP_2)
	v_lshlrev_b32_e32 v2, 2, v2
	v_lshlrev_b32_e32 v3, 2, v3
	s_wait_dscnt 0x0
	v_ashrrev_i32_e32 v0, s19, v0
	s_delay_alu instid0(VALU_DEP_3) | instskip(NEXT) | instid1(VALU_DEP_3)
	v_and_b32_e32 v2, 0x4040404, v2
	v_and_b32_e32 v3, 0x4040404, v3
	s_delay_alu instid0(VALU_DEP_3) | instskip(SKIP_1) | instid1(VALU_DEP_4)
	v_and_b32_e32 v137, 0x3030303, v0
	v_bfe_u32 v0, v0, 24, 2
	v_lshrrev_b32_e32 v141, 16, v2
	v_lshrrev_b32_e32 v142, 24, v2
	v_lshrrev_b16 v140, 8, v2
	v_lshrrev_b32_e32 v139, 16, v137
	v_lshrrev_b16 v138, 8, v137
	v_lshrrev_b32_e32 v143, 16, v3
	v_sub_nc_u16 v0, v0, v142
	v_lshrrev_b32_e32 v163, 24, v3
	v_sub_nc_u16 v139, v139, v141
	v_sub_nc_u16 v137, v137, v2
	v_lshrrev_b16 v142, 8, v3
	v_lshlrev_b16 v0, 8, v0
	s_delay_alu instid0(VALU_DEP_4) | instskip(NEXT) | instid1(VALU_DEP_4)
	v_and_b32_e32 v141, 0xff, v139
	v_bfe_i32 v228, v137, 0, 8
	s_delay_alu instid0(VALU_DEP_2) | instskip(SKIP_1) | instid1(VALU_DEP_1)
	v_or_b32_e32 v141, v141, v0
	v_sub_nc_u16 v0, v138, v140
	v_lshlrev_b16 v138, 8, v0
	v_ashrrev_i32_e32 v0, s19, v1
	s_delay_alu instid0(VALU_DEP_1) | instskip(SKIP_1) | instid1(VALU_DEP_2)
	v_and_b32_e32 v1, 0x3030303, v0
	v_bfe_u32 v0, v0, 24, 2
	v_lshrrev_b32_e32 v140, 16, v1
	s_delay_alu instid0(VALU_DEP_2) | instskip(SKIP_2) | instid1(VALU_DEP_4)
	v_sub_nc_u16 v0, v0, v163
	v_lshrrev_b16 v2, 8, v1
	v_sub_nc_u16 v163, v1, v3
	v_sub_nc_u16 v140, v140, v143
	s_delay_alu instid0(VALU_DEP_4) | instskip(NEXT) | instid1(VALU_DEP_3)
	v_lshlrev_b16 v0, 8, v0
	v_bfe_i32 v226, v163, 0, 8
	s_delay_alu instid0(VALU_DEP_3) | instskip(NEXT) | instid1(VALU_DEP_1)
	v_and_b32_e32 v143, 0xff, v140
	v_or_b32_e32 v143, v143, v0
	v_sub_nc_u16 v0, v2, v142
	ds_load_2addr_b32 v[2:3], v103 offset0:4 offset1:5
	v_lshlrev_b16 v142, 8, v0
	v_add_nc_u32_e32 v0, 0x3190, v162
	ds_load_2addr_b32 v[0:1], v0 offset1:1
	s_wait_dscnt 0x1
	v_ashrrev_i32_e32 v2, s18, v2
	v_ashrrev_i32_e32 v3, s18, v3
	s_delay_alu instid0(VALU_DEP_2) | instskip(NEXT) | instid1(VALU_DEP_2)
	v_lshlrev_b32_e32 v2, 2, v2
	v_lshlrev_b32_e32 v3, 2, v3
	s_wait_dscnt 0x0
	v_ashrrev_i32_e32 v0, s19, v0
	s_delay_alu instid0(VALU_DEP_3) | instskip(NEXT) | instid1(VALU_DEP_3)
	v_and_b32_e32 v2, 0x4040404, v2
	v_and_b32_e32 v3, 0x4040404, v3
	s_delay_alu instid0(VALU_DEP_3) | instskip(SKIP_1) | instid1(VALU_DEP_4)
	v_and_b32_e32 v164, 0x3030303, v0
	v_bfe_u32 v0, v0, 24, 2
	v_lshrrev_b32_e32 v168, 16, v2
	v_lshrrev_b32_e32 v169, 24, v2
	v_lshrrev_b16 v167, 8, v2
	v_lshrrev_b32_e32 v166, 16, v164
	v_lshrrev_b16 v165, 8, v164
	v_lshrrev_b32_e32 v170, 16, v3
	v_sub_nc_u16 v0, v0, v169
	v_lshrrev_b32_e32 v172, 24, v3
	v_sub_nc_u16 v166, v166, v168
	v_sub_nc_u16 v164, v164, v2
	v_lshrrev_b16 v169, 8, v3
	v_lshlrev_b16 v0, 8, v0
	s_delay_alu instid0(VALU_DEP_4) | instskip(NEXT) | instid1(VALU_DEP_1)
	v_and_b32_e32 v168, 0xff, v166
	v_or_b32_e32 v168, v168, v0
	v_sub_nc_u16 v0, v165, v167
	s_delay_alu instid0(VALU_DEP_1) | instskip(SKIP_1) | instid1(VALU_DEP_1)
	v_lshlrev_b16 v165, 8, v0
	v_ashrrev_i32_e32 v0, s19, v1
	v_and_b32_e32 v1, 0x3030303, v0
	v_bfe_u32 v0, v0, 24, 2
	s_delay_alu instid0(VALU_DEP_2) | instskip(NEXT) | instid1(VALU_DEP_2)
	v_lshrrev_b32_e32 v167, 16, v1
	v_sub_nc_u16 v0, v0, v172
	v_lshrrev_b16 v2, 8, v1
	s_delay_alu instid0(VALU_DEP_3) | instskip(NEXT) | instid1(VALU_DEP_3)
	v_sub_nc_u16 v104, v167, v170
	v_lshlrev_b16 v0, 8, v0
	s_delay_alu instid0(VALU_DEP_2) | instskip(NEXT) | instid1(VALU_DEP_1)
	v_and_b32_e32 v167, 0xff, v104
	v_or_b32_e32 v105, v167, v0
	v_sub_nc_u16 v0, v2, v169
	v_sub_nc_u16 v167, v1, v3
	ds_load_2addr_b32 v[2:3], v103 offset0:6 offset1:7
	v_lshlrev_b16 v106, 8, v0
	v_add_nc_u32_e32 v0, 0x3198, v162
	ds_load_2addr_b32 v[0:1], v0 offset1:1
	s_wait_dscnt 0x1
	v_ashrrev_i32_e32 v2, s18, v2
	v_ashrrev_i32_e32 v3, s18, v3
	s_delay_alu instid0(VALU_DEP_2) | instskip(NEXT) | instid1(VALU_DEP_2)
	v_lshlrev_b32_e32 v2, 2, v2
	v_lshlrev_b32_e32 v3, 2, v3
	s_wait_dscnt 0x0
	v_ashrrev_i32_e32 v0, s19, v0
	s_delay_alu instid0(VALU_DEP_3) | instskip(NEXT) | instid1(VALU_DEP_3)
	v_and_b32_e32 v2, 0x4040404, v2
	v_and_b32_e32 v3, 0x4040404, v3
	s_delay_alu instid0(VALU_DEP_3) | instskip(SKIP_1) | instid1(VALU_DEP_4)
	v_and_b32_e32 v162, 0x3030303, v0
	v_bfe_u32 v0, v0, 24, 2
	v_lshrrev_b32_e32 v172, 16, v2
	v_lshrrev_b32_e32 v173, 24, v2
	v_lshrrev_b16 v103, 8, v2
	v_lshrrev_b32_e32 v170, 16, v162
	v_lshrrev_b16 v169, 8, v162
	v_sub_nc_u16 v2, v162, v2
	v_sub_nc_u16 v0, v0, v173
	v_lshrrev_b32_e32 v173, 24, v3
	v_sub_nc_u16 v107, v170, v172
	v_lshrrev_b32_e32 v172, 16, v3
	s_delay_alu instid0(VALU_DEP_4) | instskip(NEXT) | instid1(VALU_DEP_3)
	v_lshlrev_b16 v0, 8, v0
	v_and_b32_e32 v170, 0xff, v107
	s_delay_alu instid0(VALU_DEP_1) | instskip(SKIP_2) | instid1(VALU_DEP_2)
	v_or_b32_e32 v108, v170, v0
	v_sub_nc_u16 v0, v169, v103
	v_lshrrev_b16 v170, 8, v3
	v_lshlrev_b16 v103, 8, v0
	v_ashrrev_i32_e32 v0, s19, v1
	s_delay_alu instid0(VALU_DEP_1) | instskip(SKIP_1) | instid1(VALU_DEP_2)
	v_and_b32_e32 v1, 0x3030303, v0
	v_bfe_u32 v0, v0, 24, 2
	v_lshrrev_b32_e32 v169, 16, v1
	s_delay_alu instid0(VALU_DEP_2)
	v_sub_nc_u16 v0, v0, v173
	v_lshrrev_b16 v162, 8, v1
	v_sub_nc_u16 v1, v1, v3
	v_add3_u32 v3, s21, v157, v130
	v_sub_nc_u16 v29, v169, v172
	v_lshlrev_b16 v0, 8, v0
	v_bfe_i32 v173, v164, 0, 8
	v_bfe_i32 v172, v165, 8, 8
	;; [unrolled: 1-line block ×3, first 2 shown]
	v_and_b32_e32 v169, 0xff, v29
	s_delay_alu instid0(VALU_DEP_1)
	v_or_b32_e32 v109, v169, v0
	v_sub_nc_u16 v0, v162, v170
	ds_load_b32 v162, v3
	v_perm_b32 v170, v168, v166, 0xc0c0500
	v_bfe_i32 v169, v167, 0, 8
	v_bfe_i32 v167, v2, 0, 8
	v_lshlrev_b16 v110, 8, v0
	v_add_nc_u32_e32 v0, s20, v115
	v_perm_b32 v2, v105, v104, 0xc05000c
	ds_load_u16 v0, v0
	v_mul_i32_i24_e32 v3, v8, v224
	s_delay_alu instid0(VALU_DEP_1) | instskip(NEXT) | instid1(VALU_DEP_1)
	v_mad_i32_i24 v3, v42, v225, v3
	v_dot4_i32_iu8 v3, v40, v227, v3 neg_lo:[1,1,0]
	v_perm_b32 v40, v134, v134, 0xc0c0c01
	s_delay_alu instid0(VALU_DEP_2) | instskip(NEXT) | instid1(VALU_DEP_2)
	v_mad_i32_i24 v3, v47, v229, v3
	v_or_b32_e32 v231, v4, v40
	v_perm_b32 v4, v141, v139, 0xc05000c
	v_mul_i32_i24_e32 v47, v44, v47
	s_wait_dscnt 0x0
	v_bfe_i32 v236, v0, 0, 8
	v_dot4_i32_iu8 v3, v5, v231, v3 neg_lo:[1,1,0]
	v_perm_b32 v5, v138, v138, 0xc0c0c01
	s_delay_alu instid0(VALU_DEP_2) | instskip(NEXT) | instid1(VALU_DEP_2)
	v_mad_i32_i24 v3, v50, v228, v3
	v_or_b32_e32 v233, v4, v5
	v_perm_b32 v4, v143, v140, 0xc05000c
	v_perm_b32 v5, v142, v142, 0xc0c0c01
	s_delay_alu instid0(VALU_DEP_3) | instskip(NEXT) | instid1(VALU_DEP_2)
	v_dot4_i32_iu8 v3, v6, v233, v3 neg_lo:[1,1,0]
	v_or_b32_e32 v234, v4, v5
	v_lshrrev_b16 v4, 8, v0
	s_delay_alu instid0(VALU_DEP_3) | instskip(NEXT) | instid1(VALU_DEP_2)
	v_mad_i32_i24 v3, v55, v226, v3
	v_bfe_i32 v163, v4, 0, 8
	s_delay_alu instid0(VALU_DEP_2) | instskip(NEXT) | instid1(VALU_DEP_1)
	v_dot4_i32_iu8 v3, v7, v234, v3 neg_lo:[1,1,0]
	v_mul_lo_u32 v0, v3, v236
	v_mul_i32_i24_e32 v3, v241, v173
	s_delay_alu instid0(VALU_DEP_1) | instskip(NEXT) | instid1(VALU_DEP_1)
	v_mad_i32_i24 v3, v251, v172, v3
	v_dot4_i32_iu8 v3, v93, v170, v3 neg_lo:[1,1,0]
	s_delay_alu instid0(VALU_DEP_1) | instskip(SKIP_1) | instid1(VALU_DEP_1)
	v_mad_i32_i24 v1, v248, v169, v3
	v_perm_b32 v3, v106, v106, 0xc0c0c01
	v_or_b32_e32 v168, v2, v3
	v_perm_b32 v2, v108, v107, 0xc05000c
	v_perm_b32 v3, v103, v103, 0xc0c0c01
	s_delay_alu instid0(VALU_DEP_3) | instskip(NEXT) | instid1(VALU_DEP_2)
	v_dot4_i32_iu8 v1, v63, v168, v1 neg_lo:[1,1,0]
	v_or_b32_e32 v166, v2, v3
	v_perm_b32 v2, v109, v29, 0xc05000c
	v_perm_b32 v3, v110, v110, 0xc0c0c01
	s_delay_alu instid0(VALU_DEP_4) | instskip(NEXT) | instid1(VALU_DEP_2)
	v_mad_i32_i24 v1, v252, v167, v1
	v_or_b32_e32 v164, v2, v3
	s_delay_alu instid0(VALU_DEP_2) | instskip(SKIP_2) | instid1(VALU_DEP_3)
	v_dot4_i32_iu8 v1, v94, v166, v1 neg_lo:[1,1,0]
	v_mul_i32_i24_e32 v2, v28, v9
	v_mul_i32_i24_e32 v3, v68, v23
	v_mad_i32_i24 v1, v240, v165, v1
	s_delay_alu instid0(VALU_DEP_1) | instskip(NEXT) | instid1(VALU_DEP_1)
	v_dot4_i32_iu8 v1, v96, v164, v1 neg_lo:[1,1,0]
	v_mad_co_u64_u32 v[0:1], null, v1, v163, v[0:1]
	v_mul_f32_e32 v1, v131, v162
	s_delay_alu instid0(VALU_DEP_2) | instskip(NEXT) | instid1(VALU_DEP_1)
	v_cvt_f32_i32_e32 v0, v0
	v_fmac_f32_e32 v90, v1, v0
	v_or_b32_e32 v0, s17, v116
	s_delay_alu instid0(VALU_DEP_1) | instskip(SKIP_3) | instid1(VALU_DEP_1)
	v_lshlrev_b32_e32 v1, 2, v0
	v_lshrrev_b32_e32 v0, 1, v0
	ds_load_b32 v131, v0 offset:38816
	v_mul_i32_i24_e32 v0, v41, v8
	v_mad_i32_i24 v0, v255, v42, v0
	s_delay_alu instid0(VALU_DEP_1)
	v_add3_u32 v40, v0, v2, v3
	ds_load_b128 v[4:7], v1 offset:25344
	ds_load_b128 v[0:3], v1 offset:25360
	s_wait_dscnt 0x2
	v_mul_f32_e32 v29, v174, v131
	s_wait_dscnt 0x1
	v_lshrrev_b16 v8, 8, v4
	v_bfe_i32 v132, v4, 0, 8
	v_ashrrev_i32_e32 v94, 24, v4
	v_bfe_i32 v96, v4, 16, 8
	v_lshrrev_b16 v63, 8, v5
	v_bfe_i32 v23, v8, 0, 8
	v_mul_i32_i24_e32 v8, v132, v186
	v_mul_i32_i24_e32 v42, v94, v188
	;; [unrolled: 1-line block ×3, first 2 shown]
	v_bfe_i32 v63, v63, 0, 8
	v_lshrrev_b16 v70, 8, v6
	v_mad_i32_i24 v8, v23, v189, v8
	v_lshrrev_b16 v93, 8, v7
	v_mul_i32_i24_e32 v103, v23, v255
	v_mul_i32_i24_e32 v105, v63, v192
	v_bfe_i32 v70, v70, 0, 8
	v_add3_u32 v102, v8, v9, v42
	v_bfe_i32 v9, v100, 0, 16
	v_bfe_i32 v8, v101, 0, 16
	;; [unrolled: 1-line block ×4, first 2 shown]
	v_ashrrev_i32_e32 v100, 24, v5
	v_mul_i32_i24_e32 v45, v9, v45
	v_mul_i32_i24_e32 v10, v8, v10
	;; [unrolled: 1-line block ×3, first 2 shown]
	v_bfe_i32 v101, v5, 16, 8
	v_mul_i32_i24_e32 v104, v24, v193
	v_add3_u32 v40, v40, v47, v45
	v_mul_i32_i24_e32 v107, v100, v190
	v_bfe_i32 v47, v89, 0, 8
	v_mul_i32_i24_e32 v106, v101, v191
	v_bfe_i32 v45, v97, 0, 8
	v_add3_u32 v40, v40, v11, v10
	v_add3_u32 v10, v102, v104, v105
	v_bfe_i32 v11, v92, 0, 16
	v_mul_i32_i24_e32 v50, v47, v50
	v_bfe_i32 v89, v6, 0, 8
	v_mul_i32_i24_e32 v13, v45, v13
	v_add3_u32 v102, v10, v106, v107
	v_bfe_i32 v10, v98, 0, 16
	v_mul_i32_i24_e32 v48, v11, v48
	v_ashrrev_i32_e32 v92, 24, v6
	v_bfe_i32 v97, v6, 16, 8
	v_mul_i32_i24_e32 v98, v89, v197
	v_mul_i32_i24_e32 v12, v10, v12
	;; [unrolled: 1-line block ×3, first 2 shown]
	v_add3_u32 v40, v40, v50, v48
	v_mul_i32_i24_e32 v106, v97, v195
	v_mul_i32_i24_e32 v107, v92, v194
	v_bfe_i32 v50, v77, 0, 8
	v_bfe_i32 v48, v87, 0, 8
	v_add3_u32 v40, v40, v13, v12
	v_add3_u32 v12, v102, v98, v105
	v_bfe_i32 v13, v86, 0, 16
	v_mul_i32_i24_e32 v55, v50, v55
	v_bfe_i32 v93, v93, 0, 8
	v_bfe_i32 v77, v7, 0, 8
	v_add3_u32 v98, v12, v106, v107
	v_bfe_i32 v12, v88, 0, 16
	v_mul_i32_i24_e32 v51, v13, v51
	v_mul_i32_i24_e32 v15, v48, v15
	v_ashrrev_i32_e32 v87, 24, v7
	v_bfe_i32 v88, v7, 16, 8
	v_mul_i32_i24_e32 v14, v12, v14
	v_mul_i32_i24_e32 v86, v77, v201
	;; [unrolled: 1-line block ×3, first 2 shown]
	v_add3_u32 v40, v40, v55, v51
	v_mul_i32_i24_e32 v100, v100, v8
	v_mul_i32_i24_e32 v106, v88, v199
	v_mul_i32_i24_e32 v107, v87, v198
	v_mul_i32_i24_e32 v104, v24, v44
	v_add3_u32 v40, v40, v15, v14
	v_add3_u32 v14, v98, v86, v105
	v_mul_i32_i24_e32 v63, v63, v9
	v_mul_i32_i24_e32 v101, v101, v42
	;; [unrolled: 1-line block ×4, first 2 shown]
	v_add3_u32 v14, v14, v106, v107
	v_mul_i32_i24_e32 v55, v87, v12
	v_mad_i32_i24 v87, v94, v68, v100
	v_mul_i32_i24_e32 v102, v89, v47
	v_mul_i32_i24_e32 v97, v97, v45
	v_mul_lo_u32 v86, v14, v222
	v_mul_i32_i24_e32 v14, v77, v50
	v_mul_i32_i24_e32 v15, v93, v13
	;; [unrolled: 1-line block ×3, first 2 shown]
	v_mad_i32_i24 v88, v96, v28, v101
	v_mad_i32_i24 v93, v132, v41, v104
	v_add3_u32 v63, v103, v63, v70
	v_add3_u32 v55, v87, v92, v55
	s_wait_dscnt 0x0
	v_bfe_i32 v92, v0, 0, 8
	v_add3_u32 v51, v88, v97, v51
	v_add3_u32 v14, v93, v102, v14
	v_ashrrev_i32_e32 v87, 24, v0
	v_add3_u32 v15, v63, v15, v55
	v_bfe_i32 v55, v69, 0, 8
	v_bfe_i32 v88, v0, 16, 8
	v_mul_i32_i24_e32 v93, v92, v202
	v_mul_i32_i24_e32 v96, v87, v204
	v_add3_u32 v63, v14, v51, v15
	v_bfe_i32 v14, v75, 0, 16
	v_bfe_i32 v51, v74, 0, 16
	;; [unrolled: 1-line block ×3, first 2 shown]
	v_mul_i32_i24_e32 v69, v55, v241
	v_mul_i32_i24_e32 v94, v88, v203
	v_bfe_i32 v241, v66, 0, 16
	v_mul_i32_i24_e32 v72, v51, v243
	v_mul_i32_i24_e32 v70, v15, v242
	v_mad_i32_i24 v69, v14, v251, v69
	v_bfe_i32 v243, v65, 0, 16
	v_bfe_i32 v251, v22, 0, 8
	;; [unrolled: 1-line block ×4, first 2 shown]
	v_add3_u32 v70, v69, v70, v72
	v_lshrrev_b16 v69, 8, v0
	v_lshrrev_b16 v72, 8, v1
	v_mul_i32_i24_e32 v22, v251, v248
	v_mul_i32_i24_e32 v65, v243, v247
	v_lshrrev_b16 v74, 8, v2
	v_bfe_i32 v69, v69, 0, 8
	v_bfe_i32 v72, v72, 0, 8
	v_mul_i32_i24_e32 v66, v242, v246
	v_ashrrev_i32_e32 v97, 24, v1
	v_bfe_i32 v98, v1, 16, 8
	v_mad_i32_i24 v93, v69, v205, v93
	v_mul_i32_i24_e32 v101, v100, v209
	v_mul_i32_i24_e32 v102, v72, v208
	v_add3_u32 v22, v70, v22, v65
	v_bfe_i32 v247, v61, 0, 16
	v_add3_u32 v93, v93, v94, v96
	v_mul_i32_i24_e32 v96, v241, v245
	v_bfe_i32 v248, v20, 0, 8
	v_mul_i32_i24_e32 v103, v98, v207
	v_mul_i32_i24_e32 v104, v97, v206
	v_add3_u32 v65, v93, v101, v102
	v_add3_u32 v22, v22, v66, v96
	v_mul_i32_i24_e32 v70, v72, v243
	v_mul_i32_i24_e32 v72, v98, v242
	v_bfe_i32 v245, v62, 0, 16
	v_bfe_i32 v246, v21, 0, 8
	v_mul_i32_i24_e32 v20, v248, v252
	v_mul_i32_i24_e32 v21, v247, v250
	v_bfe_i32 v74, v74, 0, 8
	v_bfe_i32 v98, v2, 0, 8
	v_lshrrev_b16 v75, 8, v3
	v_add3_u32 v65, v65, v103, v104
	v_mul_i32_i24_e32 v93, v97, v241
	v_mul_i32_i24_e32 v61, v246, v249
	;; [unrolled: 1-line block ×3, first 2 shown]
	v_ashrrev_i32_e32 v96, 24, v2
	v_bfe_i32 v97, v2, 16, 8
	v_mul_i32_i24_e32 v101, v98, v213
	v_mul_i32_i24_e32 v102, v74, v212
	v_add3_u32 v20, v22, v20, v21
	v_bfe_i32 v252, v58, 0, 16
	v_bfe_i32 v253, v18, 0, 8
	v_mul_i32_i24_e32 v103, v97, v211
	v_mul_i32_i24_e32 v104, v96, v210
	v_add3_u32 v20, v20, v61, v62
	v_add3_u32 v21, v65, v101, v102
	v_mul_i32_i24_e32 v61, v74, v247
	v_bfe_i32 v249, v60, 0, 16
	v_bfe_i32 v250, v19, 0, 8
	v_mul_i32_i24_e32 v18, v253, v240
	v_mul_i32_i24_e32 v19, v252, v56
	v_bfe_i32 v60, v75, 0, 8
	v_bfe_i32 v74, v3, 0, 8
	v_add3_u32 v21, v21, v103, v104
	v_mul_i32_i24_e32 v65, v96, v245
	v_mul_i32_i24_e32 v17, v250, v17
	;; [unrolled: 1-line block ×3, first 2 shown]
	v_ashrrev_i32_e32 v56, 24, v3
	v_bfe_i32 v58, v3, 16, 8
	v_mul_i32_i24_e32 v75, v74, v217
	v_mul_i32_i24_e32 v96, v60, v216
	v_add3_u32 v18, v20, v18, v19
	v_mul_i32_i24_e32 v62, v97, v246
	v_mul_i32_i24_e32 v97, v58, v215
	;; [unrolled: 1-line block ×4, first 2 shown]
	v_add3_u32 v18, v18, v17, v16
	v_add3_u32 v16, v21, v75, v96
	v_mul_i32_i24_e32 v66, v100, v251
	v_mul_i32_i24_e32 v20, v56, v249
	v_mad_i32_i24 v21, v87, v51, v93
	v_mul_i32_i24_e32 v22, v98, v248
	v_add3_u32 v16, v16, v97, v101
	v_mul_i32_i24_e32 v19, v58, v250
	v_mad_i32_i24 v56, v92, v55, v66
	v_add3_u32 v58, v94, v70, v61
	v_add3_u32 v20, v21, v65, v20
	v_mad_co_u64_u32 v[16:17], null, v16, v218, v[86:87]
	v_mul_i32_i24_e32 v17, v60, v252
	v_perm_b32 v5, v5, v5, 0xc030201
	v_perm_b32 v6, v6, v6, 0xc030201
	;; [unrolled: 1-line block ×4, first 2 shown]
	v_add3_u32 v17, v58, v17, v20
	v_cvt_f32_i32_e32 v16, v16
	v_perm_b32 v3, v3, v3, 0xc030201
	s_delay_alu instid0(VALU_DEP_2) | instskip(SKIP_2) | instid1(VALU_DEP_2)
	v_fmac_f32_e32 v85, v29, v16
	v_mul_i32_i24_e32 v16, v74, v253
	v_mad_i32_i24 v29, v88, v15, v72
	v_add3_u32 v16, v56, v22, v16
	s_delay_alu instid0(VALU_DEP_2) | instskip(NEXT) | instid1(VALU_DEP_1)
	v_add3_u32 v19, v29, v62, v19
	v_add3_u32 v19, v16, v19, v17
	ds_load_u16 v16, v254
	s_wait_dscnt 0x0
	v_lshrrev_b16 v17, 8, v16
	v_bfe_i32 v16, v16, 0, 8
	s_delay_alu instid0(VALU_DEP_2) | instskip(NEXT) | instid1(VALU_DEP_2)
	v_bfe_i32 v254, v17, 0, 8
	v_mul_lo_u32 v17, v40, v16
	s_delay_alu instid0(VALU_DEP_1) | instskip(NEXT) | instid1(VALU_DEP_1)
	v_mad_co_u64_u32 v[17:18], null, v18, v254, v[17:18]
                                        ; kill: def $vgpr18 killed $sgpr0 killed $exec
	v_cvt_f32_i32_e32 v17, v17
	s_delay_alu instid0(VALU_DEP_1) | instskip(SKIP_1) | instid1(VALU_DEP_1)
	v_fmac_f32_e32 v99, v57, v17
	v_mul_lo_u32 v17, v63, v16
	v_mad_co_u64_u32 v[17:18], null, v19, v254, v[17:18]
	v_mul_f32_e32 v18, v175, v131
	v_perm_b32 v19, v0, v0, 0xc0c0302
	s_delay_alu instid0(VALU_DEP_3) | instskip(NEXT) | instid1(VALU_DEP_1)
	v_cvt_f32_i32_e32 v17, v17
	v_fmac_f32_e32 v84, v18, v17
	v_mul_i32_i24_e32 v17, v132, v177
	v_perm_b32 v18, v4, v4, 0xc0c0302
	s_delay_alu instid0(VALU_DEP_2) | instskip(NEXT) | instid1(VALU_DEP_1)
	v_mad_i32_i24 v17, v23, v178, v17
	v_dot4_i32_iu8 v4, v18, v221, v17 neg_lo:[1,1,0]
	v_mul_i32_i24_e32 v17, v92, v238
	s_delay_alu instid0(VALU_DEP_2) | instskip(NEXT) | instid1(VALU_DEP_2)
	v_mad_i32_i24 v4, v24, v223, v4
	v_mad_i32_i24 v17, v69, v239, v17
	s_delay_alu instid0(VALU_DEP_2) | instskip(NEXT) | instid1(VALU_DEP_2)
	v_dot4_i32_iu8 v4, v5, v230, v4 neg_lo:[1,1,0]
	v_dot4_i32_iu8 v0, v19, v180, v17 neg_lo:[1,1,0]
	v_perm_b32 v17, v1, v1, 0xc030201
	s_delay_alu instid0(VALU_DEP_3) | instskip(NEXT) | instid1(VALU_DEP_3)
	v_mad_i32_i24 v4, v89, v220, v4
	v_mad_i32_i24 v0, v100, v181, v0
	s_delay_alu instid0(VALU_DEP_2) | instskip(NEXT) | instid1(VALU_DEP_2)
	v_dot4_i32_iu8 v4, v6, v232, v4 neg_lo:[1,1,0]
	v_dot4_i32_iu8 v0, v17, v182, v0 neg_lo:[1,1,0]
	s_delay_alu instid0(VALU_DEP_2) | instskip(NEXT) | instid1(VALU_DEP_2)
	v_mad_i32_i24 v4, v77, v219, v4
	v_mad_i32_i24 v0, v98, v179, v0
	s_delay_alu instid0(VALU_DEP_2) | instskip(NEXT) | instid1(VALU_DEP_2)
	v_dot4_i32_iu8 v4, v7, v235, v4 neg_lo:[1,1,0]
	v_dot4_i32_iu8 v0, v2, v183, v0 neg_lo:[1,1,0]
	s_delay_alu instid0(VALU_DEP_2) | instskip(NEXT) | instid1(VALU_DEP_2)
	v_mul_lo_u32 v4, v4, v237
	v_mad_i32_i24 v0, v74, v176, v0
	s_delay_alu instid0(VALU_DEP_1) | instskip(NEXT) | instid1(VALU_DEP_1)
	v_dot4_i32_iu8 v0, v3, v184, v0 neg_lo:[1,1,0]
	v_mad_co_u64_u32 v[0:1], null, v0, v185, v[4:5]
	v_mul_f32_e32 v1, v171, v131
	s_delay_alu instid0(VALU_DEP_2) | instskip(NEXT) | instid1(VALU_DEP_1)
	v_cvt_f32_i32_e32 v0, v0
	v_fmac_f32_e32 v83, v1, v0
	v_mul_i32_i24_e32 v0, v132, v224
	v_mul_i32_i24_e32 v1, v92, v173
	s_delay_alu instid0(VALU_DEP_2) | instskip(NEXT) | instid1(VALU_DEP_2)
	v_mad_i32_i24 v0, v23, v225, v0
	v_mad_i32_i24 v1, v69, v172, v1
	s_delay_alu instid0(VALU_DEP_2) | instskip(NEXT) | instid1(VALU_DEP_2)
	v_dot4_i32_iu8 v0, v18, v227, v0 neg_lo:[1,1,0]
	v_dot4_i32_iu8 v1, v19, v170, v1 neg_lo:[1,1,0]
	s_delay_alu instid0(VALU_DEP_2) | instskip(NEXT) | instid1(VALU_DEP_2)
	v_mad_i32_i24 v0, v24, v229, v0
	v_mad_i32_i24 v1, v100, v169, v1
	s_delay_alu instid0(VALU_DEP_2) | instskip(NEXT) | instid1(VALU_DEP_2)
	v_dot4_i32_iu8 v0, v5, v231, v0 neg_lo:[1,1,0]
	v_dot4_i32_iu8 v1, v17, v168, v1 neg_lo:[1,1,0]
	;; [unrolled: 6-line block ×4, first 2 shown]
	s_delay_alu instid0(VALU_DEP_2) | instskip(NEXT) | instid1(VALU_DEP_1)
	v_mul_lo_u32 v0, v0, v236
	v_mad_co_u64_u32 v[0:1], null, v1, v163, v[0:1]
	v_mul_f32_e32 v1, v162, v131
	s_delay_alu instid0(VALU_DEP_2) | instskip(NEXT) | instid1(VALU_DEP_1)
	v_cvt_f32_i32_e32 v0, v0
	v_fmac_f32_e32 v82, v1, v0
	v_or_b32_e32 v0, s17, v117
	s_delay_alu instid0(VALU_DEP_1)
	v_lshlrev_b32_e32 v4, 2, v0
	v_lshrrev_b32_e32 v0, 1, v0
	ds_load_b32 v19, v0 offset:38816
	ds_load_b128 v[0:3], v4 offset:25344
	ds_load_b128 v[4:7], v4 offset:25360
	s_wait_dscnt 0x1
	v_bfe_i32 v20, v0, 0, 8
	v_bfe_i32 v21, v0, 8, 8
	;; [unrolled: 1-line block ×3, first 2 shown]
	v_ashrrev_i32_e32 v23, 24, v0
	v_bfe_i32 v24, v1, 0, 8
	v_mul_i32_i24_e32 v17, v186, v20
	v_bfe_i32 v29, v1, 8, 8
	v_mul_i32_i24_e32 v18, v187, v22
	v_mul_i32_i24_e32 v100, v188, v23
	v_bfe_i32 v40, v1, 16, 8
	v_mad_i32_i24 v17, v189, v21, v17
	v_ashrrev_i32_e32 v56, 24, v1
	s_wait_dscnt 0x0
	v_bfe_i32 v69, v4, 0, 8
	v_bfe_i32 v70, v4, 8, 8
	;; [unrolled: 1-line block ×3, first 2 shown]
	v_add3_u32 v17, v17, v18, v100
	v_mul_i32_i24_e32 v18, v193, v24
	v_mul_i32_i24_e32 v100, v192, v29
	v_ashrrev_i32_e32 v74, 24, v4
	v_mul_i32_i24_e32 v101, v191, v40
	v_mul_i32_i24_e32 v102, v190, v56
	v_bfe_i32 v57, v2, 0, 8
	v_add3_u32 v17, v17, v18, v100
	v_mul_i32_i24_e32 v18, v202, v69
	v_bfe_i32 v58, v2, 8, 8
	v_bfe_i32 v75, v5, 0, 8
	;; [unrolled: 1-line block ×3, first 2 shown]
	v_add3_u32 v17, v17, v101, v102
	v_mul_i32_i24_e32 v100, v203, v72
	v_mul_i32_i24_e32 v101, v204, v74
	v_mad_i32_i24 v18, v205, v70, v18
	v_bfe_i32 v60, v2, 16, 8
	v_ashrrev_i32_e32 v61, 24, v2
	v_bfe_i32 v86, v5, 16, 8
	v_ashrrev_i32_e32 v87, 24, v5
	v_mul_i32_i24_e32 v103, v197, v57
	v_mul_i32_i24_e32 v104, v196, v58
	v_add3_u32 v18, v18, v100, v101
	v_mul_i32_i24_e32 v100, v209, v75
	v_mul_i32_i24_e32 v101, v208, v77
	v_bfe_i32 v62, v3, 0, 8
	v_bfe_i32 v63, v3, 8, 8
	v_bfe_i32 v88, v6, 0, 8
	v_bfe_i32 v89, v6, 8, 8
	v_mul_i32_i24_e32 v105, v195, v60
	v_mul_i32_i24_e32 v106, v194, v61
	v_add3_u32 v17, v17, v103, v104
	v_mul_i32_i24_e32 v102, v207, v86
	v_mul_i32_i24_e32 v103, v206, v87
	v_add3_u32 v18, v18, v100, v101
	v_bfe_i32 v65, v3, 16, 8
	v_ashrrev_i32_e32 v66, 24, v3
	v_bfe_i32 v92, v6, 16, 8
	v_ashrrev_i32_e32 v93, 24, v6
	v_mul_i32_i24_e32 v107, v201, v62
	v_mul_i32_i24_e32 v108, v200, v63
	v_add3_u32 v17, v17, v105, v106
	v_mul_i32_i24_e32 v104, v213, v88
	v_mul_i32_i24_e32 v105, v212, v89
	v_add3_u32 v18, v18, v102, v103
	v_bfe_i32 v94, v7, 0, 8
	v_bfe_i32 v96, v7, 8, 8
	v_mul_i32_i24_e32 v109, v199, v65
	v_mul_i32_i24_e32 v110, v198, v66
	v_add3_u32 v17, v17, v107, v108
	v_mul_i32_i24_e32 v106, v211, v92
	v_mul_i32_i24_e32 v107, v210, v93
	v_add3_u32 v18, v18, v104, v105
	v_bfe_i32 v97, v7, 16, 8
	v_ashrrev_i32_e32 v98, 24, v7
	v_add3_u32 v17, v17, v109, v110
	v_mul_i32_i24_e32 v108, v217, v94
	v_mul_i32_i24_e32 v109, v216, v96
	v_add3_u32 v18, v18, v106, v107
	v_mul_i32_i24_e32 v110, v215, v97
	v_mul_i32_i24_e32 v131, v214, v98
	v_mul_lo_u32 v17, v17, v222
	v_mul_i32_i24_e32 v63, v13, v63
	v_add3_u32 v18, v18, v108, v109
	v_mul_i32_i24_e32 v65, v48, v65
	v_mul_i32_i24_e32 v66, v12, v66
	v_perm_b32 v4, v4, v4, 0xc0c0302
	v_perm_b32 v5, v5, v5, 0xc030201
	v_add3_u32 v18, v18, v110, v131
	v_perm_b32 v2, v2, v2, 0xc030201
	v_perm_b32 v6, v6, v6, 0xc030201
	v_perm_b32 v3, v3, v3, 0xc030201
	v_perm_b32 v7, v7, v7, 0xc030201
	v_mad_co_u64_u32 v[17:18], null, v18, v218, v[17:18]
	v_mul_f32_e32 v18, v174, v19
	s_delay_alu instid0(VALU_DEP_2) | instskip(NEXT) | instid1(VALU_DEP_1)
	v_cvt_f32_i32_e32 v17, v17
	v_fmac_f32_e32 v81, v18, v17
	v_mul_i32_i24_e32 v17, v41, v20
	v_mul_i32_i24_e32 v18, v28, v22
	;; [unrolled: 1-line block ×5, first 2 shown]
	v_mad_i32_i24 v17, v255, v21, v17
	s_delay_alu instid0(VALU_DEP_1)
	v_add3_u32 v17, v17, v18, v22
	v_mul_i32_i24_e32 v18, v44, v24
	v_mul_i32_i24_e32 v22, v9, v29
	;; [unrolled: 1-line block ×6, first 2 shown]
	v_add3_u32 v17, v17, v18, v22
	v_mul_i32_i24_e32 v18, v55, v69
	v_mul_i32_i24_e32 v22, v15, v72
	;; [unrolled: 1-line block ×4, first 2 shown]
	v_add3_u32 v17, v17, v23, v29
	v_mul_i32_i24_e32 v23, v51, v74
	v_mad_i32_i24 v18, v14, v70, v18
	v_mul_i32_i24_e32 v29, v242, v86
	s_delay_alu instid0(VALU_DEP_4) | instskip(SKIP_1) | instid1(VALU_DEP_4)
	v_add3_u32 v17, v17, v40, v56
	v_mul_i32_i24_e32 v40, v241, v87
	v_add3_u32 v18, v18, v22, v23
	v_mul_i32_i24_e32 v22, v251, v75
	v_mul_i32_i24_e32 v23, v243, v77
	v_add3_u32 v17, v17, v58, v60
	v_mul_i32_i24_e32 v56, v248, v88
	v_mul_i32_i24_e32 v58, v247, v89
	;; [unrolled: 1-line block ×3, first 2 shown]
	v_add3_u32 v18, v18, v22, v23
	v_add3_u32 v17, v17, v61, v63
	v_mul_i32_i24_e32 v61, v245, v93
	v_mul_i32_i24_e32 v63, v253, v94
	s_delay_alu instid0(VALU_DEP_4) | instskip(NEXT) | instid1(VALU_DEP_4)
	v_add3_u32 v18, v18, v29, v40
	v_add3_u32 v17, v17, v65, v66
	v_mul_i32_i24_e32 v65, v252, v96
	v_mul_i32_i24_e32 v66, v250, v97
	s_delay_alu instid0(VALU_DEP_4) | instskip(NEXT) | instid1(VALU_DEP_4)
	v_add3_u32 v18, v18, v56, v58
	v_mul_lo_u32 v17, v17, v16
	s_delay_alu instid0(VALU_DEP_2) | instskip(NEXT) | instid1(VALU_DEP_1)
	v_add3_u32 v18, v18, v60, v61
	v_add3_u32 v18, v18, v63, v65
	s_delay_alu instid0(VALU_DEP_1) | instskip(NEXT) | instid1(VALU_DEP_1)
	v_add3_u32 v18, v18, v66, v72
	v_mad_co_u64_u32 v[17:18], null, v18, v254, v[17:18]
	v_mul_f32_e32 v18, v175, v19
	s_delay_alu instid0(VALU_DEP_2) | instskip(NEXT) | instid1(VALU_DEP_1)
	v_cvt_f32_i32_e32 v17, v17
	v_fmac_f32_e32 v80, v18, v17
	v_mul_i32_i24_e32 v17, v20, v177
	v_perm_b32 v18, v0, v0, 0xc0c0302
	s_delay_alu instid0(VALU_DEP_2) | instskip(NEXT) | instid1(VALU_DEP_1)
	v_mad_i32_i24 v17, v21, v178, v17
	v_dot4_i32_iu8 v0, v18, v221, v17 neg_lo:[1,1,0]
	v_perm_b32 v17, v1, v1, 0xc030201
	v_mul_i32_i24_e32 v1, v69, v238
	s_delay_alu instid0(VALU_DEP_3) | instskip(NEXT) | instid1(VALU_DEP_2)
	v_mad_i32_i24 v0, v24, v223, v0
	v_mad_i32_i24 v1, v70, v239, v1
	s_delay_alu instid0(VALU_DEP_2) | instskip(NEXT) | instid1(VALU_DEP_2)
	v_dot4_i32_iu8 v0, v17, v230, v0 neg_lo:[1,1,0]
	v_dot4_i32_iu8 v1, v4, v180, v1 neg_lo:[1,1,0]
	s_delay_alu instid0(VALU_DEP_2) | instskip(NEXT) | instid1(VALU_DEP_2)
	v_mad_i32_i24 v0, v57, v220, v0
	v_mad_i32_i24 v1, v75, v181, v1
	s_delay_alu instid0(VALU_DEP_2) | instskip(NEXT) | instid1(VALU_DEP_2)
	v_dot4_i32_iu8 v0, v2, v232, v0 neg_lo:[1,1,0]
	v_dot4_i32_iu8 v1, v5, v182, v1 neg_lo:[1,1,0]
	s_delay_alu instid0(VALU_DEP_2) | instskip(NEXT) | instid1(VALU_DEP_2)
	;; [unrolled: 6-line block ×3, first 2 shown]
	v_mul_lo_u32 v0, v0, v237
	v_mad_i32_i24 v1, v94, v176, v1
	s_delay_alu instid0(VALU_DEP_1) | instskip(NEXT) | instid1(VALU_DEP_1)
	v_dot4_i32_iu8 v1, v7, v184, v1 neg_lo:[1,1,0]
	v_mad_co_u64_u32 v[0:1], null, v1, v185, v[0:1]
	v_mul_f32_e32 v1, v171, v19
	s_delay_alu instid0(VALU_DEP_2) | instskip(NEXT) | instid1(VALU_DEP_1)
	v_cvt_f32_i32_e32 v0, v0
	v_fmac_f32_e32 v79, v1, v0
	v_mul_i32_i24_e32 v0, v20, v224
	v_mul_i32_i24_e32 v1, v69, v173
	s_delay_alu instid0(VALU_DEP_2) | instskip(NEXT) | instid1(VALU_DEP_2)
	v_mad_i32_i24 v0, v21, v225, v0
	v_mad_i32_i24 v1, v70, v172, v1
	s_delay_alu instid0(VALU_DEP_2) | instskip(NEXT) | instid1(VALU_DEP_2)
	v_dot4_i32_iu8 v0, v18, v227, v0 neg_lo:[1,1,0]
	v_dot4_i32_iu8 v1, v4, v170, v1 neg_lo:[1,1,0]
	s_delay_alu instid0(VALU_DEP_2) | instskip(NEXT) | instid1(VALU_DEP_2)
	v_mad_i32_i24 v0, v24, v229, v0
	v_mad_i32_i24 v1, v75, v169, v1
	s_delay_alu instid0(VALU_DEP_2) | instskip(NEXT) | instid1(VALU_DEP_2)
	v_dot4_i32_iu8 v0, v17, v231, v0 neg_lo:[1,1,0]
	v_dot4_i32_iu8 v1, v5, v168, v1 neg_lo:[1,1,0]
	;; [unrolled: 6-line block ×4, first 2 shown]
	s_delay_alu instid0(VALU_DEP_2) | instskip(NEXT) | instid1(VALU_DEP_1)
	v_mul_lo_u32 v0, v0, v236
	v_mad_co_u64_u32 v[0:1], null, v1, v163, v[0:1]
	v_mul_f32_e32 v1, v162, v19
	s_delay_alu instid0(VALU_DEP_2) | instskip(NEXT) | instid1(VALU_DEP_1)
	v_cvt_f32_i32_e32 v0, v0
	v_fmac_f32_e32 v78, v1, v0
	v_or_b32_e32 v0, s17, v118
	s_delay_alu instid0(VALU_DEP_1)
	v_lshlrev_b32_e32 v4, 2, v0
	v_lshrrev_b32_e32 v0, 1, v0
	ds_load_b32 v19, v0 offset:38816
	ds_load_b128 v[0:3], v4 offset:25344
	ds_load_b128 v[4:7], v4 offset:25360
	s_wait_dscnt 0x1
	v_bfe_i32 v20, v0, 0, 8
	v_bfe_i32 v21, v0, 8, 8
	;; [unrolled: 1-line block ×3, first 2 shown]
	v_ashrrev_i32_e32 v23, 24, v0
	v_bfe_i32 v24, v1, 0, 8
	v_mul_i32_i24_e32 v17, v186, v20
	v_bfe_i32 v29, v1, 8, 8
	v_mul_i32_i24_e32 v18, v187, v22
	v_mul_i32_i24_e32 v100, v188, v23
	v_bfe_i32 v40, v1, 16, 8
	v_mad_i32_i24 v17, v189, v21, v17
	v_ashrrev_i32_e32 v56, 24, v1
	s_wait_dscnt 0x0
	v_bfe_i32 v69, v4, 0, 8
	v_bfe_i32 v70, v4, 8, 8
	v_bfe_i32 v72, v4, 16, 8
	v_add3_u32 v17, v17, v18, v100
	v_mul_i32_i24_e32 v18, v193, v24
	v_mul_i32_i24_e32 v100, v192, v29
	v_ashrrev_i32_e32 v74, 24, v4
	v_mul_i32_i24_e32 v101, v191, v40
	v_mul_i32_i24_e32 v102, v190, v56
	v_bfe_i32 v57, v2, 0, 8
	v_add3_u32 v17, v17, v18, v100
	v_mul_i32_i24_e32 v18, v202, v69
	v_bfe_i32 v58, v2, 8, 8
	v_bfe_i32 v75, v5, 0, 8
	;; [unrolled: 1-line block ×3, first 2 shown]
	v_add3_u32 v17, v17, v101, v102
	v_mul_i32_i24_e32 v100, v203, v72
	v_mul_i32_i24_e32 v101, v204, v74
	v_mad_i32_i24 v18, v205, v70, v18
	v_bfe_i32 v60, v2, 16, 8
	v_ashrrev_i32_e32 v61, 24, v2
	v_bfe_i32 v86, v5, 16, 8
	v_ashrrev_i32_e32 v87, 24, v5
	v_mul_i32_i24_e32 v103, v197, v57
	v_mul_i32_i24_e32 v104, v196, v58
	v_add3_u32 v18, v18, v100, v101
	v_mul_i32_i24_e32 v100, v209, v75
	v_mul_i32_i24_e32 v101, v208, v77
	v_bfe_i32 v62, v3, 0, 8
	v_bfe_i32 v63, v3, 8, 8
	;; [unrolled: 1-line block ×4, first 2 shown]
	v_mul_i32_i24_e32 v105, v195, v60
	v_mul_i32_i24_e32 v106, v194, v61
	v_add3_u32 v17, v17, v103, v104
	v_mul_i32_i24_e32 v102, v207, v86
	v_mul_i32_i24_e32 v103, v206, v87
	v_add3_u32 v18, v18, v100, v101
	v_bfe_i32 v65, v3, 16, 8
	v_ashrrev_i32_e32 v66, 24, v3
	v_bfe_i32 v92, v6, 16, 8
	v_ashrrev_i32_e32 v93, 24, v6
	v_mul_i32_i24_e32 v107, v201, v62
	v_mul_i32_i24_e32 v108, v200, v63
	v_add3_u32 v17, v17, v105, v106
	v_mul_i32_i24_e32 v104, v213, v88
	v_mul_i32_i24_e32 v105, v212, v89
	v_add3_u32 v18, v18, v102, v103
	v_bfe_i32 v94, v7, 0, 8
	v_bfe_i32 v96, v7, 8, 8
	v_mul_i32_i24_e32 v109, v199, v65
	v_mul_i32_i24_e32 v110, v198, v66
	v_add3_u32 v17, v17, v107, v108
	v_mul_i32_i24_e32 v106, v211, v92
	v_mul_i32_i24_e32 v107, v210, v93
	v_add3_u32 v18, v18, v104, v105
	v_bfe_i32 v97, v7, 16, 8
	v_ashrrev_i32_e32 v98, 24, v7
	v_add3_u32 v17, v17, v109, v110
	v_mul_i32_i24_e32 v108, v217, v94
	v_mul_i32_i24_e32 v109, v216, v96
	v_add3_u32 v18, v18, v106, v107
	v_mul_i32_i24_e32 v110, v215, v97
	v_mul_i32_i24_e32 v131, v214, v98
	v_mul_lo_u32 v17, v17, v222
	v_mul_i32_i24_e32 v63, v13, v63
	v_add3_u32 v18, v18, v108, v109
	v_mul_i32_i24_e32 v65, v48, v65
	v_mul_i32_i24_e32 v66, v12, v66
	v_perm_b32 v4, v4, v4, 0xc0c0302
	v_perm_b32 v5, v5, v5, 0xc030201
	v_add3_u32 v18, v18, v110, v131
	v_perm_b32 v2, v2, v2, 0xc030201
	v_perm_b32 v6, v6, v6, 0xc030201
	;; [unrolled: 1-line block ×4, first 2 shown]
	v_mad_co_u64_u32 v[17:18], null, v18, v218, v[17:18]
	v_mul_f32_e32 v18, v174, v19
	s_delay_alu instid0(VALU_DEP_2) | instskip(NEXT) | instid1(VALU_DEP_1)
	v_cvt_f32_i32_e32 v17, v17
	v_fmac_f32_e32 v76, v18, v17
	v_mul_i32_i24_e32 v17, v41, v20
	v_mul_i32_i24_e32 v18, v28, v22
	;; [unrolled: 1-line block ×5, first 2 shown]
	v_mad_i32_i24 v17, v255, v21, v17
	s_delay_alu instid0(VALU_DEP_1)
	v_add3_u32 v17, v17, v18, v22
	v_mul_i32_i24_e32 v18, v44, v24
	v_mul_i32_i24_e32 v22, v9, v29
	;; [unrolled: 1-line block ×6, first 2 shown]
	v_add3_u32 v17, v17, v18, v22
	v_mul_i32_i24_e32 v18, v55, v69
	v_mul_i32_i24_e32 v22, v15, v72
	;; [unrolled: 1-line block ×4, first 2 shown]
	v_add3_u32 v17, v17, v23, v29
	v_mul_i32_i24_e32 v23, v51, v74
	v_mad_i32_i24 v18, v14, v70, v18
	v_mul_i32_i24_e32 v29, v242, v86
	s_delay_alu instid0(VALU_DEP_4) | instskip(SKIP_1) | instid1(VALU_DEP_4)
	v_add3_u32 v17, v17, v40, v56
	v_mul_i32_i24_e32 v40, v241, v87
	v_add3_u32 v18, v18, v22, v23
	v_mul_i32_i24_e32 v22, v251, v75
	v_mul_i32_i24_e32 v23, v243, v77
	v_add3_u32 v17, v17, v58, v60
	v_mul_i32_i24_e32 v56, v248, v88
	v_mul_i32_i24_e32 v58, v247, v89
	;; [unrolled: 1-line block ×3, first 2 shown]
	v_add3_u32 v18, v18, v22, v23
	v_add3_u32 v17, v17, v61, v63
	v_mul_i32_i24_e32 v61, v245, v93
	v_mul_i32_i24_e32 v63, v253, v94
	s_delay_alu instid0(VALU_DEP_4) | instskip(NEXT) | instid1(VALU_DEP_4)
	v_add3_u32 v18, v18, v29, v40
	v_add3_u32 v17, v17, v65, v66
	v_mul_i32_i24_e32 v65, v252, v96
	v_mul_i32_i24_e32 v66, v250, v97
	s_delay_alu instid0(VALU_DEP_4) | instskip(NEXT) | instid1(VALU_DEP_4)
	v_add3_u32 v18, v18, v56, v58
	v_mul_lo_u32 v17, v17, v16
	s_delay_alu instid0(VALU_DEP_2) | instskip(NEXT) | instid1(VALU_DEP_1)
	v_add3_u32 v18, v18, v60, v61
	v_add3_u32 v18, v18, v63, v65
	s_delay_alu instid0(VALU_DEP_1) | instskip(NEXT) | instid1(VALU_DEP_1)
	v_add3_u32 v18, v18, v66, v72
	v_mad_co_u64_u32 v[17:18], null, v18, v254, v[17:18]
	v_mul_f32_e32 v18, v175, v19
	s_delay_alu instid0(VALU_DEP_2) | instskip(NEXT) | instid1(VALU_DEP_1)
	v_cvt_f32_i32_e32 v17, v17
	v_fmac_f32_e32 v73, v18, v17
	v_mul_i32_i24_e32 v17, v20, v177
	v_perm_b32 v18, v0, v0, 0xc0c0302
	s_delay_alu instid0(VALU_DEP_2) | instskip(NEXT) | instid1(VALU_DEP_1)
	v_mad_i32_i24 v17, v21, v178, v17
	v_dot4_i32_iu8 v0, v18, v221, v17 neg_lo:[1,1,0]
	v_perm_b32 v17, v1, v1, 0xc030201
	v_mul_i32_i24_e32 v1, v69, v238
	s_delay_alu instid0(VALU_DEP_3) | instskip(NEXT) | instid1(VALU_DEP_2)
	v_mad_i32_i24 v0, v24, v223, v0
	v_mad_i32_i24 v1, v70, v239, v1
	s_delay_alu instid0(VALU_DEP_2) | instskip(NEXT) | instid1(VALU_DEP_2)
	v_dot4_i32_iu8 v0, v17, v230, v0 neg_lo:[1,1,0]
	v_dot4_i32_iu8 v1, v4, v180, v1 neg_lo:[1,1,0]
	s_delay_alu instid0(VALU_DEP_2) | instskip(NEXT) | instid1(VALU_DEP_2)
	v_mad_i32_i24 v0, v57, v220, v0
	v_mad_i32_i24 v1, v75, v181, v1
	s_delay_alu instid0(VALU_DEP_2) | instskip(NEXT) | instid1(VALU_DEP_2)
	v_dot4_i32_iu8 v0, v2, v232, v0 neg_lo:[1,1,0]
	v_dot4_i32_iu8 v1, v5, v182, v1 neg_lo:[1,1,0]
	s_delay_alu instid0(VALU_DEP_2) | instskip(NEXT) | instid1(VALU_DEP_2)
	;; [unrolled: 6-line block ×3, first 2 shown]
	v_mul_lo_u32 v0, v0, v237
	v_mad_i32_i24 v1, v94, v176, v1
	s_delay_alu instid0(VALU_DEP_1) | instskip(NEXT) | instid1(VALU_DEP_1)
	v_dot4_i32_iu8 v1, v7, v184, v1 neg_lo:[1,1,0]
	v_mad_co_u64_u32 v[0:1], null, v1, v185, v[0:1]
	v_mul_f32_e32 v1, v171, v19
	s_delay_alu instid0(VALU_DEP_2) | instskip(NEXT) | instid1(VALU_DEP_1)
	v_cvt_f32_i32_e32 v0, v0
	v_fmac_f32_e32 v71, v1, v0
	v_mul_i32_i24_e32 v0, v20, v224
	v_mul_i32_i24_e32 v1, v69, v173
	s_delay_alu instid0(VALU_DEP_2) | instskip(NEXT) | instid1(VALU_DEP_2)
	v_mad_i32_i24 v0, v21, v225, v0
	v_mad_i32_i24 v1, v70, v172, v1
	s_delay_alu instid0(VALU_DEP_2) | instskip(NEXT) | instid1(VALU_DEP_2)
	v_dot4_i32_iu8 v0, v18, v227, v0 neg_lo:[1,1,0]
	v_dot4_i32_iu8 v1, v4, v170, v1 neg_lo:[1,1,0]
	s_delay_alu instid0(VALU_DEP_2) | instskip(NEXT) | instid1(VALU_DEP_2)
	v_mad_i32_i24 v0, v24, v229, v0
	v_mad_i32_i24 v1, v75, v169, v1
	s_delay_alu instid0(VALU_DEP_2) | instskip(NEXT) | instid1(VALU_DEP_2)
	v_dot4_i32_iu8 v0, v17, v231, v0 neg_lo:[1,1,0]
	v_dot4_i32_iu8 v1, v5, v168, v1 neg_lo:[1,1,0]
	;; [unrolled: 6-line block ×4, first 2 shown]
	s_delay_alu instid0(VALU_DEP_2) | instskip(NEXT) | instid1(VALU_DEP_1)
	v_mul_lo_u32 v0, v0, v236
	v_mad_co_u64_u32 v[0:1], null, v1, v163, v[0:1]
	v_mul_f32_e32 v1, v162, v19
	s_delay_alu instid0(VALU_DEP_2) | instskip(NEXT) | instid1(VALU_DEP_1)
	v_cvt_f32_i32_e32 v0, v0
	v_fmac_f32_e32 v67, v1, v0
	v_or_b32_e32 v0, s17, v119
	s_delay_alu instid0(VALU_DEP_1)
	v_lshlrev_b32_e32 v1, 2, v0
	v_lshrrev_b32_e32 v0, 1, v0
	ds_load_b32 v17, v0 offset:38816
	ds_load_b128 v[4:7], v1 offset:25344
	ds_load_b128 v[0:3], v1 offset:25360
	s_wait_dscnt 0x1
	v_bfe_i32 v18, v4, 0, 8
	v_bfe_i32 v19, v4, 8, 8
	;; [unrolled: 1-line block ×3, first 2 shown]
	v_ashrrev_i32_e32 v40, 24, v4
	v_bfe_i32 v20, v5, 0, 8
	v_mul_i32_i24_e32 v60, v186, v18
	v_bfe_i32 v62, v5, 8, 8
	v_mul_i32_i24_e32 v61, v187, v29
	v_mul_i32_i24_e32 v100, v188, v40
	v_bfe_i32 v63, v5, 16, 8
	v_mad_i32_i24 v60, v189, v19, v60
	v_ashrrev_i32_e32 v65, 24, v5
	s_wait_dscnt 0x0
	v_bfe_i32 v23, v0, 0, 8
	v_bfe_i32 v24, v0, 8, 8
	;; [unrolled: 1-line block ×3, first 2 shown]
	v_add3_u32 v60, v60, v61, v100
	v_mul_i32_i24_e32 v61, v193, v20
	v_mul_i32_i24_e32 v100, v192, v62
	v_ashrrev_i32_e32 v86, 24, v0
	v_mul_i32_i24_e32 v101, v191, v63
	v_mul_i32_i24_e32 v102, v190, v65
	v_bfe_i32 v21, v6, 0, 8
	v_add3_u32 v60, v60, v61, v100
	v_mul_i32_i24_e32 v61, v202, v23
	v_bfe_i32 v66, v6, 8, 8
	v_bfe_i32 v56, v1, 0, 8
	;; [unrolled: 1-line block ×3, first 2 shown]
	v_add3_u32 v60, v60, v101, v102
	v_mul_i32_i24_e32 v100, v203, v77
	v_mul_i32_i24_e32 v101, v204, v86
	v_mad_i32_i24 v61, v205, v24, v61
	v_bfe_i32 v69, v6, 16, 8
	v_ashrrev_i32_e32 v70, 24, v6
	v_bfe_i32 v88, v1, 16, 8
	v_ashrrev_i32_e32 v89, 24, v1
	v_mul_i32_i24_e32 v103, v197, v21
	v_mul_i32_i24_e32 v104, v196, v66
	v_add3_u32 v61, v61, v100, v101
	v_mul_i32_i24_e32 v100, v209, v56
	v_mul_i32_i24_e32 v101, v208, v87
	v_bfe_i32 v22, v7, 0, 8
	v_bfe_i32 v72, v7, 8, 8
	;; [unrolled: 1-line block ×4, first 2 shown]
	v_mul_i32_i24_e32 v105, v195, v69
	v_mul_i32_i24_e32 v106, v194, v70
	v_add3_u32 v60, v60, v103, v104
	v_mul_i32_i24_e32 v102, v207, v88
	v_mul_i32_i24_e32 v103, v206, v89
	v_add3_u32 v61, v61, v100, v101
	v_bfe_i32 v74, v7, 16, 8
	v_ashrrev_i32_e32 v75, 24, v7
	v_bfe_i32 v93, v2, 16, 8
	v_ashrrev_i32_e32 v94, 24, v2
	v_mul_i32_i24_e32 v107, v201, v22
	v_mul_i32_i24_e32 v108, v200, v72
	v_add3_u32 v60, v60, v105, v106
	v_mul_i32_i24_e32 v104, v213, v57
	v_mul_i32_i24_e32 v105, v212, v92
	v_add3_u32 v61, v61, v102, v103
	v_bfe_i32 v58, v3, 0, 8
	v_bfe_i32 v96, v3, 8, 8
	v_mul_i32_i24_e32 v109, v199, v74
	v_mul_i32_i24_e32 v110, v198, v75
	v_add3_u32 v60, v60, v107, v108
	v_mul_i32_i24_e32 v106, v211, v93
	v_mul_i32_i24_e32 v107, v210, v94
	v_add3_u32 v61, v61, v104, v105
	v_bfe_i32 v97, v3, 16, 8
	v_ashrrev_i32_e32 v98, 24, v3
	v_add3_u32 v60, v60, v109, v110
	v_mul_i32_i24_e32 v108, v217, v58
	v_mul_i32_i24_e32 v109, v216, v96
	v_add3_u32 v61, v61, v106, v107
	v_mul_i32_i24_e32 v110, v215, v97
	v_mul_i32_i24_e32 v131, v214, v98
	v_mul_lo_u32 v60, v60, v222
	v_mul_i32_i24_e32 v29, v28, v29
	v_add3_u32 v61, v61, v108, v109
	v_mul_i32_i24_e32 v40, v68, v40
	v_mul_i32_i24_e32 v72, v13, v72
	;; [unrolled: 1-line block ×4, first 2 shown]
	v_add3_u32 v61, v61, v110, v131
	v_perm_b32 v5, v5, v5, 0xc030201
	v_perm_b32 v6, v6, v6, 0xc030201
	;; [unrolled: 1-line block ×4, first 2 shown]
	v_mad_co_u64_u32 v[60:61], null, v61, v218, v[60:61]
	v_mul_f32_e32 v61, v174, v17
	v_perm_b32 v3, v3, v3, 0xc030201
	s_delay_alu instid0(VALU_DEP_3) | instskip(NEXT) | instid1(VALU_DEP_1)
	v_cvt_f32_i32_e32 v60, v60
	v_fmac_f32_e32 v64, v61, v60
	v_mul_i32_i24_e32 v60, v41, v18
	v_mul_i32_i24_e32 v61, v42, v63
	;; [unrolled: 1-line block ×3, first 2 shown]
	s_delay_alu instid0(VALU_DEP_3) | instskip(NEXT) | instid1(VALU_DEP_1)
	v_mad_i32_i24 v60, v255, v19, v60
	v_add3_u32 v29, v60, v29, v40
	v_mul_i32_i24_e32 v40, v44, v20
	v_mul_i32_i24_e32 v60, v9, v62
	;; [unrolled: 1-line block ×6, first 2 shown]
	v_add3_u32 v29, v29, v40, v60
	v_mul_i32_i24_e32 v70, v50, v22
	v_mul_i32_i24_e32 v40, v15, v77
	;; [unrolled: 1-line block ×3, first 2 shown]
	s_delay_alu instid0(VALU_DEP_4) | instskip(SKIP_2) | instid1(VALU_DEP_3)
	v_add3_u32 v29, v29, v61, v62
	v_mul_i32_i24_e32 v61, v51, v86
	v_mul_i32_i24_e32 v62, v242, v88
	v_add3_u32 v29, v29, v63, v65
	v_mul_i32_i24_e32 v63, v241, v89
	v_mul_i32_i24_e32 v65, v248, v57
	s_delay_alu instid0(VALU_DEP_3) | instskip(SKIP_2) | instid1(VALU_DEP_3)
	v_add3_u32 v29, v29, v66, v69
	v_mul_i32_i24_e32 v66, v247, v92
	v_mul_i32_i24_e32 v69, v246, v93
	v_add3_u32 v29, v29, v70, v72
	v_mul_i32_i24_e32 v70, v245, v94
	v_mul_i32_i24_e32 v72, v253, v58
	s_delay_alu instid0(VALU_DEP_3) | instskip(SKIP_2) | instid1(VALU_DEP_3)
	v_add3_u32 v29, v29, v74, v75
	v_mul_i32_i24_e32 v74, v252, v96
	v_mul_i32_i24_e32 v75, v250, v97
	v_mul_lo_u32 v60, v29, v16
	v_mul_i32_i24_e32 v29, v55, v23
	s_delay_alu instid0(VALU_DEP_1) | instskip(NEXT) | instid1(VALU_DEP_1)
	v_mad_i32_i24 v29, v14, v24, v29
	v_add3_u32 v29, v29, v40, v61
	v_mul_i32_i24_e32 v40, v251, v56
	v_mul_i32_i24_e32 v61, v243, v87
	s_delay_alu instid0(VALU_DEP_1) | instskip(NEXT) | instid1(VALU_DEP_1)
	v_add3_u32 v29, v29, v40, v61
	v_add3_u32 v29, v29, v62, v63
	s_delay_alu instid0(VALU_DEP_1) | instskip(NEXT) | instid1(VALU_DEP_1)
	v_add3_u32 v29, v29, v65, v66
	v_add3_u32 v29, v29, v69, v70
	;; [unrolled: 3-line block ×3, first 2 shown]
	s_delay_alu instid0(VALU_DEP_1) | instskip(SKIP_1) | instid1(VALU_DEP_2)
	v_mad_co_u64_u32 v[60:61], null, v29, v254, v[60:61]
	v_mul_f32_e32 v29, v175, v17
	v_cvt_f32_i32_e32 v40, v60
	v_perm_b32 v60, v0, v0, 0xc0c0302
	s_delay_alu instid0(VALU_DEP_2) | instskip(SKIP_2) | instid1(VALU_DEP_2)
	v_fmac_f32_e32 v59, v29, v40
	v_mul_i32_i24_e32 v29, v18, v177
	v_perm_b32 v40, v4, v4, 0xc0c0302
	v_mad_i32_i24 v29, v19, v178, v29
	s_delay_alu instid0(VALU_DEP_1) | instskip(SKIP_1) | instid1(VALU_DEP_2)
	v_dot4_i32_iu8 v4, v40, v221, v29 neg_lo:[1,1,0]
	v_mul_i32_i24_e32 v29, v23, v238
	v_mad_i32_i24 v4, v20, v223, v4
	s_delay_alu instid0(VALU_DEP_2) | instskip(NEXT) | instid1(VALU_DEP_2)
	v_mad_i32_i24 v29, v24, v239, v29
	v_dot4_i32_iu8 v4, v5, v230, v4 neg_lo:[1,1,0]
	s_delay_alu instid0(VALU_DEP_2) | instskip(SKIP_1) | instid1(VALU_DEP_3)
	v_dot4_i32_iu8 v0, v60, v180, v29 neg_lo:[1,1,0]
	v_perm_b32 v29, v1, v1, 0xc030201
	v_mad_i32_i24 v4, v21, v220, v4
	s_delay_alu instid0(VALU_DEP_3) | instskip(NEXT) | instid1(VALU_DEP_2)
	v_mad_i32_i24 v0, v56, v181, v0
	v_dot4_i32_iu8 v4, v6, v232, v4 neg_lo:[1,1,0]
	s_delay_alu instid0(VALU_DEP_2) | instskip(NEXT) | instid1(VALU_DEP_2)
	v_dot4_i32_iu8 v0, v29, v182, v0 neg_lo:[1,1,0]
	v_mad_i32_i24 v4, v22, v219, v4
	s_delay_alu instid0(VALU_DEP_2) | instskip(NEXT) | instid1(VALU_DEP_2)
	v_mad_i32_i24 v0, v57, v179, v0
	v_dot4_i32_iu8 v4, v7, v235, v4 neg_lo:[1,1,0]
	s_delay_alu instid0(VALU_DEP_2) | instskip(NEXT) | instid1(VALU_DEP_2)
	v_dot4_i32_iu8 v0, v2, v183, v0 neg_lo:[1,1,0]
	v_mul_lo_u32 v4, v4, v237
	s_delay_alu instid0(VALU_DEP_2) | instskip(NEXT) | instid1(VALU_DEP_1)
	v_mad_i32_i24 v0, v58, v176, v0
	v_dot4_i32_iu8 v0, v3, v184, v0 neg_lo:[1,1,0]
	s_delay_alu instid0(VALU_DEP_1) | instskip(SKIP_1) | instid1(VALU_DEP_2)
	v_mad_co_u64_u32 v[0:1], null, v0, v185, v[4:5]
	v_mul_f32_e32 v1, v171, v17
	v_cvt_f32_i32_e32 v0, v0
	s_delay_alu instid0(VALU_DEP_1) | instskip(SKIP_2) | instid1(VALU_DEP_2)
	v_fmac_f32_e32 v54, v1, v0
	v_mul_i32_i24_e32 v0, v18, v224
	v_mul_i32_i24_e32 v1, v23, v173
	v_mad_i32_i24 v0, v19, v225, v0
	s_delay_alu instid0(VALU_DEP_2) | instskip(NEXT) | instid1(VALU_DEP_2)
	v_mad_i32_i24 v1, v24, v172, v1
	v_dot4_i32_iu8 v0, v40, v227, v0 neg_lo:[1,1,0]
	s_delay_alu instid0(VALU_DEP_2) | instskip(NEXT) | instid1(VALU_DEP_2)
	v_dot4_i32_iu8 v1, v60, v170, v1 neg_lo:[1,1,0]
	v_mad_i32_i24 v0, v20, v229, v0
	s_delay_alu instid0(VALU_DEP_2) | instskip(NEXT) | instid1(VALU_DEP_2)
	v_mad_i32_i24 v1, v56, v169, v1
	v_dot4_i32_iu8 v0, v5, v231, v0 neg_lo:[1,1,0]
	s_delay_alu instid0(VALU_DEP_2) | instskip(NEXT) | instid1(VALU_DEP_2)
	v_dot4_i32_iu8 v1, v29, v168, v1 neg_lo:[1,1,0]
	;; [unrolled: 6-line block ×4, first 2 shown]
	v_mul_lo_u32 v0, v0, v236
	s_delay_alu instid0(VALU_DEP_1) | instskip(SKIP_1) | instid1(VALU_DEP_2)
	v_mad_co_u64_u32 v[0:1], null, v1, v163, v[0:1]
	v_mul_f32_e32 v1, v162, v17
	v_cvt_f32_i32_e32 v0, v0
	s_delay_alu instid0(VALU_DEP_1) | instskip(SKIP_1) | instid1(VALU_DEP_1)
	v_fmac_f32_e32 v52, v1, v0
	v_or_b32_e32 v0, s17, v120
	v_lshlrev_b32_e32 v1, 2, v0
	v_lshrrev_b32_e32 v0, 1, v0
	ds_load_b32 v17, v0 offset:38816
	ds_load_b128 v[4:7], v1 offset:25344
	ds_load_b128 v[0:3], v1 offset:25360
	s_wait_dscnt 0x1
	v_bfe_i32 v18, v4, 0, 8
	v_bfe_i32 v19, v4, 8, 8
	;; [unrolled: 1-line block ×3, first 2 shown]
	v_ashrrev_i32_e32 v40, 24, v4
	v_bfe_i32 v20, v5, 0, 8
	v_mul_i32_i24_e32 v60, v186, v18
	v_bfe_i32 v62, v5, 8, 8
	v_mul_i32_i24_e32 v61, v187, v29
	v_mul_i32_i24_e32 v100, v188, v40
	v_bfe_i32 v63, v5, 16, 8
	v_mad_i32_i24 v60, v189, v19, v60
	v_ashrrev_i32_e32 v65, 24, v5
	s_wait_dscnt 0x0
	v_bfe_i32 v23, v0, 0, 8
	v_bfe_i32 v24, v0, 8, 8
	v_bfe_i32 v77, v0, 16, 8
	v_add3_u32 v60, v60, v61, v100
	v_mul_i32_i24_e32 v61, v193, v20
	v_mul_i32_i24_e32 v100, v192, v62
	v_ashrrev_i32_e32 v86, 24, v0
	v_mul_i32_i24_e32 v101, v191, v63
	v_mul_i32_i24_e32 v102, v190, v65
	v_bfe_i32 v21, v6, 0, 8
	v_add3_u32 v60, v60, v61, v100
	v_mul_i32_i24_e32 v61, v202, v23
	v_bfe_i32 v66, v6, 8, 8
	v_bfe_i32 v56, v1, 0, 8
	;; [unrolled: 1-line block ×3, first 2 shown]
	v_add3_u32 v60, v60, v101, v102
	v_mul_i32_i24_e32 v100, v203, v77
	v_mul_i32_i24_e32 v101, v204, v86
	v_mad_i32_i24 v61, v205, v24, v61
	v_bfe_i32 v69, v6, 16, 8
	v_ashrrev_i32_e32 v70, 24, v6
	v_bfe_i32 v88, v1, 16, 8
	v_ashrrev_i32_e32 v89, 24, v1
	v_mul_i32_i24_e32 v103, v197, v21
	v_mul_i32_i24_e32 v104, v196, v66
	v_add3_u32 v61, v61, v100, v101
	v_mul_i32_i24_e32 v100, v209, v56
	v_mul_i32_i24_e32 v101, v208, v87
	v_bfe_i32 v22, v7, 0, 8
	v_bfe_i32 v72, v7, 8, 8
	;; [unrolled: 1-line block ×4, first 2 shown]
	v_mul_i32_i24_e32 v105, v195, v69
	v_mul_i32_i24_e32 v106, v194, v70
	v_add3_u32 v60, v60, v103, v104
	v_mul_i32_i24_e32 v102, v207, v88
	v_mul_i32_i24_e32 v103, v206, v89
	v_add3_u32 v61, v61, v100, v101
	v_bfe_i32 v74, v7, 16, 8
	v_ashrrev_i32_e32 v75, 24, v7
	v_bfe_i32 v93, v2, 16, 8
	v_ashrrev_i32_e32 v94, 24, v2
	v_mul_i32_i24_e32 v107, v201, v22
	v_mul_i32_i24_e32 v108, v200, v72
	v_add3_u32 v60, v60, v105, v106
	v_mul_i32_i24_e32 v104, v213, v57
	v_mul_i32_i24_e32 v105, v212, v92
	v_add3_u32 v61, v61, v102, v103
	v_bfe_i32 v58, v3, 0, 8
	v_bfe_i32 v96, v3, 8, 8
	v_mul_i32_i24_e32 v109, v199, v74
	v_mul_i32_i24_e32 v110, v198, v75
	v_add3_u32 v60, v60, v107, v108
	v_mul_i32_i24_e32 v106, v211, v93
	v_mul_i32_i24_e32 v107, v210, v94
	v_add3_u32 v61, v61, v104, v105
	v_bfe_i32 v97, v3, 16, 8
	v_ashrrev_i32_e32 v98, 24, v3
	v_add3_u32 v60, v60, v109, v110
	v_mul_i32_i24_e32 v108, v217, v58
	v_mul_i32_i24_e32 v109, v216, v96
	v_add3_u32 v61, v61, v106, v107
	v_mul_i32_i24_e32 v110, v215, v97
	v_mul_i32_i24_e32 v131, v214, v98
	v_mul_lo_u32 v60, v60, v222
	v_mul_i32_i24_e32 v29, v28, v29
	v_add3_u32 v61, v61, v108, v109
	v_mul_i32_i24_e32 v40, v68, v40
	v_mul_i32_i24_e32 v72, v13, v72
	;; [unrolled: 1-line block ×4, first 2 shown]
	v_add3_u32 v61, v61, v110, v131
	v_perm_b32 v5, v5, v5, 0xc030201
	v_perm_b32 v6, v6, v6, 0xc030201
	;; [unrolled: 1-line block ×4, first 2 shown]
	v_mad_co_u64_u32 v[60:61], null, v61, v218, v[60:61]
	v_mul_f32_e32 v61, v174, v17
	v_perm_b32 v3, v3, v3, 0xc030201
	s_delay_alu instid0(VALU_DEP_3) | instskip(NEXT) | instid1(VALU_DEP_1)
	v_cvt_f32_i32_e32 v60, v60
	v_fmac_f32_e32 v49, v61, v60
	v_mul_i32_i24_e32 v60, v41, v18
	v_mul_i32_i24_e32 v61, v42, v63
	;; [unrolled: 1-line block ×3, first 2 shown]
	s_delay_alu instid0(VALU_DEP_3) | instskip(NEXT) | instid1(VALU_DEP_1)
	v_mad_i32_i24 v60, v255, v19, v60
	v_add3_u32 v29, v60, v29, v40
	v_mul_i32_i24_e32 v40, v44, v20
	v_mul_i32_i24_e32 v60, v9, v62
	;; [unrolled: 1-line block ×6, first 2 shown]
	v_add3_u32 v29, v29, v40, v60
	v_mul_i32_i24_e32 v70, v50, v22
	v_mul_i32_i24_e32 v40, v15, v77
	;; [unrolled: 1-line block ×3, first 2 shown]
	s_delay_alu instid0(VALU_DEP_4) | instskip(SKIP_2) | instid1(VALU_DEP_3)
	v_add3_u32 v29, v29, v61, v62
	v_mul_i32_i24_e32 v61, v51, v86
	v_mul_i32_i24_e32 v62, v242, v88
	v_add3_u32 v29, v29, v63, v65
	v_mul_i32_i24_e32 v63, v241, v89
	v_mul_i32_i24_e32 v65, v248, v57
	s_delay_alu instid0(VALU_DEP_3) | instskip(SKIP_2) | instid1(VALU_DEP_3)
	v_add3_u32 v29, v29, v66, v69
	v_mul_i32_i24_e32 v66, v247, v92
	v_mul_i32_i24_e32 v69, v246, v93
	v_add3_u32 v29, v29, v70, v72
	v_mul_i32_i24_e32 v70, v245, v94
	v_mul_i32_i24_e32 v72, v253, v58
	s_delay_alu instid0(VALU_DEP_3) | instskip(SKIP_2) | instid1(VALU_DEP_3)
	v_add3_u32 v29, v29, v74, v75
	v_mul_i32_i24_e32 v74, v252, v96
	v_mul_i32_i24_e32 v75, v250, v97
	v_mul_lo_u32 v60, v29, v16
	v_mul_i32_i24_e32 v29, v55, v23
	s_delay_alu instid0(VALU_DEP_1) | instskip(NEXT) | instid1(VALU_DEP_1)
	v_mad_i32_i24 v29, v14, v24, v29
	v_add3_u32 v29, v29, v40, v61
	v_mul_i32_i24_e32 v40, v251, v56
	v_mul_i32_i24_e32 v61, v243, v87
	s_delay_alu instid0(VALU_DEP_1) | instskip(NEXT) | instid1(VALU_DEP_1)
	v_add3_u32 v29, v29, v40, v61
	v_add3_u32 v29, v29, v62, v63
	s_delay_alu instid0(VALU_DEP_1) | instskip(NEXT) | instid1(VALU_DEP_1)
	v_add3_u32 v29, v29, v65, v66
	v_add3_u32 v29, v29, v69, v70
	s_delay_alu instid0(VALU_DEP_1) | instskip(NEXT) | instid1(VALU_DEP_1)
	v_add3_u32 v29, v29, v72, v74
	v_add3_u32 v29, v29, v75, v77
	s_delay_alu instid0(VALU_DEP_1) | instskip(SKIP_1) | instid1(VALU_DEP_2)
	v_mad_co_u64_u32 v[60:61], null, v29, v254, v[60:61]
	v_mul_f32_e32 v29, v175, v17
	v_cvt_f32_i32_e32 v40, v60
	v_perm_b32 v60, v0, v0, 0xc0c0302
	s_delay_alu instid0(VALU_DEP_2) | instskip(SKIP_2) | instid1(VALU_DEP_2)
	v_fmac_f32_e32 v46, v29, v40
	v_mul_i32_i24_e32 v29, v18, v177
	v_perm_b32 v40, v4, v4, 0xc0c0302
	v_mad_i32_i24 v29, v19, v178, v29
	s_delay_alu instid0(VALU_DEP_1) | instskip(SKIP_1) | instid1(VALU_DEP_2)
	v_dot4_i32_iu8 v4, v40, v221, v29 neg_lo:[1,1,0]
	v_mul_i32_i24_e32 v29, v23, v238
	v_mad_i32_i24 v4, v20, v223, v4
	s_delay_alu instid0(VALU_DEP_2) | instskip(NEXT) | instid1(VALU_DEP_2)
	v_mad_i32_i24 v29, v24, v239, v29
	v_dot4_i32_iu8 v4, v5, v230, v4 neg_lo:[1,1,0]
	s_delay_alu instid0(VALU_DEP_2) | instskip(SKIP_1) | instid1(VALU_DEP_3)
	v_dot4_i32_iu8 v0, v60, v180, v29 neg_lo:[1,1,0]
	v_perm_b32 v29, v1, v1, 0xc030201
	v_mad_i32_i24 v4, v21, v220, v4
	s_delay_alu instid0(VALU_DEP_3) | instskip(NEXT) | instid1(VALU_DEP_2)
	v_mad_i32_i24 v0, v56, v181, v0
	v_dot4_i32_iu8 v4, v6, v232, v4 neg_lo:[1,1,0]
	s_delay_alu instid0(VALU_DEP_2) | instskip(NEXT) | instid1(VALU_DEP_2)
	v_dot4_i32_iu8 v0, v29, v182, v0 neg_lo:[1,1,0]
	v_mad_i32_i24 v4, v22, v219, v4
	s_delay_alu instid0(VALU_DEP_2) | instskip(NEXT) | instid1(VALU_DEP_2)
	v_mad_i32_i24 v0, v57, v179, v0
	v_dot4_i32_iu8 v4, v7, v235, v4 neg_lo:[1,1,0]
	s_delay_alu instid0(VALU_DEP_2) | instskip(NEXT) | instid1(VALU_DEP_2)
	v_dot4_i32_iu8 v0, v2, v183, v0 neg_lo:[1,1,0]
	v_mul_lo_u32 v4, v4, v237
	s_delay_alu instid0(VALU_DEP_2) | instskip(NEXT) | instid1(VALU_DEP_1)
	v_mad_i32_i24 v0, v58, v176, v0
	v_dot4_i32_iu8 v0, v3, v184, v0 neg_lo:[1,1,0]
	s_delay_alu instid0(VALU_DEP_1) | instskip(SKIP_1) | instid1(VALU_DEP_2)
	v_mad_co_u64_u32 v[0:1], null, v0, v185, v[4:5]
	v_mul_f32_e32 v1, v171, v17
	v_cvt_f32_i32_e32 v0, v0
	s_delay_alu instid0(VALU_DEP_1) | instskip(SKIP_2) | instid1(VALU_DEP_2)
	v_fmac_f32_e32 v43, v1, v0
	v_mul_i32_i24_e32 v0, v18, v224
	v_mul_i32_i24_e32 v1, v23, v173
	v_mad_i32_i24 v0, v19, v225, v0
	s_delay_alu instid0(VALU_DEP_2) | instskip(NEXT) | instid1(VALU_DEP_2)
	v_mad_i32_i24 v1, v24, v172, v1
	v_dot4_i32_iu8 v0, v40, v227, v0 neg_lo:[1,1,0]
	s_delay_alu instid0(VALU_DEP_2) | instskip(NEXT) | instid1(VALU_DEP_2)
	v_dot4_i32_iu8 v1, v60, v170, v1 neg_lo:[1,1,0]
	v_mad_i32_i24 v0, v20, v229, v0
	s_delay_alu instid0(VALU_DEP_2) | instskip(NEXT) | instid1(VALU_DEP_2)
	v_mad_i32_i24 v1, v56, v169, v1
	v_dot4_i32_iu8 v0, v5, v231, v0 neg_lo:[1,1,0]
	s_delay_alu instid0(VALU_DEP_2) | instskip(NEXT) | instid1(VALU_DEP_2)
	v_dot4_i32_iu8 v1, v29, v168, v1 neg_lo:[1,1,0]
	;; [unrolled: 6-line block ×4, first 2 shown]
	v_mul_lo_u32 v0, v0, v236
	s_delay_alu instid0(VALU_DEP_1) | instskip(SKIP_1) | instid1(VALU_DEP_2)
	v_mad_co_u64_u32 v[0:1], null, v1, v163, v[0:1]
	v_mul_f32_e32 v1, v162, v17
	v_cvt_f32_i32_e32 v0, v0
	s_delay_alu instid0(VALU_DEP_1) | instskip(SKIP_1) | instid1(VALU_DEP_1)
	v_fmac_f32_e32 v39, v1, v0
	v_or_b32_e32 v0, s17, v121
	v_lshlrev_b32_e32 v4, 2, v0
	v_lshrrev_b32_e32 v0, 1, v0
	ds_load_b32 v19, v0 offset:38816
	ds_load_b128 v[0:3], v4 offset:25344
	ds_load_b128 v[4:7], v4 offset:25360
	s_wait_dscnt 0x1
	v_bfe_i32 v20, v0, 0, 8
	v_bfe_i32 v21, v0, 8, 8
	;; [unrolled: 1-line block ×3, first 2 shown]
	v_ashrrev_i32_e32 v23, 24, v0
	v_bfe_i32 v24, v1, 0, 8
	v_mul_i32_i24_e32 v17, v186, v20
	v_bfe_i32 v29, v1, 8, 8
	v_mul_i32_i24_e32 v18, v187, v22
	v_mul_i32_i24_e32 v100, v188, v23
	v_bfe_i32 v40, v1, 16, 8
	v_mad_i32_i24 v17, v189, v21, v17
	v_ashrrev_i32_e32 v56, 24, v1
	s_wait_dscnt 0x0
	v_bfe_i32 v69, v4, 0, 8
	v_bfe_i32 v70, v4, 8, 8
	;; [unrolled: 1-line block ×3, first 2 shown]
	v_add3_u32 v17, v17, v18, v100
	v_mul_i32_i24_e32 v18, v193, v24
	v_mul_i32_i24_e32 v100, v192, v29
	v_ashrrev_i32_e32 v74, 24, v4
	v_mul_i32_i24_e32 v101, v191, v40
	v_mul_i32_i24_e32 v102, v190, v56
	v_bfe_i32 v57, v2, 0, 8
	v_add3_u32 v17, v17, v18, v100
	v_mul_i32_i24_e32 v18, v202, v69
	v_bfe_i32 v58, v2, 8, 8
	v_bfe_i32 v75, v5, 0, 8
	;; [unrolled: 1-line block ×3, first 2 shown]
	v_add3_u32 v17, v17, v101, v102
	v_mul_i32_i24_e32 v100, v203, v72
	v_mul_i32_i24_e32 v101, v204, v74
	v_mad_i32_i24 v18, v205, v70, v18
	v_bfe_i32 v60, v2, 16, 8
	v_ashrrev_i32_e32 v61, 24, v2
	v_bfe_i32 v86, v5, 16, 8
	v_ashrrev_i32_e32 v87, 24, v5
	v_mul_i32_i24_e32 v103, v197, v57
	v_mul_i32_i24_e32 v104, v196, v58
	v_add3_u32 v18, v18, v100, v101
	v_mul_i32_i24_e32 v100, v209, v75
	v_mul_i32_i24_e32 v101, v208, v77
	v_bfe_i32 v62, v3, 0, 8
	v_bfe_i32 v63, v3, 8, 8
	;; [unrolled: 1-line block ×4, first 2 shown]
	v_mul_i32_i24_e32 v105, v195, v60
	v_mul_i32_i24_e32 v106, v194, v61
	v_add3_u32 v17, v17, v103, v104
	v_mul_i32_i24_e32 v102, v207, v86
	v_mul_i32_i24_e32 v103, v206, v87
	v_add3_u32 v18, v18, v100, v101
	v_bfe_i32 v65, v3, 16, 8
	v_ashrrev_i32_e32 v66, 24, v3
	v_bfe_i32 v92, v6, 16, 8
	v_ashrrev_i32_e32 v93, 24, v6
	v_mul_i32_i24_e32 v107, v201, v62
	v_mul_i32_i24_e32 v108, v200, v63
	v_add3_u32 v17, v17, v105, v106
	v_mul_i32_i24_e32 v104, v213, v88
	v_mul_i32_i24_e32 v105, v212, v89
	v_add3_u32 v18, v18, v102, v103
	v_bfe_i32 v94, v7, 0, 8
	v_bfe_i32 v96, v7, 8, 8
	v_mul_i32_i24_e32 v109, v199, v65
	v_mul_i32_i24_e32 v110, v198, v66
	v_add3_u32 v17, v17, v107, v108
	v_mul_i32_i24_e32 v106, v211, v92
	v_mul_i32_i24_e32 v107, v210, v93
	v_add3_u32 v18, v18, v104, v105
	v_bfe_i32 v97, v7, 16, 8
	v_ashrrev_i32_e32 v98, 24, v7
	v_add3_u32 v17, v17, v109, v110
	v_mul_i32_i24_e32 v108, v217, v94
	v_mul_i32_i24_e32 v109, v216, v96
	v_add3_u32 v18, v18, v106, v107
	v_mul_i32_i24_e32 v110, v215, v97
	v_mul_i32_i24_e32 v131, v214, v98
	v_mul_lo_u32 v17, v17, v222
	v_mul_i32_i24_e32 v63, v13, v63
	v_add3_u32 v18, v18, v108, v109
	v_mul_i32_i24_e32 v65, v48, v65
	v_mul_i32_i24_e32 v66, v12, v66
	v_perm_b32 v4, v4, v4, 0xc0c0302
	v_perm_b32 v5, v5, v5, 0xc030201
	v_add3_u32 v18, v18, v110, v131
	v_perm_b32 v2, v2, v2, 0xc030201
	v_perm_b32 v6, v6, v6, 0xc030201
	;; [unrolled: 1-line block ×4, first 2 shown]
	v_mad_co_u64_u32 v[17:18], null, v18, v218, v[17:18]
	v_mul_f32_e32 v18, v174, v19
	s_delay_alu instid0(VALU_DEP_2) | instskip(NEXT) | instid1(VALU_DEP_1)
	v_cvt_f32_i32_e32 v17, v17
	v_fmac_f32_e32 v37, v18, v17
	v_mul_i32_i24_e32 v17, v41, v20
	v_mul_i32_i24_e32 v18, v28, v22
	;; [unrolled: 1-line block ×5, first 2 shown]
	v_mad_i32_i24 v17, v255, v21, v17
	s_delay_alu instid0(VALU_DEP_1)
	v_add3_u32 v17, v17, v18, v22
	v_mul_i32_i24_e32 v18, v44, v24
	v_mul_i32_i24_e32 v22, v9, v29
	;; [unrolled: 1-line block ×6, first 2 shown]
	v_add3_u32 v17, v17, v18, v22
	v_mul_i32_i24_e32 v18, v55, v69
	v_mul_i32_i24_e32 v22, v15, v72
	;; [unrolled: 1-line block ×4, first 2 shown]
	v_add3_u32 v17, v17, v23, v29
	v_mul_i32_i24_e32 v23, v51, v74
	v_mad_i32_i24 v18, v14, v70, v18
	v_mul_i32_i24_e32 v29, v242, v86
	s_delay_alu instid0(VALU_DEP_4) | instskip(SKIP_1) | instid1(VALU_DEP_4)
	v_add3_u32 v17, v17, v40, v56
	v_mul_i32_i24_e32 v40, v241, v87
	v_add3_u32 v18, v18, v22, v23
	v_mul_i32_i24_e32 v22, v251, v75
	v_mul_i32_i24_e32 v23, v243, v77
	v_add3_u32 v17, v17, v58, v60
	v_mul_i32_i24_e32 v56, v248, v88
	v_mul_i32_i24_e32 v58, v247, v89
	;; [unrolled: 1-line block ×3, first 2 shown]
	v_add3_u32 v18, v18, v22, v23
	v_add3_u32 v17, v17, v61, v63
	v_mul_i32_i24_e32 v61, v245, v93
	v_mul_i32_i24_e32 v63, v253, v94
	s_delay_alu instid0(VALU_DEP_4) | instskip(NEXT) | instid1(VALU_DEP_4)
	v_add3_u32 v18, v18, v29, v40
	v_add3_u32 v17, v17, v65, v66
	v_mul_i32_i24_e32 v65, v252, v96
	v_mul_i32_i24_e32 v66, v250, v97
	s_delay_alu instid0(VALU_DEP_4) | instskip(NEXT) | instid1(VALU_DEP_4)
	v_add3_u32 v18, v18, v56, v58
	v_mul_lo_u32 v17, v17, v16
	s_delay_alu instid0(VALU_DEP_2) | instskip(NEXT) | instid1(VALU_DEP_1)
	v_add3_u32 v18, v18, v60, v61
	v_add3_u32 v18, v18, v63, v65
	s_delay_alu instid0(VALU_DEP_1) | instskip(NEXT) | instid1(VALU_DEP_1)
	v_add3_u32 v18, v18, v66, v72
	v_mad_co_u64_u32 v[17:18], null, v18, v254, v[17:18]
	v_mul_f32_e32 v18, v175, v19
	s_delay_alu instid0(VALU_DEP_2) | instskip(NEXT) | instid1(VALU_DEP_1)
	v_cvt_f32_i32_e32 v17, v17
	v_fmac_f32_e32 v36, v18, v17
	v_mul_i32_i24_e32 v17, v20, v177
	v_perm_b32 v18, v0, v0, 0xc0c0302
	s_delay_alu instid0(VALU_DEP_2) | instskip(NEXT) | instid1(VALU_DEP_1)
	v_mad_i32_i24 v17, v21, v178, v17
	v_dot4_i32_iu8 v0, v18, v221, v17 neg_lo:[1,1,0]
	v_perm_b32 v17, v1, v1, 0xc030201
	v_mul_i32_i24_e32 v1, v69, v238
	s_delay_alu instid0(VALU_DEP_3) | instskip(NEXT) | instid1(VALU_DEP_2)
	v_mad_i32_i24 v0, v24, v223, v0
	v_mad_i32_i24 v1, v70, v239, v1
	s_delay_alu instid0(VALU_DEP_2) | instskip(NEXT) | instid1(VALU_DEP_2)
	v_dot4_i32_iu8 v0, v17, v230, v0 neg_lo:[1,1,0]
	v_dot4_i32_iu8 v1, v4, v180, v1 neg_lo:[1,1,0]
	s_delay_alu instid0(VALU_DEP_2) | instskip(NEXT) | instid1(VALU_DEP_2)
	v_mad_i32_i24 v0, v57, v220, v0
	v_mad_i32_i24 v1, v75, v181, v1
	s_delay_alu instid0(VALU_DEP_2) | instskip(NEXT) | instid1(VALU_DEP_2)
	v_dot4_i32_iu8 v0, v2, v232, v0 neg_lo:[1,1,0]
	v_dot4_i32_iu8 v1, v5, v182, v1 neg_lo:[1,1,0]
	s_delay_alu instid0(VALU_DEP_2) | instskip(NEXT) | instid1(VALU_DEP_2)
	;; [unrolled: 6-line block ×3, first 2 shown]
	v_mul_lo_u32 v0, v0, v237
	v_mad_i32_i24 v1, v94, v176, v1
	s_delay_alu instid0(VALU_DEP_1) | instskip(NEXT) | instid1(VALU_DEP_1)
	v_dot4_i32_iu8 v1, v7, v184, v1 neg_lo:[1,1,0]
	v_mad_co_u64_u32 v[0:1], null, v1, v185, v[0:1]
	v_mul_f32_e32 v1, v171, v19
	s_delay_alu instid0(VALU_DEP_2) | instskip(NEXT) | instid1(VALU_DEP_1)
	v_cvt_f32_i32_e32 v0, v0
	v_fmac_f32_e32 v35, v1, v0
	v_mul_i32_i24_e32 v0, v20, v224
	v_mul_i32_i24_e32 v1, v69, v173
	s_delay_alu instid0(VALU_DEP_2) | instskip(NEXT) | instid1(VALU_DEP_2)
	v_mad_i32_i24 v0, v21, v225, v0
	v_mad_i32_i24 v1, v70, v172, v1
	s_delay_alu instid0(VALU_DEP_2) | instskip(NEXT) | instid1(VALU_DEP_2)
	v_dot4_i32_iu8 v0, v18, v227, v0 neg_lo:[1,1,0]
	v_dot4_i32_iu8 v1, v4, v170, v1 neg_lo:[1,1,0]
	s_delay_alu instid0(VALU_DEP_2) | instskip(NEXT) | instid1(VALU_DEP_2)
	v_mad_i32_i24 v0, v24, v229, v0
	v_mad_i32_i24 v1, v75, v169, v1
	s_delay_alu instid0(VALU_DEP_2) | instskip(NEXT) | instid1(VALU_DEP_2)
	v_dot4_i32_iu8 v0, v17, v231, v0 neg_lo:[1,1,0]
	v_dot4_i32_iu8 v1, v5, v168, v1 neg_lo:[1,1,0]
	;; [unrolled: 6-line block ×4, first 2 shown]
	s_delay_alu instid0(VALU_DEP_2) | instskip(NEXT) | instid1(VALU_DEP_1)
	v_mul_lo_u32 v0, v0, v236
	v_mad_co_u64_u32 v[0:1], null, v1, v163, v[0:1]
	v_mul_f32_e32 v1, v162, v19
	s_delay_alu instid0(VALU_DEP_2) | instskip(NEXT) | instid1(VALU_DEP_1)
	v_cvt_f32_i32_e32 v0, v0
	v_fmac_f32_e32 v34, v1, v0
	v_or_b32_e32 v0, s17, v122
	s_delay_alu instid0(VALU_DEP_1)
	v_lshlrev_b32_e32 v1, 2, v0
	v_lshrrev_b32_e32 v0, 1, v0
	ds_load_b32 v240, v0 offset:38816
	ds_load_b128 v[4:7], v1 offset:25344
	ds_load_b128 v[0:3], v1 offset:25360
	s_wait_dscnt 0x1
	v_bfe_i32 v20, v4, 0, 8
	v_bfe_i32 v21, v4, 8, 8
	;; [unrolled: 1-line block ×3, first 2 shown]
	v_ashrrev_i32_e32 v40, 24, v4
	v_bfe_i32 v22, v5, 0, 8
	v_mul_i32_i24_e32 v41, v41, v20
	v_bfe_i32 v63, v5, 8, 8
	v_mul_i32_i24_e32 v75, v187, v29
	v_mul_i32_i24_e32 v97, v188, v40
	;; [unrolled: 1-line block ×4, first 2 shown]
	v_mad_i32_i24 v40, v255, v21, v41
	v_bfe_i32 v70, v5, 16, 8
	v_ashrrev_i32_e32 v77, 24, v5
	v_mul_i32_i24_e32 v9, v9, v63
	v_bfe_i32 v23, v6, 0, 8
	v_add3_u32 v28, v40, v28, v29
	v_mul_i32_i24_e32 v29, v44, v22
	v_bfe_i32 v86, v6, 8, 8
	v_mul_i32_i24_e32 v40, v42, v70
	v_mul_i32_i24_e32 v8, v8, v77
	v_bfe_i32 v87, v6, 16, 8
	v_add3_u32 v9, v28, v29, v9
	v_ashrrev_i32_e32 v88, 24, v6
	s_wait_dscnt 0x0
	v_bfe_i32 v19, v0, 0, 8
	v_mul_i32_i24_e32 v41, v47, v23
	v_mul_i32_i24_e32 v11, v11, v86
	v_add3_u32 v8, v9, v40, v8
	v_bfe_i32 v24, v7, 0, 8
	v_bfe_i32 v89, v7, 8, 8
	;; [unrolled: 1-line block ×4, first 2 shown]
	v_ashrrev_i32_e32 v96, 24, v0
	v_mul_i32_i24_e32 v42, v45, v87
	v_mul_i32_i24_e32 v10, v10, v88
	v_add3_u32 v8, v8, v41, v11
	v_mul_i32_i24_e32 v9, v55, v19
	v_bfe_i32 v92, v7, 16, 8
	v_ashrrev_i32_e32 v93, 24, v7
	v_bfe_i32 v17, v1, 0, 8
	v_bfe_i32 v57, v1, 8, 8
	v_mul_i32_i24_e32 v44, v50, v24
	v_mul_i32_i24_e32 v13, v13, v89
	v_add3_u32 v8, v8, v42, v10
	v_mul_i32_i24_e32 v10, v15, v94
	v_mul_i32_i24_e32 v11, v51, v96
	v_mad_i32_i24 v9, v14, v18, v9
	v_bfe_i32 v58, v1, 16, 8
	v_ashrrev_i32_e32 v60, 24, v1
	v_mul_i32_i24_e32 v45, v48, v92
	v_mul_i32_i24_e32 v12, v12, v93
	v_add3_u32 v8, v8, v44, v13
	v_add3_u32 v9, v9, v10, v11
	v_mul_i32_i24_e32 v10, v251, v17
	v_mul_i32_i24_e32 v11, v243, v57
	v_bfe_i32 v56, v2, 0, 8
	v_bfe_i32 v61, v2, 8, 8
	v_add3_u32 v8, v8, v45, v12
	v_mul_i32_i24_e32 v12, v242, v58
	v_mul_i32_i24_e32 v13, v241, v60
	v_add3_u32 v9, v9, v10, v11
	v_bfe_i32 v62, v2, 16, 8
	v_ashrrev_i32_e32 v65, 24, v2
	v_mul_i32_i24_e32 v14, v248, v56
	v_mul_i32_i24_e32 v15, v247, v61
	v_add3_u32 v9, v9, v12, v13
	v_bfe_i32 v244, v3, 0, 8
	v_bfe_i32 v66, v3, 8, 8
	v_mul_lo_u32 v8, v8, v16
	v_mul_i32_i24_e32 v16, v246, v62
	v_mul_i32_i24_e32 v28, v245, v65
	v_add3_u32 v9, v9, v14, v15
	v_bfe_i32 v69, v3, 16, 8
	v_ashrrev_i32_e32 v72, 24, v3
	v_mul_i32_i24_e32 v29, v253, v244
	v_mul_i32_i24_e32 v40, v252, v66
	v_add3_u32 v9, v9, v16, v28
	v_mul_i32_i24_e32 v41, v250, v69
	v_mul_i32_i24_e32 v42, v249, v72
	v_perm_b32 v10, v6, v6, 0xc030201
	v_perm_b32 v11, v7, v7, 0xc030201
	v_add3_u32 v9, v9, v29, v40
	v_perm_b32 v2, v2, v2, 0xc030201
	v_mul_i32_i24_e32 v74, v186, v20
	v_mul_i32_i24_e32 v98, v191, v70
	;; [unrolled: 1-line block ×3, first 2 shown]
	v_add3_u32 v9, v9, v41, v42
	v_mul_i32_i24_e32 v101, v197, v23
	v_mad_i32_i24 v74, v189, v21, v74
	v_mul_i32_i24_e32 v102, v196, v86
	v_mul_i32_i24_e32 v103, v195, v87
	v_mad_co_u64_u32 v[8:9], null, v9, v254, v[8:9]
	v_mul_f32_e32 v9, v175, v240
	v_add3_u32 v74, v74, v75, v97
	v_mul_i32_i24_e32 v75, v193, v22
	v_mul_i32_i24_e32 v97, v192, v63
	;; [unrolled: 1-line block ×4, first 2 shown]
	v_cvt_f32_i32_e32 v8, v8
	v_mul_i32_i24_e32 v106, v200, v89
	v_add3_u32 v74, v74, v75, v97
	v_mul_i32_i24_e32 v75, v202, v19
	v_mul_i32_i24_e32 v97, v203, v94
	v_fmac_f32_e32 v31, v9, v8
	v_mul_i32_i24_e32 v8, v20, v177
	v_perm_b32 v9, v4, v4, 0xc0c0302
	v_add3_u32 v74, v74, v98, v100
	v_mul_i32_i24_e32 v98, v204, v96
	v_mad_i32_i24 v75, v205, v18, v75
	v_mad_i32_i24 v8, v21, v178, v8
	v_mul_i32_i24_e32 v100, v207, v58
	v_add3_u32 v74, v74, v101, v102
	v_mul_i32_i24_e32 v101, v206, v60
	v_add3_u32 v75, v75, v97, v98
	v_dot4_i32_iu8 v4, v9, v221, v8 neg_lo:[1,1,0]
	v_perm_b32 v8, v5, v5, 0xc030201
	v_perm_b32 v5, v0, v0, 0xc0c0302
	v_mul_i32_i24_e32 v97, v209, v17
	v_mul_i32_i24_e32 v98, v208, v57
	v_mad_i32_i24 v4, v22, v223, v4
	v_add3_u32 v74, v74, v103, v104
	v_mul_i32_i24_e32 v102, v213, v56
	v_mul_i32_i24_e32 v103, v212, v61
	v_add3_u32 v75, v75, v97, v98
	v_dot4_i32_iu8 v4, v8, v230, v4 neg_lo:[1,1,0]
	v_mul_i32_i24_e32 v107, v199, v92
	v_mul_i32_i24_e32 v108, v198, v93
	v_add3_u32 v74, v74, v105, v106
	v_add3_u32 v75, v75, v100, v101
	v_mad_i32_i24 v4, v23, v220, v4
	v_mul_i32_i24_e32 v104, v211, v62
	v_mul_i32_i24_e32 v105, v210, v65
	v_add3_u32 v74, v74, v107, v108
	v_add3_u32 v75, v75, v102, v103
	v_dot4_i32_iu8 v4, v10, v232, v4 neg_lo:[1,1,0]
	v_mul_i32_i24_e32 v106, v217, v244
	v_mul_i32_i24_e32 v107, v216, v66
	;; [unrolled: 1-line block ×3, first 2 shown]
	v_add3_u32 v75, v75, v104, v105
	v_mad_i32_i24 v4, v24, v219, v4
	v_mul_i32_i24_e32 v109, v214, v72
	v_mul_lo_u32 v74, v74, v222
	s_delay_alu instid0(VALU_DEP_4) | instskip(NEXT) | instid1(VALU_DEP_4)
	v_add3_u32 v75, v75, v106, v107
	v_dot4_i32_iu8 v4, v11, v235, v4 neg_lo:[1,1,0]
	s_delay_alu instid0(VALU_DEP_2) | instskip(NEXT) | instid1(VALU_DEP_2)
	v_add3_u32 v75, v75, v108, v109
	v_mul_lo_u32 v6, v4, v237
	v_mul_i32_i24_e32 v4, v19, v238
	s_delay_alu instid0(VALU_DEP_3) | instskip(NEXT) | instid1(VALU_DEP_2)
	v_mad_co_u64_u32 v[74:75], null, v75, v218, v[74:75]
	v_mad_i32_i24 v4, v18, v239, v4
	v_mul_f32_e32 v75, v174, v240
	s_delay_alu instid0(VALU_DEP_2) | instskip(SKIP_3) | instid1(VALU_DEP_4)
	v_dot4_i32_iu8 v0, v5, v180, v4 neg_lo:[1,1,0]
	v_perm_b32 v4, v1, v1, 0xc030201
	v_perm_b32 v1, v3, v3, 0xc030201
	v_cvt_f32_i32_e32 v74, v74
	v_mad_i32_i24 v0, v17, v181, v0
	s_delay_alu instid0(VALU_DEP_2) | instskip(NEXT) | instid1(VALU_DEP_2)
	v_fmac_f32_e32 v32, v75, v74
	v_dot4_i32_iu8 v0, v4, v182, v0 neg_lo:[1,1,0]
	s_delay_alu instid0(VALU_DEP_1) | instskip(NEXT) | instid1(VALU_DEP_1)
	v_mad_i32_i24 v0, v56, v179, v0
	v_dot4_i32_iu8 v0, v2, v183, v0 neg_lo:[1,1,0]
	s_delay_alu instid0(VALU_DEP_1) | instskip(NEXT) | instid1(VALU_DEP_1)
	v_mad_i32_i24 v0, v244, v176, v0
	v_dot4_i32_iu8 v0, v1, v184, v0 neg_lo:[1,1,0]
	s_delay_alu instid0(VALU_DEP_1) | instskip(SKIP_1) | instid1(VALU_DEP_2)
	v_mad_co_u64_u32 v[6:7], null, v0, v185, v[6:7]
	v_mul_f32_e32 v0, v171, v240
	v_cvt_f32_i32_e32 v3, v6
	s_delay_alu instid0(VALU_DEP_1) | instskip(SKIP_2) | instid1(VALU_DEP_2)
	v_fmac_f32_e32 v30, v0, v3
	v_mul_i32_i24_e32 v0, v20, v224
	v_mul_i32_i24_e32 v3, v19, v173
	v_mad_i32_i24 v0, v21, v225, v0
	s_delay_alu instid0(VALU_DEP_2) | instskip(NEXT) | instid1(VALU_DEP_2)
	v_mad_i32_i24 v3, v18, v172, v3
	v_dot4_i32_iu8 v0, v9, v227, v0 neg_lo:[1,1,0]
	s_delay_alu instid0(VALU_DEP_2) | instskip(NEXT) | instid1(VALU_DEP_2)
	v_dot4_i32_iu8 v3, v5, v170, v3 neg_lo:[1,1,0]
	v_mad_i32_i24 v0, v22, v229, v0
	s_delay_alu instid0(VALU_DEP_2) | instskip(NEXT) | instid1(VALU_DEP_2)
	v_mad_i32_i24 v3, v17, v169, v3
	v_dot4_i32_iu8 v0, v8, v231, v0 neg_lo:[1,1,0]
	s_delay_alu instid0(VALU_DEP_2) | instskip(NEXT) | instid1(VALU_DEP_2)
	v_dot4_i32_iu8 v3, v4, v168, v3 neg_lo:[1,1,0]
	v_mad_i32_i24 v0, v23, v228, v0
	s_delay_alu instid0(VALU_DEP_2) | instskip(NEXT) | instid1(VALU_DEP_2)
	v_mad_i32_i24 v3, v56, v167, v3
	v_dot4_i32_iu8 v0, v10, v233, v0 neg_lo:[1,1,0]
	s_delay_alu instid0(VALU_DEP_2) | instskip(NEXT) | instid1(VALU_DEP_2)
	v_dot4_i32_iu8 v2, v2, v166, v3 neg_lo:[1,1,0]
	v_mad_i32_i24 v0, v24, v226, v0
	s_delay_alu instid0(VALU_DEP_2) | instskip(NEXT) | instid1(VALU_DEP_2)
	v_mad_i32_i24 v2, v244, v165, v2
	v_dot4_i32_iu8 v0, v11, v234, v0 neg_lo:[1,1,0]
	s_delay_alu instid0(VALU_DEP_2) | instskip(NEXT) | instid1(VALU_DEP_2)
	v_dot4_i32_iu8 v1, v1, v164, v2 neg_lo:[1,1,0]
	v_mul_lo_u32 v0, v0, v236
	s_delay_alu instid0(VALU_DEP_1) | instskip(SKIP_1) | instid1(VALU_DEP_2)
	v_mad_co_u64_u32 v[0:1], null, v1, v163, v[0:1]
	v_mul_f32_e32 v1, v162, v240
	v_cvt_f32_i32_e32 v0, v0
	s_delay_alu instid0(VALU_DEP_1)
	v_fmac_f32_e32 v27, v1, v0
	s_cbranch_scc1 .LBB130_12
; %bb.13:                               ;   in Loop: Header=BB130_8 Depth=2
	s_wait_loadcnt 0x0
	s_barrier_signal -1
	s_barrier_wait -1
	global_inv scope:SCOPE_SE
	scratch_load_b32 v104, off, off offset:36 ; 4-byte Folded Reload
	v_dual_mov_b32 v105, v145 :: v_dual_mov_b32 v106, v146
	v_mov_b32_e32 v145, v151
	v_dual_mov_b32 v29, v158 :: v_dual_mov_b32 v158, v144
	scratch_load_b32 v144, off, off offset:32 ; 4-byte Folded Reload
	s_cmp_eq_u32 s10, 4
	v_dual_mov_b32 v107, v147 :: v_dual_mov_b32 v108, v148
	s_cselect_b32 s11, -1, 0
	v_dual_mov_b32 v109, v149 :: v_dual_mov_b32 v110, v150
	s_wait_alu 0xfffe
	s_and_b32 vcc_lo, exec_lo, s11
	s_wait_alu 0xfffe
	s_cbranch_vccz .LBB130_8
	s_branch .LBB130_5
.LBB130_14:
	s_clause 0x1
	scratch_load_b32 v1, off, off offset:372 th:TH_LOAD_LU
	scratch_load_b32 v3, off, off offset:376
	s_wait_loadcnt 0x3
	v_mov_b32_e32 v2, v104
.LBB130_15:
	s_mov_b32 s0, exec_lo
	s_wait_loadcnt 0x0
	v_cmpx_gt_u32_e64 s6, v3
	s_cbranch_execz .LBB130_66
; %bb.16:
	v_add_nc_u32_e32 v0, s14, v2
	v_mul_lo_u32 v5, v3, s12
	s_delay_alu instid0(VALU_DEP_2)
	v_cmp_gt_u32_e32 vcc_lo, s12, v0
	s_and_saveexec_b32 s1, vcc_lo
	s_cbranch_execz .LBB130_18
; %bb.17:
	s_delay_alu instid0(VALU_DEP_2) | instskip(NEXT) | instid1(VALU_DEP_1)
	v_dual_mov_b32 v3, 0 :: v_dual_add_nc_u32 v2, v0, v5
	v_lshlrev_b64_e32 v[2:3], 2, v[2:3]
	s_wait_kmcnt 0x0
	s_delay_alu instid0(VALU_DEP_1) | instskip(NEXT) | instid1(VALU_DEP_1)
	v_add_co_u32 v2, s0, s8, v2
	v_add_co_ci_u32_e64 v3, null, s9, v3, s0
	global_store_b32 v[2:3], v33, off
.LBB130_18:
	s_or_b32 exec_lo, exec_lo, s1
	v_add_nc_u32_e32 v2, 32, v0
	s_delay_alu instid0(VALU_DEP_1)
	v_cmp_gt_u32_e64 s0, s12, v2
	s_and_saveexec_b32 s2, s0
	s_cbranch_execz .LBB130_20
; %bb.19:
	v_dual_mov_b32 v4, 0 :: v_dual_add_nc_u32 v3, v2, v5
	s_delay_alu instid0(VALU_DEP_1) | instskip(SKIP_1) | instid1(VALU_DEP_1)
	v_lshlrev_b64_e32 v[3:4], 2, v[3:4]
	s_wait_kmcnt 0x0
	v_add_co_u32 v3, s1, s8, v3
	s_wait_alu 0xf1ff
	s_delay_alu instid0(VALU_DEP_2)
	v_add_co_ci_u32_e64 v4, null, s9, v4, s1
	global_store_b32 v[3:4], v99, off
.LBB130_20:
	s_wait_alu 0xfffe
	s_or_b32 exec_lo, exec_lo, s2
	v_add_nc_u32_e32 v3, 64, v0
	s_delay_alu instid0(VALU_DEP_1)
	v_cmp_gt_u32_e64 s1, s12, v3
	s_and_saveexec_b32 s3, s1
	s_cbranch_execz .LBB130_22
; %bb.21:
	v_dual_mov_b32 v7, 0 :: v_dual_add_nc_u32 v6, v3, v5
	s_delay_alu instid0(VALU_DEP_1) | instskip(SKIP_1) | instid1(VALU_DEP_1)
	v_lshlrev_b64_e32 v[6:7], 2, v[6:7]
	s_wait_kmcnt 0x0
	v_add_co_u32 v6, s2, s8, v6
	s_wait_alu 0xf1ff
	s_delay_alu instid0(VALU_DEP_2)
	v_add_co_ci_u32_e64 v7, null, s9, v7, s2
	global_store_b32 v[6:7], v95, off
.LBB130_22:
	s_wait_alu 0xfffe
	;; [unrolled: 18-line block ×3, first 2 shown]
	s_or_b32 exec_lo, exec_lo, s4
	v_add3_u32 v5, v1, s13, 8
	s_delay_alu instid0(VALU_DEP_1)
	v_cmp_gt_u32_e64 s3, s6, v5
	s_and_b32 exec_lo, exec_lo, s3
	s_cbranch_execz .LBB130_66
; %bb.25:
	v_mul_lo_u32 v5, v5, s12
	s_and_saveexec_b32 s4, vcc_lo
	s_cbranch_execnz .LBB130_67
; %bb.26:
	s_wait_alu 0xfffe
	s_or_b32 exec_lo, exec_lo, s4
	s_and_saveexec_b32 s4, s0
	s_cbranch_execnz .LBB130_68
.LBB130_27:
	s_wait_alu 0xfffe
	s_or_b32 exec_lo, exec_lo, s4
	s_and_saveexec_b32 s4, s1
	s_cbranch_execnz .LBB130_69
.LBB130_28:
	s_wait_alu 0xfffe
	s_or_b32 exec_lo, exec_lo, s4
	s_and_saveexec_b32 s4, s2
	s_cbranch_execz .LBB130_30
.LBB130_29:
	v_dual_mov_b32 v6, 0 :: v_dual_add_nc_u32 v5, v5, v4
	s_delay_alu instid0(VALU_DEP_1) | instskip(SKIP_1) | instid1(VALU_DEP_1)
	v_lshlrev_b64_e32 v[5:6], 2, v[5:6]
	s_wait_kmcnt 0x0
	v_add_co_u32 v5, s3, s8, v5
	s_wait_alu 0xf1ff
	s_delay_alu instid0(VALU_DEP_2)
	v_add_co_ci_u32_e64 v6, null, s9, v6, s3
	global_store_b32 v[5:6], v82, off
.LBB130_30:
	s_wait_alu 0xfffe
	s_or_b32 exec_lo, exec_lo, s4
	v_add3_u32 v5, v1, s13, 16
	s_delay_alu instid0(VALU_DEP_1)
	v_cmp_gt_u32_e64 s3, s6, v5
	s_and_b32 exec_lo, exec_lo, s3
	s_cbranch_execz .LBB130_66
; %bb.31:
	v_mul_lo_u32 v5, v5, s12
	s_and_saveexec_b32 s4, vcc_lo
	s_cbranch_execnz .LBB130_70
; %bb.32:
	s_wait_alu 0xfffe
	s_or_b32 exec_lo, exec_lo, s4
	s_and_saveexec_b32 s4, s0
	s_cbranch_execnz .LBB130_71
.LBB130_33:
	s_wait_alu 0xfffe
	s_or_b32 exec_lo, exec_lo, s4
	s_and_saveexec_b32 s4, s1
	s_cbranch_execnz .LBB130_72
.LBB130_34:
	s_wait_alu 0xfffe
	s_or_b32 exec_lo, exec_lo, s4
	s_and_saveexec_b32 s4, s2
	s_cbranch_execz .LBB130_36
.LBB130_35:
	v_dual_mov_b32 v6, 0 :: v_dual_add_nc_u32 v5, v5, v4
	s_delay_alu instid0(VALU_DEP_1) | instskip(SKIP_1) | instid1(VALU_DEP_1)
	v_lshlrev_b64_e32 v[5:6], 2, v[5:6]
	s_wait_kmcnt 0x0
	v_add_co_u32 v5, s3, s8, v5
	s_wait_alu 0xf1ff
	s_delay_alu instid0(VALU_DEP_2)
	v_add_co_ci_u32_e64 v6, null, s9, v6, s3
	global_store_b32 v[5:6], v78, off
.LBB130_36:
	s_wait_alu 0xfffe
	s_or_b32 exec_lo, exec_lo, s4
	v_add3_u32 v5, v1, s13, 24
	s_delay_alu instid0(VALU_DEP_1)
	v_cmp_gt_u32_e64 s3, s6, v5
	s_and_b32 exec_lo, exec_lo, s3
	s_cbranch_execz .LBB130_66
; %bb.37:
	v_mul_lo_u32 v5, v5, s12
	s_and_saveexec_b32 s4, vcc_lo
	s_cbranch_execnz .LBB130_73
; %bb.38:
	s_wait_alu 0xfffe
	s_or_b32 exec_lo, exec_lo, s4
	s_and_saveexec_b32 s4, s0
	s_cbranch_execnz .LBB130_74
.LBB130_39:
	s_wait_alu 0xfffe
	s_or_b32 exec_lo, exec_lo, s4
	s_and_saveexec_b32 s4, s1
	s_cbranch_execnz .LBB130_75
.LBB130_40:
	s_wait_alu 0xfffe
	s_or_b32 exec_lo, exec_lo, s4
	s_and_saveexec_b32 s4, s2
	s_cbranch_execz .LBB130_42
.LBB130_41:
	v_dual_mov_b32 v6, 0 :: v_dual_add_nc_u32 v5, v5, v4
	s_delay_alu instid0(VALU_DEP_1) | instskip(SKIP_1) | instid1(VALU_DEP_1)
	v_lshlrev_b64_e32 v[5:6], 2, v[5:6]
	s_wait_kmcnt 0x0
	v_add_co_u32 v5, s3, s8, v5
	s_wait_alu 0xf1ff
	s_delay_alu instid0(VALU_DEP_2)
	v_add_co_ci_u32_e64 v6, null, s9, v6, s3
	global_store_b32 v[5:6], v67, off
.LBB130_42:
	s_wait_alu 0xfffe
	s_or_b32 exec_lo, exec_lo, s4
	v_add3_u32 v5, v1, s13, 32
	s_delay_alu instid0(VALU_DEP_1)
	v_cmp_gt_u32_e64 s3, s6, v5
	s_and_b32 exec_lo, exec_lo, s3
	s_cbranch_execz .LBB130_66
; %bb.43:
	v_mul_lo_u32 v5, v5, s12
	s_and_saveexec_b32 s4, vcc_lo
	s_cbranch_execnz .LBB130_76
; %bb.44:
	s_wait_alu 0xfffe
	s_or_b32 exec_lo, exec_lo, s4
	s_and_saveexec_b32 s4, s0
	s_cbranch_execnz .LBB130_77
.LBB130_45:
	s_wait_alu 0xfffe
	s_or_b32 exec_lo, exec_lo, s4
	s_and_saveexec_b32 s4, s1
	s_cbranch_execnz .LBB130_78
.LBB130_46:
	s_wait_alu 0xfffe
	s_or_b32 exec_lo, exec_lo, s4
	s_and_saveexec_b32 s4, s2
	s_cbranch_execz .LBB130_48
.LBB130_47:
	v_dual_mov_b32 v6, 0 :: v_dual_add_nc_u32 v5, v5, v4
	s_delay_alu instid0(VALU_DEP_1) | instskip(SKIP_1) | instid1(VALU_DEP_1)
	v_lshlrev_b64_e32 v[5:6], 2, v[5:6]
	s_wait_kmcnt 0x0
	v_add_co_u32 v5, s3, s8, v5
	s_wait_alu 0xf1ff
	s_delay_alu instid0(VALU_DEP_2)
	v_add_co_ci_u32_e64 v6, null, s9, v6, s3
	global_store_b32 v[5:6], v52, off
.LBB130_48:
	s_wait_alu 0xfffe
	s_or_b32 exec_lo, exec_lo, s4
	v_add3_u32 v5, v1, s13, 40
	s_delay_alu instid0(VALU_DEP_1)
	v_cmp_gt_u32_e64 s3, s6, v5
	s_and_b32 exec_lo, exec_lo, s3
	s_cbranch_execz .LBB130_66
; %bb.49:
	v_mul_lo_u32 v5, v5, s12
	s_and_saveexec_b32 s4, vcc_lo
	s_cbranch_execnz .LBB130_79
; %bb.50:
	s_wait_alu 0xfffe
	s_or_b32 exec_lo, exec_lo, s4
	s_and_saveexec_b32 s4, s0
	s_cbranch_execnz .LBB130_80
.LBB130_51:
	s_wait_alu 0xfffe
	s_or_b32 exec_lo, exec_lo, s4
	s_and_saveexec_b32 s4, s1
	s_cbranch_execnz .LBB130_81
.LBB130_52:
	s_wait_alu 0xfffe
	s_or_b32 exec_lo, exec_lo, s4
	s_and_saveexec_b32 s4, s2
	s_cbranch_execz .LBB130_54
.LBB130_53:
	v_dual_mov_b32 v6, 0 :: v_dual_add_nc_u32 v5, v5, v4
	s_delay_alu instid0(VALU_DEP_1) | instskip(SKIP_1) | instid1(VALU_DEP_1)
	v_lshlrev_b64_e32 v[5:6], 2, v[5:6]
	s_wait_kmcnt 0x0
	v_add_co_u32 v5, s3, s8, v5
	s_wait_alu 0xf1ff
	s_delay_alu instid0(VALU_DEP_2)
	v_add_co_ci_u32_e64 v6, null, s9, v6, s3
	global_store_b32 v[5:6], v39, off
.LBB130_54:
	s_wait_alu 0xfffe
	s_or_b32 exec_lo, exec_lo, s4
	v_add3_u32 v5, v1, s13, 48
	s_delay_alu instid0(VALU_DEP_1)
	v_cmp_gt_u32_e64 s3, s6, v5
	s_and_b32 exec_lo, exec_lo, s3
	s_cbranch_execz .LBB130_66
; %bb.55:
	v_mul_lo_u32 v5, v5, s12
	s_and_saveexec_b32 s4, vcc_lo
	s_cbranch_execnz .LBB130_82
; %bb.56:
	s_wait_alu 0xfffe
	s_or_b32 exec_lo, exec_lo, s4
	s_and_saveexec_b32 s4, s0
	s_cbranch_execnz .LBB130_83
.LBB130_57:
	s_wait_alu 0xfffe
	s_or_b32 exec_lo, exec_lo, s4
	s_and_saveexec_b32 s4, s1
	s_cbranch_execnz .LBB130_84
.LBB130_58:
	s_wait_alu 0xfffe
	s_or_b32 exec_lo, exec_lo, s4
	s_and_saveexec_b32 s4, s2
	s_cbranch_execz .LBB130_60
.LBB130_59:
	v_dual_mov_b32 v6, 0 :: v_dual_add_nc_u32 v5, v5, v4
	s_delay_alu instid0(VALU_DEP_1) | instskip(SKIP_1) | instid1(VALU_DEP_1)
	v_lshlrev_b64_e32 v[5:6], 2, v[5:6]
	s_wait_kmcnt 0x0
	v_add_co_u32 v5, s3, s8, v5
	s_wait_alu 0xf1ff
	s_delay_alu instid0(VALU_DEP_2)
	v_add_co_ci_u32_e64 v6, null, s9, v6, s3
	global_store_b32 v[5:6], v34, off
.LBB130_60:
	s_wait_alu 0xfffe
	s_or_b32 exec_lo, exec_lo, s4
	v_add3_u32 v1, v1, s13, 56
	s_delay_alu instid0(VALU_DEP_1)
	v_cmp_gt_u32_e64 s3, s6, v1
	s_and_b32 exec_lo, exec_lo, s3
	s_cbranch_execz .LBB130_66
; %bb.61:
	v_mul_lo_u32 v1, v1, s12
	s_and_saveexec_b32 s3, vcc_lo
	s_cbranch_execnz .LBB130_85
; %bb.62:
	s_wait_alu 0xfffe
	s_or_b32 exec_lo, exec_lo, s3
	s_and_saveexec_b32 s3, s0
	s_cbranch_execnz .LBB130_86
.LBB130_63:
	s_wait_alu 0xfffe
	s_or_b32 exec_lo, exec_lo, s3
	s_and_saveexec_b32 s0, s1
	s_cbranch_execnz .LBB130_87
.LBB130_64:
	s_wait_alu 0xfffe
	s_or_b32 exec_lo, exec_lo, s0
	s_delay_alu instid0(SALU_CYCLE_1)
	s_and_b32 exec_lo, exec_lo, s2
	s_cbranch_execz .LBB130_66
.LBB130_65:
	v_dual_mov_b32 v1, 0 :: v_dual_add_nc_u32 v0, v1, v4
	s_delay_alu instid0(VALU_DEP_1) | instskip(SKIP_1) | instid1(VALU_DEP_1)
	v_lshlrev_b64_e32 v[0:1], 2, v[0:1]
	s_wait_kmcnt 0x0
	v_add_co_u32 v0, vcc_lo, s8, v0
	s_wait_alu 0xfffd
	s_delay_alu instid0(VALU_DEP_2)
	v_add_co_ci_u32_e64 v1, null, s9, v1, vcc_lo
	global_store_b32 v[0:1], v27, off
.LBB130_66:
	s_nop 0
	s_sendmsg sendmsg(MSG_DEALLOC_VGPRS)
	s_endpgm
.LBB130_67:
	s_delay_alu instid0(VALU_DEP_1) | instskip(NEXT) | instid1(VALU_DEP_1)
	v_dual_mov_b32 v7, 0 :: v_dual_add_nc_u32 v6, v5, v0
	v_lshlrev_b64_e32 v[6:7], 2, v[6:7]
	s_wait_kmcnt 0x0
	s_delay_alu instid0(VALU_DEP_1) | instskip(SKIP_1) | instid1(VALU_DEP_2)
	v_add_co_u32 v6, s3, s8, v6
	s_wait_alu 0xf1ff
	v_add_co_ci_u32_e64 v7, null, s9, v7, s3
	global_store_b32 v[6:7], v85, off
	s_wait_alu 0xfffe
	s_or_b32 exec_lo, exec_lo, s4
	s_and_saveexec_b32 s4, s0
	s_cbranch_execz .LBB130_27
.LBB130_68:
	s_delay_alu instid0(VALU_DEP_1) | instskip(NEXT) | instid1(VALU_DEP_1)
	v_dual_mov_b32 v7, 0 :: v_dual_add_nc_u32 v6, v5, v2
	v_lshlrev_b64_e32 v[6:7], 2, v[6:7]
	s_wait_kmcnt 0x0
	s_delay_alu instid0(VALU_DEP_1) | instskip(SKIP_1) | instid1(VALU_DEP_2)
	v_add_co_u32 v6, s3, s8, v6
	s_wait_alu 0xf1ff
	v_add_co_ci_u32_e64 v7, null, s9, v7, s3
	global_store_b32 v[6:7], v84, off
	s_wait_alu 0xfffe
	s_or_b32 exec_lo, exec_lo, s4
	s_and_saveexec_b32 s4, s1
	s_cbranch_execz .LBB130_28
.LBB130_69:
	v_dual_mov_b32 v7, 0 :: v_dual_add_nc_u32 v6, v5, v3
	s_delay_alu instid0(VALU_DEP_1) | instskip(SKIP_1) | instid1(VALU_DEP_1)
	v_lshlrev_b64_e32 v[6:7], 2, v[6:7]
	s_wait_kmcnt 0x0
	v_add_co_u32 v6, s3, s8, v6
	s_wait_alu 0xf1ff
	s_delay_alu instid0(VALU_DEP_2)
	v_add_co_ci_u32_e64 v7, null, s9, v7, s3
	global_store_b32 v[6:7], v83, off
	s_wait_alu 0xfffe
	s_or_b32 exec_lo, exec_lo, s4
	s_and_saveexec_b32 s4, s2
	s_cbranch_execnz .LBB130_29
	s_branch .LBB130_30
.LBB130_70:
	s_delay_alu instid0(VALU_DEP_1) | instskip(NEXT) | instid1(VALU_DEP_1)
	v_dual_mov_b32 v7, 0 :: v_dual_add_nc_u32 v6, v5, v0
	v_lshlrev_b64_e32 v[6:7], 2, v[6:7]
	s_wait_kmcnt 0x0
	s_delay_alu instid0(VALU_DEP_1) | instskip(SKIP_1) | instid1(VALU_DEP_2)
	v_add_co_u32 v6, s3, s8, v6
	s_wait_alu 0xf1ff
	v_add_co_ci_u32_e64 v7, null, s9, v7, s3
	global_store_b32 v[6:7], v81, off
	s_wait_alu 0xfffe
	s_or_b32 exec_lo, exec_lo, s4
	s_and_saveexec_b32 s4, s0
	s_cbranch_execz .LBB130_33
.LBB130_71:
	s_delay_alu instid0(VALU_DEP_1) | instskip(NEXT) | instid1(VALU_DEP_1)
	v_dual_mov_b32 v7, 0 :: v_dual_add_nc_u32 v6, v5, v2
	v_lshlrev_b64_e32 v[6:7], 2, v[6:7]
	s_wait_kmcnt 0x0
	s_delay_alu instid0(VALU_DEP_1) | instskip(SKIP_1) | instid1(VALU_DEP_2)
	v_add_co_u32 v6, s3, s8, v6
	s_wait_alu 0xf1ff
	v_add_co_ci_u32_e64 v7, null, s9, v7, s3
	global_store_b32 v[6:7], v80, off
	s_wait_alu 0xfffe
	s_or_b32 exec_lo, exec_lo, s4
	s_and_saveexec_b32 s4, s1
	s_cbranch_execz .LBB130_34
.LBB130_72:
	v_dual_mov_b32 v7, 0 :: v_dual_add_nc_u32 v6, v5, v3
	s_delay_alu instid0(VALU_DEP_1) | instskip(SKIP_1) | instid1(VALU_DEP_1)
	v_lshlrev_b64_e32 v[6:7], 2, v[6:7]
	s_wait_kmcnt 0x0
	v_add_co_u32 v6, s3, s8, v6
	s_wait_alu 0xf1ff
	s_delay_alu instid0(VALU_DEP_2)
	v_add_co_ci_u32_e64 v7, null, s9, v7, s3
	global_store_b32 v[6:7], v79, off
	s_wait_alu 0xfffe
	s_or_b32 exec_lo, exec_lo, s4
	s_and_saveexec_b32 s4, s2
	s_cbranch_execnz .LBB130_35
	s_branch .LBB130_36
.LBB130_73:
	s_delay_alu instid0(VALU_DEP_1) | instskip(NEXT) | instid1(VALU_DEP_1)
	v_dual_mov_b32 v7, 0 :: v_dual_add_nc_u32 v6, v5, v0
	v_lshlrev_b64_e32 v[6:7], 2, v[6:7]
	s_wait_kmcnt 0x0
	s_delay_alu instid0(VALU_DEP_1) | instskip(SKIP_1) | instid1(VALU_DEP_2)
	v_add_co_u32 v6, s3, s8, v6
	s_wait_alu 0xf1ff
	v_add_co_ci_u32_e64 v7, null, s9, v7, s3
	global_store_b32 v[6:7], v76, off
	s_wait_alu 0xfffe
	s_or_b32 exec_lo, exec_lo, s4
	s_and_saveexec_b32 s4, s0
	s_cbranch_execz .LBB130_39
.LBB130_74:
	s_delay_alu instid0(VALU_DEP_1) | instskip(NEXT) | instid1(VALU_DEP_1)
	v_dual_mov_b32 v7, 0 :: v_dual_add_nc_u32 v6, v5, v2
	v_lshlrev_b64_e32 v[6:7], 2, v[6:7]
	s_wait_kmcnt 0x0
	s_delay_alu instid0(VALU_DEP_1) | instskip(SKIP_1) | instid1(VALU_DEP_2)
	v_add_co_u32 v6, s3, s8, v6
	s_wait_alu 0xf1ff
	v_add_co_ci_u32_e64 v7, null, s9, v7, s3
	global_store_b32 v[6:7], v73, off
	s_wait_alu 0xfffe
	s_or_b32 exec_lo, exec_lo, s4
	s_and_saveexec_b32 s4, s1
	s_cbranch_execz .LBB130_40
.LBB130_75:
	v_dual_mov_b32 v7, 0 :: v_dual_add_nc_u32 v6, v5, v3
	s_delay_alu instid0(VALU_DEP_1) | instskip(SKIP_1) | instid1(VALU_DEP_1)
	v_lshlrev_b64_e32 v[6:7], 2, v[6:7]
	s_wait_kmcnt 0x0
	v_add_co_u32 v6, s3, s8, v6
	s_wait_alu 0xf1ff
	s_delay_alu instid0(VALU_DEP_2)
	v_add_co_ci_u32_e64 v7, null, s9, v7, s3
	global_store_b32 v[6:7], v71, off
	s_wait_alu 0xfffe
	s_or_b32 exec_lo, exec_lo, s4
	s_and_saveexec_b32 s4, s2
	s_cbranch_execnz .LBB130_41
	s_branch .LBB130_42
.LBB130_76:
	s_delay_alu instid0(VALU_DEP_1) | instskip(NEXT) | instid1(VALU_DEP_1)
	v_dual_mov_b32 v7, 0 :: v_dual_add_nc_u32 v6, v5, v0
	v_lshlrev_b64_e32 v[6:7], 2, v[6:7]
	s_wait_kmcnt 0x0
	s_delay_alu instid0(VALU_DEP_1) | instskip(SKIP_1) | instid1(VALU_DEP_2)
	v_add_co_u32 v6, s3, s8, v6
	s_wait_alu 0xf1ff
	v_add_co_ci_u32_e64 v7, null, s9, v7, s3
	global_store_b32 v[6:7], v64, off
	s_wait_alu 0xfffe
	s_or_b32 exec_lo, exec_lo, s4
	s_and_saveexec_b32 s4, s0
	s_cbranch_execz .LBB130_45
.LBB130_77:
	s_delay_alu instid0(VALU_DEP_1) | instskip(NEXT) | instid1(VALU_DEP_1)
	v_dual_mov_b32 v7, 0 :: v_dual_add_nc_u32 v6, v5, v2
	v_lshlrev_b64_e32 v[6:7], 2, v[6:7]
	s_wait_kmcnt 0x0
	s_delay_alu instid0(VALU_DEP_1) | instskip(SKIP_1) | instid1(VALU_DEP_2)
	v_add_co_u32 v6, s3, s8, v6
	s_wait_alu 0xf1ff
	v_add_co_ci_u32_e64 v7, null, s9, v7, s3
	global_store_b32 v[6:7], v59, off
	s_wait_alu 0xfffe
	s_or_b32 exec_lo, exec_lo, s4
	s_and_saveexec_b32 s4, s1
	s_cbranch_execz .LBB130_46
.LBB130_78:
	v_dual_mov_b32 v7, 0 :: v_dual_add_nc_u32 v6, v5, v3
	s_delay_alu instid0(VALU_DEP_1) | instskip(SKIP_1) | instid1(VALU_DEP_1)
	v_lshlrev_b64_e32 v[6:7], 2, v[6:7]
	s_wait_kmcnt 0x0
	v_add_co_u32 v6, s3, s8, v6
	s_wait_alu 0xf1ff
	s_delay_alu instid0(VALU_DEP_2)
	v_add_co_ci_u32_e64 v7, null, s9, v7, s3
	global_store_b32 v[6:7], v54, off
	s_wait_alu 0xfffe
	s_or_b32 exec_lo, exec_lo, s4
	s_and_saveexec_b32 s4, s2
	s_cbranch_execnz .LBB130_47
	s_branch .LBB130_48
.LBB130_79:
	s_delay_alu instid0(VALU_DEP_1) | instskip(NEXT) | instid1(VALU_DEP_1)
	v_dual_mov_b32 v7, 0 :: v_dual_add_nc_u32 v6, v5, v0
	v_lshlrev_b64_e32 v[6:7], 2, v[6:7]
	s_wait_kmcnt 0x0
	s_delay_alu instid0(VALU_DEP_1) | instskip(SKIP_1) | instid1(VALU_DEP_2)
	v_add_co_u32 v6, s3, s8, v6
	s_wait_alu 0xf1ff
	v_add_co_ci_u32_e64 v7, null, s9, v7, s3
	global_store_b32 v[6:7], v49, off
	s_wait_alu 0xfffe
	s_or_b32 exec_lo, exec_lo, s4
	s_and_saveexec_b32 s4, s0
	s_cbranch_execz .LBB130_51
.LBB130_80:
	s_delay_alu instid0(VALU_DEP_1) | instskip(NEXT) | instid1(VALU_DEP_1)
	v_dual_mov_b32 v7, 0 :: v_dual_add_nc_u32 v6, v5, v2
	v_lshlrev_b64_e32 v[6:7], 2, v[6:7]
	s_wait_kmcnt 0x0
	s_delay_alu instid0(VALU_DEP_1) | instskip(SKIP_1) | instid1(VALU_DEP_2)
	v_add_co_u32 v6, s3, s8, v6
	s_wait_alu 0xf1ff
	v_add_co_ci_u32_e64 v7, null, s9, v7, s3
	global_store_b32 v[6:7], v46, off
	s_wait_alu 0xfffe
	s_or_b32 exec_lo, exec_lo, s4
	s_and_saveexec_b32 s4, s1
	s_cbranch_execz .LBB130_52
.LBB130_81:
	v_dual_mov_b32 v7, 0 :: v_dual_add_nc_u32 v6, v5, v3
	s_delay_alu instid0(VALU_DEP_1) | instskip(SKIP_1) | instid1(VALU_DEP_1)
	v_lshlrev_b64_e32 v[6:7], 2, v[6:7]
	s_wait_kmcnt 0x0
	v_add_co_u32 v6, s3, s8, v6
	s_wait_alu 0xf1ff
	s_delay_alu instid0(VALU_DEP_2)
	v_add_co_ci_u32_e64 v7, null, s9, v7, s3
	global_store_b32 v[6:7], v43, off
	s_wait_alu 0xfffe
	s_or_b32 exec_lo, exec_lo, s4
	s_and_saveexec_b32 s4, s2
	s_cbranch_execnz .LBB130_53
	s_branch .LBB130_54
.LBB130_82:
	s_delay_alu instid0(VALU_DEP_1) | instskip(NEXT) | instid1(VALU_DEP_1)
	v_dual_mov_b32 v7, 0 :: v_dual_add_nc_u32 v6, v5, v0
	v_lshlrev_b64_e32 v[6:7], 2, v[6:7]
	s_wait_kmcnt 0x0
	s_delay_alu instid0(VALU_DEP_1) | instskip(SKIP_1) | instid1(VALU_DEP_2)
	v_add_co_u32 v6, s3, s8, v6
	s_wait_alu 0xf1ff
	v_add_co_ci_u32_e64 v7, null, s9, v7, s3
	global_store_b32 v[6:7], v37, off
	s_wait_alu 0xfffe
	s_or_b32 exec_lo, exec_lo, s4
	s_and_saveexec_b32 s4, s0
	s_cbranch_execz .LBB130_57
.LBB130_83:
	s_delay_alu instid0(VALU_DEP_1) | instskip(NEXT) | instid1(VALU_DEP_1)
	v_dual_mov_b32 v7, 0 :: v_dual_add_nc_u32 v6, v5, v2
	v_lshlrev_b64_e32 v[6:7], 2, v[6:7]
	s_wait_kmcnt 0x0
	s_delay_alu instid0(VALU_DEP_1) | instskip(SKIP_1) | instid1(VALU_DEP_2)
	v_add_co_u32 v6, s3, s8, v6
	s_wait_alu 0xf1ff
	v_add_co_ci_u32_e64 v7, null, s9, v7, s3
	global_store_b32 v[6:7], v36, off
	s_wait_alu 0xfffe
	s_or_b32 exec_lo, exec_lo, s4
	s_and_saveexec_b32 s4, s1
	s_cbranch_execz .LBB130_58
.LBB130_84:
	v_dual_mov_b32 v7, 0 :: v_dual_add_nc_u32 v6, v5, v3
	s_delay_alu instid0(VALU_DEP_1) | instskip(SKIP_1) | instid1(VALU_DEP_1)
	v_lshlrev_b64_e32 v[6:7], 2, v[6:7]
	s_wait_kmcnt 0x0
	v_add_co_u32 v6, s3, s8, v6
	s_wait_alu 0xf1ff
	s_delay_alu instid0(VALU_DEP_2)
	v_add_co_ci_u32_e64 v7, null, s9, v7, s3
	global_store_b32 v[6:7], v35, off
	s_wait_alu 0xfffe
	s_or_b32 exec_lo, exec_lo, s4
	s_and_saveexec_b32 s4, s2
	s_cbranch_execnz .LBB130_59
	s_branch .LBB130_60
.LBB130_85:
	s_delay_alu instid0(VALU_DEP_1) | instskip(NEXT) | instid1(VALU_DEP_1)
	v_dual_mov_b32 v6, 0 :: v_dual_add_nc_u32 v5, v1, v0
	v_lshlrev_b64_e32 v[5:6], 2, v[5:6]
	s_wait_kmcnt 0x0
	s_delay_alu instid0(VALU_DEP_1) | instskip(SKIP_1) | instid1(VALU_DEP_2)
	v_add_co_u32 v5, vcc_lo, s8, v5
	s_wait_alu 0xfffd
	v_add_co_ci_u32_e64 v6, null, s9, v6, vcc_lo
	global_store_b32 v[5:6], v32, off
	s_wait_alu 0xfffe
	s_or_b32 exec_lo, exec_lo, s3
	s_and_saveexec_b32 s3, s0
	s_cbranch_execz .LBB130_63
.LBB130_86:
	s_delay_alu instid0(VALU_DEP_1) | instskip(NEXT) | instid1(VALU_DEP_1)
	v_dual_mov_b32 v6, 0 :: v_dual_add_nc_u32 v5, v1, v2
	v_lshlrev_b64_e32 v[5:6], 2, v[5:6]
	s_wait_kmcnt 0x0
	s_delay_alu instid0(VALU_DEP_1) | instskip(SKIP_1) | instid1(VALU_DEP_2)
	v_add_co_u32 v5, vcc_lo, s8, v5
	s_wait_alu 0xfffd
	v_add_co_ci_u32_e64 v6, null, s9, v6, vcc_lo
	global_store_b32 v[5:6], v31, off
	s_wait_alu 0xfffe
	s_or_b32 exec_lo, exec_lo, s3
	s_and_saveexec_b32 s0, s1
	s_cbranch_execz .LBB130_64
.LBB130_87:
	v_dual_mov_b32 v3, 0 :: v_dual_add_nc_u32 v2, v1, v3
	s_delay_alu instid0(VALU_DEP_1) | instskip(SKIP_1) | instid1(VALU_DEP_1)
	v_lshlrev_b64_e32 v[2:3], 2, v[2:3]
	s_wait_kmcnt 0x0
	v_add_co_u32 v2, vcc_lo, s8, v2
	s_wait_alu 0xfffd
	s_delay_alu instid0(VALU_DEP_2) | instskip(SKIP_3) | instid1(SALU_CYCLE_1)
	v_add_co_ci_u32_e64 v3, null, s9, v3, vcc_lo
	global_store_b32 v[2:3], v30, off
	s_wait_alu 0xfffe
	s_or_b32 exec_lo, exec_lo, s0
	s_and_b32 exec_lo, exec_lo, s2
	s_cbranch_execnz .LBB130_65
	s_branch .LBB130_66
	.section	.rodata,"a",@progbits
	.p2align	6, 0x0
	.amdhsa_kernel _ZL12mul_mat_q3_KIfLb1EEvPKvS1_PT_iiiii
		.amdhsa_group_segment_fixed_size 39840
		.amdhsa_private_segment_fixed_size 384
		.amdhsa_kernarg_size 44
		.amdhsa_user_sgpr_count 2
		.amdhsa_user_sgpr_dispatch_ptr 0
		.amdhsa_user_sgpr_queue_ptr 0
		.amdhsa_user_sgpr_kernarg_segment_ptr 1
		.amdhsa_user_sgpr_dispatch_id 0
		.amdhsa_user_sgpr_private_segment_size 0
		.amdhsa_wavefront_size32 1
		.amdhsa_uses_dynamic_stack 0
		.amdhsa_enable_private_segment 1
		.amdhsa_system_sgpr_workgroup_id_x 1
		.amdhsa_system_sgpr_workgroup_id_y 1
		.amdhsa_system_sgpr_workgroup_id_z 0
		.amdhsa_system_sgpr_workgroup_info 0
		.amdhsa_system_vgpr_workitem_id 1
		.amdhsa_next_free_vgpr 256
		.amdhsa_next_free_sgpr 25
		.amdhsa_reserve_vcc 1
		.amdhsa_float_round_mode_32 0
		.amdhsa_float_round_mode_16_64 0
		.amdhsa_float_denorm_mode_32 3
		.amdhsa_float_denorm_mode_16_64 3
		.amdhsa_fp16_overflow 0
		.amdhsa_workgroup_processor_mode 1
		.amdhsa_memory_ordered 1
		.amdhsa_forward_progress 1
		.amdhsa_inst_pref_size 255
		.amdhsa_round_robin_scheduling 0
		.amdhsa_exception_fp_ieee_invalid_op 0
		.amdhsa_exception_fp_denorm_src 0
		.amdhsa_exception_fp_ieee_div_zero 0
		.amdhsa_exception_fp_ieee_overflow 0
		.amdhsa_exception_fp_ieee_underflow 0
		.amdhsa_exception_fp_ieee_inexact 0
		.amdhsa_exception_int_div_zero 0
	.end_amdhsa_kernel
	.section	.text._ZL12mul_mat_q3_KIfLb1EEvPKvS1_PT_iiiii,"axG",@progbits,_ZL12mul_mat_q3_KIfLb1EEvPKvS1_PT_iiiii,comdat
.Lfunc_end130:
	.size	_ZL12mul_mat_q3_KIfLb1EEvPKvS1_PT_iiiii, .Lfunc_end130-_ZL12mul_mat_q3_KIfLb1EEvPKvS1_PT_iiiii
                                        ; -- End function
	.set _ZL12mul_mat_q3_KIfLb1EEvPKvS1_PT_iiiii.num_vgpr, 256
	.set _ZL12mul_mat_q3_KIfLb1EEvPKvS1_PT_iiiii.num_agpr, 0
	.set _ZL12mul_mat_q3_KIfLb1EEvPKvS1_PT_iiiii.numbered_sgpr, 25
	.set _ZL12mul_mat_q3_KIfLb1EEvPKvS1_PT_iiiii.num_named_barrier, 0
	.set _ZL12mul_mat_q3_KIfLb1EEvPKvS1_PT_iiiii.private_seg_size, 384
	.set _ZL12mul_mat_q3_KIfLb1EEvPKvS1_PT_iiiii.uses_vcc, 1
	.set _ZL12mul_mat_q3_KIfLb1EEvPKvS1_PT_iiiii.uses_flat_scratch, 1
	.set _ZL12mul_mat_q3_KIfLb1EEvPKvS1_PT_iiiii.has_dyn_sized_stack, 0
	.set _ZL12mul_mat_q3_KIfLb1EEvPKvS1_PT_iiiii.has_recursion, 0
	.set _ZL12mul_mat_q3_KIfLb1EEvPKvS1_PT_iiiii.has_indirect_call, 0
	.section	.AMDGPU.csdata,"",@progbits
; Kernel info:
; codeLenInByte = 44644
; TotalNumSgprs: 27
; NumVgprs: 256
; ScratchSize: 384
; MemoryBound: 0
; FloatMode: 240
; IeeeMode: 1
; LDSByteSize: 39840 bytes/workgroup (compile time only)
; SGPRBlocks: 0
; VGPRBlocks: 31
; NumSGPRsForWavesPerEU: 27
; NumVGPRsForWavesPerEU: 256
; Occupancy: 5
; WaveLimiterHint : 0
; COMPUTE_PGM_RSRC2:SCRATCH_EN: 1
; COMPUTE_PGM_RSRC2:USER_SGPR: 2
; COMPUTE_PGM_RSRC2:TRAP_HANDLER: 0
; COMPUTE_PGM_RSRC2:TGID_X_EN: 1
; COMPUTE_PGM_RSRC2:TGID_Y_EN: 1
; COMPUTE_PGM_RSRC2:TGID_Z_EN: 0
; COMPUTE_PGM_RSRC2:TIDIG_COMP_CNT: 1
	.section	.text._ZL12mul_mat_q4_KIfLb0EEvPKvS1_PT_iiiii,"axG",@progbits,_ZL12mul_mat_q4_KIfLb0EEvPKvS1_PT_iiiii,comdat
	.globl	_ZL12mul_mat_q4_KIfLb0EEvPKvS1_PT_iiiii ; -- Begin function _ZL12mul_mat_q4_KIfLb0EEvPKvS1_PT_iiiii
	.p2align	8
	.type	_ZL12mul_mat_q4_KIfLb0EEvPKvS1_PT_iiiii,@function
_ZL12mul_mat_q4_KIfLb0EEvPKvS1_PT_iiiii: ; @_ZL12mul_mat_q4_KIfLb0EEvPKvS1_PT_iiiii
; %bb.0:
	s_clause 0x1
	s_load_b32 s2, s[0:1], 0x18
	s_load_b96 s[4:6], s[0:1], 0x20
	v_bfe_u32 v1, v0, 10, 10
	v_and_b32_e32 v33, 0x3ff, v0
	s_lshl_b32 s7, ttmp7, 6
	scratch_store_b32 off, v1, off offset:1424 ; 4-byte Folded Spill
	s_wait_kmcnt 0x0
	s_cmp_gt_i32 s2, 0xff
	s_cbranch_scc1 .LBB131_2
; %bb.1:
	v_bfe_u32 v1, v0, 10, 10
	v_and_b32_e32 v2, 0x3ff, v0
	s_mov_b32 s3, 0
	s_delay_alu instid0(VALU_DEP_2)
	v_add_nc_u32_e32 v3, s7, v1
	s_branch .LBB131_3
.LBB131_2:
	s_mov_b32 s3, -1
                                        ; implicit-def: $vgpr1
                                        ; implicit-def: $vgpr2
                                        ; implicit-def: $vgpr3
.LBB131_3:
	s_load_b64 s[8:9], s[0:1], 0x10
	v_dual_mov_b32 v45, 0 :: v_dual_mov_b32 v8, 0
	v_dual_mov_b32 v12, 0 :: v_dual_mov_b32 v67, 0
	;; [unrolled: 1-line block ×16, first 2 shown]
	s_and_not1_b32 vcc_lo, exec_lo, s3
	s_lshl_b32 s14, ttmp9, 7
	s_cbranch_vccnz .LBB131_11
; %bb.4:
	s_ashr_i32 s3, s2, 31
	v_bfe_u32 v32, v0, 10, 10
	s_lshr_b32 s3, s3, 24
	v_dual_mov_b32 v61, 0 :: v_dual_lshlrev_b32 v20, 2, v33
	s_add_co_i32 s2, s2, s3
	s_delay_alu instid0(VALU_DEP_2)
	v_dual_mov_b32 v127, 0 :: v_dual_add_nc_u32 v16, s7, v32
	s_ashr_i32 s15, s2, 8
	s_add_co_i32 s16, s4, -1
	s_lshl_b32 s17, s15, 3
	v_cvt_f64_i32_e32 v[1:2], s16
	v_mad_i32_i24 v8, s15, v32, s17
	v_dual_mov_b32 v70, 0 :: v_dual_add_nc_u32 v7, 16, v16
	v_cvt_f64_u32_e32 v[3:4], v16
	v_dual_mov_b32 v130, 0 :: v_dual_add_nc_u32 v9, 24, v16
	s_delay_alu instid0(VALU_DEP_4)
	v_add_nc_u32_e32 v12, s17, v8
	scratch_store_b32 off, v8, off offset:1428 ; 4-byte Folded Spill
	v_mov_b32_e32 v65, 0
	v_dual_mov_b32 v240, 0 :: v_dual_add_nc_u32 v11, 32, v16
	v_add_nc_u32_e32 v18, s17, v12
	scratch_store_b32 off, v12, off offset:1432 ; 4-byte Folded Spill
	v_mov_b32_e32 v52, 0
	v_cvt_f64_u32_e32 v[7:8], v7
	v_dual_mov_b32 v64, 0 :: v_dual_add_nc_u32 v13, 40, v16
	v_add_nc_u32_e32 v19, s17, v18
	s_clause 0x1
	scratch_store_b32 off, v18, off offset:1436
	scratch_store_b32 off, v16, off offset:1560
	v_dual_mov_b32 v60, 0 :: v_dual_add_nc_u32 v15, 48, v16
	scratch_store_b32 off, v19, off offset:1440 ; 4-byte Folded Spill
	v_dual_mov_b32 v66, 0 :: v_dual_add_nc_u32 v19, s17, v19
	v_dual_mov_b32 v56, 0 :: v_dual_add_nc_u32 v17, 56, v16
	v_cvt_f64_u32_e32 v[9:10], v9
	scratch_store_b32 off, v19, off offset:1444 ; 4-byte Folded Spill
	v_dual_mov_b32 v58, 0 :: v_dual_add_nc_u32 v19, s17, v19
	v_cvt_f64_u32_e32 v[11:12], v11
	v_cvt_f64_u32_e32 v[13:14], v13
	v_cvt_f64_u32_e32 v[17:18], v17
	scratch_store_b32 off, v19, off offset:1452 ; 4-byte Folded Spill
	v_add_nc_u32_e32 v19, s17, v19
	v_lshlrev_b32_e32 v71, 5, v32
	v_dual_mov_b32 v69, 0 :: v_dual_lshlrev_b32 v28, 3, v32
	v_mov_b32_e32 v97, 0
	s_delay_alu instid0(VALU_DEP_4)
	v_add_nc_u32_e32 v29, s17, v19
	scratch_store_b32 off, v19, off offset:1456 ; 4-byte Folded Spill
	v_and_b32_e32 v19, 3, v0
	v_mov_b32_e32 v73, 0
	v_min_num_f64_e32 v[3:4], v[3:4], v[1:2]
	v_add_nc_u32_e32 v30, s17, v29
	scratch_store_b32 off, v29, off offset:1460 ; 4-byte Folded Spill
	v_cmp_gt_u32_e32 vcc_lo, 2, v19
	v_mov_b32_e32 v63, 0
	v_bfe_u32 v29, v0, 2, 8
	scratch_store_b32 off, v30, off offset:1464 ; 4-byte Folded Spill
	v_add_nc_u32_e32 v30, s17, v30
	v_min_num_f64_e32 v[7:8], v[7:8], v[1:2]
	s_ashr_i32 s10, s5, 31
	v_bfe_u32 v34, v0, 5, 5
	s_lshr_b32 s10, s10, 27
	v_add_nc_u32_e32 v31, s17, v30
	scratch_store_b32 off, v30, off offset:1468 ; 4-byte Folded Spill
	v_dual_mov_b32 v59, 0 :: v_dual_and_b32 v30, 0x7c, v20
	s_add_co_i32 s5, s5, s10
	scratch_store_b32 off, v31, off offset:1472 ; 4-byte Folded Spill
	v_add_nc_u32_e32 v35, s17, v31
	scratch_store_b32 off, v30, off offset:1476 ; 4-byte Folded Spill
	v_add_nc_u32_e32 v31, 0xfe, v19
	v_mad_u32_u24 v30, 0x84, v32, v20
	v_min_num_f64_e32 v[9:10], v[9:10], v[1:2]
	scratch_store_b32 off, v35, off offset:1484 ; 4-byte Folded Spill
	v_add_nc_u32_e32 v35, s17, v35
	v_and_b32_e32 v31, 0xff, v31
	v_add_nc_u32_e32 v5, 8, v16
	v_cvt_f64_u32_e32 v[15:16], v15
	v_min_num_f64_e32 v[11:12], v[11:12], v[1:2]
	v_min_num_f64_e32 v[13:14], v[13:14], v[1:2]
	s_clause 0x1
	scratch_store_b32 off, v30, off offset:1480
	scratch_store_b32 off, v35, off offset:1488
	v_cvt_f64_u32_e32 v[5:6], v5
	v_add_nc_u32_e32 v30, v71, v33
	v_add_nc_u32_e32 v35, s17, v35
	s_ashr_i32 s5, s5, 5
	v_dual_mov_b32 v68, 0 :: v_dual_add_nc_u32 v21, 8, v32
	v_cvt_i32_f64_e32 v3, v[3:4]
	v_dual_mov_b32 v57, 0 :: v_dual_add_nc_u32 v22, 16, v32
	v_dual_mov_b32 v72, 0 :: v_dual_add_nc_u32 v23, 24, v32
	;; [unrolled: 1-line block ×3, first 2 shown]
	s_load_b128 s[0:3], s[0:1], 0x0
	v_dual_mov_b32 v62, 0 :: v_dual_add_nc_u32 v25, 40, v32
	v_add_nc_u32_e32 v26, 48, v32
	v_dual_mov_b32 v54, 0 :: v_dual_add_nc_u32 v27, 56, v32
	s_movk_i32 s20, 0x3180
	s_mul_i32 s10, s15, s14
	s_movk_i32 s18, 0x1080
	s_movk_i32 s19, 0x2100
	s_ashr_i32 s11, s10, 31
	v_mul_u32_u24_e32 v76, 0x84, v33
	v_mov_b32_e32 v55, 0
	v_mad_u32_u24 v200, 0x84, v33, s18
	v_mad_u32_u24 v169, 0x84, v33, s19
	v_lshlrev_b32_e32 v78, 2, v20
	s_mul_u64 s[12:13], s[10:11], 0x90
	v_mov_b32_e32 v51, 0
	s_mov_b32 s11, 0
	v_mov_b32_e32 v67, 0
	v_min_num_f64_e32 v[15:16], v[15:16], v[1:2]
	s_wait_kmcnt 0x0
	s_add_nc_u64 s[0:1], s[0:1], s[12:13]
	s_mov_b32 s10, s11
	v_mov_b32_e32 v45, 0
	v_min_num_f64_e32 v[5:6], v[5:6], v[1:2]
	v_min_num_f64_e32 v[1:2], v[17:18], v[1:2]
	v_and_b32_e32 v18, 0x7f, v30
	v_lshrrev_b32_e32 v17, 3, v30
	s_delay_alu instid0(VALU_DEP_2) | instskip(SKIP_1) | instid1(VALU_DEP_3)
	v_lshlrev_b32_e32 v30, 2, v18
	v_mul_i32_i24_e32 v18, s15, v18
	v_and_b32_e32 v17, 12, v17
	s_clause 0x1
	scratch_store_b32 off, v18, off offset:1496
	scratch_store_b32 off, v35, off offset:1492
	v_add_nc_u32_e32 v18, s17, v35
	v_add3_u32 v17, v30, v17, 0x6e40
	v_and_b32_e32 v30, 4, v20
	scratch_store_b32 off, v18, off offset:1500 ; 4-byte Folded Spill
	v_cndmask_b32_e32 v18, v31, v19, vcc_lo
	v_cmp_ne_u32_e32 vcc_lo, 0, v19
	s_wait_alu 0xfffd
	s_delay_alu instid0(VALU_DEP_2) | instskip(SKIP_1) | instid1(VALU_DEP_2)
	v_add_co_ci_u32_e64 v4, null, 0, v18, vcc_lo
	v_cmp_lt_u32_e32 vcc_lo, 1, v19
	v_lshlrev_b32_e32 v4, 2, v4
	v_cvt_i32_f64_e32 v5, v[5:6]
	v_cvt_i32_f64_e32 v6, v[7:8]
	s_wait_alu 0xfffd
	v_cndmask_b32_e32 v7, 0, v30, vcc_lo
	scratch_store_b32 off, v17, off offset:1504 ; 4-byte Folded Spill
	v_cvt_i32_f64_e32 v1, v[1:2]
	v_add_nc_u32_e32 v17, v29, v28
	scratch_store_b32 off, v7, off offset:1508 ; 4-byte Folded Spill
	v_cvt_i32_f64_e32 v7, v[9:10]
	v_cvt_i32_f64_e32 v9, v[11:12]
	;; [unrolled: 1-line block ×4, first 2 shown]
	v_add_nc_u16 v10, v29, v28
	v_and_b32_e32 v8, 0x7f, v17
	v_lshlrev_b32_e32 v14, 2, v19
	v_lshlrev_b32_e32 v16, 1, v18
	v_and_b32_e32 v17, 63, v17
	v_lshrrev_b16 v10, 1, v10
	v_xor_b32_e32 v15, 64, v8
	v_lshl_or_b32 v2, v8, 4, v14
	v_mul_i32_i24_e32 v8, s15, v8
	scratch_store_b32 off, v16, off offset:1512 ; 4-byte Folded Spill
	v_and_b32_e32 v10, 60, v10
	v_lshrrev_b32_e32 v16, 1, v15
	v_lshlrev_b32_e32 v18, 2, v34
	v_cndmask_b32_e64 v12, 0, 1, vcc_lo
	s_delay_alu instid0(VALU_DEP_4)
	v_add3_u32 v2, v2, v10, 0x6200
	scratch_store_b32 off, v8, off offset:1516 ; 4-byte Folded Spill
	v_lshl_or_b32 v8, v15, 4, v14
	v_and_b32_e32 v16, 60, v16
	v_lshl_or_b32 v14, v17, 4, v14
	scratch_store_b32 off, v2, off offset:1520 ; 4-byte Folded Spill
	v_or_b32_e32 v2, s7, v17
	v_mul_i32_i24_e32 v10, s15, v15
	v_add3_u32 v8, v8, v16, 0x6200
	v_add3_u32 v18, v18, v20, 0x6e40
	v_lshlrev_b32_e32 v17, 7, v27
	v_min_i32_e32 v2, s16, v2
	scratch_store_b32 off, v18, off offset:1364 ; 4-byte Folded Spill
	v_mul_lo_u32 v1, s5, v1
	v_mad_co_u64_u32 v[15:16], null, v2, s5, v[19:20]
	v_add_nc_u32_e32 v2, 0x6a40, v14
	v_add_nc_u32_e32 v14, 0x60, v33
	scratch_store_b32 off, v2, off offset:1328 ; 4-byte Folded Spill
	v_mul_lo_u32 v2, s5, v3
	v_mul_lo_u32 v3, s5, v5
	;; [unrolled: 1-line block ×7, first 2 shown]
	v_add_nc_u32_e32 v13, 64, v33
	s_delay_alu instid0(VALU_DEP_1)
	v_lshlrev_b32_e32 v241, 4, v13
	s_clause 0x1
	scratch_store_b32 off, v11, off offset:1356
	scratch_store_b64 off, v[15:16], off offset:1532
	v_add_nc_u32_e32 v11, 32, v33
	v_lshrrev_b32_e32 v16, 3, v14
	s_delay_alu instid0(VALU_DEP_2) | instskip(NEXT) | instid1(VALU_DEP_2)
	v_lshrrev_b32_e32 v30, 3, v11
	v_and_b32_e32 v29, 60, v16
	v_lshlrev_b32_e32 v128, 4, v11
	v_lshlrev_b32_e32 v11, 4, v14
	s_delay_alu instid0(VALU_DEP_4) | instskip(SKIP_1) | instid1(VALU_DEP_2)
	v_and_b32_e32 v19, 60, v30
	v_lshlrev_b32_e32 v187, 2, v30
	v_add3_u32 v18, v20, v19, 0x6e40
	scratch_store_b32 off, v1, off offset:1360 ; 4-byte Folded Spill
	v_lshrrev_b32_e32 v1, 3, v13
	scratch_store_b32 off, v18, off offset:1368 ; 4-byte Folded Spill
	v_and_b32_e32 v28, 60, v1
	v_lshlrev_b32_e32 v222, 2, v1
	s_delay_alu instid0(VALU_DEP_2)
	v_add3_u32 v18, v20, v28, 0x6e40
	scratch_store_b32 off, v18, off offset:1372 ; 4-byte Folded Spill
	v_add3_u32 v18, v20, v29, 0x6e40
	scratch_store_b32 off, v18, off offset:1376 ; 4-byte Folded Spill
	v_lshlrev_b32_e32 v18, 5, v21
	s_clause 0x1
	scratch_store_b32 off, v10, off offset:1524
	scratch_store_b32 off, v2, off offset:1332
	v_and_b32_e32 v10, 31, v0
	v_lshlrev_b32_e32 v2, 7, v32
	scratch_store_b32 off, v18, off offset:1252 ; 4-byte Folded Spill
	v_lshlrev_b32_e32 v18, 5, v22
	s_clause 0x1
	scratch_store_b32 off, v8, off offset:1528
	scratch_store_b32 off, v3, off offset:1336
	v_and_b32_e32 v8, 28, v20
	v_lshl_or_b32 v10, v10, 2, 0x4200
	scratch_store_b32 off, v18, off offset:1256 ; 4-byte Folded Spill
	v_lshlrev_b32_e32 v18, 5, v23
	scratch_store_b32 off, v5, off offset:1340 ; 4-byte Folded Spill
	v_add_co_u32 v13, s5, s2, v8
	v_lshlrev_b32_e32 v3, 7, v21
	scratch_store_b32 off, v18, off offset:1260 ; 4-byte Folded Spill
	v_lshlrev_b32_e32 v18, 5, v24
	scratch_store_b32 off, v6, off offset:1344 ; 4-byte Folded Spill
	s_wait_alu 0xf1ff
	v_add_co_ci_u32_e64 v14, null, s3, 0, s5
	v_add_nc_u32_e32 v2, v10, v2
	scratch_store_b32 off, v18, off offset:1264 ; 4-byte Folded Spill
	v_lshlrev_b32_e32 v18, 5, v25
	scratch_store_b32 off, v7, off offset:1348 ; 4-byte Folded Spill
	v_lshlrev_b32_e32 v5, 7, v22
	v_lshlrev_b32_e32 v6, 7, v23
	;; [unrolled: 1-line block ×3, first 2 shown]
	scratch_store_b32 off, v18, off offset:1268 ; 4-byte Folded Spill
	v_lshlrev_b32_e32 v18, 5, v26
	scratch_store_b32 off, v9, off offset:1352 ; 4-byte Folded Spill
	v_lshlrev_b32_e32 v9, 7, v25
	v_bfe_u32 v0, v0, 3, 7
	v_mov_b32_e32 v8, 0
	scratch_store_b32 off, v18, off offset:1272 ; 4-byte Folded Spill
	v_lshlrev_b32_e32 v18, 5, v27
	scratch_store_b32 off, v34, off offset:1448 ; 4-byte Folded Spill
	v_lshlrev_b32_e32 v77, 2, v0
	s_clause 0x2
	scratch_store_b32 off, v18, off offset:1276
	scratch_store_b32 off, v11, off offset:1300
	;; [unrolled: 1-line block ×3, first 2 shown]
	v_mad_u32_u24 v11, 0x84, v33, s20
	s_clause 0x2
	scratch_store_b64 off, v[13:14], off offset:1380
	scratch_store_b32 off, v4, off offset:1548
	scratch_store_b32 off, v2, off offset:1388
	v_lshlrev_b32_e32 v4, 2, v12
	scratch_store_b32 off, v11, off offset:1304 ; 4-byte Folded Spill
	v_dual_mov_b32 v11, 0 :: v_dual_add_nc_u32 v2, v10, v3
	v_lshlrev_b32_e32 v15, 7, v26
	scratch_store_b32 off, v4, off offset:1552 ; 4-byte Folded Spill
	v_mov_b32_e32 v12, 0
	scratch_store_b32 off, v2, off offset:1392 ; 4-byte Folded Spill
	v_add_nc_u32_e32 v2, v10, v5
	scratch_store_b32 off, v2, off offset:1396 ; 4-byte Folded Spill
	v_add_nc_u32_e32 v2, v10, v6
	;; [unrolled: 2-line block ×3, first 2 shown]
	scratch_store_b32 off, v2, off offset:1404 ; 4-byte Folded Spill
	v_dual_mov_b32 v9, 0 :: v_dual_add_nc_u32 v2, v10, v9
	scratch_store_b32 off, v2, off offset:1408 ; 4-byte Folded Spill
	v_add_nc_u32_e32 v2, v10, v15
	scratch_store_b32 off, v2, off offset:1412 ; 4-byte Folded Spill
	v_add_nc_u32_e32 v2, v10, v17
	s_clause 0x1
	scratch_store_b32 off, v2, off offset:1416
	scratch_store_b32 off, v0, off offset:1544
	v_lshlrev_b32_e32 v0, 2, v16
	v_mov_b32_e32 v10, 0
	s_clause 0xb
	scratch_store_b32 off, v30, off offset:1540
	scratch_store_b32 off, v0, off offset:1324
	scratch_store_b32 off, v71, off offset:1248
	scratch_store_b32 off, v76, off offset:1280
	scratch_store_b32 off, v128, off offset:1284
	scratch_store_b32 off, v200, off offset:1288
	scratch_store_b32 off, v241, off offset:1292
	scratch_store_b32 off, v169, off offset:1296
	scratch_store_b32 off, v77, off offset:1308
	scratch_store_b32 off, v78, off offset:1312
	scratch_store_b32 off, v187, off offset:1316
	scratch_store_b32 off, v222, off offset:1320
.LBB131_5:                              ; =>This Loop Header: Depth=1
                                        ;     Child Loop BB131_6 Depth 2
                                        ;     Child Loop BB131_8 Depth 2
	s_clause 0x19
	scratch_store_b32 off, v73, off offset:816
	scratch_store_b32 off, v72, off offset:812
	;; [unrolled: 1-line block ×26, first 2 shown]
	s_clause 0xa
	scratch_load_b32 v0, off, off offset:1448
	scratch_load_b32 v2, off, off offset:1424
	;; [unrolled: 1-line block ×11, first 2 shown]
	s_mul_u64 s[12:13], s[10:11], 0x90
	s_lshl_b32 s5, s10, 3
	s_wait_alu 0xfffe
	s_add_nc_u64 s[12:13], s[0:1], s[12:13]
	s_mov_b32 s17, 0
	s_wait_loadcnt 0xa
	s_wait_alu 0xfffe
	v_mad_co_u64_u32 v[0:1], null, 0x90, v0, s[12:13]
	s_wait_loadcnt 0x9
	v_mul_i32_i24_e32 v2, s15, v2
	s_delay_alu instid0(VALU_DEP_1)
	v_mad_co_u64_u32 v[2:3], null, 0x90, v2, v[0:1]
	s_wait_loadcnt 0x8
	v_mad_co_u64_u32 v[4:5], null, 0x90, v4, v[0:1]
	s_wait_loadcnt 0x7
	;; [unrolled: 2-line block ×4, first 2 shown]
	v_add_co_u32 v2, vcc_lo, v2, v28
	v_mad_co_u64_u32 v[10:11], null, 0x90, v10, v[0:1]
	s_wait_alu 0xfffd
	v_add_co_ci_u32_e64 v3, null, 0, v3, vcc_lo
	v_add_co_u32 v4, vcc_lo, v4, v28
	v_mad_co_u64_u32 v[12:13], null, 0x90, v12, v[0:1]
	s_wait_alu 0xfffd
	v_add_co_ci_u32_e64 v5, null, 0, v5, vcc_lo
	;; [unrolled: 4-line block ×3, first 2 shown]
	v_add_co_u32 v8, vcc_lo, v8, v28
	s_wait_loadcnt 0x1
	v_mad_co_u64_u32 v[16:17], null, 0x90, v16, v[0:1]
	s_wait_alu 0xfffd
	v_add_co_ci_u32_e64 v9, null, 0, v9, vcc_lo
	v_add_co_u32 v10, vcc_lo, v10, v28
	s_wait_alu 0xfffd
	v_add_co_ci_u32_e64 v11, null, 0, v11, vcc_lo
	v_add_co_u32 v12, vcc_lo, v12, v28
	;; [unrolled: 3-line block ×4, first 2 shown]
	s_wait_alu 0xfffd
	v_add_co_ci_u32_e64 v17, null, 0, v17, vcc_lo
	s_clause 0x7
	global_load_b32 v20, v[2:3], off offset:16
	global_load_b32 v21, v[4:5], off offset:16
	;; [unrolled: 1-line block ×8, first 2 shown]
	s_clause 0x6
	scratch_load_b32 v2, off, off offset:1464
	scratch_load_b32 v6, off, off offset:1468
	;; [unrolled: 1-line block ×7, first 2 shown]
	s_wait_loadcnt 0xf
	v_mad_co_u64_u32 v[18:19], null, 0x90, v18, v[0:1]
	s_delay_alu instid0(VALU_DEP_1) | instskip(SKIP_1) | instid1(VALU_DEP_2)
	v_add_co_u32 v4, vcc_lo, v18, v28
	s_wait_alu 0xfffd
	v_add_co_ci_u32_e64 v5, null, 0, v19, vcc_lo
	s_wait_loadcnt 0x6
	v_mad_co_u64_u32 v[2:3], null, 0x90, v2, v[0:1]
	s_wait_loadcnt 0x5
	v_mad_co_u64_u32 v[6:7], null, 0x90, v6, v[0:1]
	;; [unrolled: 2-line block ×4, first 2 shown]
	s_delay_alu instid0(VALU_DEP_4)
	v_add_co_u32 v2, vcc_lo, v2, v28
	s_wait_loadcnt 0x2
	v_mad_co_u64_u32 v[12:13], null, 0x90, v12, v[0:1]
	s_wait_alu 0xfffd
	v_add_co_ci_u32_e64 v3, null, 0, v3, vcc_lo
	v_add_co_u32 v6, vcc_lo, v6, v28
	s_wait_loadcnt 0x1
	v_mad_co_u64_u32 v[14:15], null, 0x90, v14, v[0:1]
	s_wait_alu 0xfffd
	v_add_co_ci_u32_e64 v7, null, 0, v7, vcc_lo
	;; [unrolled: 5-line block ×3, first 2 shown]
	v_add_co_u32 v10, vcc_lo, v10, v28
	s_wait_alu 0xfffd
	v_add_co_ci_u32_e64 v11, null, 0, v11, vcc_lo
	v_add_co_u32 v12, vcc_lo, v12, v28
	s_wait_alu 0xfffd
	v_add_co_ci_u32_e64 v13, null, 0, v13, vcc_lo
	v_add_co_u32 v14, vcc_lo, v14, v28
	scratch_load_b32 v16, off, off offset:1516 ; 4-byte Folded Reload
	s_wait_alu 0xfffd
	v_add_co_ci_u32_e64 v15, null, 0, v15, vcc_lo
	v_add_co_u32 v0, vcc_lo, v0, v28
	s_wait_alu 0xfffd
	v_add_co_ci_u32_e64 v1, null, 0, v1, vcc_lo
	s_clause 0x7
	global_load_b32 v28, v[4:5], off offset:16
	global_load_b32 v29, v[2:3], off offset:16
	;; [unrolled: 1-line block ×8, first 2 shown]
	s_clause 0x4
	scratch_load_b32 v0, off, off offset:1496
	scratch_load_b32 v2, off, off offset:1524
	;; [unrolled: 1-line block ×5, first 2 shown]
	s_wait_loadcnt 0xd
	v_mad_co_u64_u32 v[16:17], null, 0x90, v16, s[12:13]
	s_wait_loadcnt 0x4
	v_mad_co_u64_u32 v[0:1], null, 0x90, v0, s[12:13]
	s_wait_loadcnt 0x2
	s_delay_alu instid0(VALU_DEP_2)
	v_add_co_u32 v4, vcc_lo, v16, v8
	s_wait_loadcnt 0x0
	v_add_nc_u32_e32 v14, s5, v10
	scratch_load_b32 v10, off, off offset:1332 ; 4-byte Folded Reload
	v_mad_co_u64_u32 v[2:3], null, 0x90, v2, s[12:13]
	s_wait_alu 0xfffd
	v_add_co_ci_u32_e64 v5, null, 0, v17, vcc_lo
	v_add_co_u32 v6, vcc_lo, v16, v11
	s_wait_alu 0xfffd
	v_add_co_ci_u32_e64 v7, null, 0, v17, vcc_lo
	s_delay_alu instid0(VALU_DEP_4)
	v_add_co_u32 v8, vcc_lo, v2, v8
	s_wait_alu 0xfffd
	v_add_co_ci_u32_e64 v9, null, 0, v3, vcc_lo
	v_add_co_u32 v2, vcc_lo, v2, v11
	s_wait_alu 0xfffd
	v_add_co_ci_u32_e64 v3, null, 0, v3, vcc_lo
	s_clause 0x3
	global_load_b32 v36, v[4:5], off offset:4
	global_load_b32 v37, v[6:7], off offset:4
	;; [unrolled: 1-line block ×4, first 2 shown]
	s_clause 0x7
	scratch_load_b64 v[2:3], off, off offset:1532
	scratch_load_b64 v[40:41], off, off offset:1380
	scratch_load_b32 v9, off, off offset:1352
	scratch_load_b32 v12, off, off offset:1356
	;; [unrolled: 1-line block ×6, first 2 shown]
	s_mov_b32 s12, -1
	s_wait_loadcnt 0xc
	v_add_nc_u32_e32 v10, v14, v10
	s_wait_loadcnt 0x7
	v_add_nc_u32_e32 v13, s5, v2
	scratch_load_b32 v2, off, off offset:1336 ; 4-byte Folded Reload
	s_wait_loadcnt 0x5
	v_add_nc_u32_e32 v16, v14, v12
	s_wait_loadcnt 0x4
	v_add_nc_u32_e32 v18, v14, v17
	scratch_store_b32 off, v13, off offset:1420 ; 4-byte Folded Spill
	v_mad_co_u64_u32 v[12:13], null, v13, 36, s[2:3]
	v_mad_co_i64_i32 v[16:17], null, v16, 36, v[40:41]
	v_mad_co_i64_i32 v[18:19], null, v18, 36, v[40:41]
	s_wait_loadcnt 0x3
	v_add_nc_u32_e32 v6, v14, v5
	s_wait_loadcnt 0x2
	v_add_nc_u32_e32 v8, v14, v7
	;; [unrolled: 2-line block ×3, first 2 shown]
	v_mad_co_i64_i32 v[6:7], null, v6, 36, v[40:41]
	s_wait_loadcnt 0x0
	v_add_nc_u32_e32 v4, v14, v2
	v_mad_co_i64_i32 v[2:3], null, v10, 36, v[40:41]
	v_add_nc_u32_e32 v10, v14, v9
	v_mad_co_i64_i32 v[8:9], null, v8, 36, v[40:41]
	s_delay_alu instid0(VALU_DEP_4) | instskip(NEXT) | instid1(VALU_DEP_3)
	v_mad_co_i64_i32 v[4:5], null, v4, 36, v[40:41]
	v_mad_co_i64_i32 v[10:11], null, v10, 36, v[40:41]
	v_mad_co_i64_i32 v[14:15], null, v15, 36, v[40:41]
	s_clause 0x2
	global_load_b32 v6, v[6:7], off offset:4
	global_load_b32 v7, v[10:11], off offset:4
	global_load_b32 v10, v[12:13], off
	global_load_b32 v0, v[0:1], off
	s_clause 0x5
	global_load_b32 v1, v[2:3], off offset:4
	global_load_b32 v2, v[8:9], off offset:4
	;; [unrolled: 1-line block ×6, first 2 shown]
	s_clause 0x2
	scratch_load_b32 v74, off, off offset:1480
	scratch_load_b32 v44, off, off offset:1508
	;; [unrolled: 1-line block ×3, first 2 shown]
	s_wait_loadcnt 0x2
	v_add_nc_u32_e32 v5, 0x420, v74
	v_add_nc_u32_e32 v11, 0x840, v74
	;; [unrolled: 1-line block ×14, first 2 shown]
	s_wait_loadcnt 0x1
	v_ashrrev_i32_e32 v36, v44, v36
	v_ashrrev_i32_e32 v38, v44, v38
	v_add_nc_u32_e32 v44, 0x3de0, v74
	ds_store_b32 v74, v20
	ds_store_b32 v5, v21
	;; [unrolled: 1-line block ×16, first 2 shown]
	scratch_load_b32 v11, off, off offset:1396 ; 4-byte Folded Reload
	s_wait_loadcnt 0x1
	v_ashrrev_i32_e32 v37, v75, v37
	v_and_b32_e32 v36, 0xf0f0f0f, v36
	v_ashrrev_i32_e32 v39, v75, v39
	v_and_b32_e32 v38, 0xf0f0f0f, v38
	s_delay_alu instid0(VALU_DEP_3)
	v_and_or_b32 v5, 0x30303030, v37, v36
	s_wait_loadcnt 0x0
	ds_store_b32 v11, v6
	scratch_load_b32 v6, off, off offset:1408 ; 4-byte Folded Reload
	s_wait_loadcnt 0x0
	ds_store_b32 v6, v7
	s_clause 0x1
	scratch_load_b32 v7, off, off offset:1504
	scratch_load_b32 v6, off, off offset:1328
	s_wait_loadcnt 0x1
	ds_store_b32 v7, v0
	scratch_load_b32 v0, off, off offset:1520 ; 4-byte Folded Reload
	s_wait_loadcnt 0x0
	ds_store_b32 v0, v5
	scratch_load_b32 v0, off, off offset:1388 ; 4-byte Folded Reload
	ds_store_b32 v6, v10
	v_and_or_b32 v6, 0x30303030, v39, v38
	s_wait_loadcnt 0x0
	ds_store_b32 v0, v1
	scratch_load_b32 v0, off, off offset:1400 ; 4-byte Folded Reload
	s_wait_loadcnt 0x0
	ds_store_b32 v0, v2
	scratch_load_b32 v0, off, off offset:1412 ; 4-byte Folded Reload
	;; [unrolled: 3-line block ×6, first 2 shown]
	s_wait_loadcnt 0x0
	ds_store_b32 v0, v8
	s_wait_storecnt_dscnt 0x0
	s_barrier_signal -1
	s_barrier_wait -1
	global_inv scope:SCOPE_SE
	s_clause 0x3
	scratch_load_b32 v0, off, off offset:1364
	scratch_load_b32 v1, off, off offset:1368
	;; [unrolled: 1-line block ×4, first 2 shown]
	s_wait_loadcnt 0x3
	ds_load_b32 v0, v0
	s_wait_loadcnt 0x2
	ds_load_b32 v1, v1 offset:128
	s_wait_loadcnt 0x1
	ds_load_b32 v2, v2 offset:256
	;; [unrolled: 2-line block ×3, first 2 shown]
	s_wait_dscnt 0x3
	v_lshrrev_b32_e32 v4, 16, v0
	v_cvt_f32_f16_e32 v0, v0
	scratch_store_b32 off, v0, off offset:1168 ; 4-byte Folded Spill
	s_wait_dscnt 0x2
	v_cvt_f32_f16_e32 v0, v1
	scratch_store_b32 off, v0, off offset:644 ; 4-byte Folded Spill
	v_lshrrev_b32_e32 v0, 16, v1
	s_wait_dscnt 0x1
	v_cvt_f32_f16_e32 v1, v2
	s_delay_alu instid0(VALU_DEP_2)
	v_cvt_f32_f16_e32 v0, v0
	scratch_store_b32 off, v1, off offset:252 ; 4-byte Folded Spill
	v_lshrrev_b32_e32 v1, 16, v2
	s_wait_dscnt 0x0
	v_lshrrev_b32_e32 v2, 16, v3
	v_cvt_f32_f16_e32 v3, v3
	scratch_store_b32 off, v0, off offset:256 ; 4-byte Folded Spill
	v_cvt_f32_f16_e32 v0, v1
	scratch_store_b32 off, v0, off offset:1172 ; 4-byte Folded Spill
	;; [unrolled: 2-line block ×3, first 2 shown]
	v_cvt_f32_f16_e32 v3, v4
	s_clause 0x1
	scratch_store_b32 off, v0, off
	scratch_store_b32 off, v3, off offset:648
.LBB131_6:                              ;   Parent Loop BB131_5 Depth=1
                                        ; =>  This Inner Loop Header: Depth=2
	s_wait_alu 0xfffe
	s_lshr_b32 s16, s17, 2
	s_lshl_b32 s13, s17, 1
	s_lshl_b32 s17, s17, 2
	s_clause 0x3
	scratch_store_b32 off, v130, off offset:828
	scratch_store_b32 off, v97, off offset:824
	;; [unrolled: 1-line block ×4, first 2 shown]
	s_wait_alu 0xfffe
	v_add_nc_u32_e32 v9, s17, v76
	v_or_b32_e32 v0, s13, v71
	s_addk_co_i32 s16, 0x6200
	s_and_b32 vcc_lo, exec_lo, s12
	s_wait_alu 0xfffe
	v_add3_u32 v8, s16, v77, v78
	ds_load_2addr_b32 v[17:18], v9 offset1:1
	v_lshlrev_b32_e32 v1, 2, v0
	v_lshrrev_b32_e32 v87, 1, v0
	s_mov_b32 s12, 0
	s_wait_dscnt 0x0
	v_and_b32_e32 v0, 0xf0f0f0f, v17
	v_bfe_u32 v231, v18, 24, 4
	v_bfe_u32 v232, v18, 16, 4
	;; [unrolled: 1-line block ×4, first 2 shown]
	v_lshrrev_b16 v14, 8, v0
	ds_load_b128 v[10:13], v1 offset:16896
	ds_load_b128 v[44:47], v1 offset:16912
	;; [unrolled: 1-line block ×4, first 2 shown]
	v_lshrrev_b32_e32 v250, 28, v18
	v_bfe_u32 v251, v18, 20, 4
	v_lshrrev_b32_e32 v155, 28, v17
	v_bfe_u32 v243, v17, 20, 4
	s_wait_dscnt 0x3
	v_lshrrev_b16 v15, 8, v10
	v_lshrrev_b16 v16, 8, v11
	;; [unrolled: 1-line block ×3, first 2 shown]
	v_ashrrev_i32_e32 v123, 24, v11
	v_bfe_i32 v122, v11, 16, 8
	v_bfe_i32 v129, v15, 0, 8
	;; [unrolled: 1-line block ×3, first 2 shown]
	ds_load_2addr_b32 v[15:16], v9 offset0:2 offset1:3
	v_bfe_i32 v120, v11, 0, 8
	v_ashrrev_i32_e32 v104, 24, v13
	v_bfe_i32 v103, v13, 16, 8
	v_bfe_i32 v101, v13, 0, 8
	v_lshrrev_b16 v26, 8, v12
	v_ashrrev_i32_e32 v119, 24, v12
	v_bfe_i32 v118, v12, 16, 8
	v_bfe_i32 v116, v12, 0, 8
	;; [unrolled: 1-line block ×6, first 2 shown]
	v_ashrrev_i32_e32 v126, 24, v10
	s_wait_dscnt 0x3
	v_bfe_i32 v93, v44, 16, 8
	v_mul_i32_i24_e32 v50, v232, v122
	v_mul_i32_i24_e32 v51, v231, v123
	v_ashrrev_i32_e32 v99, 24, v44
	v_lshrrev_b16 v38, 8, v45
	v_lshrrev_b16 v42, 8, v46
	s_wait_dscnt 0x0
	v_bfe_u32 v13, v16, 16, 4
	v_and_b32_e32 v11, 0xf0f0f0f, v15
	v_bfe_u32 v12, v15, 16, 4
	v_and_b32_e32 v22, 15, v15
	v_and_b32_e32 v14, 0xffff, v14
	v_mov_b32_e32 v244, v13
	v_lshrrev_b16 v11, 8, v11
	v_mul_i32_i24_e32 v54, v12, v118
	v_mov_b32_e32 v166, v12
	v_bfe_u32 v12, v16, 24, 4
	v_and_b32_e32 v228, 15, v18
	v_and_b32_e32 v11, 0xffff, v11
	v_mov_b32_e32 v211, v22
	v_mul_i32_i24_e32 v10, v14, v129
	v_mov_b32_e32 v235, v14
	v_mul_i32_i24_e32 v59, v12, v104
	v_mul_i32_i24_e32 v53, v11, v117
	v_dual_mov_b32 v210, v11 :: v_dual_and_b32 v11, 0xf0f0f0f, v16
	v_mov_b32_e32 v239, v12
	v_mul_i32_i24_e32 v58, v13, v103
	v_mul_i32_i24_e32 v48, v228, v120
	v_bfe_i32 v86, v44, 0, 8
	v_lshrrev_b16 v11, 8, v11
	v_ashrrev_i32_e32 v85, 24, v45
	v_bfe_i32 v82, v45, 0, 8
	v_ashrrev_i32_e32 v81, 24, v46
	v_mad_i32_i24 v51, v132, v126, v51
	v_and_b32_e32 v11, 0xffff, v11
	v_and_b32_e32 v14, 0xf0f0f0f, v18
	v_mad_i32_i24 v50, v130, v125, v50
	v_lshrrev_b16 v60, 8, v47
	v_bfe_i32 v84, v45, 16, 8
	v_mul_i32_i24_e32 v57, v11, v102
	v_mov_b32_e32 v133, v11
	ds_load_2addr_b32 v[11:12], v9 offset0:4 offset1:5
	v_lshrrev_b16 v14, 8, v14
	v_bfe_i32 v83, v38, 0, 8
	v_bfe_i32 v79, v42, 0, 8
	;; [unrolled: 1-line block ×3, first 2 shown]
	v_ashrrev_i32_e32 v68, 24, v47
	v_and_b32_e32 v233, 0xffff, v14
	v_bfe_u32 v14, v15, 24, 4
	v_and_b32_e32 v131, 15, v17
	v_bfe_i32 v67, v47, 16, 8
	v_bfe_i32 v47, v47, 0, 8
	;; [unrolled: 1-line block ×3, first 2 shown]
	v_mul_i32_i24_e32 v55, v14, v119
	v_mov_b32_e32 v158, v14
	v_mad_i32_i24 v48, v131, v124, v48
	v_bfe_i32 v66, v60, 0, 8
	v_ashrrev_i32_e32 v46, 24, v4
	v_ashrrev_i32_e32 v45, 24, v5
	v_lshrrev_b32_e32 v173, 28, v15
	v_ashrrev_i32_e32 v43, 24, v6
	s_wait_dscnt 0x0
	v_and_b32_e32 v23, 15, v11
	v_and_b32_e32 v13, 0xf0f0f0f, v11
	v_bfe_u32 v249, v12, 24, 4
	v_bfe_u32 v248, v12, 16, 4
	v_mul_i32_i24_e32 v96, v250, v45
	v_mov_b32_e32 v165, v23
	v_mul_i32_i24_e32 v52, v22, v116
	v_bfe_u32 v22, v11, 24, 4
	v_and_b32_e32 v14, 15, v16
	v_lshrrev_b16 v13, 8, v13
	v_and_b32_e32 v252, 15, v12
	v_mul_i32_i24_e32 v61, v23, v86
	v_mov_b32_e32 v247, v22
	v_mul_i32_i24_e32 v56, v14, v101
	v_mov_b32_e32 v156, v14
	v_lshrrev_b16 v14, 8, v44
	v_and_b32_e32 v13, 0xffff, v13
	v_mul_i32_i24_e32 v49, v233, v121
	v_mul_i32_i24_e32 v64, v22, v99
	;; [unrolled: 1-line block ×3, first 2 shown]
	v_bfe_i32 v88, v14, 0, 8
	v_mov_b32_e32 v162, v13
	v_bfe_u32 v14, v11, 16, 4
	v_mul_i32_i24_e32 v71, v249, v85
	v_add3_u32 v10, v10, v49, v53
	v_mul_i32_i24_e32 v62, v13, v88
	v_and_b32_e32 v13, 0xf0f0f0f, v12
	v_mul_i32_i24_e32 v63, v14, v93
	v_mov_b32_e32 v159, v14
	v_add3_u32 v49, v50, v54, v58
	v_add3_u32 v48, v48, v52, v56
	v_lshrrev_b16 v13, 8, v13
	v_add3_u32 v50, v51, v55, v59
	v_mul_i32_i24_e32 v70, v248, v84
	v_add3_u32 v10, v10, v57, v62
	v_add3_u32 v48, v48, v61, v65
	v_and_b32_e32 v137, 0xffff, v13
	ds_load_2addr_b32 v[13:14], v9 offset0:6 offset1:7
	v_add3_u32 v50, v50, v64, v71
	v_add3_u32 v49, v49, v63, v70
	v_bfe_i32 v51, v4, 0, 8
	v_mul_i32_i24_e32 v69, v137, v83
	v_lshrrev_b16 v55, 8, v6
	v_bfe_i32 v52, v5, 16, 8
	v_bfe_i32 v54, v6, 16, 8
	;; [unrolled: 1-line block ×3, first 2 shown]
	v_bfe_u32 v6, v15, 20, 4
	v_bfe_i32 v55, v55, 0, 8
	v_mul_i32_i24_e32 v95, v251, v52
	v_lshrrev_b32_e32 v176, 28, v16
	v_ashrrev_i32_e32 v41, 24, v7
	v_bfe_i32 v56, v7, 16, 8
	v_bfe_u32 v157, v16, 20, 4
	v_bfe_u32 v154, v15, 4, 4
	v_mul_i32_i24_e32 v100, v173, v43
	v_bfe_u32 v161, v16, 4, 4
	v_ashrrev_i32_e32 v39, 24, v0
	s_wait_dscnt 0x0
	v_and_b32_e32 v9, 0xf0f0f0f, v13
	v_bfe_u32 v22, v13, 24, 4
	v_and_b32_e32 v44, 0xf0f0f0f, v14
	v_and_b32_e32 v136, 15, v13
	;; [unrolled: 1-line block ×3, first 2 shown]
	v_lshrrev_b16 v9, 8, v9
	scratch_store_b32 off, v22, off offset:396 ; 4-byte Folded Spill
	v_mul_i32_i24_e32 v74, v22, v81
	v_bfe_u32 v22, v14, 24, 4
	v_lshrrev_b16 v75, 8, v44
	v_and_b32_e32 v135, 0xffff, v9
	v_bfe_u32 v134, v13, 16, 4
	v_mul_i32_i24_e32 v9, v136, v78
	v_bfe_u32 v23, v14, 16, 4
	v_and_b32_e32 v24, 0xffff, v75
	v_mul_i32_i24_e32 v72, v135, v79
	v_mul_i32_i24_e32 v60, v25, v47
	;; [unrolled: 1-line block ×6, first 2 shown]
	v_add3_u32 v10, v10, v69, v72
	v_add3_u32 v9, v48, v9, v60
	;; [unrolled: 1-line block ×3, first 2 shown]
	s_clause 0x2
	scratch_store_b32 off, v23, off offset:156
	scratch_store_b32 off, v22, off offset:164
	;; [unrolled: 1-line block ×3, first 2 shown]
	v_add3_u32 v49, v49, v73, v76
	v_add3_u32 v10, v10, v75, v48
	scratch_store_b32 off, v25, off offset:168 ; 4-byte Folded Spill
	v_lshrrev_b16 v48, 8, v5
	v_lshrrev_b32_e32 v168, 28, v12
	v_ashrrev_i32_e32 v38, 24, v1
	v_add3_u32 v9, v9, v49, v10
	ds_load_u16 v10, v8
	ds_load_u16 v69, v8 offset:8
	v_bfe_i32 v49, v4, 16, 8
	v_bfe_i32 v53, v48, 0, 8
	v_mad_i32_i24 v96, v155, v46, v96
	v_mul_i32_i24_e32 v110, v168, v38
	scratch_load_b32 v153, off, off offset:648 ; 4-byte Folded Reload
	v_mad_i32_i24 v95, v243, v49, v95
	v_lshrrev_b16 v48, 8, v2
	v_lshrrev_b32_e32 v139, 28, v13
	v_bfe_i32 v44, v5, 0, 8
	v_bfe_u32 v76, v17, 4, 4
	v_bfe_i32 v40, v7, 0, 8
	v_bfe_i32 v65, v48, 0, 8
	v_mul_i32_i24_e32 v97, v154, v42
	v_bfe_i32 v58, v0, 16, 8
	v_bfe_i32 v60, v0, 0, 8
	v_bfe_u32 v177, v11, 20, 4
	v_bfe_u32 v147, v11, 4, 4
	v_bfe_i32 v61, v1, 16, 8
	s_wait_dscnt 0x1
	v_and_b32_e32 v8, 0xff, v10
	v_lshrrev_b16 v89, 8, v10
	v_lshrrev_b16 v10, 8, v4
	v_bfe_i32 v63, v1, 0, 8
	v_bfe_u32 v170, v12, 20, 4
	scratch_store_b32 off, v8, off offset:172 ; 4-byte Folded Spill
	v_mul_lo_u32 v8, v9, v8
	v_bfe_i32 v50, v10, 0, 8
	v_mul_i32_i24_e32 v10, v176, v41
	v_bfe_u32 v9, v18, 4, 4
	v_bfe_u32 v149, v12, 4, 4
	v_lshrrev_b32_e32 v150, 28, v14
	v_lshrrev_b16 v57, 8, v7
	v_lshrrev_b16 v5, 8, v0
	v_cvt_f32_i32_e32 v90, v8
	v_lshrrev_b32_e32 v8, 4, v17
	v_mul_i32_i24_e32 v92, v9, v44
	scratch_store_b32 off, v9, off offset:588 ; 4-byte Folded Spill
	v_mul_i32_i24_e32 v9, v161, v40
	v_mul_i32_i24_e32 v0, v147, v60
	v_lshrrev_b16 v8, 8, v8
	v_mad_i32_i24 v92, v76, v51, v92
	v_mul_i32_i24_e32 v106, v177, v58
	v_mul_i32_i24_e32 v109, v170, v61
	v_bfe_i32 v64, v2, 16, 8
	v_and_b32_e32 v8, 15, v8
	v_bfe_i32 v48, v3, 16, 8
	v_add3_u32 v92, v92, v97, v9
	v_bfe_i32 v57, v57, 0, 8
	v_bfe_i32 v59, v5, 0, 8
	v_and_b32_e32 v4, 0xffff, v8
	v_mul_i32_i24_e32 v8, v6, v54
	s_wait_dscnt 0x0
	v_cvt_f32_ubyte0_e32 v20, v69
	v_lshrrev_b16 v70, 8, v3
	v_ashrrev_i32_e32 v37, 24, v2
	scratch_store_b32 off, v4, off offset:384 ; 4-byte Folded Spill
	v_mul_i32_i24_e32 v91, v4, v50
	v_lshrrev_b32_e32 v4, 4, v18
	v_bfe_i32 v36, v2, 0, 8
	v_bfe_u32 v141, v13, 4, 4
	v_ashrrev_i32_e32 v35, 24, v3
	v_bfe_i32 v33, v3, 0, 8
	v_lshrrev_b16 v4, 8, v4
	v_bfe_u32 v138, v14, 4, 4
	v_mul_i32_i24_e32 v2, v141, v36
	v_mul_i32_i24_e32 v113, v139, v37
	v_bfe_i32 v34, v70, 0, 8
	v_and_b32_e32 v4, 15, v4
	v_mul_i32_i24_e32 v3, v138, v33
	v_mul_i32_i24_e32 v115, v150, v35
	v_mov_b32_e32 v208, v20
	s_delay_alu instid0(VALU_DEP_4)
	v_and_b32_e32 v4, 0xffff, v4
	s_clause 0x1
	scratch_store_b32 off, v208, off offset:392
	scratch_store_b32 off, v4, off offset:432
	v_mul_i32_i24_e32 v94, v4, v53
	v_lshrrev_b32_e32 v4, 4, v15
	v_mul_i32_i24_e32 v15, v157, v56
	s_delay_alu instid0(VALU_DEP_2) | instskip(NEXT) | instid1(VALU_DEP_1)
	v_lshrrev_b16 v4, 8, v4
	v_and_b32_e32 v4, 15, v4
	s_delay_alu instid0(VALU_DEP_1) | instskip(SKIP_2) | instid1(VALU_DEP_3)
	v_and_b32_e32 v152, 0xffff, v4
	v_lshrrev_b32_e32 v4, 4, v16
	v_lshrrev_b32_e32 v16, 28, v11
	v_mul_i32_i24_e32 v98, v152, v55
	s_delay_alu instid0(VALU_DEP_3) | instskip(NEXT) | instid1(VALU_DEP_3)
	v_lshrrev_b16 v4, 8, v4
	v_mul_i32_i24_e32 v107, v16, v39
	scratch_store_b32 off, v16, off offset:400 ; 4-byte Folded Spill
	v_add3_u32 v91, v91, v94, v98
	v_add3_u32 v94, v95, v8, v15
	v_add3_u32 v95, v96, v100, v10
	v_and_b32_e32 v4, 15, v4
	s_delay_alu instid0(VALU_DEP_2) | instskip(SKIP_3) | instid1(VALU_DEP_1)
	v_add3_u32 v95, v95, v107, v110
	scratch_load_b32 v107, off, off offset:1168 ; 4-byte Folded Reload
	v_and_b32_e32 v164, 0xffff, v4
	v_lshrrev_b32_e32 v4, 4, v11
	v_lshrrev_b16 v4, 8, v4
	s_delay_alu instid0(VALU_DEP_1) | instskip(NEXT) | instid1(VALU_DEP_1)
	v_and_b32_e32 v4, 15, v4
	v_and_b32_e32 v167, 0xffff, v4
	v_lshrrev_b32_e32 v4, 4, v12
	s_delay_alu instid0(VALU_DEP_2) | instskip(NEXT) | instid1(VALU_DEP_2)
	v_mul_i32_i24_e32 v105, v167, v59
	v_lshrrev_b16 v4, 8, v4
	s_delay_alu instid0(VALU_DEP_1) | instskip(NEXT) | instid1(VALU_DEP_1)
	v_and_b32_e32 v4, 15, v4
	v_and_b32_e32 v160, 0xffff, v4
	v_lshrrev_b32_e32 v4, 4, v13
	s_delay_alu instid0(VALU_DEP_1) | instskip(NEXT) | instid1(VALU_DEP_1)
	v_lshrrev_b16 v4, 8, v4
	v_and_b32_e32 v4, 15, v4
	s_delay_alu instid0(VALU_DEP_1) | instskip(SKIP_3) | instid1(VALU_DEP_1)
	v_and_b32_e32 v4, 0xffff, v4
	scratch_store_b32 off, v4, off offset:428 ; 4-byte Folded Spill
	v_mul_i32_i24_e32 v111, v4, v65
	v_lshrrev_b32_e32 v4, 4, v14
	v_lshrrev_b16 v4, 8, v4
	s_delay_alu instid0(VALU_DEP_1) | instskip(SKIP_1) | instid1(VALU_DEP_2)
	v_and_b32_e32 v71, 15, v4
	v_bfe_u32 v4, v14, 20, 4
	v_and_b32_e32 v151, 0xffff, v71
	scratch_store_b32 off, v6, off offset:420 ; 4-byte Folded Spill
	v_lshrrev_b16 v6, 8, v1
	v_mul_i32_i24_e32 v1, v149, v63
	v_mul_i32_i24_e32 v114, v4, v48
	;; [unrolled: 1-line block ×3, first 2 shown]
	scratch_store_b32 off, v4, off offset:388 ; 4-byte Folded Spill
	v_bfe_i32 v62, v6, 0, 8
	v_bfe_u32 v6, v13, 20, 4
	v_add3_u32 v0, v92, v0, v1
	v_add3_u32 v1, v94, v106, v109
	v_cvt_f32_ubyte1_e32 v106, v69
	v_mul_i32_i24_e32 v108, v160, v62
	v_mul_i32_i24_e32 v112, v6, v64
	v_add3_u32 v0, v0, v2, v3
	v_add3_u32 v2, v95, v113, v115
	v_and_b32_e32 v115, 0xffff, v89
	scratch_store_b32 off, v6, off offset:424 ; 4-byte Folded Spill
	v_add3_u32 v1, v1, v112, v114
	v_dual_mov_b32 v112, v211 :: v_dual_mov_b32 v69, v137
	v_mul_i32_i24_e32 v7, v164, v57
	v_mov_b32_e32 v114, v210
	s_delay_alu instid0(VALU_DEP_2) | instskip(NEXT) | instid1(VALU_DEP_1)
	v_add3_u32 v91, v91, v7, v105
	v_add3_u32 v91, v91, v108, v111
	s_delay_alu instid0(VALU_DEP_1) | instskip(NEXT) | instid1(VALU_DEP_1)
	v_add3_u32 v2, v91, v14, v2
	v_add3_u32 v0, v0, v1, v2
	ds_load_b64 v[2:3], v87 offset:27200
	v_mul_lo_u32 v0, v0, v115
	s_delay_alu instid0(VALU_DEP_1) | instskip(SKIP_3) | instid1(VALU_DEP_2)
	v_cvt_f32_i32_e32 v0, v0
	s_wait_dscnt 0x0
	v_fma_mix_f32 v1, v90, v2, 0 op_sel_hi:[0,1,0]
	v_fma_mix_f32 v14, v20, v2, 0 op_sel:[0,1,0] op_sel_hi:[0,1,0]
	v_fma_mix_f32 v0, v0, v3, v1 op_sel_hi:[0,1,0]
	s_delay_alu instid0(VALU_DEP_2) | instskip(SKIP_1) | instid1(VALU_DEP_1)
	v_fma_mix_f32 v1, v106, v3, v14 op_sel:[0,1,0] op_sel_hi:[0,1,0]
	s_wait_loadcnt 0x1
	v_mul_f32_e32 v1, v1, v153
	s_wait_loadcnt 0x0
	s_delay_alu instid0(VALU_DEP_1) | instskip(SKIP_1) | instid1(VALU_DEP_2)
	v_fma_f32 v0, v0, v107, -v1
	v_add_nc_u32_e32 v1, s17, v200
	v_add_f32_e32 v127, v127, v0
	ds_load_2addr_b32 v[89:90], v1 offset1:1
	v_add3_u32 v0, s16, v187, v128
	ds_load_2addr_b32 v[174:175], v1 offset0:6 offset1:7
	v_mov_b32_e32 v137, v136
	scratch_store_b32 off, v127, off offset:832 ; 4-byte Folded Spill
	ds_load_2addr_b32 v[127:128], v1 offset0:4 offset1:5
	s_wait_dscnt 0x2
	v_and_b32_e32 v108, 15, v89
	v_bfe_u32 v110, v89, 8, 4
	v_bfe_u32 v109, v89, 16, 4
	;; [unrolled: 1-line block ×3, first 2 shown]
	v_and_b32_e32 v4, 15, v90
	v_mul_i32_i24_e32 v14, v124, v108
	s_wait_dscnt 0x0
	v_bfe_u32 v74, v127, 12, 4
	v_mul_i32_i24_e32 v87, v125, v109
	v_mul_i32_i24_e32 v91, v126, v5
	s_clause 0x1
	scratch_store_b32 off, v4, off offset:364
	scratch_store_b32 off, v5, off offset:352
	v_mad_i32_i24 v14, v129, v110, v14
	v_bfe_u32 v180, v174, 8, 4
	v_and_b32_e32 v182, 15, v174
	v_bfe_u32 v5, v89, 4, 4
	v_and_b32_e32 v172, 15, v175
	v_add3_u32 v14, v14, v87, v91
	v_mul_i32_i24_e32 v87, v120, v4
	v_bfe_u32 v4, v90, 8, 4
	v_bfe_u32 v184, v89, 20, 4
	scratch_store_b32 off, v172, off offset:48 ; 4-byte Folded Spill
	v_bfe_u32 v209, v90, 4, 4
	v_mul_i32_i24_e32 v100, v51, v5
	scratch_store_b32 off, v4, off offset:688 ; 4-byte Folded Spill
	v_mul_i32_i24_e32 v91, v121, v4
	v_bfe_u32 v4, v90, 16, 4
	v_lshrrev_b32_e32 v171, 28, v90
	v_mul_i32_i24_e32 v105, v49, v184
	v_mul_i32_i24_e32 v178, v44, v209
	v_add3_u32 v14, v14, v91, v87
	scratch_store_b32 off, v4, off offset:692 ; 4-byte Folded Spill
	v_mul_i32_i24_e32 v92, v122, v4
	v_bfe_u32 v4, v90, 24, 4
	v_mul_i32_i24_e32 v185, v45, v171
	v_bfe_u32 v213, v175, 4, 4
	;; [unrolled: 2-line block ×3, first 2 shown]
	v_mul_i32_i24_e32 v95, v123, v4
	scratch_store_b32 off, v4, off offset:696 ; 4-byte Folded Spill
	v_mul_i32_i24_e32 v205, v33, v213
	v_lshrrev_b32_e32 v215, 28, v175
	v_mul_i32_i24_e32 v200, v61, v212
	v_add3_u32 v14, v14, v92, v95
	ds_load_2addr_b32 v[91:92], v1 offset0:2 offset1:3
	v_mul_i32_i24_e32 v1, v78, v182
	s_clause 0x1
	scratch_store_b32 off, v180, off offset:380
	scratch_store_b32 off, v182, off offset:152
	s_wait_dscnt 0x0
	v_and_b32_e32 v4, 15, v91
	scratch_store_b32 off, v4, off offset:112 ; 4-byte Folded Spill
	v_mul_i32_i24_e32 v87, v116, v4
	v_bfe_u32 v4, v91, 8, 4
	scratch_store_b32 off, v4, off offset:116 ; 4-byte Folded Spill
	v_mul_i32_i24_e32 v95, v117, v4
	v_bfe_u32 v4, v91, 16, 4
	s_delay_alu instid0(VALU_DEP_2)
	v_add3_u32 v14, v14, v95, v87
	scratch_store_b32 off, v4, off offset:120 ; 4-byte Folded Spill
	v_mul_i32_i24_e32 v96, v118, v4
	v_bfe_u32 v4, v91, 24, 4
	scratch_store_b32 off, v4, off offset:124 ; 4-byte Folded Spill
	v_mul_i32_i24_e32 v97, v119, v4
	v_and_b32_e32 v4, 15, v92
	s_delay_alu instid0(VALU_DEP_2)
	v_add3_u32 v14, v14, v96, v97
	scratch_store_b32 off, v4, off offset:368 ; 4-byte Folded Spill
	v_mul_i32_i24_e32 v87, v101, v4
	v_bfe_u32 v4, v92, 8, 4
	scratch_store_b32 off, v4, off offset:128 ; 4-byte Folded Spill
	v_mul_i32_i24_e32 v95, v102, v4
	v_bfe_u32 v4, v92, 16, 4
	s_delay_alu instid0(VALU_DEP_2)
	v_add3_u32 v14, v14, v95, v87
	scratch_store_b32 off, v4, off offset:372 ; 4-byte Folded Spill
	v_mul_i32_i24_e32 v96, v103, v4
	v_bfe_u32 v4, v92, 24, 4
	scratch_store_b32 off, v4, off offset:376 ; 4-byte Folded Spill
	v_mul_i32_i24_e32 v97, v104, v4
	v_and_b32_e32 v4, 15, v127
	s_delay_alu instid0(VALU_DEP_2)
	v_add3_u32 v14, v14, v96, v97
	;; [unrolled: 16-line block ×3, first 2 shown]
	scratch_store_b32 off, v4, off offset:132 ; 4-byte Folded Spill
	v_mul_i32_i24_e32 v87, v82, v4
	v_bfe_u32 v4, v128, 8, 4
	scratch_store_b32 off, v4, off offset:136 ; 4-byte Folded Spill
	v_mul_i32_i24_e32 v95, v83, v4
	v_bfe_u32 v4, v128, 16, 4
	s_delay_alu instid0(VALU_DEP_2)
	v_add3_u32 v14, v14, v95, v87
	scratch_store_b32 off, v4, off offset:12 ; 4-byte Folded Spill
	v_mul_i32_i24_e32 v96, v84, v4
	v_bfe_u32 v4, v128, 24, 4
	v_mul_i32_i24_e32 v87, v79, v180
	scratch_store_b32 off, v4, off offset:20 ; 4-byte Folded Spill
	v_mul_i32_i24_e32 v97, v85, v4
	v_bfe_u32 v4, v174, 16, 4
	s_delay_alu instid0(VALU_DEP_2)
	v_add3_u32 v14, v14, v96, v97
	scratch_store_b32 off, v4, off offset:600 ; 4-byte Folded Spill
	v_mul_i32_i24_e32 v96, v80, v4
	v_bfe_u32 v4, v174, 24, 4
	v_add3_u32 v1, v14, v87, v1
	v_mul_i32_i24_e32 v14, v47, v172
	scratch_store_b32 off, v4, off offset:32 ; 4-byte Folded Spill
	v_mul_i32_i24_e32 v98, v81, v4
	v_bfe_u32 v4, v175, 8, 4
	s_delay_alu instid0(VALU_DEP_2) | instskip(SKIP_3) | instid1(VALU_DEP_2)
	v_add3_u32 v1, v1, v96, v98
	scratch_store_b32 off, v4, off offset:264 ; 4-byte Folded Spill
	v_mul_i32_i24_e32 v87, v66, v4
	v_bfe_u32 v4, v175, 16, 4
	v_add3_u32 v1, v1, v87, v14
	scratch_store_b32 off, v4, off offset:56 ; 4-byte Folded Spill
	v_mul_i32_i24_e32 v96, v67, v4
	v_bfe_u32 v4, v175, 24, 4
	scratch_store_b32 off, v4, off offset:448 ; 4-byte Folded Spill
	ds_load_u16 v14, v0
	ds_load_u16 v0, v0 offset:8
	v_mul_i32_i24_e32 v98, v68, v4
	scratch_store_b32 off, v5, off offset:36 ; 4-byte Folded Spill
	v_bfe_u32 v5, v89, 12, 4
	s_clause 0x1
	scratch_store_b32 off, v184, off offset:40
	scratch_store_b32 off, v209, off offset:60
	v_add3_u32 v1, v1, v96, v98
	s_clause 0x1
	scratch_store_b32 off, v171, off offset:456
	scratch_store_b32 off, v5, off offset:44
	v_mad_i32_i24 v100, v50, v5, v100
	v_bfe_u32 v5, v90, 12, 4
	s_clause 0x2
	scratch_store_b32 off, v74, off offset:360
	scratch_store_b32 off, v213, off offset:476
	;; [unrolled: 1-line block ×3, first 2 shown]
	v_mul_i32_i24_e32 v179, v53, v5
	v_bfe_u32 v5, v91, 4, 4
	s_wait_dscnt 0x1
	v_and_b32_e32 v4, 0xff, v14
	v_lshrrev_b16 v87, 8, v14
	s_wait_dscnt 0x0
	v_cvt_f32_ubyte0_e32 v183, v0
	scratch_store_b32 off, v5, off offset:460 ; 4-byte Folded Spill
	v_mul_i32_i24_e32 v186, v42, v5
	scratch_store_b32 off, v4, off offset:596 ; 4-byte Folded Spill
	v_mul_lo_u32 v1, v1, v4
	v_lshrrev_b32_e32 v4, 28, v89
	v_bfe_u32 v5, v91, 12, 4
	v_and_b32_e32 v71, 0xffff, v87
	v_fma_mix_f32 v14, v2, v183, 0 op_sel:[1,0,0] op_sel_hi:[1,0,0]
	s_clause 0x1
	scratch_store_b32 off, v183, off offset:604
	scratch_store_b32 off, v4, off offset:52
	v_mul_i32_i24_e32 v89, v46, v4
	v_bfe_u32 v4, v90, 20, 4
	scratch_store_b32 off, v5, off offset:356 ; 4-byte Folded Spill
	v_mul_i32_i24_e32 v187, v55, v5
	v_bfe_u32 v5, v92, 4, 4
	v_add3_u32 v89, v100, v105, v89
	scratch_store_b32 off, v4, off offset:64 ; 4-byte Folded Spill
	v_mul_i32_i24_e32 v181, v52, v4
	v_bfe_u32 v4, v91, 20, 4
	v_mul_i32_i24_e32 v190, v40, v5
	v_add3_u32 v89, v89, v178, v179
	v_cvt_f32_i32_e32 v1, v1
	scratch_store_b32 off, v4, off offset:100 ; 4-byte Folded Spill
	v_mul_i32_i24_e32 v188, v54, v4
	v_lshrrev_b32_e32 v4, 28, v91
	v_add3_u32 v89, v89, v181, v185
	v_dual_mov_b32 v185, v130 :: v_dual_mov_b32 v130, v248
	v_fma_mix_f32 v1, v2, v1, 0 op_sel_hi:[1,0,0]
	scratch_store_b32 off, v4, off offset:444 ; 4-byte Folded Spill
	v_mul_i32_i24_e32 v189, v43, v4
	v_bfe_u32 v4, v92, 20, 4
	v_add3_u32 v89, v89, v186, v187
	v_dual_mov_b32 v186, v131 :: v_dual_mov_b32 v131, v249
	scratch_store_b32 off, v4, off offset:192 ; 4-byte Folded Spill
	v_mul_i32_i24_e32 v192, v56, v4
	v_lshrrev_b32_e32 v4, 28, v92
	scratch_store_b32 off, v5, off offset:184 ; 4-byte Folded Spill
	v_bfe_u32 v5, v92, 12, 4
	v_add3_u32 v89, v89, v188, v189
	scratch_store_b32 off, v4, off offset:188 ; 4-byte Folded Spill
	v_mul_i32_i24_e32 v193, v41, v4
	scratch_store_b32 off, v5, off offset:472 ; 4-byte Folded Spill
	v_mul_i32_i24_e32 v191, v57, v5
	v_bfe_u32 v5, v127, 4, 4
	v_bfe_u32 v4, v127, 20, 4
	s_delay_alu instid0(VALU_DEP_3)
	v_add3_u32 v89, v89, v190, v191
	scratch_store_b32 off, v5, off offset:104 ; 4-byte Folded Spill
	v_mul_i32_i24_e32 v194, v60, v5
	v_bfe_u32 v5, v128, 4, 4
	scratch_store_b32 off, v4, off offset:440 ; 4-byte Folded Spill
	v_mul_i32_i24_e32 v196, v58, v4
	v_lshrrev_b32_e32 v4, 28, v127
	v_add3_u32 v89, v89, v192, v193
	scratch_store_b32 off, v5, off offset:24 ; 4-byte Folded Spill
	v_mul_i32_i24_e32 v198, v63, v5
	v_bfe_u32 v5, v128, 12, 4
	scratch_store_b32 off, v4, off offset:196 ; 4-byte Folded Spill
	v_mul_i32_i24_e32 v197, v39, v4
	v_lshrrev_b32_e32 v4, 28, v128
	v_add3_u32 v89, v89, v194, v195
	scratch_store_b32 off, v5, off offset:200 ; 4-byte Folded Spill
	v_mul_i32_i24_e32 v199, v62, v5
	v_bfe_u32 v5, v174, 4, 4
	v_mul_i32_i24_e32 v201, v38, v4
	v_add3_u32 v89, v89, v196, v197
	v_mov_b32_e32 v128, v166
	v_mov_b32_e32 v166, v165
	scratch_store_b32 off, v5, off offset:204 ; 4-byte Folded Spill
	v_mul_i32_i24_e32 v202, v36, v5
	v_bfe_u32 v5, v174, 12, 4
	v_add3_u32 v89, v89, v198, v199
	v_mov_b32_e32 v198, v158
	v_mov_b32_e32 v158, v156
	;; [unrolled: 1-line block ×3, first 2 shown]
	scratch_store_b32 off, v5, off offset:536 ; 4-byte Folded Spill
	v_mul_i32_i24_e32 v203, v65, v5
	v_bfe_u32 v5, v175, 12, 4
	scratch_store_b32 off, v4, off offset:464 ; 4-byte Folded Spill
	v_bfe_u32 v4, v174, 20, 4
	v_add3_u32 v89, v89, v200, v201
	scratch_load_b32 v201, off, off offset:644 ; 4-byte Folded Reload
	v_mul_i32_i24_e32 v206, v34, v5
	s_clause 0x1
	scratch_store_b32 off, v5, off offset:468
	scratch_store_b32 off, v4, off offset:532
	v_mul_i32_i24_e32 v204, v64, v4
	v_lshrrev_b32_e32 v4, 28, v174
	v_add3_u32 v89, v89, v202, v203
	v_cvt_f32_ubyte1_e32 v202, v0
	scratch_store_b32 off, v212, off offset:992 ; 4-byte Folded Spill
	v_mov_b32_e32 v133, v244
	scratch_store_b32 off, v4, off offset:480 ; 4-byte Folded Spill
	v_mul_i32_i24_e32 v174, v37, v4
	v_bfe_u32 v4, v175, 20, 4
	v_mul_i32_i24_e32 v175, v35, v215
	v_fma_mix_f32 v0, v3, v202, v14 op_sel:[1,0,0] op_sel_hi:[1,0,0]
	v_mov_b32_e32 v191, v239
	v_add3_u32 v89, v89, v204, v174
	scratch_store_b32 off, v4, off offset:108 ; 4-byte Folded Spill
	v_mul_i32_i24_e32 v207, v48, v4
	scratch_load_b32 v4, off, off offset:256 ; 4-byte Folded Reload
	v_mov_b32_e32 v165, v162
	v_add3_u32 v89, v89, v205, v206
	v_mov_b32_e32 v205, v139
	v_dual_mov_b32 v139, v138 :: v_dual_mov_b32 v162, v159
	v_mov_b32_e32 v159, v247
	s_delay_alu instid0(VALU_DEP_4) | instskip(SKIP_1) | instid1(VALU_DEP_2)
	v_add3_u32 v174, v89, v207, v175
	v_dual_mov_b32 v136, v135 :: v_dual_mov_b32 v135, v134
	v_mul_lo_u32 v87, v174, v71
	s_delay_alu instid0(VALU_DEP_1) | instskip(NEXT) | instid1(VALU_DEP_1)
	v_cvt_f32_i32_e32 v87, v87
	v_fma_mix_f32 v1, v3, v87, v1 op_sel_hi:[1,0,0]
	s_wait_loadcnt 0x0
	v_mul_f32_e32 v0, v0, v4
	s_delay_alu instid0(VALU_DEP_1) | instskip(NEXT) | instid1(VALU_DEP_1)
	v_fma_f32 v0, v1, v201, -v0
	v_dual_add_f32 v240, v240, v0 :: v_dual_add_nc_u32 v1, s17, v169
	ds_load_2addr_b32 v[229:230], v1 offset1:1
	ds_load_2addr_b32 v[237:238], v1 offset0:2 offset1:3
	ds_load_2addr_b32 v[245:246], v1 offset0:4 offset1:5
	ds_load_2addr_b32 v[253:254], v1 offset0:6 offset1:7
	v_add3_u32 v0, s16, v222, v241
	scratch_store_b32 off, v240, off offset:836 ; 4-byte Folded Spill
	s_wait_dscnt 0x3
	v_and_b32_e32 v4, 15, v229
	v_bfe_u32 v5, v229, 16, 4
	s_wait_dscnt 0x1
	v_and_b32_e32 v242, 15, v246
	v_bfe_u32 v203, v246, 8, 4
	v_bfe_u32 v148, v246, 16, 4
	scratch_store_b32 off, v4, off offset:592 ; 4-byte Folded Spill
	v_mul_i32_i24_e32 v14, v124, v4
	v_bfe_u32 v4, v229, 8, 4
	scratch_store_b32 off, v5, off offset:540 ; 4-byte Folded Spill
	v_mul_i32_i24_e32 v174, v125, v5
	v_bfe_u32 v5, v229, 24, 4
	v_bfe_u32 v89, v246, 24, 4
	scratch_store_b32 off, v4, off offset:208 ; 4-byte Folded Spill
	v_mad_i32_i24 v14, v129, v4, v14
	v_and_b32_e32 v4, 15, v230
	v_mul_i32_i24_e32 v175, v126, v5
	s_wait_dscnt 0x0
	v_and_b32_e32 v73, 15, v253
	v_bfe_u32 v70, v253, 8, 4
	s_clause 0x1
	scratch_store_b32 off, v203, off offset:176
	scratch_store_b32 off, v4, off offset:544
	v_add3_u32 v14, v14, v174, v175
	v_mul_i32_i24_e32 v174, v120, v4
	v_bfe_u32 v4, v230, 8, 4
	scratch_store_b32 off, v5, off offset:212 ; 4-byte Folded Spill
	v_mul_i32_i24_e32 v1, v78, v73
	s_clause 0x2
	scratch_store_b32 off, v148, off offset:620
	scratch_store_b32 off, v73, off offset:624
	;; [unrolled: 1-line block ×3, first 2 shown]
	v_mul_i32_i24_e32 v175, v121, v4
	v_bfe_u32 v4, v230, 16, 4
	scratch_store_b32 off, v70, off offset:1152 ; 4-byte Folded Spill
	v_bfe_u32 v77, v230, 12, 4
	scratch_store_b32 off, v71, off offset:348 ; 4-byte Folded Spill
	v_add3_u32 v14, v14, v175, v174
	scratch_store_b32 off, v4, off offset:220 ; 4-byte Folded Spill
	v_mul_i32_i24_e32 v178, v122, v4
	v_bfe_u32 v4, v230, 24, 4
	v_lshrrev_b32_e32 v92, 28, v238
	scratch_store_b32 off, v215, off offset:1164 ; 4-byte Folded Spill
	v_bfe_u32 v95, v246, 4, 4
	s_clause 0x1
	scratch_store_b32 off, v242, off offset:616
	scratch_store_b32 off, v4, off offset:224
	v_mul_i32_i24_e32 v179, v123, v4
	v_and_b32_e32 v4, 15, v237
	v_lshrrev_b32_e32 v98, 28, v246
	scratch_store_b32 off, v89, off offset:1148 ; 4-byte Folded Spill
	v_bfe_u32 v236, v229, 4, 4
	v_add3_u32 v14, v14, v178, v179
	scratch_store_b32 off, v4, off offset:228 ; 4-byte Folded Spill
	v_mul_i32_i24_e32 v174, v116, v4
	v_bfe_u32 v4, v237, 8, 4
	v_bfe_u32 v75, v229, 20, 4
	v_mul_i32_i24_e32 v222, v51, v236
	v_bfe_u32 v234, v229, 12, 4
	v_bfe_u32 v226, v230, 4, 4
	scratch_store_b32 off, v4, off offset:232 ; 4-byte Folded Spill
	v_mul_i32_i24_e32 v175, v117, v4
	v_bfe_u32 v4, v237, 16, 4
	v_mul_i32_i24_e32 v227, v49, v75
	v_mad_i32_i24 v222, v50, v234, v222
	v_mul_i32_i24_e32 v31, v44, v226
	v_add3_u32 v14, v14, v175, v174
	scratch_store_b32 off, v4, off offset:236 ; 4-byte Folded Spill
	v_mul_i32_i24_e32 v178, v118, v4
	v_bfe_u32 v4, v237, 24, 4
	v_mul_i32_i24_e32 v30, v53, v77
	v_lshrrev_b32_e32 v87, 28, v230
	v_bfe_u32 v91, v237, 20, 4
	v_lshrrev_b32_e32 v90, 28, v237
	scratch_store_b32 off, v4, off offset:240 ; 4-byte Folded Spill
	v_mul_i32_i24_e32 v179, v119, v4
	v_and_b32_e32 v4, 15, v238
	v_mul_i32_i24_e32 v28, v45, v87
	v_mul_i32_i24_e32 v25, v54, v91
	v_mul_i32_i24_e32 v24, v43, v90
	v_add3_u32 v14, v14, v178, v179
	scratch_store_b32 off, v4, off offset:548 ; 4-byte Folded Spill
	v_mul_i32_i24_e32 v174, v101, v4
	v_bfe_u32 v4, v238, 8, 4
	v_bfe_u32 v94, v238, 20, 4
	v_mul_i32_i24_e32 v20, v41, v92
	v_bfe_u32 v219, v245, 20, 4
	v_lshrrev_b32_e32 v96, 28, v245
	scratch_store_b32 off, v4, off offset:244 ; 4-byte Folded Spill
	v_mul_i32_i24_e32 v175, v102, v4
	v_bfe_u32 v4, v238, 16, 4
	v_mul_i32_i24_e32 v21, v56, v94
	v_mul_i32_i24_e32 v17, v58, v219
	;; [unrolled: 1-line block ×3, first 2 shown]
	v_add3_u32 v14, v14, v175, v174
	scratch_store_b32 off, v4, off offset:552 ; 4-byte Folded Spill
	v_mul_i32_i24_e32 v178, v103, v4
	v_bfe_u32 v4, v238, 24, 4
	v_mul_i32_i24_e32 v11, v38, v98
	v_bfe_u32 v97, v253, 4, 4
	v_lshrrev_b32_e32 v218, 28, v253
	v_bfe_u32 v216, v254, 12, 4
	scratch_store_b32 off, v4, off offset:556 ; 4-byte Folded Spill
	v_mul_i32_i24_e32 v179, v104, v4
	v_and_b32_e32 v4, 15, v245
	v_mul_i32_i24_e32 v10, v36, v97
	v_mul_i32_i24_e32 v7, v37, v218
	;; [unrolled: 1-line block ×3, first 2 shown]
	v_add3_u32 v14, v14, v178, v179
	scratch_store_b32 off, v4, off offset:560 ; 4-byte Folded Spill
	v_mul_i32_i24_e32 v174, v86, v4
	v_bfe_u32 v4, v245, 8, 4
	scratch_store_b32 off, v4, off offset:564 ; 4-byte Folded Spill
	v_mul_i32_i24_e32 v175, v88, v4
	v_bfe_u32 v4, v245, 16, 4
	s_delay_alu instid0(VALU_DEP_2)
	v_add3_u32 v14, v14, v175, v174
	scratch_store_b32 off, v4, off offset:568 ; 4-byte Folded Spill
	v_mul_i32_i24_e32 v178, v93, v4
	v_bfe_u32 v4, v245, 24, 4
	v_mul_i32_i24_e32 v174, v82, v242
	v_mul_i32_i24_e32 v175, v83, v203
	s_delay_alu instid0(VALU_DEP_3)
	v_mul_i32_i24_e32 v179, v99, v4
	scratch_store_b32 off, v4, off offset:248 ; 4-byte Folded Spill
	v_bfe_u32 v4, v253, 16, 4
	v_add3_u32 v14, v14, v178, v179
	v_mul_i32_i24_e32 v178, v84, v148
	v_mul_i32_i24_e32 v179, v85, v89
	scratch_store_b32 off, v4, off offset:524 ; 4-byte Folded Spill
	v_add3_u32 v14, v14, v175, v174
	v_mul_i32_i24_e32 v174, v79, v70
	s_delay_alu instid0(VALU_DEP_2) | instskip(SKIP_2) | instid1(VALU_DEP_3)
	v_add3_u32 v14, v14, v178, v179
	v_mul_i32_i24_e32 v179, v80, v4
	v_bfe_u32 v4, v253, 24, 4
	v_add3_u32 v1, v14, v174, v1
	scratch_store_b32 off, v4, off offset:492 ; 4-byte Folded Spill
	v_mul_i32_i24_e32 v217, v81, v4
	v_and_b32_e32 v4, 15, v254
	s_delay_alu instid0(VALU_DEP_2)
	v_add3_u32 v1, v1, v179, v217
	scratch_store_b32 off, v4, off offset:496 ; 4-byte Folded Spill
	v_mul_i32_i24_e32 v14, v47, v4
	v_bfe_u32 v4, v254, 8, 4
	scratch_store_b32 off, v4, off offset:500 ; 4-byte Folded Spill
	v_mul_i32_i24_e32 v174, v66, v4
	v_bfe_u32 v4, v254, 16, 4
	s_delay_alu instid0(VALU_DEP_2)
	v_add3_u32 v1, v1, v174, v14
	scratch_store_b32 off, v4, off offset:528 ; 4-byte Folded Spill
	v_mul_i32_i24_e32 v179, v67, v4
	v_bfe_u32 v4, v254, 24, 4
	scratch_store_b32 off, v4, off offset:96 ; 4-byte Folded Spill
	ds_load_u16 v14, v0
	ds_load_u16 v0, v0 offset:8
	v_mul_i32_i24_e32 v217, v68, v4
	v_bfe_u32 v4, v237, 4, 4
	scratch_load_b32 v220, off, off offset:1172 ; 4-byte Folded Reload
	s_clause 0x5
	scratch_store_b32 off, v236, off offset:1124
	scratch_store_b32 off, v234, off offset:1128
	;; [unrolled: 1-line block ×6, first 2 shown]
	v_add3_u32 v1, v1, v179, v217
	scratch_store_b32 off, v4, off offset:88 ; 4-byte Folded Spill
	v_mul_i32_i24_e32 v27, v42, v4
	v_bfe_u32 v4, v237, 12, 4
	v_bfe_u32 v217, v254, 4, 4
	s_clause 0x3
	scratch_store_b32 off, v75, off offset:632
	scratch_store_b32 off, v97, off offset:636
	;; [unrolled: 1-line block ×4, first 2 shown]
	s_wait_dscnt 0x1
	v_and_b32_e32 v72, 0xff, v14
	scratch_store_b32 off, v4, off offset:1060 ; 4-byte Folded Spill
	v_mul_i32_i24_e32 v26, v55, v4
	v_bfe_u32 v4, v238, 4, 4
	v_lshrrev_b16 v174, 8, v14
	v_mul_lo_u32 v1, v1, v72
	v_mul_i32_i24_e32 v14, v63, v95
	v_mul_i32_i24_e32 v6, v33, v217
	scratch_store_b32 off, v4, off offset:92 ; 4-byte Folded Spill
	v_mul_i32_i24_e32 v23, v40, v4
	v_bfe_u32 v4, v238, 12, 4
	s_clause 0x1
	scratch_store_b32 off, v72, off offset:628
	scratch_store_b32 off, v95, off offset:612
	v_cvt_f32_i32_e32 v1, v1
	s_clause 0x1
	scratch_store_b32 off, v77, off offset:344
	scratch_store_b32 off, v4, off offset:1064
	v_mul_i32_i24_e32 v22, v57, v4
	v_bfe_u32 v4, v245, 4, 4
	v_fma_mix_f32 v15, v2, v1, 0 op_sel_hi:[1,0,0]
	s_wait_dscnt 0x0
	v_cvt_f32_ubyte0_e32 v1, v0
	v_cvt_f32_ubyte1_e32 v0, v0
	s_clause 0x3
	scratch_store_b32 off, v90, off offset:1156
	scratch_store_b32 off, v92, off offset:1160
	;; [unrolled: 1-line block ×4, first 2 shown]
	v_fma_mix_f32 v32, v2, v1, 0 op_sel:[1,0,0] op_sel_hi:[1,0,0]
	v_mul_i32_i24_e32 v19, v60, v4
	v_bfe_u32 v4, v245, 12, 4
	scratch_store_b32 off, v1, off offset:488 ; 4-byte Folded Spill
	v_lshrrev_b32_e32 v1, 28, v229
	scratch_store_b32 off, v0, off offset:1084 ; 4-byte Folded Spill
	v_fma_mix_f32 v0, v3, v0, v32 op_sel:[1,0,0] op_sel_hi:[1,0,0]
	v_mul_i32_i24_e32 v18, v59, v4
	scratch_store_b32 off, v4, off offset:484 ; 4-byte Folded Spill
	v_mul_i32_i24_e32 v229, v46, v1
	scratch_store_b32 off, v1, off offset:340 ; 4-byte Folded Spill
	v_bfe_u32 v1, v230, 20, 4
	v_bfe_u32 v4, v246, 12, 4
	scratch_store_b32 off, v219, off offset:68 ; 4-byte Folded Spill
	v_add3_u32 v255, v222, v227, v229
	scratch_store_b32 off, v96, off offset:268 ; 4-byte Folded Spill
	v_mul_i32_i24_e32 v29, v52, v1
	scratch_store_b32 off, v1, off offset:1056 ; 4-byte Folded Spill
	v_bfe_u32 v1, v246, 20, 4
	v_add3_u32 v30, v255, v31, v30
	v_mul_i32_i24_e32 v13, v62, v4
	scratch_store_b32 off, v4, off offset:512 ; 4-byte Folded Spill
	v_bfe_u32 v4, v253, 12, 4
	scratch_store_b32 off, v1, off offset:508 ; 4-byte Folded Spill
	v_add3_u32 v28, v30, v29, v28
	v_mul_i32_i24_e32 v12, v61, v1
	v_bfe_u32 v1, v253, 20, 4
	v_mul_i32_i24_e32 v9, v65, v4
	scratch_store_b32 off, v4, off offset:516 ; 4-byte Folded Spill
	v_add3_u32 v26, v28, v27, v26
	s_clause 0x1
	scratch_store_b32 off, v217, off offset:640
	scratch_store_b32 off, v1, off offset:1068
	v_mul_i32_i24_e32 v8, v64, v1
	v_bfe_u32 v1, v254, 20, 4
	v_add3_u32 v24, v26, v25, v24
	v_mov_b32_e32 v227, v243
	v_dual_mov_b32 v245, v132 :: v_dual_mov_b32 v132, v252
	scratch_store_b32 off, v1, off offset:1072 ; 4-byte Folded Spill
	v_add3_u32 v22, v24, v23, v22
	v_mul_i32_i24_e32 v4, v48, v1
	v_lshrrev_b32_e32 v1, 28, v254
	s_delay_alu instid0(VALU_DEP_3) | instskip(SKIP_3) | instid1(VALU_DEP_1)
	v_add3_u32 v20, v22, v21, v20
	scratch_store_b32 off, v1, off offset:1076 ; 4-byte Folded Spill
	v_mul_i32_i24_e32 v1, v35, v1
	v_add3_u32 v18, v20, v19, v18
	v_add3_u32 v16, v18, v17, v16
	s_delay_alu instid0(VALU_DEP_1) | instskip(NEXT) | instid1(VALU_DEP_1)
	v_add3_u32 v13, v16, v14, v13
	v_add3_u32 v11, v13, v12, v11
	s_delay_alu instid0(VALU_DEP_1) | instskip(NEXT) | instid1(VALU_DEP_1)
	;; [unrolled: 3-line block ×3, first 2 shown]
	v_add3_u32 v5, v7, v6, v5
	v_add3_u32 v1, v5, v4, v1
	v_and_b32_e32 v4, 0xffff, v174
	scratch_store_b32 off, v4, off offset:1080 ; 4-byte Folded Spill
	v_mul_lo_u32 v1, v1, v4
	scratch_load_b32 v4, off, off offset:252 ; 4-byte Folded Reload
	v_cvt_f32_i32_e32 v1, v1
	s_delay_alu instid0(VALU_DEP_1) | instskip(SKIP_3) | instid1(VALU_DEP_1)
	v_fma_mix_f32 v1, v3, v1, v15 op_sel_hi:[1,0,0]
	s_wait_loadcnt 0x1
	v_mul_f32_e32 v0, v0, v220
	s_wait_loadcnt 0x0
	v_fma_f32 v0, v1, v4, -v0
	scratch_load_b32 v1, off, off offset:816 ; 4-byte Folded Reload
	s_wait_loadcnt 0x0
	v_add_f32_e32 v1, v1, v0
	scratch_store_b32 off, v1, off offset:816 ; 4-byte Folded Spill
	s_clause 0x1
	scratch_load_b32 v0, off, off offset:1300
	scratch_load_b32 v1, off, off offset:1324
	s_wait_loadcnt 0x0
	v_add3_u32 v4, s16, v1, v0
	scratch_load_b32 v0, off, off offset:1304 ; 4-byte Folded Reload
	s_wait_loadcnt 0x0
	v_add_nc_u32_e32 v5, s17, v0
	s_mov_b32 s17, 8
	ds_load_2addr_b32 v[0:1], v5 offset1:1
	ds_load_2addr_b32 v[19:20], v5 offset0:2 offset1:3
	ds_load_2addr_b32 v[21:22], v5 offset0:4 offset1:5
	;; [unrolled: 1-line block ×3, first 2 shown]
	s_wait_dscnt 0x3
	v_and_b32_e32 v6, 15, v0
	v_bfe_u32 v9, v0, 8, 4
	v_bfe_u32 v222, v0, 16, 4
	;; [unrolled: 1-line block ×4, first 2 shown]
	scratch_store_b32 off, v6, off offset:1048 ; 4-byte Folded Spill
	v_mul_i32_i24_e32 v6, v124, v6
	v_mul_i32_i24_e32 v7, v125, v222
	;; [unrolled: 1-line block ×3, first 2 shown]
	v_bfe_u32 v224, v1, 16, 4
	v_bfe_u32 v223, v1, 24, 4
	v_mad_i32_i24 v6, v129, v9, v6
	s_wait_dscnt 0x2
	v_and_b32_e32 v214, 15, v19
	v_bfe_u32 v207, v19, 8, 4
	v_bfe_u32 v189, v19, 16, 4
	v_mul_i32_i24_e32 v10, v123, v223
	v_add3_u32 v6, v6, v7, v8
	v_and_b32_e32 v7, 15, v1
	scratch_store_b32 off, v9, off offset:324 ; 4-byte Folded Spill
	v_mul_i32_i24_e32 v8, v121, v225
	v_mul_i32_i24_e32 v9, v122, v224
	v_bfe_u32 v188, v19, 24, 4
	scratch_store_b32 off, v7, off offset:328 ; 4-byte Folded Spill
	v_mul_i32_i24_e32 v7, v120, v7
	v_and_b32_e32 v187, 15, v20
	v_bfe_u32 v163, v20, 8, 4
	v_bfe_u32 v146, v20, 24, 4
	s_wait_dscnt 0x1
	v_bfe_u32 v145, v21, 8, 4
	v_add3_u32 v6, v6, v8, v7
	v_mul_i32_i24_e32 v7, v116, v214
	v_mul_i32_i24_e32 v8, v117, v207
	v_bfe_u32 v144, v21, 24, 4
	s_wait_dscnt 0x0
	v_and_b32_e32 v5, 15, v23
	v_add3_u32 v6, v6, v9, v10
	v_mul_i32_i24_e32 v9, v118, v189
	v_mul_i32_i24_e32 v10, v119, v188
	v_bfe_u32 v111, v22, 12, 4
	v_bfe_u32 v127, v23, 8, 4
	v_add3_u32 v6, v6, v8, v7
	v_mul_i32_i24_e32 v7, v101, v187
	v_mul_i32_i24_e32 v8, v102, v163
	v_bfe_u32 v25, v21, 20, 4
	v_bfe_u32 v105, v21, 4, 4
	v_add3_u32 v6, v6, v9, v10
	v_bfe_u32 v9, v20, 16, 4
	v_mul_i32_i24_e32 v10, v104, v146
	v_bfe_u32 v100, v21, 12, 4
	v_bfe_u32 v230, v24, 8, 4
	v_add3_u32 v6, v6, v8, v7
	scratch_store_b32 off, v9, off offset:332 ; 4-byte Folded Spill
	v_mul_i32_i24_e32 v9, v103, v9
	v_and_b32_e32 v7, 15, v21
	v_mul_i32_i24_e32 v8, v88, v145
	s_clause 0x2
	scratch_store_b32 off, v222, off offset:1204
	scratch_store_b32 off, v221, off offset:1200
	;; [unrolled: 1-line block ×3, first 2 shown]
	v_add3_u32 v6, v6, v9, v10
	scratch_store_b32 off, v7, off offset:1052 ; 4-byte Folded Spill
	v_mul_i32_i24_e32 v7, v86, v7
	v_bfe_u32 v9, v21, 16, 4
	v_mul_i32_i24_e32 v10, v99, v144
	v_lshrrev_b32_e32 v21, 28, v21
	scratch_store_b32 off, v5, off offset:1100 ; 4-byte Folded Spill
	v_add3_u32 v6, v6, v8, v7
	scratch_store_b32 off, v9, off offset:1088 ; 4-byte Folded Spill
	v_mul_i32_i24_e32 v9, v93, v9
	v_and_b32_e32 v7, 15, v22
	v_bfe_u32 v8, v22, 8, 4
	v_mul_i32_i24_e32 v5, v78, v5
	s_clause 0x4
	scratch_store_b32 off, v225, off offset:652
	scratch_store_b32 off, v224, off offset:656
	;; [unrolled: 1-line block ×5, first 2 shown]
	v_add3_u32 v6, v6, v9, v10
	scratch_store_b32 off, v7, off offset:1096 ; 4-byte Folded Spill
	v_mul_i32_i24_e32 v7, v82, v7
	v_bfe_u32 v9, v22, 16, 4
	scratch_store_b32 off, v8, off offset:1016 ; 4-byte Folded Spill
	v_mul_i32_i24_e32 v8, v83, v8
	v_bfe_u32 v10, v22, 24, 4
	s_clause 0x4
	scratch_store_b32 off, v163, off offset:1228
	scratch_store_b32 off, v188, off offset:1236
	scratch_store_b32 off, v146, off offset:1232
	scratch_store_b32 off, v9, off offset:1020
	scratch_store_b32 off, v10, off offset:1024
	v_mul_i32_i24_e32 v9, v84, v9
	v_mul_i32_i24_e32 v10, v85, v10
	v_add3_u32 v6, v6, v8, v7
	v_mul_i32_i24_e32 v7, v79, v127
	scratch_store_b32 off, v145, off offset:972 ; 4-byte Folded Spill
	v_bfe_u32 v140, v22, 4, 4
	s_clause 0x2
	scratch_store_b32 off, v187, off offset:1212
	scratch_store_b32 off, v189, off offset:1224
	;; [unrolled: 1-line block ×3, first 2 shown]
	v_add3_u32 v6, v6, v9, v10
	v_bfe_u32 v9, v23, 16, 4
	v_bfe_u32 v10, v0, 20, 4
	;; [unrolled: 1-line block ×4, first 2 shown]
	v_add3_u32 v5, v6, v7, v5
	v_mul_i32_i24_e32 v8, v80, v9
	v_mov_b32_e32 v253, v9
	v_bfe_u32 v9, v23, 24, 4
	v_and_b32_e32 v6, 15, v24
	v_mul_i32_i24_e32 v7, v66, v230
	v_bfe_u32 v143, v24, 12, 4
	s_clause 0x1
	scratch_store_b32 off, v253, off offset:336
	scratch_store_b32 off, v9, off offset:580
	v_mul_i32_i24_e32 v9, v81, v9
	scratch_store_b32 off, v6, off offset:608 ; 4-byte Folded Spill
	v_mul_i32_i24_e32 v6, v47, v6
	v_bfe_u32 v28, v22, 20, 4
	v_lshrrev_b32_e32 v22, 28, v22
	v_add3_u32 v5, v5, v8, v9
	v_bfe_u32 v8, v24, 16, 4
	v_bfe_u32 v9, v24, 24, 4
	v_lshrrev_b32_e32 v24, 28, v24
	v_bfe_u32 v30, v23, 20, 4
	v_add3_u32 v5, v5, v7, v6
	s_clause 0x1
	scratch_store_b32 off, v8, off offset:572
	scratch_store_b32 off, v9, off offset:584
	ds_load_u16 v6, v4
	ds_load_u16 v4, v4 offset:8
	v_mul_i32_i24_e32 v8, v67, v8
	v_mul_i32_i24_e32 v9, v68, v9
	s_clause 0x4
	scratch_store_b32 off, v25, off offset:304
	scratch_store_b32 off, v100, off offset:308
	;; [unrolled: 1-line block ×5, first 2 shown]
	v_add3_u32 v5, v5, v8, v9
	v_bfe_u32 v9, v0, 12, 4
	v_mul_i32_i24_e32 v8, v49, v10
	v_bfe_u32 v10, v1, 20, 4
	v_bfe_u32 v11, v19, 12, 4
	;; [unrolled: 1-line block ×3, first 2 shown]
	scratch_store_b32 off, v9, off offset:316 ; 4-byte Folded Spill
	v_bfe_u32 v14, v20, 4, 4
	v_bfe_u32 v17, v20, 20, 4
	s_clause 0x1
	scratch_store_b32 off, v11, off offset:76
	scratch_store_b32 off, v13, off offset:8
	s_wait_dscnt 0x1
	v_lshrrev_b16 v7, 8, v6
	v_and_b32_e32 v6, 0xff, v6
	v_mul_i32_i24_e32 v11, v55, v11
	v_mul_i32_i24_e32 v12, v54, v13
	v_lshrrev_b32_e32 v13, 28, v19
	v_bfe_u32 v15, v20, 12, 4
	v_mul_lo_u32 v5, v5, v6
	v_mov_b32_e32 v246, v6
	s_wait_dscnt 0x0
	v_cvt_f32_ubyte0_e32 v6, v4
	s_clause 0x2
	scratch_store_b32 off, v13, off offset:288
	scratch_store_b32 off, v17, off offset:292
	;; [unrolled: 1-line block ×3, first 2 shown]
	v_mul_i32_i24_e32 v13, v43, v13
	scratch_store_b32 off, v6, off offset:576 ; 4-byte Folded Spill
	v_cvt_f32_i32_e32 v5, v5
	s_clause 0x1
	scratch_store_b32 off, v14, off offset:80
	scratch_store_b32 off, v15, off offset:84
	v_mul_i32_i24_e32 v14, v40, v14
	v_mul_i32_i24_e32 v15, v57, v15
	v_fma_mix_f32 v5, v2, v5, 0 op_sel_hi:[1,0,0]
	v_fma_mix_f32 v2, v2, v6, 0 op_sel:[1,0,0] op_sel_hi:[1,0,0]
	v_bfe_u32 v6, v0, 4, 4
	v_lshrrev_b32_e32 v0, 28, v0
	v_mul_i32_i24_e32 v16, v56, v17
	v_lshrrev_b32_e32 v17, 28, v20
	v_mul_i32_i24_e32 v18, v60, v105
	scratch_store_b32 off, v6, off offset:320 ; 4-byte Folded Spill
	v_mul_i32_i24_e32 v6, v51, v6
	scratch_store_b32 off, v0, off offset:1004 ; 4-byte Folded Spill
	;; [unrolled: 2-line block ×3, first 2 shown]
	v_mul_i32_i24_e32 v17, v41, v17
	v_mad_i32_i24 v6, v50, v9, v6
	v_mul_i32_i24_e32 v9, v52, v10
	v_mul_i32_i24_e32 v20, v58, v25
	s_clause 0x1
	scratch_store_b32 off, v21, off offset:1104
	scratch_store_b32 off, v111, off offset:1092
	v_add3_u32 v0, v6, v8, v0
	v_bfe_u32 v6, v1, 4, 4
	v_bfe_u32 v8, v1, 12, 4
	scratch_store_b32 off, v10, off offset:272 ; 4-byte Folded Spill
	v_lshrrev_b32_e32 v1, 28, v1
	v_bfe_u32 v10, v19, 4, 4
	scratch_store_b32 off, v6, off offset:72 ; 4-byte Folded Spill
	v_mul_i32_i24_e32 v6, v44, v6
	s_clause 0x2
	scratch_store_b32 off, v8, off offset:276
	scratch_store_b32 off, v1, off offset:280
	;; [unrolled: 1-line block ×3, first 2 shown]
	v_mul_i32_i24_e32 v8, v53, v8
	v_mul_i32_i24_e32 v1, v45, v1
	;; [unrolled: 1-line block ×5, first 2 shown]
	v_add3_u32 v0, v0, v6, v8
	v_mul_i32_i24_e32 v25, v63, v140
	v_mul_i32_i24_e32 v26, v62, v111
	;; [unrolled: 1-line block ×3, first 2 shown]
	v_bfe_u32 v113, v23, 4, 4
	v_add3_u32 v0, v0, v9, v1
	v_bfe_u32 v29, v23, 12, 4
	v_lshrrev_b32_e32 v23, 28, v23
	scratch_store_b32 off, v22, off offset:1008 ; 4-byte Folded Spill
	v_mul_i32_i24_e32 v22, v38, v22
	v_add3_u32 v0, v0, v10, v11
	s_clause 0x1
	scratch_store_b32 off, v28, off offset:1108
	scratch_store_b32 off, v29, off offset:1112
	v_mul_i32_i24_e32 v28, v36, v113
	v_mul_i32_i24_e32 v29, v65, v29
	v_add3_u32 v0, v0, v12, v13
	v_mul_i32_i24_e32 v30, v64, v30
	scratch_store_b32 off, v23, off offset:1012 ; 4-byte Folded Spill
	v_mul_i32_i24_e32 v23, v37, v23
	scratch_store_b32 off, v31, off offset:180 ; 4-byte Folded Spill
	v_add3_u32 v0, v0, v14, v15
	v_mul_i32_i24_e32 v31, v33, v31
	v_mul_i32_i24_e32 v32, v34, v143
	;; [unrolled: 1-line block ×4, first 2 shown]
	v_add3_u32 v0, v0, v16, v17
	v_and_b32_e32 v1, 0xffff, v7
	scratch_load_b32 v255, off, off offset:28 ; 4-byte Folded Reload
	s_clause 0x1
	scratch_store_b32 off, v246, off offset:976
	scratch_store_b32 off, v143, off offset:984
	v_add3_u32 v0, v0, v18, v19
	s_clause 0x2
	scratch_store_b32 off, v1, off offset:260
	scratch_store_b32 off, v140, off offset:1216
	;; [unrolled: 1-line block ×3, first 2 shown]
	v_add3_u32 v0, v0, v20, v21
	s_delay_alu instid0(VALU_DEP_1) | instskip(NEXT) | instid1(VALU_DEP_1)
	v_add3_u32 v0, v0, v25, v26
	v_add3_u32 v0, v0, v27, v22
	s_delay_alu instid0(VALU_DEP_1) | instskip(NEXT) | instid1(VALU_DEP_1)
	v_add3_u32 v0, v0, v28, v29
	;; [unrolled: 3-line block ×3, first 2 shown]
	v_add3_u32 v0, v0, v33, v24
	s_delay_alu instid0(VALU_DEP_1)
	v_mul_lo_u32 v0, v0, v1
	v_cvt_f32_ubyte1_e32 v1, v4
	s_clause 0x1
	scratch_store_b32 off, v142, off offset:1120
	scratch_store_b32 off, v1, off offset:1116
	v_fma_mix_f32 v1, v3, v1, v2 op_sel:[1,0,0] op_sel_hi:[1,0,0]
	scratch_load_b32 v2, off, off           ; 4-byte Folded Reload
	v_cvt_f32_i32_e32 v0, v0
	s_delay_alu instid0(VALU_DEP_1) | instskip(SKIP_2) | instid1(VALU_DEP_1)
	v_fma_mix_f32 v0, v3, v0, v5 op_sel_hi:[1,0,0]
	s_wait_loadcnt 0x0
	v_mul_f32_e32 v1, v1, v2
	v_fma_f32 v0, v0, v255, -v1
	scratch_load_b32 v1, off, off offset:812 ; 4-byte Folded Reload
	s_wait_loadcnt 0x0
	v_add_f32_e32 v1, v1, v0
	scratch_load_b32 v0, off, off offset:1252 ; 4-byte Folded Reload
	scratch_store_b32 off, v1, off offset:812 ; 4-byte Folded Spill
	s_wait_loadcnt 0x0
	v_or_b32_e32 v0, s13, v0
	s_delay_alu instid0(VALU_DEP_1)
	v_lshlrev_b32_e32 v1, 2, v0
	ds_load_b128 v[11:14], v1 offset:16896
	ds_load_b128 v[30:33], v1 offset:16912
	;; [unrolled: 1-line block ×4, first 2 shown]
	s_clause 0xf
	scratch_load_b32 v190, off, off offset:384
	scratch_load_b32 v199, off, off offset:400
	;; [unrolled: 1-line block ×16, first 2 shown]
	v_lshrrev_b32_e32 v0, 1, v0
	s_wait_dscnt 0x3
	v_bfe_i32 v15, v11, 0, 8
	v_bfe_i32 v2, v11, 8, 8
	;; [unrolled: 1-line block ×3, first 2 shown]
	v_ashrrev_i32_e32 v17, 24, v11
	ds_load_b64 v[0:1], v0 offset:27200
	v_mul_i32_i24_e32 v66, v186, v15
	v_bfe_i32 v3, v12, 0, 8
	v_bfe_i32 v4, v12, 8, 8
	v_mul_i32_i24_e32 v67, v185, v16
	v_mul_i32_i24_e32 v68, v245, v17
	v_mad_i32_i24 v66, v235, v2, v66
	s_clause 0x8
	scratch_load_b32 v134, off, off offset:396
	scratch_load_b32 v174, off, off offset:156
	;; [unrolled: 1-line block ×9, first 2 shown]
	v_add3_u32 v66, v66, v67, v68
	v_mul_i32_i24_e32 v67, v228, v3
	v_mul_i32_i24_e32 v68, v233, v4
	scratch_load_b32 v138, off, off offset:388 ; 4-byte Folded Reload
	v_bfe_i32 v5, v12, 16, 8
	v_ashrrev_i32_e32 v6, 24, v12
	s_wait_dscnt 0x2
	v_bfe_i32 v42, v34, 0, 8
	v_add3_u32 v66, v66, v67, v68
	s_wait_dscnt 0x0
	v_fma_mix_f32 v67, v208, v0, 0 op_sel:[0,1,0] op_sel_hi:[0,1,0]
	scratch_load_b32 v208, off, off offset:428 ; 4-byte Folded Reload
	v_bfe_i32 v43, v34, 8, 8
	v_bfe_i32 v44, v34, 16, 8
	v_ashrrev_i32_e32 v34, 24, v34
	v_mul_i32_i24_e32 v78, v232, v5
	v_mul_i32_i24_e32 v79, v231, v6
	;; [unrolled: 1-line block ×3, first 2 shown]
	v_bfe_i32 v7, v13, 0, 8
	v_bfe_i32 v8, v13, 8, 8
	;; [unrolled: 1-line block ×4, first 2 shown]
	v_add3_u32 v66, v66, v78, v79
	v_mul_i32_i24_e32 v78, v227, v44
	v_mul_i32_i24_e32 v79, v155, v34
	v_bfe_i32 v9, v13, 16, 8
	v_ashrrev_i32_e32 v10, 24, v13
	v_bfe_i32 v47, v35, 16, 8
	v_ashrrev_i32_e32 v35, 24, v35
	v_mul_i32_i24_e32 v80, v112, v7
	v_mul_i32_i24_e32 v81, v114, v8
	v_bfe_i32 v11, v14, 0, 8
	v_bfe_i32 v12, v14, 8, 8
	;; [unrolled: 1-line block ×4, first 2 shown]
	v_mul_i32_i24_e32 v82, v128, v9
	v_mul_i32_i24_e32 v83, v198, v10
	v_add3_u32 v66, v66, v80, v81
	v_mul_i32_i24_e32 v80, v251, v47
	v_mul_i32_i24_e32 v81, v250, v35
	v_bfe_i32 v13, v14, 16, 8
	v_ashrrev_i32_e32 v14, 24, v14
	v_bfe_i32 v50, v36, 16, 8
	v_ashrrev_i32_e32 v36, 24, v36
	v_mul_i32_i24_e32 v84, v158, v11
	v_mul_i32_i24_e32 v85, v156, v12
	v_add3_u32 v66, v66, v82, v83
	v_mul_i32_i24_e32 v82, v154, v48
	v_mul_i32_i24_e32 v83, v152, v49
	v_bfe_i32 v18, v30, 0, 8
	v_bfe_i32 v19, v30, 8, 8
	;; [unrolled: 1-line block ×4, first 2 shown]
	v_mul_i32_i24_e32 v86, v133, v13
	v_mul_i32_i24_e32 v88, v191, v14
	v_add3_u32 v66, v66, v84, v85
	v_mul_i32_i24_e32 v85, v173, v36
	v_bfe_i32 v20, v30, 16, 8
	v_ashrrev_i32_e32 v21, 24, v30
	v_bfe_i32 v53, v37, 16, 8
	v_ashrrev_i32_e32 v37, 24, v37
	v_mul_i32_i24_e32 v93, v166, v18
	v_mul_i32_i24_e32 v99, v165, v19
	v_add3_u32 v66, v66, v86, v88
	v_mul_i32_i24_e32 v86, v161, v51
	v_mul_i32_i24_e32 v88, v164, v52
	v_bfe_i32 v22, v31, 0, 8
	v_bfe_i32 v23, v31, 8, 8
	v_bfe_i32 v54, v38, 0, 8
	v_bfe_i32 v55, v38, 8, 8
	v_mul_i32_i24_e32 v101, v162, v20
	v_mul_i32_i24_e32 v102, v159, v21
	v_add3_u32 v66, v66, v93, v99
	v_mul_i32_i24_e32 v93, v157, v53
	v_mul_i32_i24_e32 v99, v176, v37
	v_bfe_i32 v24, v31, 16, 8
	v_ashrrev_i32_e32 v25, 24, v31
	v_bfe_i32 v56, v38, 16, 8
	v_ashrrev_i32_e32 v38, 24, v38
	v_mul_i32_i24_e32 v103, v132, v22
	v_mul_i32_i24_e32 v104, v69, v23
	v_add3_u32 v66, v66, v101, v102
	v_mul_i32_i24_e32 v101, v147, v54
	v_mul_i32_i24_e32 v102, v167, v55
	v_bfe_i32 v26, v32, 0, 8
	v_bfe_i32 v27, v32, 8, 8
	;; [unrolled: 1-line block ×4, first 2 shown]
	v_mul_i32_i24_e32 v116, v130, v24
	v_mul_i32_i24_e32 v117, v131, v25
	v_add3_u32 v66, v66, v103, v104
	v_mul_i32_i24_e32 v103, v177, v56
	v_bfe_i32 v28, v32, 16, 8
	v_ashrrev_i32_e32 v29, 24, v32
	v_bfe_i32 v59, v39, 16, 8
	v_ashrrev_i32_e32 v39, 24, v39
	v_mul_i32_i24_e32 v118, v137, v26
	v_mul_i32_i24_e32 v119, v136, v27
	v_add3_u32 v66, v66, v116, v117
	v_mul_i32_i24_e32 v116, v149, v57
	v_mul_i32_i24_e32 v117, v160, v58
	v_bfe_i32 v30, v33, 0, 8
	v_bfe_i32 v31, v33, 8, 8
	;; [unrolled: 1-line block ×4, first 2 shown]
	v_mul_i32_i24_e32 v120, v135, v28
	v_add3_u32 v66, v66, v118, v119
	v_mul_i32_i24_e32 v118, v170, v59
	v_mul_i32_i24_e32 v119, v168, v39
	v_bfe_i32 v32, v33, 16, 8
	v_ashrrev_i32_e32 v33, 24, v33
	v_bfe_i32 v62, v40, 16, 8
	v_ashrrev_i32_e32 v40, 24, v40
	v_bfe_i32 v63, v41, 0, 8
	v_bfe_i32 v64, v41, 8, 8
	;; [unrolled: 1-line block ×3, first 2 shown]
	v_ashrrev_i32_e32 v41, 24, v41
	v_fma_mix_f32 v67, v106, v1, v67 op_sel:[0,1,0] op_sel_hi:[0,1,0]
	s_clause 0x2
	scratch_load_b32 v210, off, off offset:364
	scratch_load_b32 v211, off, off offset:688
	;; [unrolled: 1-line block ×3, first 2 shown]
	v_mul_i32_i24_e32 v129, v150, v41
	v_mul_f32_e32 v67, v67, v153
	s_clause 0x4
	scratch_load_b32 v244, off, off offset:368
	scratch_load_b32 v247, off, off offset:128
	;; [unrolled: 1-line block ×5, first 2 shown]
	s_clause 0x1f
	scratch_store_b32 off, v186, off offset:708
	scratch_store_b32 off, v185, off offset:704
	;; [unrolled: 1-line block ×32, first 2 shown]
	s_clause 0x10
	scratch_store_b32 off, v202, off offset:988
	scratch_store_b32 off, v154, off offset:840
	scratch_store_b32 off, v173, off offset:1036
	scratch_store_b32 off, v176, off offset:1040
	scratch_store_b32 off, v177, off offset:1044
	scratch_store_b32 off, v161, off offset:852
	scratch_store_b32 off, v164, off offset:848
	scratch_store_b32 off, v157, off offset:844
	scratch_store_b32 off, v167, off offset:856
	scratch_store_b32 off, v160, off offset:864
	scratch_store_b32 off, v168, off offset:860
	scratch_store_b32 off, v141, off offset:868
	scratch_store_b32 off, v139, off offset:872
	scratch_store_b32 off, v170, off offset:404
	scratch_store_b32 off, v155, off offset:416
	scratch_store_b32 off, v151, off offset:412
	scratch_store_b32 off, v150, off offset:408
	s_wait_loadcnt 0x22
	v_mad_i32_i24 v68, v190, v43, v68
	s_wait_loadcnt 0x21
	v_mul_i32_i24_e32 v104, v199, v38
	s_wait_loadcnt 0x20
	v_mul_i32_i24_e32 v122, v179, v30
	;; [unrolled: 2-line block ×3, first 2 shown]
	v_add3_u32 v68, v68, v78, v79
	s_wait_loadcnt 0x1b
	v_mul_i32_i24_e32 v125, v178, v33
	s_wait_loadcnt 0x1a
	v_mul_i32_i24_e32 v78, v169, v45
	;; [unrolled: 2-line block ×4, first 2 shown]
	s_delay_alu instid0(VALU_DEP_1) | instskip(SKIP_2) | instid1(VALU_DEP_3)
	v_add3_u32 v68, v68, v78, v79
	v_mul_i32_i24_e32 v78, v5, v229
	v_mul_i32_i24_e32 v79, v6, v237
	v_add3_u32 v68, v68, v80, v81
	s_wait_loadcnt 0x12
	v_mul_i32_i24_e32 v121, v134, v29
	s_wait_loadcnt 0x11
	v_mul_i32_i24_e32 v124, v174, v32
	v_add3_u32 v68, v68, v82, v83
	s_wait_loadcnt 0x10
	v_mul_i32_i24_e32 v80, v7, v238
	s_wait_loadcnt 0xf
	v_mul_i32_i24_e32 v82, v9, v240
	v_add3_u32 v66, v66, v120, v121
	v_mul_i32_i24_e32 v120, v141, v60
	v_add3_u32 v68, v68, v84, v85
	s_wait_loadcnt 0xe
	v_mul_i32_i24_e32 v83, v10, v241
	v_add3_u32 v66, v66, v122, v123
	v_mul_i32_i24_e32 v122, v206, v62
	v_add3_u32 v68, v68, v86, v88
	v_mul_i32_i24_e32 v123, v205, v40
	s_wait_loadcnt 0x9
	v_mul_i32_i24_e32 v126, v138, v65
	v_add3_u32 v66, v66, v124, v125
	v_mul_i32_i24_e32 v124, v139, v63
	v_add3_u32 v68, v68, v93, v99
	s_wait_loadcnt 0x8
	v_mul_i32_i24_e32 v121, v208, v61
	v_mul_i32_i24_e32 v125, v151, v64
	v_mul_lo_u32 v66, v66, v181
	v_mul_i32_i24_e32 v99, v19, v254
	v_add3_u32 v68, v68, v101, v102
	s_clause 0x1
	scratch_load_b32 v101, off, off offset:148
	scratch_load_b32 v102, off, off offset:16
	v_add3_u32 v68, v68, v103, v104
	v_cvt_f32_i32_e32 v66, v66
	s_clause 0x1
	scratch_load_b32 v103, off, off offset:132
	scratch_load_b32 v104, off, off offset:136
	v_add3_u32 v68, v68, v116, v117
	v_fma_mix_f32 v66, v0, v66, 0 op_sel_hi:[1,0,0]
	s_clause 0x1
	scratch_load_b32 v116, off, off offset:12
	scratch_load_b32 v117, off, off offset:20
	v_add3_u32 v68, v68, v118, v119
	v_mul_i32_i24_e32 v118, v26, v182
	v_mul_i32_i24_e32 v119, v27, v180
	s_clause 0x1
	scratch_load_b32 v180, off, off offset:600
	scratch_load_b32 v182, off, off offset:32
	v_add3_u32 v68, v68, v120, v121
	s_delay_alu instid0(VALU_DEP_1)
	v_add3_u32 v68, v68, v122, v123
	v_mul_i32_i24_e32 v122, v30, v172
	v_mul_i32_i24_e32 v123, v31, v193
	scratch_load_b32 v172, off, off offset:596 ; 4-byte Folded Reload
	v_add3_u32 v68, v68, v124, v125
	v_mul_i32_i24_e32 v124, v32, v195
	v_mul_i32_i24_e32 v125, v33, v197
	s_delay_alu instid0(VALU_DEP_3) | instskip(SKIP_4) | instid1(VALU_DEP_1)
	v_add3_u32 v68, v68, v126, v129
	scratch_load_b32 v126, off, off offset:108 ; 4-byte Folded Reload
	v_mul_i32_i24_e32 v129, v41, v215
	scratch_load_b32 v215, off, off offset:256 ; 4-byte Folded Reload
	v_mul_lo_u32 v68, v68, v115
	v_cvt_f32_i32_e32 v68, v68
	s_delay_alu instid0(VALU_DEP_1) | instskip(SKIP_1) | instid1(VALU_DEP_2)
	v_fma_mix_f32 v66, v1, v68, v66 op_sel_hi:[1,0,0]
	v_mul_i32_i24_e32 v68, v17, v194
	v_fma_f32 v66, v66, v107, -v67
	scratch_load_b32 v67, off, off offset:808 ; 4-byte Folded Reload
	s_wait_loadcnt 0x11
	v_mul_i32_i24_e32 v81, v8, v239
	s_wait_loadcnt 0x10
	v_mul_i32_i24_e32 v84, v11, v244
	;; [unrolled: 2-line block ×15, first 2 shown]
	s_wait_loadcnt 0x0
	v_add_f32_e32 v67, v67, v66
	v_mul_i32_i24_e32 v66, v15, v108
	scratch_store_b32 off, v67, off offset:808 ; 4-byte Folded Spill
	v_mul_i32_i24_e32 v67, v16, v109
	v_mad_i32_i24 v66, v2, v110, v66
	s_delay_alu instid0(VALU_DEP_1) | instskip(SKIP_2) | instid1(VALU_DEP_1)
	v_add3_u32 v66, v66, v67, v68
	v_mul_i32_i24_e32 v67, v3, v210
	v_mul_i32_i24_e32 v68, v4, v211
	v_add3_u32 v66, v66, v67, v68
	v_fma_mix_f32 v67, v183, v0, 0 op_sel:[0,1,0] op_sel_hi:[0,1,0]
	scratch_load_b32 v183, off, off offset:36 ; 4-byte Folded Reload
	v_add3_u32 v66, v66, v78, v79
	v_mul_i32_i24_e32 v78, v44, v184
	scratch_load_b32 v184, off, off offset:44 ; 4-byte Folded Reload
	v_mul_i32_i24_e32 v79, v34, v192
	v_fma_mix_f32 v67, v202, v1, v67 op_sel:[0,1,0] op_sel_hi:[0,1,0]
	v_add3_u32 v66, v66, v80, v81
	v_mul_i32_i24_e32 v81, v35, v171
	scratch_load_b32 v171, off, off offset:356 ; 4-byte Folded Reload
	v_mul_i32_i24_e32 v80, v47, v196
	v_mul_f32_e32 v67, v67, v215
	v_add3_u32 v66, v66, v82, v83
	v_mul_i32_i24_e32 v82, v48, v200
	s_delay_alu instid0(VALU_DEP_2)
	v_add3_u32 v66, v66, v84, v85
	s_clause 0x1
	scratch_load_b32 v84, off, off offset:100
	scratch_load_b32 v85, off, off offset:444
	v_add3_u32 v66, v66, v86, v88
	s_clause 0x1
	scratch_load_b32 v86, off, off offset:184
	scratch_load_b32 v88, off, off offset:472
	v_add3_u32 v66, v66, v93, v99
	s_clause 0x1
	scratch_load_b32 v93, off, off offset:192
	scratch_load_b32 v99, off, off offset:188
	v_add3_u32 v66, v66, v101, v102
	scratch_load_b32 v101, off, off offset:104 ; 4-byte Folded Reload
	v_mul_i32_i24_e32 v102, v55, v74
	scratch_load_b32 v74, off, off offset:440 ; 4-byte Folded Reload
	v_add3_u32 v66, v66, v103, v104
	scratch_load_b32 v104, off, off offset:196 ; 4-byte Folded Reload
	v_add3_u32 v66, v66, v116, v117
	s_clause 0x1
	scratch_load_b32 v116, off, off offset:24
	scratch_load_b32 v117, off, off offset:200
	v_add3_u32 v66, v66, v118, v119
	v_mul_i32_i24_e32 v118, v59, v212
	scratch_load_b32 v212, off, off offset:464 ; 4-byte Folded Reload
	v_add3_u32 v66, v66, v120, v121
	s_clause 0x1
	scratch_load_b32 v120, off, off offset:204
	scratch_load_b32 v121, off, off offset:536
	v_add3_u32 v66, v66, v122, v123
	s_clause 0x1
	scratch_load_b32 v122, off, off offset:532
	scratch_load_b32 v123, off, off offset:480
	v_add3_u32 v66, v66, v124, v125
	v_mul_i32_i24_e32 v124, v63, v213
	scratch_load_b32 v213, off, off offset:468 ; 4-byte Folded Reload
	v_mul_lo_u32 v66, v66, v172
	s_delay_alu instid0(VALU_DEP_1) | instskip(NEXT) | instid1(VALU_DEP_1)
	v_cvt_f32_i32_e32 v66, v66
	v_fma_mix_f32 v66, v0, v66, 0 op_sel_hi:[1,0,0]
	s_wait_loadcnt 0x13
	v_mul_i32_i24_e32 v68, v42, v183
	s_wait_loadcnt 0x12
	s_delay_alu instid0(VALU_DEP_1) | instskip(NEXT) | instid1(VALU_DEP_1)
	v_mad_i32_i24 v68, v43, v184, v68
	v_add3_u32 v68, v68, v78, v79
	v_mul_i32_i24_e32 v78, v45, v209
	scratch_load_b32 v209, off, off offset:452 ; 4-byte Folded Reload
	s_wait_loadcnt 0x12
	v_mul_i32_i24_e32 v83, v49, v171
	s_wait_loadcnt 0x11
	v_mul_i32_i24_e32 v84, v50, v84
	;; [unrolled: 2-line block ×19, first 2 shown]
	s_delay_alu instid0(VALU_DEP_1)
	v_add3_u32 v68, v68, v78, v79
	s_clause 0x1
	scratch_load_b32 v78, off, off offset:208
	scratch_load_b32 v79, off, off offset:224
	v_add3_u32 v68, v68, v80, v81
	s_clause 0x1
	scratch_load_b32 v80, off, off offset:228
	scratch_load_b32 v81, off, off offset:232
	;; [unrolled: 4-line block ×7, first 2 shown]
	v_add3_u32 v68, v68, v103, v104
	v_mul_i32_i24_e32 v103, v22, v242
	scratch_load_b32 v242, off, off offset:1048 ; 4-byte Folded Reload
	v_mul_i32_i24_e32 v104, v23, v203
	scratch_load_b32 v203, off, off offset:500 ; 4-byte Folded Reload
	v_add3_u32 v68, v68, v116, v117
	v_mul_i32_i24_e32 v117, v25, v89
	scratch_load_b32 v89, off, off offset:528 ; 4-byte Folded Reload
	v_mul_i32_i24_e32 v116, v24, v148
	scratch_load_b32 v148, off, off offset:96 ; 4-byte Folded Reload
	;; [unrolled: 5-line block ×3, first 2 shown]
	v_add3_u32 v68, v68, v120, v121
	s_delay_alu instid0(VALU_DEP_1) | instskip(NEXT) | instid1(VALU_DEP_1)
	v_add3_u32 v68, v68, v122, v123
	v_add3_u32 v68, v68, v124, v125
	s_delay_alu instid0(VALU_DEP_1) | instskip(NEXT) | instid1(VALU_DEP_1)
	v_add3_u32 v68, v68, v126, v129
	v_mul_lo_u32 v68, v68, v71
	scratch_load_b32 v71, off, off offset:592 ; 4-byte Folded Reload
	v_cvt_f32_i32_e32 v68, v68
	s_delay_alu instid0(VALU_DEP_1)
	v_fma_mix_f32 v66, v1, v68, v66 op_sel_hi:[1,0,0]
	scratch_load_b32 v68, off, off offset:212 ; 4-byte Folded Reload
	v_fma_f32 v66, v66, v201, -v67
	scratch_load_b32 v67, off, off offset:804 ; 4-byte Folded Reload
	s_wait_loadcnt 0x15
	v_mul_i32_i24_e32 v79, v6, v79
	v_mul_i32_i24_e32 v6, v6, v223
	scratch_load_b32 v223, off, off offset:332 ; 4-byte Folded Reload
	s_wait_loadcnt 0x15
	v_mul_i32_i24_e32 v80, v7, v80
	s_wait_loadcnt 0x14
	v_mul_i32_i24_e32 v81, v8, v81
	v_mul_i32_i24_e32 v8, v8, v207
	scratch_load_b32 v207, off, off offset:580 ; 4-byte Folded Reload
	v_mul_i32_i24_e32 v7, v7, v214
	s_wait_loadcnt 0x14
	v_mul_i32_i24_e32 v82, v9, v82
	s_wait_loadcnt 0x13
	v_mul_i32_i24_e32 v83, v10, v83
	v_mul_i32_i24_e32 v10, v10, v188
	scratch_load_b32 v188, off, off offset:1024 ; 4-byte Folded Reload
	v_mul_i32_i24_e32 v9, v9, v189
	;; [unrolled: 7-line block ×3, first 2 shown]
	s_clause 0x2
	scratch_load_b32 v187, off, off offset:1020
	scratch_load_b32 v189, off, off offset:1100
	;; [unrolled: 1-line block ×3, first 2 shown]
	s_wait_loadcnt 0x14
	v_mul_i32_i24_e32 v88, v14, v88
	v_mul_i32_i24_e32 v14, v14, v146
	scratch_load_b32 v146, off, off offset:584 ; 4-byte Folded Reload
	s_wait_loadcnt 0x13
	v_mul_i32_i24_e32 v99, v19, v99
	v_mul_i32_i24_e32 v86, v13, v86
	;; [unrolled: 1-line block ×3, first 2 shown]
	s_wait_loadcnt 0x12
	v_mul_i32_i24_e32 v101, v20, v101
	s_wait_loadcnt 0x11
	v_mul_i32_i24_e32 v102, v21, v102
	;; [unrolled: 2-line block ×4, first 2 shown]
	scratch_load_b32 v89, off, off offset:1060 ; 4-byte Folded Reload
	s_wait_loadcnt 0xe
	v_mul_i32_i24_e32 v125, v33, v148
	s_wait_loadcnt 0xd
	v_mul_i32_i24_e32 v120, v28, v70
	scratch_load_b32 v70, off, off offset:492 ; 4-byte Folded Reload
	s_wait_loadcnt 0xd
	v_mul_i32_i24_e32 v122, v30, v73
	s_wait_loadcnt 0xb
	v_mul_i32_i24_e32 v68, v17, v68
	v_mul_i32_i24_e32 v17, v17, v221
	scratch_load_b32 v221, off, off offset:324 ; 4-byte Folded Reload
	s_wait_loadcnt 0xb
	v_add_f32_e32 v67, v67, v66
	v_mul_i32_i24_e32 v66, v15, v71
	v_mul_i32_i24_e32 v15, v15, v242
	scratch_store_b32 off, v67, off offset:804 ; 4-byte Folded Spill
	scratch_load_b32 v67, off, off offset:540 ; 4-byte Folded Reload
	v_mad_i32_i24 v66, v2, v78, v66
	scratch_load_b32 v78, off, off offset:220 ; 4-byte Folded Reload
	s_wait_loadcnt 0xc
	v_mul_i32_i24_e32 v13, v13, v223
	s_wait_loadcnt 0x3
	v_mul_i32_i24_e32 v121, v29, v70
	s_wait_loadcnt 0x2
	v_mad_i32_i24 v2, v2, v221, v15
	s_wait_loadcnt 0x1
	v_mul_i32_i24_e32 v67, v16, v67
	v_mul_i32_i24_e32 v16, v16, v222
	s_wait_loadcnt 0x0
	v_mul_i32_i24_e32 v78, v5, v78
	scratch_load_b32 v222, off, off offset:328 ; 4-byte Folded Reload
	v_mul_i32_i24_e32 v5, v5, v224
	v_add3_u32 v66, v66, v67, v68
	s_clause 0x2
	scratch_load_b32 v67, off, off offset:544
	scratch_load_b32 v68, off, off offset:216
	;; [unrolled: 1-line block ×3, first 2 shown]
	v_add3_u32 v2, v2, v16, v17
	v_mul_i32_i24_e32 v16, v19, v145
	scratch_load_b32 v145, off, off offset:572 ; 4-byte Folded Reload
	s_wait_loadcnt 0x3
	v_mul_i32_i24_e32 v67, v3, v67
	s_wait_loadcnt 0x2
	v_mul_i32_i24_e32 v68, v4, v68
	v_mul_i32_i24_e32 v4, v4, v225
	scratch_load_b32 v225, off, off offset:1088 ; 4-byte Folded Reload
	v_mul_i32_i24_e32 v3, v3, v222
	s_wait_loadcnt 0x2
	v_mul_i32_i24_e32 v15, v18, v224
	v_add3_u32 v66, v66, v67, v68
	v_mul_i32_i24_e32 v68, v42, v236
	v_mul_i32_i24_e32 v18, v21, v144
	v_add3_u32 v2, v2, v3, v4
	scratch_load_b32 v4, off, off offset:1000 ; 4-byte Folded Reload
	v_add3_u32 v66, v66, v78, v79
	v_mul_i32_i24_e32 v78, v44, v75
	scratch_load_b32 v75, off, off offset:340 ; 4-byte Folded Reload
	v_mad_i32_i24 v68, v43, v234, v68
	v_add3_u32 v2, v2, v5, v6
	s_clause 0x1
	scratch_load_b32 v5, off, off offset:1004
	scratch_load_b32 v6, off, off offset:316
	v_mul_i32_i24_e32 v21, v24, v187
	v_mul_i32_i24_e32 v24, v27, v127
	v_add3_u32 v2, v2, v7, v8
	v_mul_i32_i24_e32 v27, v30, v214
	v_mul_i32_i24_e32 v30, v33, v146
	scratch_load_b32 v7, off, off offset:280 ; 4-byte Folded Reload
	v_add3_u32 v66, v66, v80, v81
	v_add3_u32 v2, v2, v9, v10
	v_mul_i32_i24_e32 v81, v35, v87
	s_clause 0x3
	scratch_load_b32 v87, off, off offset:88
	scratch_load_b32 v234, off, off offset:284
	;; [unrolled: 1-line block ×4, first 2 shown]
	v_add3_u32 v2, v2, v11, v12
	v_add3_u32 v66, v66, v82, v83
	s_clause 0x2
	scratch_load_b32 v12, off, off offset:80
	scratch_load_b32 v236, off, off offset:296
	;; [unrolled: 1-line block ×3, first 2 shown]
	v_add3_u32 v2, v2, v13, v14
	v_add3_u32 v66, v66, v84, v85
	v_mul_i32_i24_e32 v84, v50, v91
	v_mul_i32_i24_e32 v85, v36, v90
	scratch_load_b32 v90, off, off offset:92 ; 4-byte Folded Reload
	v_add3_u32 v2, v2, v15, v16
	s_clause 0x2
	scratch_load_b32 v91, off, off offset:1064
	scratch_load_b32 v13, off, off offset:84
	;; [unrolled: 1-line block ×3, first 2 shown]
	v_add3_u32 v66, v66, v86, v88
	v_mul_i32_i24_e32 v16, v54, v105
	s_clause 0x1
	scratch_load_b32 v105, off, off offset:1104
	scratch_load_b32 v144, off, off offset:1116
	v_mul_i32_i24_e32 v83, v49, v89
	v_add3_u32 v66, v66, v93, v99
	v_mul_i32_i24_e32 v93, v53, v94
	v_mul_i32_i24_e32 v99, v37, v92
	s_clause 0x1
	scratch_load_b32 v92, off, off offset:504
	scratch_load_b32 v94, off, off offset:484
	v_add3_u32 v66, v66, v101, v102
	s_delay_alu instid0(VALU_DEP_1)
	v_add3_u32 v66, v66, v103, v104
	v_mul_i32_i24_e32 v104, v38, v96
	scratch_load_b32 v96, off, off offset:512 ; 4-byte Folded Reload
	v_mul_i32_i24_e32 v103, v56, v219
	scratch_load_b32 v219, off, off offset:1084 ; 4-byte Folded Reload
	v_add3_u32 v66, v66, v116, v117
	v_mul_i32_i24_e32 v116, v57, v95
	scratch_load_b32 v95, off, off offset:508 ; 4-byte Folded Reload
	v_add3_u32 v66, v66, v118, v119
	;; [unrolled: 3-line block ×5, first 2 shown]
	v_mul_i32_i24_e32 v124, v63, v217
	v_mul_i32_i24_e32 v125, v64, v216
	s_clause 0x1
	scratch_load_b32 v217, off, off offset:1072
	scratch_load_b32 v216, off, off offset:1076
	v_mul_lo_u32 v66, v66, v72
	scratch_load_b32 v72, off, off offset:488 ; 4-byte Folded Reload
	v_cvt_f32_i32_e32 v66, v66
	s_delay_alu instid0(VALU_DEP_1)
	v_fma_mix_f32 v66, v0, v66, 0 op_sel_hi:[1,0,0]
	s_wait_loadcnt 0x1d
	v_mul_i32_i24_e32 v17, v20, v225
	v_mul_i32_i24_e32 v20, v23, v163
	;; [unrolled: 1-line block ×5, first 2 shown]
	v_add3_u32 v2, v2, v17, v18
	v_mul_i32_i24_e32 v17, v55, v100
	s_wait_loadcnt 0x1c
	v_mul_i32_i24_e32 v4, v44, v4
	scratch_load_b32 v100, off, off offset:304 ; 4-byte Folded Reload
	s_wait_loadcnt 0x1c
	v_mul_i32_i24_e32 v79, v34, v75
	s_wait_loadcnt 0x1b
	v_mul_i32_i24_e32 v5, v34, v5
	s_delay_alu instid0(VALU_DEP_2)
	v_add3_u32 v68, v68, v78, v79
	v_mul_i32_i24_e32 v78, v45, v226
	scratch_load_b32 v226, off, off offset:1096 ; 4-byte Folded Reload
	v_mul_i32_i24_e32 v79, v46, v77
	scratch_load_b32 v77, off, off offset:1056 ; 4-byte Folded Reload
	s_wait_loadcnt 0x1b
	v_mul_i32_i24_e32 v7, v35, v7
	v_add3_u32 v68, v68, v78, v79
	s_wait_loadcnt 0x1a
	v_mul_i32_i24_e32 v82, v48, v87
	s_wait_loadcnt 0x19
	v_mul_i32_i24_e32 v8, v48, v234
	;; [unrolled: 2-line block ×18, first 2 shown]
	s_wait_loadcnt 0x3
	v_fma_mix_f32 v67, v72, v0, 0 op_sel:[0,1,0] op_sel_hi:[0,1,0]
	s_delay_alu instid0(VALU_DEP_1) | instskip(NEXT) | instid1(VALU_DEP_1)
	v_fma_mix_f32 v67, v219, v1, v67 op_sel:[0,1,0] op_sel_hi:[0,1,0]
	v_mul_f32_e32 v67, v67, v220
	scratch_load_b32 v220, off, off offset:252 ; 4-byte Folded Reload
	s_wait_loadcnt 0x3
	v_mul_i32_i24_e32 v18, v56, v100
	s_wait_loadcnt 0x2
	v_mul_i32_i24_e32 v19, v22, v226
	v_mul_i32_i24_e32 v22, v25, v188
	v_mul_i32_i24_e32 v25, v28, v253
	scratch_load_b32 v253, off, off offset:320 ; 4-byte Folded Reload
	v_mul_i32_i24_e32 v28, v31, v230
	v_add3_u32 v2, v2, v19, v20
	v_mul_i32_i24_e32 v20, v57, v140
	scratch_load_b32 v140, off, off offset:996 ; 4-byte Folded Reload
	s_wait_loadcnt 0x3
	v_mul_i32_i24_e32 v80, v47, v77
	v_mul_i32_i24_e32 v19, v38, v105
	v_add3_u32 v2, v2, v21, v22
	v_mul_i32_i24_e32 v21, v58, v111
	scratch_load_b32 v111, off, off offset:1108 ; 4-byte Folded Reload
	v_add3_u32 v68, v68, v80, v81
	v_add3_u32 v2, v2, v23, v24
	scratch_load_b32 v23, off, off offset:1008 ; 4-byte Folded Reload
	v_mul_i32_i24_e32 v24, v60, v113
	scratch_load_b32 v113, off, off offset:1112 ; 4-byte Folded Reload
	v_add3_u32 v68, v68, v82, v83
	v_add3_u32 v2, v2, v25, v26
	s_delay_alu instid0(VALU_DEP_2) | instskip(NEXT) | instid1(VALU_DEP_2)
	v_add3_u32 v68, v68, v84, v85
	v_add3_u32 v2, v2, v27, v28
	s_clause 0x1
	scratch_load_b32 v27, off, off offset:1012
	scratch_load_b32 v28, off, off offset:180
	v_add3_u32 v68, v68, v86, v88
	v_add3_u32 v2, v2, v29, v30
	v_mul_i32_i24_e32 v30, v65, v142
	scratch_load_b32 v142, off, off offset:312 ; 4-byte Folded Reload
	v_mul_i32_i24_e32 v29, v64, v143
	scratch_load_b32 v143, off, off offset:260 ; 4-byte Folded Reload
	v_mul_lo_u32 v2, v2, v246
	scratch_load_b32 v246, off, off offset:288 ; 4-byte Folded Reload
	v_add3_u32 v68, v68, v93, v99
	s_delay_alu instid0(VALU_DEP_1) | instskip(SKIP_1) | instid1(VALU_DEP_2)
	v_add3_u32 v68, v68, v101, v102
	v_cvt_f32_i32_e32 v2, v2
	v_add3_u32 v68, v68, v103, v104
	s_delay_alu instid0(VALU_DEP_2) | instskip(SKIP_1) | instid1(VALU_DEP_3)
	v_fma_mix_f32 v2, v0, v2, 0 op_sel_hi:[1,0,0]
	v_fma_mix_f32 v0, v127, v0, 0 op_sel:[0,1,0] op_sel_hi:[0,1,0]
	v_add3_u32 v68, v68, v116, v117
	s_delay_alu instid0(VALU_DEP_2) | instskip(NEXT) | instid1(VALU_DEP_2)
	v_fma_mix_f32 v0, v144, v1, v0 op_sel:[0,1,0] op_sel_hi:[0,1,0]
	v_add3_u32 v68, v68, v118, v119
	s_delay_alu instid0(VALU_DEP_1) | instskip(NEXT) | instid1(VALU_DEP_1)
	v_add3_u32 v68, v68, v120, v121
	v_add3_u32 v68, v68, v122, v123
	s_delay_alu instid0(VALU_DEP_1) | instskip(NEXT) | instid1(VALU_DEP_1)
	v_add3_u32 v68, v68, v124, v125
	v_add3_u32 v68, v68, v126, v129
	s_delay_alu instid0(VALU_DEP_1) | instskip(NEXT) | instid1(VALU_DEP_1)
	v_mul_lo_u32 v68, v68, v218
	v_cvt_f32_i32_e32 v68, v68
	s_delay_alu instid0(VALU_DEP_1) | instskip(SKIP_1) | instid1(VALU_DEP_1)
	v_fma_mix_f32 v66, v1, v68, v66 op_sel_hi:[1,0,0]
	s_wait_loadcnt 0xa
	v_fma_f32 v66, v66, v220, -v67
	scratch_load_b32 v67, off, off offset:800 ; 4-byte Folded Reload
	s_wait_loadcnt 0xa
	v_mul_i32_i24_e32 v3, v42, v253
	s_wait_loadcnt 0x9
	v_mul_i32_i24_e32 v26, v62, v140
	s_delay_alu instid0(VALU_DEP_2)
	v_mad_i32_i24 v3, v43, v6, v3
	scratch_load_b32 v6, off, off offset:272 ; 4-byte Folded Reload
	s_wait_loadcnt 0x9
	v_mul_i32_i24_e32 v22, v59, v111
	v_add3_u32 v3, v3, v4, v5
	s_clause 0x1
	scratch_load_b32 v4, off, off offset:72
	scratch_load_b32 v5, off, off offset:276
	s_wait_loadcnt 0xa
	v_mul_i32_i24_e32 v23, v39, v23
	s_wait_loadcnt 0x9
	v_mul_i32_i24_e32 v25, v61, v113
	;; [unrolled: 2-line block ×6, first 2 shown]
	s_wait_loadcnt 0x3
	v_add_f32_e32 v67, v67, v66
	scratch_store_b32 off, v67, off offset:800 ; 4-byte Folded Spill
	s_wait_loadcnt 0x2
	v_mul_i32_i24_e32 v6, v47, v6
	s_wait_loadcnt 0x1
	v_mul_i32_i24_e32 v4, v45, v4
	;; [unrolled: 2-line block ×3, first 2 shown]
	s_delay_alu instid0(VALU_DEP_1) | instskip(NEXT) | instid1(VALU_DEP_1)
	v_add3_u32 v3, v3, v4, v5
	v_add3_u32 v3, v3, v6, v7
	s_delay_alu instid0(VALU_DEP_1) | instskip(NEXT) | instid1(VALU_DEP_1)
	v_add3_u32 v3, v3, v8, v9
	v_add3_u32 v3, v3, v10, v11
	;; [unrolled: 3-line block ×7, first 2 shown]
	s_delay_alu instid0(VALU_DEP_1) | instskip(NEXT) | instid1(VALU_DEP_1)
	v_mul_lo_u32 v3, v3, v143
	v_cvt_f32_i32_e32 v3, v3
	s_delay_alu instid0(VALU_DEP_1)
	v_fma_mix_f32 v2, v1, v3, v2 op_sel_hi:[1,0,0]
	scratch_load_b32 v1, off, off           ; 4-byte Folded Reload
	s_wait_loadcnt 0x0
	v_mul_f32_e32 v0, v0, v1
	scratch_load_b32 v1, off, off offset:796 ; 4-byte Folded Reload
	v_fma_f32 v0, v2, v255, -v0
	s_wait_loadcnt 0x0
	s_delay_alu instid0(VALU_DEP_1) | instskip(SKIP_4) | instid1(VALU_DEP_1)
	v_add_f32_e32 v1, v1, v0
	scratch_load_b32 v0, off, off offset:1256 ; 4-byte Folded Reload
	scratch_store_b32 off, v1, off offset:796 ; 4-byte Folded Spill
	s_wait_loadcnt 0x0
	v_or_b32_e32 v0, s13, v0
	v_lshlrev_b32_e32 v12, 2, v0
	v_lshrrev_b32_e32 v16, 1, v0
	ds_load_b128 v[0:3], v12 offset:16896
	ds_load_b128 v[4:7], v12 offset:16912
	;; [unrolled: 1-line block ×4, first 2 shown]
	s_wait_dscnt 0x3
	v_bfe_i32 v23, v1, 16, 8
	s_wait_dscnt 0x2
	v_bfe_i32 v35, v5, 8, 8
	v_bfe_i32 v17, v0, 0, 8
	v_bfe_i32 v18, v0, 8, 8
	v_bfe_i32 v19, v0, 16, 8
	v_mul_i32_i24_e32 v78, v232, v23
	v_mul_i32_i24_e32 v104, v69, v35
	v_mov_b32_e32 v232, v69
	scratch_load_b32 v69, off, off offset:148 ; 4-byte Folded Reload
	v_ashrrev_i32_e32 v20, 24, v0
	v_mul_i32_i24_e32 v66, v186, v17
	v_bfe_i32 v21, v1, 0, 8
	v_bfe_i32 v22, v1, 8, 8
	v_mul_i32_i24_e32 v67, v185, v19
	v_mul_i32_i24_e32 v68, v245, v20
	v_mad_i32_i24 v66, v235, v18, v66
	v_ashrrev_i32_e32 v24, 24, v1
	ds_load_b64 v[0:1], v16 offset:27200
	s_wait_dscnt 0x2
	v_bfe_i32 v16, v8, 0, 8
	v_bfe_i32 v43, v8, 8, 8
	v_add3_u32 v66, v66, v67, v68
	v_mul_i32_i24_e32 v67, v228, v21
	v_mul_i32_i24_e32 v68, v233, v22
	v_bfe_i32 v44, v8, 16, 8
	v_ashrrev_i32_e32 v8, 24, v8
	v_mul_i32_i24_e32 v79, v231, v24
	v_bfe_i32 v25, v2, 0, 8
	v_add3_u32 v66, v66, v67, v68
	v_mul_i32_i24_e32 v68, v76, v16
	v_bfe_i32 v26, v2, 8, 8
	v_bfe_i32 v45, v9, 0, 8
	;; [unrolled: 1-line block ×3, first 2 shown]
	v_add3_u32 v66, v66, v78, v79
	v_mul_i32_i24_e32 v78, v227, v44
	v_mul_i32_i24_e32 v79, v155, v8
	v_mad_i32_i24 v68, v190, v43, v68
	v_bfe_i32 v27, v2, 16, 8
	v_ashrrev_i32_e32 v2, 24, v2
	v_bfe_i32 v47, v9, 16, 8
	v_ashrrev_i32_e32 v9, 24, v9
	v_mul_i32_i24_e32 v80, v112, v25
	v_mul_i32_i24_e32 v81, v114, v26
	v_add3_u32 v68, v68, v78, v79
	v_mul_i32_i24_e32 v78, v169, v45
	v_mul_i32_i24_e32 v79, v243, v46
	v_bfe_i32 v28, v3, 0, 8
	v_bfe_i32 v29, v3, 8, 8
	;; [unrolled: 1-line block ×4, first 2 shown]
	v_mul_i32_i24_e32 v82, v128, v27
	v_mul_i32_i24_e32 v83, v198, v2
	v_add3_u32 v66, v66, v80, v81
	v_mul_i32_i24_e32 v80, v251, v47
	v_mul_i32_i24_e32 v81, v250, v9
	v_add3_u32 v68, v68, v78, v79
	v_bfe_i32 v30, v3, 16, 8
	v_ashrrev_i32_e32 v3, 24, v3
	v_bfe_i32 v50, v10, 16, 8
	v_ashrrev_i32_e32 v10, 24, v10
	v_mul_i32_i24_e32 v84, v158, v28
	v_mul_i32_i24_e32 v85, v156, v29
	v_add3_u32 v66, v66, v82, v83
	v_mul_i32_i24_e32 v82, v154, v48
	v_mul_i32_i24_e32 v83, v152, v49
	v_mov_b32_e32 v112, v204
	v_add3_u32 v68, v68, v80, v81
	v_bfe_i32 v31, v4, 0, 8
	v_bfe_i32 v32, v4, 8, 8
	;; [unrolled: 1-line block ×4, first 2 shown]
	v_mul_i32_i24_e32 v86, v133, v30
	v_mul_i32_i24_e32 v88, v191, v3
	v_add3_u32 v66, v66, v84, v85
	v_mul_i32_i24_e32 v84, v112, v50
	v_mul_i32_i24_e32 v85, v173, v10
	v_add3_u32 v68, v68, v82, v83
	v_bfe_i32 v33, v4, 16, 8
	v_ashrrev_i32_e32 v4, 24, v4
	v_bfe_i32 v53, v11, 16, 8
	v_ashrrev_i32_e32 v11, 24, v11
	v_mul_i32_i24_e32 v93, v166, v31
	v_mul_i32_i24_e32 v99, v165, v32
	v_add3_u32 v66, v66, v86, v88
	v_mul_i32_i24_e32 v86, v161, v51
	v_mul_i32_i24_e32 v88, v164, v52
	v_add3_u32 v68, v68, v84, v85
	s_wait_dscnt 0x1
	v_bfe_i32 v54, v12, 0, 8
	v_bfe_i32 v55, v12, 8, 8
	v_mul_i32_i24_e32 v101, v162, v33
	v_mul_i32_i24_e32 v102, v159, v4
	v_add3_u32 v66, v66, v93, v99
	v_mul_i32_i24_e32 v93, v157, v53
	v_mul_i32_i24_e32 v99, v176, v11
	v_add3_u32 v68, v68, v86, v88
	v_bfe_i32 v34, v5, 0, 8
	v_add3_u32 v66, v66, v101, v102
	v_mul_i32_i24_e32 v101, v147, v54
	v_mul_i32_i24_e32 v102, v167, v55
	v_add3_u32 v68, v68, v93, v99
	v_bfe_i32 v56, v12, 16, 8
	v_ashrrev_i32_e32 v12, 24, v12
	v_mul_i32_i24_e32 v103, v132, v34
	v_bfe_i32 v36, v5, 16, 8
	v_add3_u32 v68, v68, v101, v102
	v_ashrrev_i32_e32 v5, 24, v5
	v_bfe_i32 v57, v13, 0, 8
	v_add3_u32 v66, v66, v103, v104
	v_mul_i32_i24_e32 v103, v177, v56
	v_mul_i32_i24_e32 v104, v199, v12
	v_bfe_i32 v58, v13, 8, 8
	v_mul_i32_i24_e32 v116, v130, v36
	v_mul_i32_i24_e32 v117, v131, v5
	scratch_load_b32 v191, off, off offset:392 ; 4-byte Folded Reload
	v_add3_u32 v68, v68, v103, v104
	v_bfe_i32 v37, v6, 0, 8
	v_bfe_i32 v38, v6, 8, 8
	v_add3_u32 v66, v66, v116, v117
	v_mul_i32_i24_e32 v116, v149, v57
	v_mul_i32_i24_e32 v117, v160, v58
	v_bfe_i32 v59, v13, 16, 8
	v_ashrrev_i32_e32 v13, 24, v13
	v_mul_i32_i24_e32 v118, v137, v37
	v_mul_i32_i24_e32 v119, v136, v38
	v_add3_u32 v68, v68, v116, v117
	v_bfe_i32 v39, v6, 16, 8
	v_ashrrev_i32_e32 v6, 24, v6
	v_bfe_i32 v40, v7, 0, 8
	v_add3_u32 v66, v66, v118, v119
	v_mul_i32_i24_e32 v118, v170, v59
	v_mul_i32_i24_e32 v119, v168, v13
	v_bfe_i32 v41, v7, 8, 8
	v_bfe_i32 v60, v14, 0, 8
	;; [unrolled: 1-line block ×3, first 2 shown]
	v_mul_i32_i24_e32 v120, v135, v39
	v_add3_u32 v68, v68, v118, v119
	v_mul_i32_i24_e32 v121, v134, v6
	v_mov_b32_e32 v170, v208
	v_bfe_i32 v42, v7, 16, 8
	v_ashrrev_i32_e32 v7, 24, v7
	v_bfe_i32 v62, v14, 16, 8
	v_ashrrev_i32_e32 v14, 24, v14
	v_mul_i32_i24_e32 v122, v179, v40
	v_mul_i32_i24_e32 v123, v175, v41
	v_add3_u32 v66, v66, v120, v121
	v_mul_i32_i24_e32 v120, v141, v60
	v_mul_i32_i24_e32 v121, v170, v61
	v_dual_mov_b32 v251, v206 :: v_dual_mov_b32 v250, v205
	v_bfe_i32 v63, v15, 0, 8
	v_bfe_i32 v64, v15, 8, 8
	v_mul_i32_i24_e32 v124, v174, v42
	v_mul_i32_i24_e32 v125, v178, v7
	v_add3_u32 v66, v66, v122, v123
	v_mul_i32_i24_e32 v122, v251, v62
	v_mul_i32_i24_e32 v123, v250, v14
	v_add3_u32 v68, v68, v120, v121
	v_bfe_i32 v65, v15, 16, 8
	v_ashrrev_i32_e32 v15, 24, v15
	v_add3_u32 v66, v66, v124, v125
	v_mul_i32_i24_e32 v124, v139, v63
	v_mul_i32_i24_e32 v125, v151, v64
	v_add3_u32 v68, v68, v122, v123
	v_mul_i32_i24_e32 v126, v138, v65
	v_mul_i32_i24_e32 v129, v150, v15
	v_mul_lo_u32 v66, v66, v181
	v_mov_b32_e32 v173, v211
	v_add3_u32 v68, v68, v124, v125
	v_dual_mov_b32 v176, v229 :: v_dual_mov_b32 v177, v237
	v_mul_i32_i24_e32 v121, v6, v182
	scratch_load_b32 v178, off, off offset:100 ; 4-byte Folded Reload
	v_add3_u32 v68, v68, v126, v129
	v_cvt_f32_i32_e32 v66, v66
	v_mul_i32_i24_e32 v78, v23, v176
	v_mul_i32_i24_e32 v79, v24, v177
	scratch_load_b32 v182, off, off offset:444 ; 4-byte Folded Reload
	v_mul_lo_u32 v68, v68, v115
	s_wait_dscnt 0x0
	v_fma_mix_f32 v66, v0, v66, 0 op_sel_hi:[1,0,0]
	v_mul_i32_i24_e32 v120, v39, v180
	s_clause 0x1
	scratch_load_b32 v180, off, off offset:192
	scratch_load_b32 v152, off, off offset:188
	v_mul_i32_i24_e32 v81, v26, v239
	s_clause 0x1
	scratch_load_b32 v179, off, off offset:104
	scratch_load_b32 v239, off, off offset:360
	v_cvt_f32_i32_e32 v68, v68
	v_mul_i32_i24_e32 v80, v25, v238
	v_mov_b32_e32 v228, v130
	v_mov_b32_e32 v208, v244
	scratch_load_b32 v244, off, off offset:200 ; 4-byte Folded Reload
	v_fma_mix_f32 v66, v1, v68, v66 op_sel_hi:[1,0,0]
	v_mul_i32_i24_e32 v68, v20, v194
	s_clause 0x1
	scratch_load_b32 v194, off, off offset:380
	scratch_load_b32 v154, off, off offset:992
	v_mul_i32_i24_e32 v85, v29, v247
	v_mul_i32_i24_e32 v93, v31, v252
	s_clause 0x1
	scratch_load_b32 v247, off, off offset:204
	scratch_load_b32 v252, off, off offset:536
	v_mov_b32_e32 v211, v249
	s_clause 0x4
	scratch_load_b32 v249, off, off offset:532
	scratch_load_b32 v156, off, off offset:476
	;; [unrolled: 1-line block ×5, first 2 shown]
	v_mul_i32_i24_e32 v82, v27, v240
	v_mul_i32_i24_e32 v83, v2, v241
	;; [unrolled: 1-line block ×7, first 2 shown]
	s_clause 0x1
	scratch_load_b32 v204, off, off offset:544
	scratch_load_b32 v151, off, off offset:224
	v_mov_b32_e32 v198, v147
	s_clause 0x8
	scratch_load_b32 v147, off, off offset:1124
	scratch_load_b32 v195, off, off offset:1128
	;; [unrolled: 1-line block ×9, first 2 shown]
	v_mov_b32_e32 v76, v227
	s_clause 0x1b
	scratch_load_b32 v227, off, off offset:568
	scratch_load_b32 v160, off, off offset:652
	scratch_load_b32 v165, off, off offset:656
	scratch_load_b32 v166, off, off offset:660
	scratch_load_b32 v169, off, off offset:664
	scratch_load_b32 v237, off, off offset:1212
	scratch_load_b32 v238, off, off offset:1228
	scratch_load_b32 v174, off, off offset:1232
	scratch_load_b32 v175, off, off offset:972
	scratch_load_b32 v186, off, off offset:1220
	scratch_load_b32 v206, off, off offset:1152
	scratch_load_b32 v205, off, off offset:524
	scratch_load_b32 v229, off, off offset:336
	scratch_load_b32 v149, off, off offset:528
	scratch_load_b32 v190, off, off offset:280
	scratch_load_b32 v193, off, off offset:76
	scratch_load_b32 v235, off, off offset:1136
	scratch_load_b32 v243, off, off offset:1156
	scratch_load_b32 v150, off, off offset:80
	scratch_load_b32 v245, off, off offset:1140
	scratch_load_b32 v254, off, off offset:1160
	scratch_load_b32 v197, off, off offset:292
	scratch_load_b32 v162, off, off offset:268
	scratch_load_b32 v115, off, off offset:1216
	scratch_load_b32 v114, off, off offset:1144
	scratch_load_b32 v128, off, off offset:520
	scratch_load_b32 v240, off, off offset:984
	scratch_load_b32 v241, off, off offset:1172
	s_clause 0x2
	scratch_store_b32 off, v76, off offset:876
	scratch_store_b32 off, v198, off offset:896
	;; [unrolled: 1-line block ×3, first 2 shown]
	v_mov_b32_e32 v233, v132
	v_mov_b32_e32 v231, v131
	s_wait_loadcnt 0x38
	v_mul_i32_i24_e32 v101, v33, v69
	scratch_load_b32 v69, off, off offset:16 ; 4-byte Folded Reload
	s_wait_loadcnt 0x38
	v_fma_mix_f32 v67, v191, v0, 0 op_sel:[0,1,0] op_sel_hi:[0,1,0]
	s_delay_alu instid0(VALU_DEP_1) | instskip(NEXT) | instid1(VALU_DEP_1)
	v_fma_mix_f32 v67, v106, v1, v67 op_sel:[0,1,0] op_sel_hi:[0,1,0]
	v_mul_f32_e32 v67, v67, v153
	scratch_load_b32 v153, off, off offset:228 ; 4-byte Folded Reload
	v_fma_f32 v66, v66, v107, -v67
	scratch_load_b32 v67, off, off offset:792 ; 4-byte Folded Reload
	s_wait_loadcnt 0x32
	v_mul_i32_i24_e32 v119, v38, v194
	s_wait_loadcnt 0x2c
	v_mul_i32_i24_e32 v126, v65, v181
	;; [unrolled: 2-line block ×4, first 2 shown]
	scratch_load_b32 v69, off, off offset:132 ; 4-byte Folded Reload
	s_wait_loadcnt 0x1
	v_add_f32_e32 v67, v67, v66
	v_mul_i32_i24_e32 v66, v17, v108
	scratch_store_b32 off, v67, off offset:792 ; 4-byte Folded Spill
	v_mul_i32_i24_e32 v67, v19, v109
	v_mad_i32_i24 v66, v18, v110, v66
	scratch_load_b32 v110, off, off offset:1200 ; 4-byte Folded Reload
	v_add3_u32 v66, v66, v67, v68
	v_mul_i32_i24_e32 v67, v21, v210
	v_mul_i32_i24_e32 v68, v22, v173
	v_mov_b32_e32 v210, v248
	scratch_load_b32 v248, off, off offset:480 ; 4-byte Folded Reload
	v_add3_u32 v66, v66, v67, v68
	v_mul_i32_i24_e32 v68, v16, v183
	s_clause 0x1
	scratch_load_b32 v67, off, off offset:604
	scratch_load_b32 v183, off, off offset:184
	v_mul_i32_i24_e32 v86, v30, v210
	v_add3_u32 v66, v66, v78, v79
	v_mul_i32_i24_e32 v79, v8, v192
	v_mad_i32_i24 v68, v43, v184, v68
	s_clause 0x1
	scratch_load_b32 v184, off, off offset:472
	scratch_load_b32 v192, off, off offset:668
	v_add3_u32 v66, v66, v80, v81
	v_mul_i32_i24_e32 v80, v47, v196
	scratch_load_b32 v196, off, off offset:540 ; 4-byte Folded Reload
	v_add3_u32 v66, v66, v82, v83
	v_mul_i32_i24_e32 v82, v48, v200
	v_mul_i32_i24_e32 v83, v49, v171
	s_clause 0x1
	scratch_load_b32 v200, off, off offset:560
	scratch_load_b32 v171, off, off offset:1208
	s_wait_loadcnt 0x9
	v_mul_i32_i24_e32 v103, v34, v69
	scratch_load_b32 v69, off, off offset:136 ; 4-byte Folded Reload
	s_wait_loadcnt 0x7
	v_fma_mix_f32 v67, v67, v0, 0 op_sel:[0,1,0] op_sel_hi:[0,1,0]
	s_delay_alu instid0(VALU_DEP_1) | instskip(SKIP_4) | instid1(VALU_DEP_1)
	v_fma_mix_f32 v67, v202, v1, v67 op_sel:[0,1,0] op_sel_hi:[0,1,0]
	scratch_load_b32 v202, off, off offset:1148 ; 4-byte Folded Reload
	v_mul_f32_e32 v67, v67, v215
	v_mov_b32_e32 v215, v228
	v_mul_i32_i24_e32 v84, v28, v208
	v_add3_u32 v66, v66, v84, v85
	v_mul_i32_i24_e32 v84, v50, v178
	v_mul_i32_i24_e32 v85, v10, v182
	s_delay_alu instid0(VALU_DEP_3)
	v_add3_u32 v66, v66, v86, v88
	s_wait_loadcnt 0x7
	v_mul_i32_i24_e32 v86, v51, v183
	s_wait_loadcnt 0x6
	v_mul_i32_i24_e32 v88, v52, v184
	v_add3_u32 v66, v66, v93, v99
	v_mul_i32_i24_e32 v93, v53, v180
	v_mul_i32_i24_e32 v99, v11, v152
	s_delay_alu instid0(VALU_DEP_3)
	v_add3_u32 v66, v66, v101, v102
	v_mul_i32_i24_e32 v101, v54, v179
	v_mul_i32_i24_e32 v102, v55, v239
	s_wait_loadcnt 0x1
	v_mul_i32_i24_e32 v104, v35, v69
	scratch_load_b32 v69, off, off offset:12 ; 4-byte Folded Reload
	v_add3_u32 v66, v66, v103, v104
	v_mul_i32_i24_e32 v103, v56, v74
	s_wait_loadcnt 0x0
	v_mul_i32_i24_e32 v116, v36, v69
	scratch_load_b32 v69, off, off offset:20 ; 4-byte Folded Reload
	s_wait_loadcnt 0x0
	v_mul_i32_i24_e32 v117, v5, v69
	scratch_load_b32 v69, off, off offset:152 ; 4-byte Folded Reload
	v_add3_u32 v66, v66, v116, v117
	v_mul_i32_i24_e32 v117, v58, v244
	s_wait_loadcnt 0x0
	v_mul_i32_i24_e32 v118, v37, v69
	scratch_load_b32 v69, off, off offset:48 ; 4-byte Folded Reload
	v_add3_u32 v66, v66, v118, v119
	v_mul_i32_i24_e32 v118, v59, v154
	v_mul_i32_i24_e32 v119, v13, v212
	s_delay_alu instid0(VALU_DEP_3)
	v_add3_u32 v66, v66, v120, v121
	v_mul_i32_i24_e32 v120, v60, v247
	v_mul_i32_i24_e32 v121, v61, v252
	s_wait_loadcnt 0x0
	v_mul_i32_i24_e32 v122, v40, v69
	scratch_load_b32 v69, off, off offset:40 ; 4-byte Folded Reload
	v_add3_u32 v66, v66, v122, v123
	v_mul_i32_i24_e32 v122, v62, v249
	v_mul_i32_i24_e32 v123, v14, v248
	s_delay_alu instid0(VALU_DEP_3)
	v_add3_u32 v66, v66, v124, v125
	v_mul_i32_i24_e32 v124, v63, v156
	v_mul_i32_i24_e32 v125, v64, v213
	scratch_load_b32 v213, off, off offset:672 ; 4-byte Folded Reload
	v_mul_lo_u32 v66, v66, v172
	scratch_load_b32 v172, off, off offset:564 ; 4-byte Folded Reload
	v_cvt_f32_i32_e32 v66, v66
	s_delay_alu instid0(VALU_DEP_1)
	v_fma_mix_f32 v66, v0, v66, 0 op_sel_hi:[1,0,0]
	s_wait_loadcnt 0x2
	v_mul_i32_i24_e32 v78, v44, v69
	scratch_load_b32 v69, off, off offset:60 ; 4-byte Folded Reload
	v_add3_u32 v68, v68, v78, v79
	v_mul_i32_i24_e32 v79, v46, v209
	scratch_load_b32 v209, off, off offset:196 ; 4-byte Folded Reload
	s_wait_loadcnt 0x1
	v_mul_i32_i24_e32 v78, v45, v69
	scratch_load_b32 v69, off, off offset:456 ; 4-byte Folded Reload
	v_add3_u32 v68, v68, v78, v79
	s_wait_loadcnt 0x1
	v_mul_i32_i24_e32 v104, v12, v209
	v_mul_i32_i24_e32 v79, v24, v151
	s_wait_loadcnt 0x0
	v_mul_i32_i24_e32 v81, v9, v69
	scratch_load_b32 v69, off, off offset:24 ; 4-byte Folded Reload
	v_add3_u32 v68, v68, v80, v81
	v_mul_i32_i24_e32 v80, v25, v153
	v_mul_i32_i24_e32 v81, v26, v155
	s_delay_alu instid0(VALU_DEP_3) | instskip(SKIP_2) | instid1(VALU_DEP_3)
	v_add3_u32 v68, v68, v82, v83
	v_mul_i32_i24_e32 v82, v27, v157
	v_mul_i32_i24_e32 v83, v2, v159
	v_add3_u32 v68, v68, v84, v85
	v_mul_i32_i24_e32 v84, v28, v164
	v_mul_i32_i24_e32 v85, v29, v161
	s_delay_alu instid0(VALU_DEP_3) | instskip(SKIP_3) | instid1(VALU_DEP_4)
	v_add3_u32 v68, v68, v86, v88
	v_mul_i32_i24_e32 v86, v30, v167
	v_mul_i32_i24_e32 v88, v3, v168
	v_mul_i32_i24_e32 v3, v3, v174
	v_add3_u32 v68, v68, v93, v99
	v_mul_i32_i24_e32 v93, v31, v200
	v_mul_i32_i24_e32 v99, v32, v172
	s_delay_alu instid0(VALU_DEP_3) | instskip(SKIP_1) | instid1(VALU_DEP_2)
	v_add3_u32 v68, v68, v101, v102
	v_mul_i32_i24_e32 v101, v33, v227
	v_add3_u32 v68, v68, v103, v104
	s_wait_loadcnt 0x0
	v_mul_i32_i24_e32 v116, v57, v69
	scratch_load_b32 v69, off, off offset:208 ; 4-byte Folded Reload
	v_add3_u32 v68, v68, v116, v117
	v_mul_i32_i24_e32 v117, v5, v202
	v_mul_i32_i24_e32 v5, v5, v188
	scratch_load_b32 v188, off, off offset:272 ; 4-byte Folded Reload
	v_add3_u32 v68, v68, v118, v119
	v_mul_i32_i24_e32 v119, v38, v206
	s_delay_alu instid0(VALU_DEP_2)
	v_add3_u32 v68, v68, v120, v121
	v_mul_i32_i24_e32 v121, v6, v70
	v_mul_i32_i24_e32 v6, v6, v207
	scratch_load_b32 v207, off, off offset:976 ; 4-byte Folded Reload
	v_mul_i32_i24_e32 v120, v39, v205
	v_add3_u32 v68, v68, v122, v123
	v_mul_i32_i24_e32 v122, v40, v73
	v_mul_i32_i24_e32 v123, v41, v203
	scratch_load_b32 v203, off, off offset:676 ; 4-byte Folded Reload
	v_add3_u32 v68, v68, v124, v125
	v_mul_i32_i24_e32 v124, v42, v149
	v_mul_i32_i24_e32 v125, v7, v148
	;; [unrolled: 1-line block ×3, first 2 shown]
	scratch_load_b32 v148, off, off offset:1132 ; 4-byte Folded Reload
	v_add3_u32 v68, v68, v126, v129
	v_mul_i32_i24_e32 v126, v65, v217
	scratch_load_b32 v217, off, off offset:1224 ; 4-byte Folded Reload
	v_mul_i32_i24_e32 v129, v15, v216
	v_mul_i32_i24_e32 v15, v15, v142
	v_mul_lo_u32 v68, v68, v185
	s_delay_alu instid0(VALU_DEP_1) | instskip(NEXT) | instid1(VALU_DEP_1)
	v_cvt_f32_i32_e32 v68, v68
	v_fma_mix_f32 v66, v1, v68, v66 op_sel_hi:[1,0,0]
	scratch_load_b32 v68, off, off offset:212 ; 4-byte Folded Reload
	v_fma_f32 v66, v66, v201, -v67
	scratch_load_b32 v67, off, off offset:788 ; 4-byte Folded Reload
	s_wait_loadcnt 0x1
	v_mul_i32_i24_e32 v68, v20, v68
	v_mul_i32_i24_e32 v20, v20, v110
	s_wait_loadcnt 0x0
	v_add_f32_e32 v67, v67, v66
	v_mul_i32_i24_e32 v66, v17, v71
	v_mul_i32_i24_e32 v17, v17, v242
	scratch_load_b32 v242, off, off offset:1204 ; 4-byte Folded Reload
	scratch_store_b32 off, v67, off offset:788 ; 4-byte Folded Spill
	v_mad_i32_i24 v66, v18, v69, v66
	scratch_load_b32 v69, off, off offset:220 ; 4-byte Folded Reload
	v_mul_i32_i24_e32 v67, v19, v196
	v_mad_i32_i24 v17, v18, v221, v17
	v_mul_i32_i24_e32 v18, v21, v222
	scratch_load_b32 v222, off, off offset:1236 ; 4-byte Folded Reload
	v_add3_u32 v66, v66, v67, v68
	scratch_load_b32 v68, off, off offset:216 ; 4-byte Folded Reload
	v_mul_i32_i24_e32 v67, v21, v204
	v_mul_i32_i24_e32 v21, v24, v166
	;; [unrolled: 1-line block ×6, first 2 shown]
	scratch_load_b32 v187, off, off offset:1004 ; 4-byte Folded Reload
	v_mov_b32_e32 v223, v232
	s_wait_loadcnt 0x4
	v_mul_i32_i24_e32 v19, v19, v242
	s_wait_loadcnt 0x3
	v_mul_i32_i24_e32 v78, v23, v69
	scratch_load_b32 v69, off, off offset:248 ; 4-byte Folded Reload
	v_add3_u32 v17, v17, v19, v20
	v_mul_i32_i24_e32 v19, v22, v160
	v_mul_i32_i24_e32 v20, v23, v165
	;; [unrolled: 1-line block ×3, first 2 shown]
	s_wait_loadcnt 0x3
	v_mul_i32_i24_e32 v2, v2, v222
	s_wait_loadcnt 0x2
	v_mul_i32_i24_e32 v68, v22, v68
	v_add3_u32 v17, v17, v18, v19
	v_mul_i32_i24_e32 v22, v25, v169
	v_mul_i32_i24_e32 v25, v28, v237
	;; [unrolled: 1-line block ×3, first 2 shown]
	v_add3_u32 v66, v66, v67, v68
	v_mul_i32_i24_e32 v68, v16, v147
	scratch_load_b32 v67, off, off offset:628 ; 4-byte Folded Reload
	v_add3_u32 v17, v17, v20, v21
	v_mul_i32_i24_e32 v28, v31, v224
	v_add3_u32 v66, v66, v78, v79
	v_mul_i32_i24_e32 v79, v8, v75
	v_mad_i32_i24 v68, v43, v195, v68
	v_add3_u32 v17, v17, v22, v23
	v_mul_i32_i24_e32 v29, v32, v175
	v_add3_u32 v66, v66, v80, v81
	v_mul_i32_i24_e32 v31, v34, v226
	v_mul_i32_i24_e32 v32, v35, v163
	v_add3_u32 v2, v17, v24, v2
	scratch_load_b32 v163, off, off offset:316 ; 4-byte Folded Reload
	v_add3_u32 v66, v66, v82, v83
	s_clause 0x1
	scratch_load_b32 v20, off, off offset:300
	scratch_load_b32 v21, off, off offset:308
	v_add3_u32 v2, v2, v25, v26
	scratch_load_b32 v24, off, off offset:1092 ; 4-byte Folded Reload
	v_add3_u32 v66, v66, v84, v85
	v_mul_i32_i24_e32 v25, v59, v111
	scratch_load_b32 v111, off, off offset:1008 ; 4-byte Folded Reload
	v_add3_u32 v2, v2, v27, v3
	v_mul_i32_i24_e32 v3, v16, v253
	v_add3_u32 v66, v66, v86, v88
	s_clause 0x1
	scratch_load_b32 v16, off, off offset:8
	scratch_load_b32 v253, off, off offset:84
	v_add3_u32 v2, v2, v28, v29
	scratch_load_b32 v26, off, off offset:436 ; 4-byte Folded Reload
	v_add3_u32 v66, v66, v93, v99
	v_mul_i32_i24_e32 v27, v61, v113
	s_clause 0x1
	scratch_load_b32 v113, off, off offset:1012
	scratch_load_b32 v29, off, off offset:180
	v_mul_i32_i24_e32 v80, v47, v77
	v_mul_i32_i24_e32 v81, v9, v148
	;; [unrolled: 1-line block ×17, first 2 shown]
	v_mov_b32_e32 v224, v233
	v_dual_mov_b32 v226, v173 :: v_dual_mov_b32 v87, v108
	s_wait_loadcnt 0xb
	v_mul_i32_i24_e32 v102, v4, v69
	scratch_load_b32 v69, off, off offset:616 ; 4-byte Folded Reload
	v_mul_i32_i24_e32 v4, v4, v186
	v_add3_u32 v66, v66, v101, v102
	v_mul_i32_i24_e32 v101, v54, v92
	s_delay_alu instid0(VALU_DEP_3) | instskip(SKIP_2) | instid1(VALU_DEP_3)
	v_add3_u32 v2, v2, v30, v4
	v_mul_i32_i24_e32 v102, v55, v94
	v_mul_i32_i24_e32 v30, v64, v240
	v_add3_u32 v2, v2, v31, v32
	scratch_load_b32 v31, off, off offset:1120 ; 4-byte Folded Reload
	v_add3_u32 v2, v2, v33, v5
	v_mul_i32_i24_e32 v5, v8, v187
	v_mul_i32_i24_e32 v8, v48, v234
	v_mov_b32_e32 v234, v177
	s_wait_loadcnt 0xb
	v_mad_i32_i24 v3, v43, v163, v3
	s_wait_loadcnt 0xa
	v_mul_i32_i24_e32 v20, v54, v20
	s_wait_loadcnt 0x9
	v_mul_i32_i24_e32 v21, v55, v21
	;; [unrolled: 2-line block ×8, first 2 shown]
	scratch_load_b32 v69, off, off offset:176 ; 4-byte Folded Reload
	v_mul_i32_i24_e32 v34, v37, v189
	scratch_load_b32 v189, off, off offset:276 ; 4-byte Folded Reload
	s_wait_loadcnt 0x2
	v_mul_i32_i24_e32 v31, v65, v31
	s_wait_loadcnt 0x1
	v_mul_i32_i24_e32 v104, v35, v69
	scratch_load_b32 v69, off, off offset:620 ; 4-byte Folded Reload
	v_mul_i32_i24_e32 v35, v38, v192
	v_mul_i32_i24_e32 v38, v41, v230
	v_mov_b32_e32 v230, v176
	v_add3_u32 v66, v66, v103, v104
	v_mul_i32_i24_e32 v104, v12, v162
	v_add3_u32 v2, v2, v34, v35
	v_mul_i32_i24_e32 v12, v12, v105
	s_wait_loadcnt 0x0
	v_mul_i32_i24_e32 v116, v36, v69
	scratch_load_b32 v69, off, off offset:624 ; 4-byte Folded Reload
	v_mul_i32_i24_e32 v36, v39, v229
	v_mul_i32_i24_e32 v39, v42, v145
	v_add3_u32 v66, v66, v116, v117
	v_mul_i32_i24_e32 v117, v58, v96
	s_delay_alu instid0(VALU_DEP_4)
	v_add3_u32 v2, v2, v36, v6
	v_mul_i32_i24_e32 v6, v47, v188
	s_wait_loadcnt 0x0
	v_mul_i32_i24_e32 v118, v37, v69
	scratch_load_b32 v69, off, off offset:632 ; 4-byte Folded Reload
	v_mul_i32_i24_e32 v37, v40, v214
	v_mov_b32_e32 v214, v231
	v_add3_u32 v66, v66, v118, v119
	v_mul_i32_i24_e32 v118, v59, v95
	s_delay_alu instid0(VALU_DEP_4)
	v_add3_u32 v2, v2, v37, v38
	v_mul_i32_i24_e32 v119, v13, v114
	v_mul_i32_i24_e32 v13, v13, v111
	v_add3_u32 v66, v66, v120, v121
	v_mul_i32_i24_e32 v121, v61, v98
	v_add3_u32 v2, v2, v39, v7
	v_mul_i32_i24_e32 v7, v9, v190
	v_mul_i32_i24_e32 v9, v49, v193
	v_add3_u32 v66, v66, v122, v123
	v_mul_i32_i24_e32 v122, v62, v97
	v_mul_lo_u32 v2, v2, v207
	v_mul_i32_i24_e32 v123, v14, v128
	v_mul_i32_i24_e32 v14, v14, v113
	v_add3_u32 v66, v66, v124, v125
	v_mul_i32_i24_e32 v125, v64, v213
	s_delay_alu instid0(VALU_DEP_2) | instskip(SKIP_2) | instid1(VALU_DEP_2)
	v_mul_lo_u32 v66, v66, v67
	v_cvt_f32_i32_e32 v2, v2
	v_fma_mix_f32 v67, v72, v0, 0 op_sel:[0,1,0] op_sel_hi:[0,1,0]
	v_fma_mix_f32 v2, v0, v2, 0 op_sel_hi:[1,0,0]
	s_delay_alu instid0(VALU_DEP_2) | instskip(SKIP_1) | instid1(VALU_DEP_2)
	v_fma_mix_f32 v67, v219, v1, v67 op_sel:[0,1,0] op_sel_hi:[0,1,0]
	v_cvt_f32_i32_e32 v66, v66
	v_mul_f32_e32 v67, v67, v241
	s_delay_alu instid0(VALU_DEP_2)
	v_fma_mix_f32 v66, v0, v66, 0 op_sel_hi:[1,0,0]
	v_fma_mix_f32 v0, v127, v0, 0 op_sel:[0,1,0] op_sel_hi:[0,1,0]
	scratch_load_b32 v127, off, off offset:1000 ; 4-byte Folded Reload
	v_fma_mix_f32 v0, v144, v1, v0 op_sel:[0,1,0] op_sel_hi:[0,1,0]
	s_wait_loadcnt 0x1
	v_mul_i32_i24_e32 v78, v44, v69
	scratch_load_b32 v69, off, off offset:344 ; 4-byte Folded Reload
	v_add3_u32 v68, v68, v78, v79
	v_mul_i32_i24_e32 v78, v45, v203
	s_wait_loadcnt 0x1
	v_mul_i32_i24_e32 v4, v44, v127
	s_delay_alu instid0(VALU_DEP_1)
	v_add3_u32 v3, v3, v4, v5
	scratch_load_b32 v4, off, off offset:72 ; 4-byte Folded Reload
	v_mul_i32_i24_e32 v5, v46, v189
	s_wait_loadcnt 0x1
	v_mul_i32_i24_e32 v79, v46, v69
	scratch_load_b32 v69, off, off offset:68 ; 4-byte Folded Reload
	v_add3_u32 v68, v68, v78, v79
	s_delay_alu instid0(VALU_DEP_1) | instskip(NEXT) | instid1(VALU_DEP_1)
	v_add3_u32 v68, v68, v80, v81
	v_add3_u32 v68, v68, v82, v83
	s_delay_alu instid0(VALU_DEP_1) | instskip(NEXT) | instid1(VALU_DEP_1)
	v_add3_u32 v68, v68, v84, v85
	;; [unrolled: 3-line block ×3, first 2 shown]
	v_add3_u32 v68, v68, v101, v102
	s_wait_loadcnt 0x1
	v_mul_i32_i24_e32 v4, v45, v4
	s_delay_alu instid0(VALU_DEP_1) | instskip(NEXT) | instid1(VALU_DEP_1)
	v_add3_u32 v3, v3, v4, v5
	v_add3_u32 v3, v3, v6, v7
	s_delay_alu instid0(VALU_DEP_1) | instskip(NEXT) | instid1(VALU_DEP_1)
	v_add3_u32 v3, v3, v8, v9
	v_add3_u32 v3, v3, v16, v10
	;; [unrolled: 3-line block ×7, first 2 shown]
	s_delay_alu instid0(VALU_DEP_1) | instskip(NEXT) | instid1(VALU_DEP_1)
	v_mul_lo_u32 v3, v3, v143
	v_cvt_f32_i32_e32 v3, v3
	s_delay_alu instid0(VALU_DEP_1)
	v_fma_mix_f32 v2, v1, v3, v2 op_sel_hi:[1,0,0]
	s_wait_loadcnt 0x0
	v_mul_i32_i24_e32 v103, v56, v69
	scratch_load_b32 v69, off, off offset:612 ; 4-byte Folded Reload
	v_add3_u32 v68, v68, v103, v104
	s_wait_loadcnt 0x0
	v_mul_i32_i24_e32 v116, v57, v69
	scratch_load_b32 v69, off, off offset:636 ; 4-byte Folded Reload
	v_add3_u32 v68, v68, v116, v117
	s_delay_alu instid0(VALU_DEP_1) | instskip(SKIP_4) | instid1(VALU_DEP_1)
	v_add3_u32 v68, v68, v118, v119
	s_wait_loadcnt 0x0
	v_mul_i32_i24_e32 v120, v60, v69
	scratch_load_b32 v69, off, off offset:640 ; 4-byte Folded Reload
	v_add3_u32 v68, v68, v120, v121
	v_add3_u32 v68, v68, v122, v123
	s_wait_loadcnt 0x0
	v_mul_i32_i24_e32 v124, v63, v69
	s_delay_alu instid0(VALU_DEP_1) | instskip(NEXT) | instid1(VALU_DEP_1)
	v_add3_u32 v68, v68, v124, v125
	v_add3_u32 v68, v68, v126, v129
	s_delay_alu instid0(VALU_DEP_1) | instskip(NEXT) | instid1(VALU_DEP_1)
	v_mul_lo_u32 v68, v68, v218
	v_cvt_f32_i32_e32 v68, v68
	s_delay_alu instid0(VALU_DEP_1)
	v_fma_mix_f32 v66, v1, v68, v66 op_sel_hi:[1,0,0]
	scratch_load_b32 v1, off, off           ; 4-byte Folded Reload
	v_fma_f32 v66, v66, v220, -v67
	scratch_load_b32 v67, off, off offset:784 ; 4-byte Folded Reload
	s_wait_loadcnt 0x1
	v_mul_f32_e32 v0, v0, v1
	scratch_load_b32 v1, off, off offset:780 ; 4-byte Folded Reload
	v_fma_f32 v0, v2, v255, -v0
	s_wait_loadcnt 0x1
	v_add_f32_e32 v67, v67, v66
	s_wait_loadcnt 0x0
	s_delay_alu instid0(VALU_DEP_2)
	v_add_f32_e32 v1, v1, v0
	scratch_load_b32 v0, off, off offset:1260 ; 4-byte Folded Reload
	s_clause 0x1
	scratch_store_b32 off, v67, off offset:784
	scratch_store_b32 off, v1, off offset:780
	s_wait_loadcnt 0x0
	v_or_b32_e32 v0, s13, v0
	s_delay_alu instid0(VALU_DEP_1)
	v_lshlrev_b32_e32 v12, 2, v0
	v_lshrrev_b32_e32 v16, 1, v0
	ds_load_b128 v[0:3], v12 offset:16896
	ds_load_b128 v[4:7], v12 offset:16912
	;; [unrolled: 1-line block ×4, first 2 shown]
	s_clause 0x17
	scratch_load_b32 v70, off, off offset:168
	scratch_load_b32 v91, off, off offset:396
	;; [unrolled: 1-line block ×24, first 2 shown]
	s_wait_dscnt 0x2
	v_bfe_i32 v40, v7, 0, 8
	v_bfe_i32 v41, v7, 8, 8
	;; [unrolled: 1-line block ×3, first 2 shown]
	s_clause 0x7
	scratch_load_b32 v134, off, off offset:928
	scratch_load_b32 v138, off, off offset:944
	;; [unrolled: 1-line block ×8, first 2 shown]
	v_ashrrev_i32_e32 v7, 24, v7
	v_bfe_i32 v17, v0, 0, 8
	v_bfe_i32 v18, v0, 8, 8
	;; [unrolled: 1-line block ×3, first 2 shown]
	v_ashrrev_i32_e32 v20, 24, v0
	v_bfe_i32 v21, v1, 0, 8
	v_bfe_i32 v22, v1, 8, 8
	;; [unrolled: 1-line block ×3, first 2 shown]
	v_ashrrev_i32_e32 v24, 24, v1
	ds_load_b64 v[0:1], v16 offset:27200
	s_wait_dscnt 0x2
	v_bfe_i32 v16, v8, 0, 8
	v_bfe_i32 v43, v8, 8, 8
	;; [unrolled: 1-line block ×3, first 2 shown]
	v_ashrrev_i32_e32 v8, 24, v8
	s_clause 0x7
	scratch_load_b32 v142, off, off offset:1032
	scratch_load_b32 v145, off, off offset:1244
	;; [unrolled: 1-line block ×8, first 2 shown]
	v_bfe_i32 v25, v2, 0, 8
	v_bfe_i32 v26, v2, 8, 8
	v_bfe_i32 v27, v2, 16, 8
	v_ashrrev_i32_e32 v2, 24, v2
	v_bfe_i32 v28, v3, 0, 8
	v_bfe_i32 v29, v3, 8, 8
	v_bfe_i32 v30, v3, 16, 8
	v_ashrrev_i32_e32 v3, 24, v3
	;; [unrolled: 4-line block ×4, first 2 shown]
	v_bfe_i32 v37, v6, 0, 8
	v_mul_i32_i24_e32 v103, v233, v34
	v_mul_i32_i24_e32 v104, v232, v35
	v_bfe_i32 v38, v6, 8, 8
	v_mul_i32_i24_e32 v116, v228, v36
	v_mul_i32_i24_e32 v117, v231, v5
	v_bfe_i32 v39, v6, 16, 8
	v_ashrrev_i32_e32 v6, 24, v6
	s_wait_dscnt 0x1
	v_bfe_i32 v57, v13, 0, 8
	v_bfe_i32 v64, v15, 8, 8
	s_clause 0xb
	scratch_load_b32 v233, off, off offset:588
	scratch_load_b32 v232, off, off offset:432
	;; [unrolled: 1-line block ×12, first 2 shown]
	v_bfe_i32 v54, v12, 0, 8
	v_bfe_i32 v50, v10, 16, 8
	;; [unrolled: 1-line block ×5, first 2 shown]
	v_ashrrev_i32_e32 v15, 24, v15
	v_bfe_i32 v45, v9, 0, 8
	v_bfe_i32 v46, v9, 8, 8
	;; [unrolled: 1-line block ×3, first 2 shown]
	v_ashrrev_i32_e32 v9, 24, v9
	v_bfe_i32 v48, v10, 0, 8
	v_bfe_i32 v49, v10, 8, 8
	v_ashrrev_i32_e32 v10, 24, v10
	v_bfe_i32 v51, v11, 0, 8
	v_bfe_i32 v52, v11, 8, 8
	;; [unrolled: 1-line block ×3, first 2 shown]
	v_ashrrev_i32_e32 v11, 24, v11
	v_bfe_i32 v55, v12, 8, 8
	v_bfe_i32 v56, v12, 16, 8
	v_ashrrev_i32_e32 v12, 24, v12
	v_bfe_i32 v58, v13, 8, 8
	v_ashrrev_i32_e32 v13, 24, v13
	v_bfe_i32 v60, v14, 0, 8
	v_bfe_i32 v61, v14, 8, 8
	;; [unrolled: 1-line block ×3, first 2 shown]
	v_ashrrev_i32_e32 v14, 24, v14
	scratch_load_b32 v108, off, off offset:684 ; 4-byte Folded Reload
	scratch_store_b32 off, v87, off offset:1176 ; 4-byte Folded Spill
	s_wait_loadcnt 0x34
	v_mul_i32_i24_e32 v122, v70, v40
	scratch_load_b32 v70, off, off offset:160 ; 4-byte Folded Reload
	s_wait_loadcnt 0x34
	v_mul_i32_i24_e32 v121, v91, v6
	s_wait_loadcnt 0x33
	v_mul_i32_i24_e32 v126, v77, v65
	;; [unrolled: 2-line block ×5, first 2 shown]
	s_wait_loadcnt 0x25
	v_mad_i32_i24 v66, v130, v18, v66
	s_wait_loadcnt 0x23
	v_mul_i32_i24_e32 v78, v132, v23
	s_wait_loadcnt 0x22
	v_mul_i32_i24_e32 v79, v131, v24
	;; [unrolled: 2-line block ×3, first 2 shown]
	v_add3_u32 v66, v66, v67, v68
	v_mul_i32_i24_e32 v68, v133, v22
	s_wait_loadcnt 0x20
	v_mul_i32_i24_e32 v119, v100, v38
	s_wait_loadcnt 0x1f
	;; [unrolled: 2-line block ×7, first 2 shown]
	v_mul_i32_i24_e32 v85, v141, v29
	v_add3_u32 v66, v66, v67, v68
	v_mul_i32_i24_e32 v68, v89, v16
	s_wait_loadcnt 0x16
	v_mul_i32_i24_e32 v81, v137, v26
	v_mul_i32_i24_e32 v86, v140, v30
	;; [unrolled: 1-line block ×3, first 2 shown]
	v_add3_u32 v66, v66, v78, v79
	scratch_load_b32 v67, off, off offset:172 ; 4-byte Folded Reload
	v_mul_i32_i24_e32 v78, v76, v44
	scratch_load_b32 v76, off, off offset:864 ; 4-byte Folded Reload
	v_add3_u32 v66, v66, v80, v81
	s_delay_alu instid0(VALU_DEP_1) | instskip(SKIP_4) | instid1(VALU_DEP_2)
	v_add3_u32 v66, v66, v82, v83
	s_wait_loadcnt 0x17
	v_mul_i32_i24_e32 v84, v142, v28
	s_wait_loadcnt 0x16
	v_mul_i32_i24_e32 v99, v145, v32
	v_add3_u32 v66, v66, v84, v85
	s_wait_loadcnt 0x12
	v_mul_i32_i24_e32 v93, v146, v31
	s_wait_loadcnt 0x11
	v_mul_i32_i24_e32 v101, v144, v33
	;; [unrolled: 2-line block ×3, first 2 shown]
	v_mul_i32_i24_e32 v84, v112, v50
	v_add3_u32 v66, v66, v86, v88
	scratch_load_b32 v112, off, off offset:12 ; 4-byte Folded Reload
	v_mul_i32_i24_e32 v85, v105, v10
	v_add3_u32 v66, v66, v93, v99
	v_mul_i32_i24_e32 v99, v109, v11
	s_delay_alu instid0(VALU_DEP_2) | instskip(SKIP_4) | instid1(VALU_DEP_2)
	v_add3_u32 v66, v66, v101, v102
	v_mul_i32_i24_e32 v101, v198, v54
	scratch_load_b32 v198, off, off offset:400 ; 4-byte Folded Reload
	v_add3_u32 v66, v66, v103, v104
	v_mul_i32_i24_e32 v103, v199, v56
	v_add3_u32 v66, v66, v116, v117
	s_delay_alu instid0(VALU_DEP_1)
	v_add3_u32 v66, v66, v118, v119
	s_wait_loadcnt 0xf
	v_mul_i32_i24_e32 v80, v231, v47
	s_wait_loadcnt 0xe
	v_mul_i32_i24_e32 v81, v228, v9
	;; [unrolled: 2-line block ×4, first 2 shown]
	v_add3_u32 v66, v66, v120, v121
	s_wait_loadcnt 0xa
	v_mul_i32_i24_e32 v83, v255, v49
	v_mul_i32_i24_e32 v93, v94, v53
	s_wait_loadcnt 0x9
	v_mul_i32_i24_e32 v102, v75, v55
	s_wait_loadcnt 0x8
	;; [unrolled: 2-line block ×3, first 2 shown]
	v_mul_i32_i24_e32 v88, v95, v52
	v_mul_i32_i24_e32 v120, v246, v60
	;; [unrolled: 1-line block ×3, first 2 shown]
	scratch_load_b32 v170, off, off offset:48 ; 4-byte Folded Reload
	s_wait_loadcnt 0x5
	v_mul_i32_i24_e32 v123, v70, v41
	scratch_load_b32 v70, off, off offset:156 ; 4-byte Folded Reload
	v_add3_u32 v66, v66, v122, v123
	v_mul_i32_i24_e32 v122, v251, v62
	v_mul_i32_i24_e32 v123, v250, v14
	s_clause 0x1
	scratch_load_b32 v250, off, off offset:60
	scratch_load_b32 v251, off, off offset:64
	s_wait_loadcnt 0x6
	v_mul_i32_i24_e32 v117, v76, v58
	s_wait_loadcnt 0x4
	v_mul_i32_i24_e32 v104, v198, v12
	;; [unrolled: 2-line block ×3, first 2 shown]
	scratch_load_b32 v70, off, off offset:164 ; 4-byte Folded Reload
	s_wait_loadcnt 0x0
	v_mul_i32_i24_e32 v125, v70, v7
	scratch_load_b32 v70, off, off offset:416 ; 4-byte Folded Reload
	v_add3_u32 v66, v66, v124, v125
	v_mul_i32_i24_e32 v125, v74, v64
	scratch_load_b32 v74, off, off offset:408 ; 4-byte Folded Reload
	v_mul_lo_u32 v66, v66, v67
	s_wait_dscnt 0x0
	v_fma_mix_f32 v67, v191, v0, 0 op_sel:[0,1,0] op_sel_hi:[0,1,0]
	scratch_load_b32 v191, off, off offset:36 ; 4-byte Folded Reload
	v_fma_mix_f32 v67, v106, v1, v67 op_sel:[0,1,0] op_sel_hi:[0,1,0]
	v_cvt_f32_i32_e32 v66, v66
	s_delay_alu instid0(VALU_DEP_1)
	v_fma_mix_f32 v66, v0, v66, 0 op_sel_hi:[1,0,0]
	s_wait_loadcnt 0x2
	v_mul_i32_i24_e32 v79, v70, v8
	scratch_load_b32 v70, off, off offset:384 ; 4-byte Folded Reload
	s_wait_loadcnt 0x2
	v_mul_i32_i24_e32 v129, v74, v15
	scratch_load_b32 v74, off, off offset:904 ; 4-byte Folded Reload
	s_wait_loadcnt 0x1
	v_mad_i32_i24 v68, v70, v43, v68
	scratch_load_b32 v70, off, off offset:900 ; 4-byte Folded Reload
	v_add3_u32 v68, v68, v78, v79
	v_mul_i32_i24_e32 v78, v233, v45
	v_mul_i32_i24_e32 v79, v232, v46
	s_delay_alu instid0(VALU_DEP_1)
	v_add3_u32 v68, v68, v78, v79
	v_mul_i32_i24_e32 v79, v24, v177
	scratch_load_b32 v177, off, off offset:256 ; 4-byte Folded Reload
	v_mov_b32_e32 v236, v106
	scratch_load_b32 v106, off, off offset:648 ; 4-byte Folded Reload
	v_add3_u32 v68, v68, v80, v81
	s_clause 0x1
	scratch_load_b32 v80, off, off offset:112
	scratch_load_b32 v81, off, off offset:116
	v_mul_i32_i24_e32 v78, v23, v176
	scratch_load_b32 v176, off, off offset:600 ; 4-byte Folded Reload
	v_add3_u32 v68, v68, v82, v83
	s_clause 0x1
	scratch_load_b32 v82, off, off offset:120
	scratch_load_b32 v83, off, off offset:124
	v_add3_u32 v68, v68, v84, v85
	scratch_load_b32 v85, off, off offset:128 ; 4-byte Folded Reload
	v_mul_i32_i24_e32 v84, v28, v208
	scratch_load_b32 v208, off, off offset:356 ; 4-byte Folded Reload
	v_add3_u32 v68, v68, v86, v88
	v_mul_i32_i24_e32 v88, v3, v211
	scratch_load_b32 v211, off, off offset:40 ; 4-byte Folded Reload
	v_add3_u32 v68, v68, v93, v99
	s_clause 0x1
	scratch_load_b32 v93, off, off offset:140
	scratch_load_b32 v99, off, off offset:144
	v_add3_u32 v68, v68, v101, v102
	s_clause 0x1
	scratch_load_b32 v101, off, off offset:148
	scratch_load_b32 v102, off, off offset:16
	;; [unrolled: 4-line block ×3, first 2 shown]
	s_wait_loadcnt 0x10
	v_mul_i32_i24_e32 v116, v70, v57
	scratch_load_b32 v70, off, off offset:404 ; 4-byte Folded Reload
	v_add3_u32 v68, v68, v116, v117
	v_mul_i32_i24_e32 v116, v36, v112
	scratch_load_b32 v112, off, off offset:20 ; 4-byte Folded Reload
	s_wait_loadcnt 0x10
	v_mul_f32_e32 v67, v67, v106
	v_mul_i32_i24_e32 v86, v30, v210
	s_wait_loadcnt 0xf
	v_mul_i32_i24_e32 v80, v25, v80
	s_wait_loadcnt 0xe
	v_mul_i32_i24_e32 v81, v26, v81
	scratch_load_b32 v210, off, off offset:596 ; 4-byte Folded Reload
	s_wait_loadcnt 0xd
	v_mul_i32_i24_e32 v82, v27, v82
	s_wait_loadcnt 0xc
	v_mul_i32_i24_e32 v83, v2, v83
	;; [unrolled: 2-line block ×10, first 2 shown]
	scratch_load_b32 v70, off, off offset:872 ; 4-byte Folded Reload
	v_add3_u32 v68, v68, v118, v119
	s_wait_loadcnt 0x2
	v_mul_i32_i24_e32 v117, v5, v112
	scratch_load_b32 v112, off, off offset:152 ; 4-byte Folded Reload
	v_mul_i32_i24_e32 v119, v38, v194
	scratch_load_b32 v194, off, off offset:264 ; 4-byte Folded Reload
	v_add3_u32 v68, v68, v120, v121
	v_mul_i32_i24_e32 v120, v39, v176
	v_mul_i32_i24_e32 v121, v6, v201
	s_delay_alu instid0(VALU_DEP_3) | instskip(SKIP_3) | instid1(VALU_DEP_1)
	v_add3_u32 v68, v68, v122, v123
	v_mul_i32_i24_e32 v122, v40, v170
	s_wait_loadcnt 0x2
	v_mul_i32_i24_e32 v124, v70, v63
	v_add3_u32 v68, v68, v124, v125
	s_wait_loadcnt 0x1
	v_mul_i32_i24_e32 v118, v37, v112
	v_mul_i32_i24_e32 v124, v42, v216
	s_wait_loadcnt 0x0
	v_mul_i32_i24_e32 v123, v41, v194
	v_mul_i32_i24_e32 v125, v7, v218
	v_add3_u32 v68, v68, v126, v129
	scratch_load_b32 v112, off, off offset:604 ; 4-byte Folded Reload
	v_mul_i32_i24_e32 v126, v65, v181
	v_mul_i32_i24_e32 v129, v15, v158
	scratch_load_b32 v158, off, off offset:592 ; 4-byte Folded Reload
	v_mul_lo_u32 v68, v68, v74
	v_mov_b32_e32 v74, v107
	scratch_load_b32 v107, off, off offset:680 ; 4-byte Folded Reload
	v_mov_b32_e32 v181, v200
	v_cvt_f32_i32_e32 v68, v68
	s_delay_alu instid0(VALU_DEP_1) | instskip(SKIP_1) | instid1(VALU_DEP_2)
	v_fma_mix_f32 v66, v1, v68, v66 op_sel_hi:[1,0,0]
	v_mul_i32_i24_e32 v68, v20, v90
	v_fma_f32 v66, v66, v74, -v67
	scratch_load_b32 v67, off, off offset:776 ; 4-byte Folded Reload
	s_wait_loadcnt 0x0
	v_add_f32_e32 v67, v67, v66
	v_mul_i32_i24_e32 v66, v17, v87
	scratch_store_b32 off, v67, off offset:776 ; 4-byte Folded Spill
	v_mul_i32_i24_e32 v67, v19, v107
	v_mad_i32_i24 v66, v18, v108, v66
	s_delay_alu instid0(VALU_DEP_1)
	v_add3_u32 v66, v66, v67, v68
	v_mul_i32_i24_e32 v67, v21, v225
	v_mul_i32_i24_e32 v68, v22, v173
	scratch_load_b32 v173, off, off offset:52 ; 4-byte Folded Reload
	v_add3_u32 v66, v66, v67, v68
	v_mul_i32_i24_e32 v68, v16, v191
	v_fma_mix_f32 v67, v112, v0, 0 op_sel:[0,1,0] op_sel_hi:[0,1,0]
	s_delay_alu instid0(VALU_DEP_3) | instskip(SKIP_1) | instid1(VALU_DEP_4)
	v_add3_u32 v66, v66, v78, v79
	v_mul_i32_i24_e32 v78, v44, v211
	v_mad_i32_i24 v68, v43, v212, v68
	s_delay_alu instid0(VALU_DEP_3) | instskip(SKIP_2) | instid1(VALU_DEP_3)
	v_add3_u32 v66, v66, v80, v81
	v_mul_i32_i24_e32 v80, v47, v251
	v_mul_i32_i24_e32 v81, v9, v220
	v_add3_u32 v66, v66, v82, v83
	v_mul_i32_i24_e32 v82, v48, v221
	v_mul_i32_i24_e32 v83, v49, v208
	s_delay_alu instid0(VALU_DEP_3)
	v_add3_u32 v66, v66, v84, v85
	v_mul_i32_i24_e32 v84, v50, v178
	scratch_load_b32 v178, off, off offset:440 ; 4-byte Folded Reload
	v_mul_i32_i24_e32 v85, v10, v182
	v_add3_u32 v66, v66, v86, v88
	v_mul_i32_i24_e32 v86, v51, v183
	v_mul_i32_i24_e32 v88, v52, v184
	v_mov_b32_e32 v183, v204
	s_delay_alu instid0(VALU_DEP_4)
	v_add3_u32 v66, v66, v93, v99
	v_mul_i32_i24_e32 v99, v11, v152
	scratch_load_b32 v152, off, off offset:644 ; 4-byte Folded Reload
	v_mul_i32_i24_e32 v93, v53, v180
	v_mov_b32_e32 v180, v172
	v_add3_u32 v66, v66, v101, v102
	v_mul_i32_i24_e32 v101, v54, v179
	scratch_load_b32 v179, off, off offset:988 ; 4-byte Folded Reload
	v_mul_i32_i24_e32 v102, v55, v239
	scratch_load_b32 v239, off, off offset:212 ; 4-byte Folded Reload
	v_add3_u32 v66, v66, v103, v104
	v_mul_i32_i24_e32 v104, v12, v209
	v_mov_b32_e32 v209, v154
	scratch_store_b32 off, v224, off offset:1196 ; 4-byte Folded Spill
	v_add3_u32 v66, v66, v116, v117
	scratch_load_b32 v116, off, off offset:24 ; 4-byte Folded Reload
	v_mul_i32_i24_e32 v117, v58, v244
	scratch_load_b32 v244, off, off offset:208 ; 4-byte Folded Reload
	v_add3_u32 v66, v66, v118, v119
	v_mul_i32_i24_e32 v118, v59, v154
	scratch_load_b32 v154, off, off offset:464 ; 4-byte Folded Reload
	v_add3_u32 v66, v66, v120, v121
	v_mul_i32_i24_e32 v120, v60, v247
	v_mul_i32_i24_e32 v121, v61, v252
	scratch_load_b32 v252, off, off offset:220 ; 4-byte Folded Reload
	v_mov_b32_e32 v247, v248
	v_add3_u32 v66, v66, v122, v123
	v_mul_i32_i24_e32 v122, v62, v249
	v_mul_i32_i24_e32 v123, v14, v248
	s_clause 0x1
	scratch_load_b32 v249, off, off offset:216
	scratch_load_b32 v248, off, off offset:500
	v_add3_u32 v66, v66, v124, v125
	v_mul_i32_i24_e32 v124, v63, v156
	scratch_load_b32 v156, off, off offset:468 ; 4-byte Folded Reload
	scratch_store_b32 off, v214, off offset:1188 ; 4-byte Folded Spill
	v_mul_lo_u32 v66, v66, v210
	s_delay_alu instid0(VALU_DEP_1) | instskip(NEXT) | instid1(VALU_DEP_1)
	v_cvt_f32_i32_e32 v66, v66
	v_fma_mix_f32 v66, v0, v66, 0 op_sel_hi:[1,0,0]
	s_wait_loadcnt 0xb
	v_mul_i32_i24_e32 v79, v8, v173
	s_delay_alu instid0(VALU_DEP_1) | instskip(SKIP_2) | instid1(VALU_DEP_1)
	v_add3_u32 v68, v68, v78, v79
	v_mul_i32_i24_e32 v78, v45, v250
	v_mul_i32_i24_e32 v79, v46, v219
	v_add3_u32 v68, v68, v78, v79
	v_mul_i32_i24_e32 v79, v24, v151
	scratch_load_b32 v151, off, off offset:92 ; 4-byte Folded Reload
	v_add3_u32 v68, v68, v80, v81
	v_mul_i32_i24_e32 v80, v25, v153
	v_mul_i32_i24_e32 v81, v26, v155
	s_clause 0x1
	scratch_load_b32 v153, off, off offset:504
	scratch_load_b32 v155, off, off offset:1080
	v_add3_u32 v68, v68, v82, v83
	v_mul_i32_i24_e32 v82, v27, v157
	v_mul_i32_i24_e32 v83, v2, v159
	scratch_load_b32 v159, off, off offset:508 ; 4-byte Folded Reload
	s_wait_loadcnt 0xe
	v_mul_i32_i24_e32 v103, v56, v178
	v_add3_u32 v68, v68, v84, v85
	v_mul_i32_i24_e32 v84, v28, v164
	v_mul_i32_i24_e32 v85, v29, v161
	s_clause 0x1
	scratch_load_b32 v157, off, off offset:1068
	scratch_load_b32 v161, off, off offset:1100
	v_add3_u32 v68, v68, v86, v88
	v_mul_i32_i24_e32 v86, v30, v167
	v_mul_i32_i24_e32 v88, v3, v168
	;; [unrolled: 1-line block ×3, first 2 shown]
	scratch_load_b32 v174, off, off offset:1052 ; 4-byte Folded Reload
	v_add3_u32 v68, v68, v93, v99
	v_mul_i32_i24_e32 v93, v31, v200
	v_mul_i32_i24_e32 v99, v32, v172
	scratch_load_b32 v200, off, off offset:340 ; 4-byte Folded Reload
	s_wait_loadcnt 0x10
	v_fma_mix_f32 v67, v179, v1, v67 op_sel:[0,1,0] op_sel_hi:[0,1,0]
	v_add3_u32 v68, v68, v101, v102
	scratch_load_b32 v102, off, off offset:248 ; 4-byte Folded Reload
	v_mul_i32_i24_e32 v101, v33, v227
	scratch_load_b32 v172, off, off offset:1060 ; 4-byte Folded Reload
	v_mul_f32_e32 v67, v67, v177
	v_add3_u32 v68, v68, v103, v104
	s_clause 0x1
	scratch_load_b32 v103, off, off offset:616
	scratch_load_b32 v104, off, off offset:176
	s_wait_loadcnt 0x12
	v_mul_i32_i24_e32 v116, v57, v116
	v_mul_i32_i24_e32 v2, v2, v222
	scratch_load_b32 v222, off, off offset:1240 ; 4-byte Folded Reload
	v_mov_b32_e32 v227, v160
	s_clause 0x2
	scratch_store_b32 off, v215, off offset:1184
	scratch_store_b32 off, v223, off offset:1192
	;; [unrolled: 1-line block ×3, first 2 shown]
	s_wait_loadcnt 0x11
	v_mul_i32_i24_e32 v119, v13, v154
	v_add3_u32 v68, v68, v116, v117
	scratch_load_b32 v116, off, off offset:620 ; 4-byte Folded Reload
	v_mul_i32_i24_e32 v117, v5, v202
	scratch_load_b32 v202, off, off offset:1064 ; 4-byte Folded Reload
	s_wait_loadcnt 0x12
	v_mul_i32_i24_e32 v78, v23, v252
	v_add3_u32 v68, v68, v118, v119
	scratch_load_b32 v118, off, off offset:624 ; 4-byte Folded Reload
	v_mul_i32_i24_e32 v119, v38, v206
	scratch_load_b32 v206, off, off offset:496 ; 4-byte Folded Reload
	v_add3_u32 v68, v68, v120, v121
	v_mul_i32_i24_e32 v120, v39, v205
	scratch_load_b32 v205, off, off offset:492 ; 4-byte Folded Reload
	s_wait_loadcnt 0x12
	v_mul_i32_i24_e32 v125, v64, v156
	v_add3_u32 v68, v68, v122, v123
	v_mul_i32_i24_e32 v123, v41, v248
	s_delay_alu instid0(VALU_DEP_2) | instskip(SKIP_3) | instid1(VALU_DEP_1)
	v_add3_u32 v68, v68, v124, v125
	v_mul_i32_i24_e32 v124, v42, v149
	scratch_load_b32 v149, off, off offset:96 ; 4-byte Folded Reload
	v_add3_u32 v68, v68, v126, v129
	v_mul_lo_u32 v68, v68, v185
	scratch_load_b32 v185, off, off offset:512 ; 4-byte Folded Reload
	v_cvt_f32_i32_e32 v68, v68
	s_delay_alu instid0(VALU_DEP_1) | instskip(SKIP_2) | instid1(VALU_DEP_3)
	v_fma_mix_f32 v66, v1, v68, v66 op_sel_hi:[1,0,0]
	v_mul_i32_i24_e32 v68, v20, v239
	v_mul_i32_i24_e32 v20, v20, v110
	v_fma_f32 v66, v66, v152, -v67
	scratch_load_b32 v67, off, off offset:772 ; 4-byte Folded Reload
	s_wait_loadcnt 0xc
	v_mul_i32_i24_e32 v102, v4, v102
	v_mul_i32_i24_e32 v4, v4, v186
	scratch_load_b32 v186, off, off offset:1096 ; 4-byte Folded Reload
	s_wait_loadcnt 0xb
	v_mul_i32_i24_e32 v103, v34, v103
	s_wait_loadcnt 0xa
	v_mul_i32_i24_e32 v104, v35, v104
	;; [unrolled: 2-line block ×7, first 2 shown]
	s_wait_loadcnt 0x1
	v_add_f32_e32 v67, v67, v66
	v_mul_i32_i24_e32 v66, v17, v158
	scratch_store_b32 off, v67, off offset:772 ; 4-byte Folded Spill
	v_mul_i32_i24_e32 v67, v19, v196
	v_mad_i32_i24 v66, v18, v244, v66
	v_mul_i32_i24_e32 v19, v19, v242
	s_delay_alu instid0(VALU_DEP_2)
	v_add3_u32 v66, v66, v67, v68
	v_mul_i32_i24_e32 v67, v21, v204
	v_mul_i32_i24_e32 v68, v22, v249
	scratch_load_b32 v204, off, off offset:488 ; 4-byte Folded Reload
	v_add3_u32 v66, v66, v67, v68
	v_mul_i32_i24_e32 v68, v16, v147
	s_clause 0x1
	scratch_load_b32 v147, off, off offset:1056
	scratch_load_b32 v67, off, off offset:628
	v_add3_u32 v66, v66, v78, v79
	scratch_load_b32 v78, off, off offset:632 ; 4-byte Folded Reload
	v_mul_i32_i24_e32 v79, v8, v200
	v_mad_i32_i24 v68, v43, v195, v68
	scratch_load_b32 v195, off, off offset:1084 ; 4-byte Folded Reload
	v_add3_u32 v66, v66, v80, v81
	v_mul_i32_i24_e32 v81, v9, v148
	scratch_load_b32 v148, off, off offset:88 ; 4-byte Folded Reload
	v_add3_u32 v66, v66, v82, v83
	v_mul_i32_i24_e32 v83, v49, v172
	s_delay_alu instid0(VALU_DEP_2)
	v_add3_u32 v66, v66, v84, v85
	v_mul_i32_i24_e32 v85, v10, v243
	scratch_load_b32 v243, off, off offset:1072 ; 4-byte Folded Reload
	v_mul_i32_i24_e32 v84, v50, v235
	v_mov_b32_e32 v235, v241
	v_add3_u32 v66, v66, v86, v88
	v_mul_i32_i24_e32 v86, v51, v151
	v_mul_i32_i24_e32 v88, v52, v202
	s_delay_alu instid0(VALU_DEP_3)
	v_add3_u32 v66, v66, v93, v99
	v_mul_i32_i24_e32 v93, v53, v245
	scratch_load_b32 v245, off, off offset:516 ; 4-byte Folded Reload
	v_mul_i32_i24_e32 v99, v11, v254
	v_mov_b32_e32 v254, v110
	v_add3_u32 v66, v66, v101, v102
	v_mul_i32_i24_e32 v101, v54, v153
	scratch_load_b32 v110, off, off offset:328 ; 4-byte Folded Reload
	v_add3_u32 v66, v66, v103, v104
	scratch_load_b32 v103, off, off offset:68 ; 4-byte Folded Reload
	v_mul_i32_i24_e32 v104, v12, v162
	scratch_load_b32 v162, off, off offset:260 ; 4-byte Folded Reload
	v_add3_u32 v66, v66, v116, v117
	scratch_load_b32 v116, off, off offset:612 ; 4-byte Folded Reload
	v_mul_i32_i24_e32 v117, v58, v185
	v_add3_u32 v66, v66, v118, v119
	v_mul_i32_i24_e32 v119, v13, v114
	scratch_load_b32 v114, off, off offset:636 ; 4-byte Folded Reload
	v_mul_i32_i24_e32 v118, v59, v159
	v_mul_i32_i24_e32 v13, v13, v111
	v_add3_u32 v66, v66, v120, v121
	scratch_load_b32 v111, off, off offset:1112 ; 4-byte Folded Reload
	v_add3_u32 v66, v66, v122, v123
	v_mul_i32_i24_e32 v123, v14, v128
	scratch_load_b32 v128, off, off offset:1076 ; 4-byte Folded Reload
	v_mul_i32_i24_e32 v122, v62, v157
	v_mul_i32_i24_e32 v14, v14, v113
	v_add3_u32 v66, v66, v124, v125
	v_mul_i32_i24_e32 v125, v64, v213
	v_mov_b32_e32 v213, v242
	s_clause 0x1
	scratch_load_b32 v242, off, off offset:324
	scratch_load_b32 v113, off, off offset:312
	s_wait_loadcnt 0xf
	v_mul_i32_i24_e32 v80, v47, v147
	s_wait_loadcnt 0xe
	v_mul_lo_u32 v66, v66, v67
	v_fma_mix_f32 v67, v204, v0, 0 op_sel:[0,1,0] op_sel_hi:[0,1,0]
	s_wait_loadcnt 0xd
	v_mul_i32_i24_e32 v78, v44, v78
	s_wait_loadcnt 0xc
	s_delay_alu instid0(VALU_DEP_2) | instskip(NEXT) | instid1(VALU_DEP_2)
	v_fma_mix_f32 v67, v195, v1, v67 op_sel:[0,1,0] op_sel_hi:[0,1,0]
	v_add3_u32 v68, v68, v78, v79
	scratch_load_b32 v79, off, off offset:344 ; 4-byte Folded Reload
	v_mul_i32_i24_e32 v78, v45, v203
	scratch_load_b32 v203, off, off offset:484 ; 4-byte Folded Reload
	s_wait_loadcnt 0xd
	v_mul_i32_i24_e32 v82, v48, v148
	v_cvt_f32_i32_e32 v66, v66
	v_mul_f32_e32 v67, v67, v241
	scratch_load_b32 v241, off, off offset:1048 ; 4-byte Folded Reload
	v_fma_mix_f32 v66, v0, v66, 0 op_sel_hi:[1,0,0]
	s_wait_loadcnt 0xd
	v_mul_i32_i24_e32 v126, v65, v243
	s_wait_loadcnt 0xc
	v_mul_i32_i24_e32 v121, v61, v245
	;; [unrolled: 2-line block ×5, first 2 shown]
	scratch_load_b32 v114, off, off offset:640 ; 4-byte Folded Reload
	s_wait_loadcnt 0x6
	v_mul_i32_i24_e32 v129, v15, v128
	s_wait_loadcnt 0x4
	v_mul_i32_i24_e32 v15, v15, v113
	s_wait_loadcnt 0x3
	v_mul_i32_i24_e32 v79, v46, v79
	s_wait_loadcnt 0x2
	v_mul_i32_i24_e32 v102, v55, v203
	s_delay_alu instid0(VALU_DEP_2) | instskip(SKIP_2) | instid1(VALU_DEP_2)
	v_add3_u32 v68, v68, v78, v79
	s_wait_loadcnt 0x1
	v_mul_i32_i24_e32 v17, v17, v241
	v_add3_u32 v68, v68, v80, v81
	s_delay_alu instid0(VALU_DEP_2)
	v_mad_i32_i24 v17, v18, v242, v17
	v_mul_i32_i24_e32 v18, v21, v110
	v_mul_i32_i24_e32 v21, v24, v166
	;; [unrolled: 1-line block ×3, first 2 shown]
	v_add3_u32 v68, v68, v82, v83
	v_add3_u32 v17, v17, v19, v20
	v_mul_i32_i24_e32 v19, v22, v160
	v_mul_i32_i24_e32 v20, v23, v165
	;; [unrolled: 1-line block ×3, first 2 shown]
	v_add3_u32 v68, v68, v84, v85
	v_mul_i32_i24_e32 v23, v26, v171
	v_mul_i32_i24_e32 v25, v28, v237
	;; [unrolled: 1-line block ×3, first 2 shown]
	scratch_load_b32 v238, off, off offset:332 ; 4-byte Folded Reload
	v_add3_u32 v68, v68, v86, v88
	v_mul_i32_i24_e32 v28, v31, v174
	v_mul_i32_i24_e32 v29, v32, v175
	s_clause 0x1
	scratch_load_b32 v175, off, off offset:1088
	scratch_load_b32 v32, off, off offset:1016
	v_add3_u32 v68, v68, v93, v99
	v_mul_i32_i24_e32 v31, v34, v186
	s_clause 0x2
	scratch_load_b32 v34, off, off offset:1024
	scratch_load_b32 v217, off, off offset:608
	;; [unrolled: 1-line block ×3, first 2 shown]
	v_add3_u32 v68, v68, v101, v102
	v_add3_u32 v17, v17, v18, v19
	v_mul_i32_i24_e32 v18, v52, v253
	v_mul_i32_i24_e32 v19, v53, v197
	v_mov_b32_e32 v253, v197
	v_add3_u32 v68, v68, v103, v104
	s_wait_loadcnt 0x6
	v_mul_i32_i24_e32 v124, v63, v114
	s_clause 0x1
	scratch_load_b32 v114, off, off offset:252
	scratch_load_b32 v197, off, off offset:296
	v_add3_u32 v17, v17, v20, v21
	v_add3_u32 v68, v68, v116, v117
	s_delay_alu instid0(VALU_DEP_2) | instskip(NEXT) | instid1(VALU_DEP_2)
	v_add3_u32 v17, v17, v22, v23
	v_add3_u32 v68, v68, v118, v119
	scratch_load_b32 v22, off, off offset:304 ; 4-byte Folded Reload
	v_mul_i32_i24_e32 v23, v57, v115
	scratch_load_b32 v115, off, off offset:1108 ; 4-byte Folded Reload
	v_add3_u32 v2, v17, v24, v2
	v_add3_u32 v68, v68, v120, v121
	v_mul_i32_i24_e32 v17, v51, v150
	s_clause 0x1
	scratch_load_b32 v150, off, off offset:1104
	scratch_load_b32 v24, off, off offset:1092
	v_add3_u32 v2, v2, v25, v26
	v_add3_u32 v68, v68, v122, v123
	scratch_load_b32 v26, off, off offset:436 ; 4-byte Folded Reload
	v_add3_u32 v68, v68, v124, v125
	s_delay_alu instid0(VALU_DEP_1) | instskip(NEXT) | instid1(VALU_DEP_1)
	v_add3_u32 v68, v68, v126, v129
	v_mul_lo_u32 v68, v68, v155
	s_delay_alu instid0(VALU_DEP_1) | instskip(NEXT) | instid1(VALU_DEP_1)
	v_cvt_f32_i32_e32 v68, v68
	v_fma_mix_f32 v66, v1, v68, v66 op_sel_hi:[1,0,0]
	s_wait_loadcnt 0xc
	v_mul_i32_i24_e32 v27, v30, v238
	s_wait_loadcnt 0xb
	v_mul_i32_i24_e32 v30, v33, v175
	scratch_load_b32 v33, off, off offset:1020 ; 4-byte Folded Reload
	s_wait_loadcnt 0xb
	v_mul_i32_i24_e32 v32, v35, v32
	v_mul_i32_i24_e32 v35, v38, v192
	s_wait_loadcnt 0xa
	v_mul_i32_i24_e32 v5, v5, v34
	v_mul_i32_i24_e32 v34, v37, v161
	scratch_load_b32 v37, off, off offset:580 ; 4-byte Folded Reload
	v_mul_i32_i24_e32 v38, v41, v222
	v_mov_b32_e32 v192, v127
	v_add3_u32 v2, v2, v27, v3
	scratch_load_b32 v3, off, off offset:576 ; 4-byte Folded Reload
	v_mul_i32_i24_e32 v27, v61, v111
	s_wait_loadcnt 0x9
	v_fma_f32 v66, v66, v114, -v67
	scratch_load_b32 v67, off, off offset:768 ; 4-byte Folded Reload
	v_add3_u32 v2, v2, v28, v29
	s_clause 0x1
	scratch_load_b32 v28, off, off offset:996
	scratch_load_b32 v29, off, off offset:180
	s_wait_loadcnt 0xb
	v_mul_i32_i24_e32 v11, v11, v197
	v_add3_u32 v2, v2, v30, v4
	v_mul_i32_i24_e32 v4, v44, v127
	scratch_load_b32 v127, off, off offset:288 ; 4-byte Folded Reload
	v_mul_i32_i24_e32 v30, v64, v240
	scratch_load_b32 v240, off, off offset:1120 ; 4-byte Folded Reload
	v_add3_u32 v2, v2, v31, v32
	s_wait_loadcnt 0xc
	v_mul_i32_i24_e32 v22, v56, v22
	s_wait_loadcnt 0xb
	v_mul_i32_i24_e32 v25, v59, v115
	;; [unrolled: 2-line block ×6, first 2 shown]
	v_mul_i32_i24_e32 v36, v39, v229
	s_clause 0x1
	scratch_load_b32 v39, off, off offset:572
	scratch_load_b32 v229, off, off offset:300
	s_wait_loadcnt 0x8
	v_mul_i32_i24_e32 v6, v6, v37
	v_mul_i32_i24_e32 v37, v40, v217
	scratch_load_b32 v40, off, off offset:584 ; 4-byte Folded Reload
	v_add3_u32 v2, v2, v33, v5
	v_mul_i32_i24_e32 v5, v8, v187
	scratch_load_b32 v187, off, off offset:72 ; 4-byte Folded Reload
	v_add3_u32 v2, v2, v34, v35
	s_wait_loadcnt 0x8
	v_add_f32_e32 v67, v67, v66
	s_wait_loadcnt 0x7
	v_mul_i32_i24_e32 v28, v62, v28
	s_wait_loadcnt 0x6
	v_mul_i32_i24_e32 v29, v63, v29
	v_add3_u32 v2, v2, v36, v6
	v_mul_i32_i24_e32 v6, v47, v188
	scratch_store_b32 off, v67, off offset:768 ; 4-byte Folded Spill
	s_wait_loadcnt 0x5
	v_mul_i32_i24_e32 v10, v10, v127
	v_add3_u32 v2, v2, v37, v38
	s_wait_loadcnt 0x4
	v_mul_i32_i24_e32 v31, v65, v240
	s_wait_loadcnt 0x3
	v_mul_i32_i24_e32 v39, v42, v39
	;; [unrolled: 2-line block ×4, first 2 shown]
	s_delay_alu instid0(VALU_DEP_1)
	v_add3_u32 v2, v2, v39, v7
	v_mul_i32_i24_e32 v7, v9, v190
	v_mul_i32_i24_e32 v9, v49, v193
	s_clause 0x1
	scratch_load_b32 v193, off, off offset:1116
	scratch_load_b32 v190, off, off offset:284
	v_mul_lo_u32 v2, v2, v207
	s_delay_alu instid0(VALU_DEP_1) | instskip(NEXT) | instid1(VALU_DEP_1)
	v_cvt_f32_i32_e32 v2, v2
	v_fma_mix_f32 v2, v0, v2, 0 op_sel_hi:[1,0,0]
	v_fma_mix_f32 v0, v3, v0, 0 op_sel:[0,1,0] op_sel_hi:[0,1,0]
	v_mul_i32_i24_e32 v3, v16, v160
	scratch_load_b32 v16, off, off offset:8 ; 4-byte Folded Reload
	v_mad_i32_i24 v3, v43, v163, v3
	s_delay_alu instid0(VALU_DEP_1) | instskip(SKIP_3) | instid1(VALU_DEP_1)
	v_add3_u32 v3, v3, v4, v5
	s_wait_loadcnt 0x3
	v_mul_i32_i24_e32 v4, v45, v187
	v_mul_i32_i24_e32 v5, v46, v189
	v_add3_u32 v3, v3, v4, v5
	s_delay_alu instid0(VALU_DEP_1)
	v_add3_u32 v3, v3, v6, v7
	s_wait_loadcnt 0x2
	v_fma_mix_f32 v0, v193, v1, v0 op_sel:[0,1,0] op_sel_hi:[0,1,0]
	v_mov_b32_e32 v207, v163
	scratch_load_b32 v163, off, off offset:308 ; 4-byte Folded Reload
	s_wait_loadcnt 0x2
	v_mul_i32_i24_e32 v8, v48, v190
	s_delay_alu instid0(VALU_DEP_1) | instskip(SKIP_2) | instid1(VALU_DEP_1)
	v_add3_u32 v3, v3, v8, v9
	s_wait_loadcnt 0x1
	v_mul_i32_i24_e32 v16, v50, v16
	v_add3_u32 v3, v3, v16, v10
	s_delay_alu instid0(VALU_DEP_1) | instskip(NEXT) | instid1(VALU_DEP_1)
	v_add3_u32 v3, v3, v17, v18
	v_add3_u32 v3, v3, v19, v11
	s_wait_loadcnt 0x0
	v_mul_i32_i24_e32 v21, v55, v163
	s_delay_alu instid0(VALU_DEP_1) | instskip(NEXT) | instid1(VALU_DEP_1)
	v_add3_u32 v3, v3, v20, v21
	v_add3_u32 v3, v3, v22, v12
	s_delay_alu instid0(VALU_DEP_1) | instskip(NEXT) | instid1(VALU_DEP_1)
	v_add3_u32 v3, v3, v23, v24
	v_add3_u32 v3, v3, v25, v13
	;; [unrolled: 3-line block ×4, first 2 shown]
	s_delay_alu instid0(VALU_DEP_1) | instskip(NEXT) | instid1(VALU_DEP_1)
	v_mul_lo_u32 v3, v3, v162
	v_cvt_f32_i32_e32 v3, v3
	s_delay_alu instid0(VALU_DEP_1)
	v_fma_mix_f32 v2, v1, v3, v2 op_sel_hi:[1,0,0]
	scratch_load_b32 v1, off, off           ; 4-byte Folded Reload
	s_wait_loadcnt 0x0
	v_mul_f32_e32 v0, v0, v1
	scratch_load_b32 v1, off, off offset:28 ; 4-byte Folded Reload
	s_wait_loadcnt 0x0
	v_fma_f32 v0, v2, v1, -v0
	scratch_load_b32 v1, off, off offset:764 ; 4-byte Folded Reload
	s_wait_loadcnt 0x0
	v_add_f32_e32 v1, v1, v0
	scratch_load_b32 v0, off, off offset:1264 ; 4-byte Folded Reload
	scratch_store_b32 off, v1, off offset:764 ; 4-byte Folded Spill
	s_wait_loadcnt 0x0
	v_or_b32_e32 v0, s13, v0
	s_delay_alu instid0(VALU_DEP_1)
	v_lshlrev_b32_e32 v12, 2, v0
	v_lshrrev_b32_e32 v16, 1, v0
	ds_load_b128 v[0:3], v12 offset:16896
	ds_load_b128 v[4:7], v12 offset:16912
	;; [unrolled: 1-line block ×4, first 2 shown]
	s_wait_dscnt 0x3
	v_bfe_i32 v64, v0, 16, 8
	v_ashrrev_i32_e32 v65, 24, v0
	v_bfe_i32 v63, v0, 0, 8
	v_bfe_i32 v48, v0, 8, 8
	;; [unrolled: 1-line block ×5, first 2 shown]
	v_ashrrev_i32_e32 v52, 24, v1
	v_bfe_i32 v53, v2, 0, 8
	v_bfe_i32 v54, v2, 8, 8
	;; [unrolled: 1-line block ×3, first 2 shown]
	v_ashrrev_i32_e32 v56, 24, v2
	v_bfe_i32 v57, v3, 0, 8
	v_bfe_i32 v58, v3, 8, 8
	;; [unrolled: 1-line block ×3, first 2 shown]
	v_ashrrev_i32_e32 v60, 24, v3
	ds_load_b64 v[0:1], v16 offset:27200
	s_wait_dscnt 0x3
	v_bfe_i32 v43, v7, 0, 8
	v_bfe_i32 v44, v7, 8, 8
	v_bfe_i32 v61, v4, 0, 8
	v_bfe_i32 v62, v4, 8, 8
	v_bfe_i32 v47, v4, 16, 8
	v_ashrrev_i32_e32 v34, 24, v4
	v_bfe_i32 v35, v5, 0, 8
	v_bfe_i32 v36, v5, 8, 8
	;; [unrolled: 1-line block ×3, first 2 shown]
	v_ashrrev_i32_e32 v38, 24, v5
	v_bfe_i32 v39, v6, 0, 8
	v_bfe_i32 v40, v6, 8, 8
	;; [unrolled: 1-line block ×3, first 2 shown]
	v_ashrrev_i32_e32 v42, 24, v6
	v_bfe_i32 v45, v7, 16, 8
	v_ashrrev_i32_e32 v46, 24, v7
	s_wait_dscnt 0x2
	v_bfe_i32 v32, v8, 16, 8
	v_ashrrev_i32_e32 v33, 24, v8
	v_bfe_i32 v31, v8, 0, 8
	v_bfe_i32 v16, v8, 8, 8
	;; [unrolled: 1-line block ×5, first 2 shown]
	v_ashrrev_i32_e32 v20, 24, v9
	v_bfe_i32 v21, v10, 0, 8
	v_bfe_i32 v22, v10, 8, 8
	;; [unrolled: 1-line block ×3, first 2 shown]
	v_ashrrev_i32_e32 v24, 24, v10
	v_bfe_i32 v25, v11, 0, 8
	v_bfe_i32 v26, v11, 8, 8
	;; [unrolled: 1-line block ×3, first 2 shown]
	v_ashrrev_i32_e32 v28, 24, v11
	s_wait_dscnt 0x1
	v_bfe_i32 v29, v12, 0, 8
	v_bfe_i32 v30, v12, 8, 8
	v_bfe_i32 v2, v12, 16, 8
	v_ashrrev_i32_e32 v3, 24, v12
	v_bfe_i32 v12, v15, 0, 8
	v_bfe_i32 v4, v13, 0, 8
	v_bfe_i32 v5, v13, 8, 8
	v_bfe_i32 v6, v13, 16, 8
	v_ashrrev_i32_e32 v7, 24, v13
	v_bfe_i32 v13, v15, 8, 8
	;; [unrolled: 5-line block ×3, first 2 shown]
	v_ashrrev_i32_e32 v15, 24, v15
	v_mul_i32_i24_e32 v67, v71, v64
	scratch_load_b32 v71, off, off offset:168 ; 4-byte Folded Reload
	v_mul_i32_i24_e32 v68, v69, v65
	scratch_load_b32 v69, off, off offset:156 ; 4-byte Folded Reload
	v_mul_i32_i24_e32 v66, v72, v63
	v_mul_i32_i24_e32 v78, v132, v51
	;; [unrolled: 1-line block ×11, first 2 shown]
	s_clause 0x5
	scratch_load_b32 v140, off, off offset:532
	scratch_load_b32 v131, off, off offset:1164
	;; [unrolled: 1-line block ×4, first 2 shown]
	scratch_load_b32 v141, off, off offset:1224 th:TH_LOAD_LU
	scratch_load_b32 v132, off, off offset:1004 th:TH_LOAD_LU
	v_dual_mov_b32 v139, v145 :: v_dual_mov_b32 v138, v147
	v_mov_b32_e32 v142, v200
	v_mul_i32_i24_e32 v93, v146, v61
	v_mul_i32_i24_e32 v99, v145, v62
	;; [unrolled: 1-line block ×12, first 2 shown]
	s_clause 0x8
	scratch_load_b32 v214, off, off offset:148
	scratch_load_b32 v215, off, off offset:132
	;; [unrolled: 1-line block ×7, first 2 shown]
	scratch_load_b32 v144, off, off offset:1236 th:TH_LOAD_LU
	scratch_load_b32 v146, off, off offset:1228 th:TH_LOAD_LU
	v_mov_b32_e32 v135, v157
	scratch_load_b32 v73, off, off offset:572 ; 4-byte Folded Reload
	v_mov_b32_e32 v145, v172
	v_mul_i32_i24_e32 v126, v77, v14
	scratch_load_b32 v77, off, off offset:1148 ; 4-byte Folded Reload
	v_mad_i32_i24 v66, v130, v48, v66
	scratch_load_b32 v130, off, off offset:580 ; 4-byte Folded Reload
	v_mov_b32_e32 v136, v128
	v_add3_u32 v66, v66, v67, v68
	v_mul_i32_i24_e32 v67, v134, v49
	v_mul_i32_i24_e32 v68, v133, v50
	v_dual_mov_b32 v134, v155 :: v_dual_mov_b32 v133, v195
	s_delay_alu instid0(VALU_DEP_2)
	v_add3_u32 v66, v66, v67, v68
	v_mul_i32_i24_e32 v68, v89, v31
	s_clause 0x1
	scratch_load_b32 v67, off, off offset:172
	scratch_load_b32 v89, off, off offset:68
	v_add3_u32 v66, v66, v78, v79
	s_delay_alu instid0(VALU_DEP_1) | instskip(SKIP_2) | instid1(VALU_DEP_3)
	v_add3_u32 v66, v66, v80, v81
	v_mul_i32_i24_e32 v80, v231, v19
	v_mul_i32_i24_e32 v81, v228, v20
	v_add3_u32 v66, v66, v82, v83
	v_mul_i32_i24_e32 v82, v92, v21
	v_mul_i32_i24_e32 v83, v255, v22
	scratch_load_b32 v92, off, off offset:624 ; 4-byte Folded Reload
	v_mov_b32_e32 v255, v202
	v_add3_u32 v66, v66, v84, v85
	v_mul_i32_i24_e32 v85, v105, v24
	scratch_load_b32 v105, off, off offset:176 ; 4-byte Folded Reload
	v_add3_u32 v66, v66, v86, v88
	v_mul_i32_i24_e32 v86, v96, v25
	v_mul_i32_i24_e32 v88, v95, v26
	s_clause 0x1
	scratch_load_b32 v95, off, off offset:1132
	scratch_load_b32 v96, off, off offset:620
	v_add3_u32 v66, v66, v93, v99
	v_mul_i32_i24_e32 v93, v94, v27
	v_mul_i32_i24_e32 v99, v109, v28
	s_clause 0x1
	scratch_load_b32 v94, off, off offset:628
	scratch_load_b32 v109, off, off offset:1216 th:TH_LOAD_LU
	v_add3_u32 v66, v66, v101, v102
	v_mul_i32_i24_e32 v102, v75, v30
	scratch_load_b32 v75, off, off offset:1136 ; 4-byte Folded Reload
	v_add3_u32 v66, v66, v103, v104
	v_mul_i32_i24_e32 v104, v198, v3
	scratch_load_b32 v198, off, off offset:900 ; 4-byte Folded Reload
	v_mul_i32_i24_e32 v103, v199, v2
	v_add3_u32 v66, v66, v116, v117
	v_mul_i32_i24_e32 v117, v76, v5
	scratch_load_b32 v76, off, off offset:1140 ; 4-byte Folded Reload
	v_add3_u32 v66, v66, v118, v119
	v_mul_i32_i24_e32 v119, v98, v7
	scratch_load_b32 v98, off, off offset:632 ; 4-byte Folded Reload
	;; [unrolled: 3-line block ×3, first 2 shown]
	s_wait_loadcnt 0x20
	v_mul_i32_i24_e32 v122, v71, v43
	scratch_load_b32 v71, off, off offset:160 ; 4-byte Folded Reload
	s_wait_loadcnt 0x20
	v_mul_i32_i24_e32 v124, v69, v45
	scratch_load_b32 v69, off, off offset:876 ; 4-byte Folded Reload
	s_wait_loadcnt 0x5
	v_mul_i32_i24_e32 v116, v198, v4
	s_wait_loadcnt 0x1
	v_mul_i32_i24_e32 v123, v71, v44
	scratch_load_b32 v71, off, off offset:164 ; 4-byte Folded Reload
	s_wait_loadcnt 0x1
	v_mul_i32_i24_e32 v78, v69, v32
	scratch_load_b32 v69, off, off offset:416 ; 4-byte Folded Reload
	v_add3_u32 v66, v66, v122, v123
	s_wait_loadcnt 0x1
	v_mul_i32_i24_e32 v125, v71, v46
	scratch_load_b32 v71, off, off offset:420 ; 4-byte Folded Reload
	s_wait_loadcnt 0x1
	v_mul_i32_i24_e32 v79, v69, v33
	scratch_load_b32 v69, off, off offset:384 ; 4-byte Folded Reload
	v_add3_u32 v66, v66, v124, v125
	v_mul_i32_i24_e32 v124, v70, v12
	scratch_load_b32 v70, off, off offset:412 ; 4-byte Folded Reload
	v_mul_lo_u32 v66, v66, v67
	scratch_load_b32 v67, off, off offset:392 ; 4-byte Folded Reload
	v_cvt_f32_i32_e32 v66, v66
	s_wait_dscnt 0x0
	s_delay_alu instid0(VALU_DEP_1)
	v_fma_mix_f32 v66, v0, v66, 0 op_sel_hi:[1,0,0]
	s_wait_loadcnt 0x3
	v_mul_i32_i24_e32 v84, v71, v23
	scratch_load_b32 v71, off, off offset:896 ; 4-byte Folded Reload
	s_wait_loadcnt 0x3
	v_mad_i32_i24 v68, v69, v16, v68
	s_wait_loadcnt 0x2
	v_mul_i32_i24_e32 v125, v70, v13
	scratch_load_b32 v70, off, off offset:408 ; 4-byte Folded Reload
	v_add3_u32 v68, v68, v78, v79
	v_mul_i32_i24_e32 v78, v233, v17
	v_mul_i32_i24_e32 v79, v232, v18
	s_wait_loadcnt 0x2
	v_fma_mix_f32 v67, v67, v0, 0 op_sel:[0,1,0] op_sel_hi:[0,1,0]
	s_delay_alu instid0(VALU_DEP_2) | instskip(NEXT) | instid1(VALU_DEP_2)
	v_add3_u32 v68, v68, v78, v79
	v_fma_mix_f32 v67, v236, v1, v67 op_sel:[0,1,0] op_sel_hi:[0,1,0]
	v_mul_i32_i24_e32 v78, v51, v230
	v_mul_i32_i24_e32 v79, v52, v234
	v_mov_b32_e32 v230, v194
	v_add3_u32 v68, v68, v80, v81
	v_mul_f32_e32 v67, v67, v106
	scratch_load_b32 v106, off, off offset:616 ; 4-byte Folded Reload
	v_add3_u32 v68, v68, v82, v83
	s_delay_alu instid0(VALU_DEP_1) | instskip(NEXT) | instid1(VALU_DEP_1)
	v_add3_u32 v68, v68, v84, v85
	v_add3_u32 v68, v68, v86, v88
	s_delay_alu instid0(VALU_DEP_1)
	v_add3_u32 v68, v68, v93, v99
	s_wait_loadcnt 0x2
	v_mul_i32_i24_e32 v101, v71, v29
	scratch_load_b32 v71, off, off offset:404 ; 4-byte Folded Reload
	v_add3_u32 v68, v68, v101, v102
	s_wait_loadcnt 0x2
	v_mul_i32_i24_e32 v129, v70, v15
	scratch_load_b32 v70, off, off offset:112 ; 4-byte Folded Reload
	v_mul_i32_i24_e32 v101, v47, v214
	v_add3_u32 v68, v68, v103, v104
	v_mul_i32_i24_e32 v103, v35, v215
	v_mul_i32_i24_e32 v104, v36, v223
	s_delay_alu instid0(VALU_DEP_3)
	v_add3_u32 v68, v68, v116, v117
	s_wait_loadcnt 0x1
	v_mul_i32_i24_e32 v118, v71, v6
	scratch_load_b32 v71, off, off offset:428 ; 4-byte Folded Reload
	v_add3_u32 v68, v68, v118, v119
	s_wait_loadcnt 0x1
	v_mul_i32_i24_e32 v80, v53, v70
	scratch_load_b32 v70, off, off offset:116 ; 4-byte Folded Reload
	s_wait_loadcnt 0x1
	v_mul_i32_i24_e32 v121, v71, v9
	scratch_load_b32 v71, off, off offset:424 ; 4-byte Folded Reload
	v_add3_u32 v68, v68, v120, v121
	s_wait_loadcnt 0x1
	v_mul_i32_i24_e32 v81, v54, v70
	scratch_load_b32 v70, off, off offset:120 ; 4-byte Folded Reload
	v_mul_i32_i24_e32 v120, v41, v176
	v_mul_i32_i24_e32 v121, v42, v201
	s_wait_loadcnt 0x1
	v_mul_i32_i24_e32 v122, v71, v10
	scratch_load_b32 v71, off, off offset:908 ; 4-byte Folded Reload
	s_wait_loadcnt 0x1
	v_mul_i32_i24_e32 v82, v55, v70
	scratch_load_b32 v70, off, off offset:124 ; 4-byte Folded Reload
	;; [unrolled: 3-line block ×3, first 2 shown]
	v_add3_u32 v68, v68, v122, v123
	s_wait_loadcnt 0x1
	v_mul_i32_i24_e32 v83, v56, v70
	scratch_load_b32 v70, off, off offset:368 ; 4-byte Folded Reload
	v_mul_i32_i24_e32 v122, v43, v170
	v_mul_i32_i24_e32 v123, v44, v194
	v_add3_u32 v68, v68, v124, v125
	v_mul_i32_i24_e32 v124, v45, v216
	v_mul_i32_i24_e32 v125, v46, v218
	s_delay_alu instid0(VALU_DEP_3) | instskip(SKIP_1) | instid1(VALU_DEP_2)
	v_add3_u32 v68, v68, v126, v129
	v_mul_i32_i24_e32 v129, v15, v131
	v_mul_lo_u32 v68, v68, v246
	s_delay_alu instid0(VALU_DEP_1) | instskip(NEXT) | instid1(VALU_DEP_1)
	v_cvt_f32_i32_e32 v68, v68
	v_fma_mix_f32 v66, v1, v68, v66 op_sel_hi:[1,0,0]
	v_mul_i32_i24_e32 v68, v65, v90
	scratch_load_b32 v90, off, off offset:268 ; 4-byte Folded Reload
	v_fma_f32 v66, v66, v74, -v67
	s_clause 0x1
	scratch_load_b32 v67, off, off offset:760
	scratch_load_b32 v74, off, off offset:584
	s_wait_loadcnt 0x3
	v_mul_i32_i24_e32 v84, v57, v70
	scratch_load_b32 v70, off, off offset:128 ; 4-byte Folded Reload
	s_wait_loadcnt 0x2
	v_add_f32_e32 v67, v67, v66
	v_mul_i32_i24_e32 v66, v63, v87
	scratch_load_b32 v87, off, off offset:1160 ; 4-byte Folded Reload
	scratch_store_b32 off, v67, off offset:760 ; 4-byte Folded Spill
	v_mul_i32_i24_e32 v67, v64, v107
	v_mad_i32_i24 v66, v48, v108, v66
	s_clause 0x1
	scratch_load_b32 v107, off, off offset:612
	scratch_load_b32 v108, off, off offset:1008 th:TH_LOAD_LU
	v_add3_u32 v66, v66, v67, v68
	v_mul_i32_i24_e32 v67, v49, v225
	v_mul_i32_i24_e32 v68, v50, v226
	s_delay_alu instid0(VALU_DEP_1)
	v_add3_u32 v66, v66, v67, v68
	v_mul_i32_i24_e32 v68, v31, v191
	v_fma_mix_f32 v67, v112, v0, 0 op_sel:[0,1,0] op_sel_hi:[0,1,0]
	scratch_load_b32 v112, off, off offset:640 ; 4-byte Folded Reload
	v_add3_u32 v66, v66, v78, v79
	v_mul_i32_i24_e32 v78, v32, v211
	v_mul_i32_i24_e32 v79, v33, v173
	v_mad_i32_i24 v68, v16, v212, v68
	v_fma_mix_f32 v67, v179, v1, v67 op_sel:[0,1,0] op_sel_hi:[0,1,0]
	scratch_load_b32 v173, off, off offset:672 ; 4-byte Folded Reload
	v_add3_u32 v66, v66, v80, v81
	v_mul_i32_i24_e32 v80, v19, v251
	v_add3_u32 v68, v68, v78, v79
	v_mul_i32_i24_e32 v78, v17, v250
	v_mul_i32_i24_e32 v79, v18, v219
	;; [unrolled: 1-line block ×3, first 2 shown]
	v_mul_f32_e32 v67, v67, v177
	scratch_load_b32 v251, off, off offset:280 ; 4-byte Folded Reload
	v_add3_u32 v66, v66, v82, v83
	v_add3_u32 v68, v68, v78, v79
	v_mul_i32_i24_e32 v82, v21, v221
	v_mul_i32_i24_e32 v83, v22, v208
	;; [unrolled: 1-line block ×4, first 2 shown]
	v_add3_u32 v68, v68, v80, v81
	s_delay_alu instid0(VALU_DEP_1)
	v_add3_u32 v68, v68, v82, v83
	s_wait_loadcnt 0x6
	v_mul_i32_i24_e32 v85, v58, v70
	scratch_load_b32 v70, off, off offset:372 ; 4-byte Folded Reload
	v_add3_u32 v66, v66, v84, v85
	v_mul_i32_i24_e32 v85, v24, v182
	scratch_load_b32 v182, off, off offset:676 ; 4-byte Folded Reload
	s_wait_loadcnt 0x1
	v_mul_i32_i24_e32 v86, v59, v70
	scratch_load_b32 v70, off, off offset:376 ; 4-byte Folded Reload
	s_wait_loadcnt 0x0
	v_mul_i32_i24_e32 v88, v60, v70
	scratch_load_b32 v70, off, off offset:140 ; 4-byte Folded Reload
	v_add3_u32 v66, v66, v86, v88
	v_mul_i32_i24_e32 v88, v26, v184
	s_wait_loadcnt 0x0
	v_mul_i32_i24_e32 v93, v61, v70
	scratch_load_b32 v70, off, off offset:144 ; 4-byte Folded Reload
	s_wait_loadcnt 0x0
	v_mul_i32_i24_e32 v99, v62, v70
	scratch_load_b32 v70, off, off offset:16 ; 4-byte Folded Reload
	v_add3_u32 v66, v66, v93, v99
	s_wait_loadcnt 0x0
	v_mul_i32_i24_e32 v102, v34, v70
	scratch_load_b32 v70, off, off offset:12 ; 4-byte Folded Reload
	v_add3_u32 v66, v66, v101, v102
	s_delay_alu instid0(VALU_DEP_1)
	v_add3_u32 v66, v66, v103, v104
	v_mul_i32_i24_e32 v103, v2, v178
	scratch_load_b32 v178, off, off offset:1156 ; 4-byte Folded Reload
	s_wait_loadcnt 0x1
	v_mul_i32_i24_e32 v116, v37, v70
	scratch_load_b32 v70, off, off offset:20 ; 4-byte Folded Reload
	s_wait_loadcnt 0x0
	v_mul_i32_i24_e32 v117, v38, v70
	scratch_load_b32 v70, off, off offset:152 ; 4-byte Folded Reload
	v_add3_u32 v66, v66, v116, v117
	s_wait_loadcnt 0x0
	v_mul_i32_i24_e32 v118, v39, v70
	scratch_load_b32 v70, off, off offset:380 ; 4-byte Folded Reload
	s_wait_loadcnt 0x0
	v_mul_i32_i24_e32 v119, v40, v70
	scratch_load_b32 v70, off, off offset:100 ; 4-byte Folded Reload
	v_add3_u32 v66, v66, v118, v119
	v_mul_i32_i24_e32 v118, v6, v209
	v_mul_i32_i24_e32 v119, v7, v154
	scratch_load_b32 v154, off, off offset:568 ; 4-byte Folded Reload
	v_add3_u32 v66, v66, v120, v121
	v_mul_i32_i24_e32 v121, v9, v143
	s_delay_alu instid0(VALU_DEP_2) | instskip(SKIP_2) | instid1(VALU_DEP_3)
	v_add3_u32 v66, v66, v122, v123
	v_mul_i32_i24_e32 v122, v10, v140
	v_mul_i32_i24_e32 v123, v11, v247
	v_add3_u32 v66, v66, v124, v125
	v_mul_i32_i24_e32 v125, v13, v156
	scratch_load_b32 v156, off, off offset:248 ; 4-byte Folded Reload
	v_mul_lo_u32 v66, v66, v210
	v_mov_b32_e32 v210, v215
	s_delay_alu instid0(VALU_DEP_2) | instskip(NEXT) | instid1(VALU_DEP_1)
	v_cvt_f32_i32_e32 v66, v66
	v_fma_mix_f32 v66, v0, v66, 0 op_sel_hi:[1,0,0]
	s_wait_loadcnt 0x2
	v_mul_i32_i24_e32 v84, v23, v70
	scratch_load_b32 v70, off, off offset:184 ; 4-byte Folded Reload
	v_add3_u32 v68, v68, v84, v85
	v_mul_i32_i24_e32 v84, v57, v164
	v_mul_i32_i24_e32 v57, v57, v237
	s_wait_loadcnt 0x0
	v_mul_i32_i24_e32 v86, v25, v70
	scratch_load_b32 v70, off, off offset:192 ; 4-byte Folded Reload
	v_add3_u32 v68, v68, v86, v88
	v_mul_i32_i24_e32 v88, v60, v168
	v_mov_b32_e32 v168, v198
	v_mul_i32_i24_e32 v86, v59, v167
	v_mul_i32_i24_e32 v59, v59, v238
	s_wait_loadcnt 0x0
	v_mul_i32_i24_e32 v93, v27, v70
	scratch_load_b32 v70, off, off offset:188 ; 4-byte Folded Reload
	s_wait_loadcnt 0x0
	v_mul_i32_i24_e32 v99, v28, v70
	scratch_load_b32 v70, off, off offset:104 ; 4-byte Folded Reload
	v_add3_u32 v68, v68, v93, v99
	v_mul_i32_i24_e32 v99, v62, v180
	scratch_load_b32 v180, off, off offset:528 ; 4-byte Folded Reload
	v_mul_i32_i24_e32 v93, v61, v181
	v_mul_i32_i24_e32 v61, v61, v174
	s_wait_loadcnt 0x1
	v_mul_i32_i24_e32 v101, v29, v70
	scratch_load_b32 v70, off, off offset:360 ; 4-byte Folded Reload
	s_wait_loadcnt 0x0
	v_mul_i32_i24_e32 v102, v30, v70
	scratch_load_b32 v70, off, off offset:196 ; 4-byte Folded Reload
	v_add3_u32 v68, v68, v101, v102
	v_mul_i32_i24_e32 v101, v47, v154
	v_mul_i32_i24_e32 v102, v34, v156
	;; [unrolled: 1-line block ×3, first 2 shown]
	v_mov_b32_e32 v175, v246
	s_wait_loadcnt 0x0
	v_mul_i32_i24_e32 v104, v3, v70
	scratch_load_b32 v70, off, off offset:24 ; 4-byte Folded Reload
	v_add3_u32 v68, v68, v103, v104
	v_mul_i32_i24_e32 v103, v35, v106
	v_mul_i32_i24_e32 v104, v36, v105
	;; [unrolled: 1-line block ×3, first 2 shown]
	s_wait_loadcnt 0x0
	v_mul_i32_i24_e32 v116, v4, v70
	scratch_load_b32 v70, off, off offset:200 ; 4-byte Folded Reload
	s_wait_loadcnt 0x0
	v_mul_i32_i24_e32 v117, v5, v70
	scratch_load_b32 v70, off, off offset:204 ; 4-byte Folded Reload
	v_add3_u32 v68, v68, v116, v117
	v_mul_i32_i24_e32 v116, v37, v96
	v_mul_i32_i24_e32 v117, v38, v77
	s_delay_alu instid0(VALU_DEP_3)
	v_add3_u32 v68, v68, v118, v119
	v_mul_i32_i24_e32 v118, v39, v92
	v_mul_i32_i24_e32 v119, v40, v97
	;; [unrolled: 1-line block ×3, first 2 shown]
	s_wait_loadcnt 0x0
	v_mul_i32_i24_e32 v120, v8, v70
	scratch_load_b32 v70, off, off offset:476 ; 4-byte Folded Reload
	v_add3_u32 v68, v68, v120, v121
	v_mul_i32_i24_e32 v121, v42, v205
	v_mul_i32_i24_e32 v42, v42, v130
	s_delay_alu instid0(VALU_DEP_3)
	v_add3_u32 v68, v68, v122, v123
	v_mul_i32_i24_e32 v122, v43, v206
	v_mul_i32_i24_e32 v123, v44, v248
	;; [unrolled: 1-line block ×4, first 2 shown]
	s_wait_loadcnt 0x0
	v_mul_i32_i24_e32 v124, v12, v70
	scratch_load_b32 v70, off, off offset:108 ; 4-byte Folded Reload
	v_add3_u32 v68, v68, v124, v125
	v_mul_i32_i24_e32 v125, v46, v149
	scratch_load_b32 v149, off, off offset:1124 ; 4-byte Folded Reload
	v_mul_i32_i24_e32 v124, v45, v180
	v_mul_i32_i24_e32 v45, v45, v73
	;; [unrolled: 1-line block ×3, first 2 shown]
	s_wait_loadcnt 0x1
	v_mul_i32_i24_e32 v126, v14, v70
	scratch_load_b32 v70, off, off offset:348 ; 4-byte Folded Reload
	v_add3_u32 v68, v68, v126, v129
	v_mul_i32_i24_e32 v126, v14, v243
	v_mul_i32_i24_e32 v129, v15, v128
	;; [unrolled: 1-line block ×4, first 2 shown]
	v_mov_b32_e32 v128, v222
	s_wait_loadcnt 0x0
	v_mul_lo_u32 v68, v68, v70
	scratch_load_b32 v70, off, off offset:224 ; 4-byte Folded Reload
	v_cvt_f32_i32_e32 v68, v68
	s_delay_alu instid0(VALU_DEP_1) | instskip(SKIP_2) | instid1(VALU_DEP_3)
	v_fma_mix_f32 v66, v1, v68, v66 op_sel_hi:[1,0,0]
	v_mul_i32_i24_e32 v68, v65, v239
	v_mul_i32_i24_e32 v65, v65, v254
	v_fma_f32 v66, v66, v152, -v67
	s_clause 0x1
	scratch_load_b32 v67, off, off offset:756
	scratch_load_b32 v152, off, off offset:1128
	s_wait_loadcnt 0x2
	v_mul_i32_i24_e32 v79, v52, v70
	scratch_load_b32 v70, off, off offset:228 ; 4-byte Folded Reload
	v_mul_i32_i24_e32 v52, v52, v166
	s_wait_loadcnt 0x2
	v_add_f32_e32 v67, v67, v66
	v_mul_i32_i24_e32 v66, v63, v158
	v_mul_i32_i24_e32 v63, v63, v241
	scratch_load_b32 v158, off, off offset:1020 th:TH_LOAD_LU ; 4-byte Folded Reload
	scratch_store_b32 off, v67, off offset:756 ; 4-byte Folded Spill
	v_mul_i32_i24_e32 v67, v64, v196
	v_mad_i32_i24 v66, v48, v244, v66
	v_mad_i32_i24 v48, v48, v242, v63
	scratch_load_b32 v63, off, off offset:972 ; 4-byte Folded Reload
	v_mul_i32_i24_e32 v64, v64, v213
	v_mov_b32_e32 v213, v214
	v_add3_u32 v66, v66, v67, v68
	v_mul_i32_i24_e32 v67, v49, v183
	v_mul_i32_i24_e32 v68, v50, v249
	v_add3_u32 v48, v48, v64, v65
	v_mul_i32_i24_e32 v49, v49, v110
	v_mul_i32_i24_e32 v50, v50, v227
	scratch_load_b32 v110, off, off offset:1092 th:TH_LOAD_LU ; 4-byte Folded Reload
	v_add3_u32 v66, v66, v67, v68
	v_mul_i32_i24_e32 v68, v31, v149
	v_mul_i32_i24_e32 v31, v31, v160
	v_add3_u32 v48, v48, v49, v50
	v_fma_mix_f32 v67, v204, v0, 0 op_sel:[0,1,0] op_sel_hi:[0,1,0]
	v_add3_u32 v66, v66, v78, v79
	s_wait_loadcnt 0x4
	v_mad_i32_i24 v68, v16, v152, v68
	v_mad_i32_i24 v16, v16, v207, v31
	scratch_load_b32 v31, off, off offset:76 ; 4-byte Folded Reload
	v_mul_i32_i24_e32 v78, v32, v98
	v_mul_i32_i24_e32 v79, v33, v200
	v_add3_u32 v48, v48, v51, v52
	v_fma_mix_f32 v67, v195, v1, v67 op_sel:[0,1,0] op_sel_hi:[0,1,0]
	v_mul_i32_i24_e32 v32, v32, v192
	v_mul_i32_i24_e32 v33, v33, v132
	v_add3_u32 v68, v68, v78, v79
	v_mul_i32_i24_e32 v78, v17, v182
	v_mul_i32_i24_e32 v79, v18, v137
	v_mul_f32_e32 v67, v67, v235
	v_add3_u32 v16, v16, v32, v33
	v_mul_i32_i24_e32 v17, v17, v187
	v_mul_i32_i24_e32 v18, v18, v189
	v_add3_u32 v68, v68, v78, v79
	s_delay_alu instid0(VALU_DEP_2)
	v_add3_u32 v16, v16, v17, v18
	s_wait_loadcnt 0x4
	v_mul_i32_i24_e32 v80, v53, v70
	scratch_load_b32 v70, off, off offset:232 ; 4-byte Folded Reload
	v_mul_i32_i24_e32 v53, v53, v169
	s_wait_loadcnt 0x4
	v_mul_i32_i24_e32 v37, v37, v158
	s_wait_loadcnt 0x3
	v_mul_i32_i24_e32 v62, v62, v63
	scratch_load_b32 v63, off, off offset:336 ; 4-byte Folded Reload
	s_wait_loadcnt 0x1
	v_mul_i32_i24_e32 v81, v54, v70
	scratch_load_b32 v70, off, off offset:236 ; 4-byte Folded Reload
	v_mul_i32_i24_e32 v54, v54, v171
	v_add3_u32 v66, v66, v80, v81
	v_mul_i32_i24_e32 v80, v19, v147
	v_mul_i32_i24_e32 v81, v20, v95
	s_delay_alu instid0(VALU_DEP_4) | instskip(SKIP_2) | instid1(VALU_DEP_4)
	v_add3_u32 v48, v48, v53, v54
	v_mul_i32_i24_e32 v19, v19, v188
	v_mul_i32_i24_e32 v20, v20, v251
	v_add3_u32 v68, v68, v80, v81
	s_delay_alu instid0(VALU_DEP_2)
	v_add3_u32 v16, v16, v19, v20
	s_wait_loadcnt 0x0
	v_mul_i32_i24_e32 v82, v55, v70
	scratch_load_b32 v70, off, off offset:240 ; 4-byte Folded Reload
	v_mul_i32_i24_e32 v55, v55, v141
	s_wait_loadcnt 0x0
	v_mul_i32_i24_e32 v83, v56, v70
	scratch_load_b32 v70, off, off offset:244 ; 4-byte Folded Reload
	v_mul_i32_i24_e32 v56, v56, v144
	v_add3_u32 v66, v66, v82, v83
	v_mul_i32_i24_e32 v83, v22, v172
	v_mul_i32_i24_e32 v22, v22, v31
	scratch_load_b32 v31, off, off offset:8 ; 4-byte Folded Reload
	v_mul_i32_i24_e32 v82, v21, v148
	v_add3_u32 v48, v48, v55, v56
	v_mul_i32_i24_e32 v21, v21, v190
	v_mov_b32_e32 v148, v243
	s_delay_alu instid0(VALU_DEP_4) | instskip(NEXT) | instid1(VALU_DEP_3)
	v_add3_u32 v68, v68, v82, v83
	v_add3_u32 v16, v16, v21, v22
	s_wait_loadcnt 0x1
	v_mul_i32_i24_e32 v85, v58, v70
	scratch_load_b32 v70, off, off offset:524 ; 4-byte Folded Reload
	v_mul_i32_i24_e32 v58, v58, v146
	v_add3_u32 v66, v66, v84, v85
	v_mul_i32_i24_e32 v84, v23, v75
	s_wait_loadcnt 0x1
	v_mul_i32_i24_e32 v23, v23, v31
	scratch_load_b32 v31, off, off offset:80 ; 4-byte Folded Reload
	v_mul_i32_i24_e32 v85, v24, v178
	v_mul_i32_i24_e32 v24, v24, v127
	scratch_load_b32 v127, off, off offset:304 ; 4-byte Folded Reload
	v_add3_u32 v48, v48, v57, v58
	v_add3_u32 v66, v66, v86, v88
	v_mul_i32_i24_e32 v86, v25, v151
	v_mul_i32_i24_e32 v88, v26, v202
	v_add3_u32 v68, v68, v84, v85
	scratch_load_b32 v151, off, off offset:1232 th:TH_LOAD_LU ; 4-byte Folded Reload
	v_add3_u32 v16, v16, v23, v24
	v_add3_u32 v66, v66, v93, v99
	v_mul_i32_i24_e32 v93, v27, v76
	v_mul_i32_i24_e32 v99, v28, v87
	v_add3_u32 v68, v68, v86, v88
	v_mul_i32_i24_e32 v27, v27, v253
	v_mul_i32_i24_e32 v28, v28, v197
	;; [unrolled: 3-line block ×3, first 2 shown]
	v_add3_u32 v68, v68, v93, v99
	scratch_load_b32 v153, off, off offset:1220 th:TH_LOAD_LU ; 4-byte Folded Reload
	v_mul_i32_i24_e32 v29, v29, v229
	v_mul_i32_i24_e32 v30, v30, v163
	v_add3_u32 v66, v66, v103, v104
	v_mul_i32_i24_e32 v103, v2, v89
	v_mul_i32_i24_e32 v104, v3, v90
	v_add3_u32 v68, v68, v101, v102
	v_mul_i32_i24_e32 v3, v3, v150
	v_add3_u32 v66, v66, v116, v117
	v_mul_i32_i24_e32 v116, v4, v107
	v_mul_i32_i24_e32 v117, v5, v185
	v_add3_u32 v68, v68, v103, v104
	v_mul_i32_i24_e32 v4, v4, v109
	;; [unrolled: 3-line block ×3, first 2 shown]
	v_mul_i32_i24_e32 v119, v7, v72
	v_add3_u32 v68, v68, v116, v117
	scratch_load_b32 v159, off, off offset:668 ; 4-byte Folded Reload
	v_mul_i32_i24_e32 v6, v6, v115
	scratch_load_b32 v115, off, off offset:996 th:TH_LOAD_LU ; 4-byte Folded Reload
	v_mul_i32_i24_e32 v7, v7, v108
	v_add3_u32 v68, v68, v118, v119
	s_wait_loadcnt 0x6
	v_mul_i32_i24_e32 v120, v41, v70
	v_mul_i32_i24_e32 v41, v41, v63
	s_delay_alu instid0(VALU_DEP_2)
	v_add3_u32 v66, v66, v120, v121
	v_mul_i32_i24_e32 v120, v8, v91
	s_wait_loadcnt 0x5
	v_mul_i32_i24_e32 v25, v25, v31
	scratch_load_b32 v31, off, off offset:84 ; 4-byte Folded Reload
	v_mul_i32_i24_e32 v121, v9, v245
	s_wait_loadcnt 0x5
	v_mul_i32_i24_e32 v2, v2, v127
	v_mul_i32_i24_e32 v9, v9, v111
	v_add3_u32 v66, v66, v122, v123
	v_mul_i32_i24_e32 v122, v10, v157
	v_mul_i32_i24_e32 v123, v11, v100
	v_add3_u32 v68, v68, v120, v121
	scratch_load_b32 v157, off, off offset:1024 th:TH_LOAD_LU ; 4-byte Folded Reload
	s_wait_loadcnt 0x5
	v_mul_i32_i24_e32 v60, v60, v151
	v_add3_u32 v66, v66, v124, v125
	v_mul_i32_i24_e32 v124, v12, v112
	v_mul_i32_i24_e32 v125, v13, v173
	v_add3_u32 v68, v68, v122, v123
	v_add3_u32 v48, v48, v59, v60
	v_mul_lo_u32 v66, v66, v94
	s_delay_alu instid0(VALU_DEP_3) | instskip(NEXT) | instid1(VALU_DEP_3)
	v_add3_u32 v68, v68, v124, v125
	v_add3_u32 v48, v48, v61, v62
	s_wait_loadcnt 0x4
	v_mul_i32_i24_e32 v34, v34, v153
	s_delay_alu instid0(VALU_DEP_3) | instskip(SKIP_1) | instid1(VALU_DEP_3)
	v_add3_u32 v68, v68, v126, v129
	v_cvt_f32_i32_e32 v66, v66
	v_add3_u32 v34, v48, v47, v34
	s_delay_alu instid0(VALU_DEP_3)
	v_mul_lo_u32 v68, v68, v155
	scratch_load_b32 v155, off, off offset:1016 th:TH_LOAD_LU ; 4-byte Folded Reload
	v_mov_b32_e32 v211, v223
	v_fma_mix_f32 v66, v0, v66, 0 op_sel_hi:[1,0,0]
	v_cvt_f32_i32_e32 v68, v68
	s_wait_loadcnt 0x4
	v_mul_i32_i24_e32 v40, v40, v159
	s_wait_loadcnt 0x3
	v_mul_i32_i24_e32 v10, v10, v115
	v_fma_mix_f32 v66, v1, v68, v66 op_sel_hi:[1,0,0]
	s_delay_alu instid0(VALU_DEP_1)
	v_fma_f32 v66, v66, v114, -v67
	s_clause 0x1
	scratch_load_b32 v67, off, off offset:752
	scratch_load_b32 v114, off, off offset:1012 th:TH_LOAD_LU
	v_mov_b32_e32 v219, v69
	s_wait_loadcnt 0x4
	v_mul_i32_i24_e32 v26, v26, v31
	scratch_load_b32 v31, off, off offset:436 ; 4-byte Folded Reload
	v_add3_u32 v16, v16, v25, v26
	s_wait_loadcnt 0x4
	v_mul_i32_i24_e32 v38, v38, v157
	s_delay_alu instid0(VALU_DEP_2) | instskip(NEXT) | instid1(VALU_DEP_1)
	v_add3_u32 v16, v16, v27, v28
	v_add3_u32 v16, v16, v29, v30
	s_delay_alu instid0(VALU_DEP_1) | instskip(NEXT) | instid1(VALU_DEP_1)
	v_add3_u32 v2, v16, v2, v3
	v_add3_u32 v2, v2, v4, v5
	s_wait_loadcnt 0x3
	v_mul_i32_i24_e32 v36, v36, v155
	s_delay_alu instid0(VALU_DEP_2) | instskip(NEXT) | instid1(VALU_DEP_2)
	v_add3_u32 v2, v2, v6, v7
	v_add3_u32 v34, v34, v35, v36
	scratch_load_b32 v35, off, off offset:976 ; 4-byte Folded Reload
	v_add3_u32 v34, v34, v37, v38
	s_delay_alu instid0(VALU_DEP_1)
	v_add3_u32 v34, v34, v39, v40
	s_wait_loadcnt 0x3
	v_add_f32_e32 v67, v67, v66
	s_wait_loadcnt 0x2
	v_mul_i32_i24_e32 v11, v11, v114
	v_add3_u32 v34, v34, v41, v42
	s_delay_alu instid0(VALU_DEP_1) | instskip(NEXT) | instid1(VALU_DEP_1)
	v_add3_u32 v34, v34, v43, v44
	v_add3_u32 v34, v34, v45, v46
	s_wait_loadcnt 0x1
	v_mul_i32_i24_e32 v8, v8, v31
	scratch_load_b32 v31, off, off offset:180 ; 4-byte Folded Reload
	v_add3_u32 v2, v2, v8, v9
	s_delay_alu instid0(VALU_DEP_1) | instskip(SKIP_2) | instid1(VALU_DEP_1)
	v_add3_u32 v2, v2, v10, v11
	s_wait_loadcnt 0x1
	v_mul_lo_u32 v34, v34, v35
	v_cvt_f32_i32_e32 v34, v34
	s_delay_alu instid0(VALU_DEP_1) | instskip(SKIP_1) | instid1(VALU_DEP_1)
	v_fma_mix_f32 v34, v0, v34, 0 op_sel_hi:[1,0,0]
	v_fma_mix_f32 v0, v71, v0, 0 op_sel:[0,1,0] op_sel_hi:[0,1,0]
	v_fma_mix_f32 v0, v193, v1, v0 op_sel:[0,1,0] op_sel_hi:[0,1,0]
	s_wait_loadcnt 0x0
	v_mul_i32_i24_e32 v12, v12, v31
	scratch_load_b32 v31, off, off offset:984 ; 4-byte Folded Reload
	s_wait_loadcnt 0x0
	v_mul_i32_i24_e32 v13, v13, v31
	s_delay_alu instid0(VALU_DEP_1) | instskip(NEXT) | instid1(VALU_DEP_1)
	v_add3_u32 v2, v2, v12, v13
	v_add3_u32 v2, v2, v14, v15
	s_delay_alu instid0(VALU_DEP_1) | instskip(NEXT) | instid1(VALU_DEP_1)
	v_mul_lo_u32 v2, v2, v162
	v_cvt_f32_i32_e32 v2, v2
	s_delay_alu instid0(VALU_DEP_1)
	v_fma_mix_f32 v2, v1, v2, v34 op_sel_hi:[1,0,0]
	scratch_load_b32 v1, off, off           ; 4-byte Folded Reload
	s_wait_loadcnt 0x0
	v_mul_f32_e32 v0, v0, v1
	scratch_load_b32 v1, off, off offset:28 ; 4-byte Folded Reload
	s_wait_loadcnt 0x0
	v_fma_f32 v0, v2, v1, -v0
	scratch_load_b32 v1, off, off offset:748 ; 4-byte Folded Reload
	s_wait_loadcnt 0x0
	v_add_f32_e32 v1, v1, v0
	scratch_load_b32 v0, off, off offset:1268 ; 4-byte Folded Reload
	s_clause 0x1
	scratch_store_b32 off, v67, off offset:752
	scratch_store_b32 off, v1, off offset:748
	s_wait_loadcnt 0x0
	v_or_b32_e32 v0, s13, v0
	s_delay_alu instid0(VALU_DEP_1)
	v_lshlrev_b32_e32 v1, 2, v0
	v_lshrrev_b32_e32 v0, 1, v0
	ds_load_b128 v[14:17], v1 offset:16896
	ds_load_b128 v[26:29], v1 offset:16912
	;; [unrolled: 1-line block ×4, first 2 shown]
	s_clause 0x1f
	scratch_load_b32 v218, off, off offset:708
	scratch_load_b32 v170, off, off offset:700
	;; [unrolled: 1-line block ×32, first 2 shown]
	s_clause 0x1f
	scratch_load_b32 v177, off, off offset:416
	scratch_load_b32 v174, off, off offset:412
	;; [unrolled: 1-line block ×13, first 2 shown]
	scratch_load_b32 v150, off, off offset:1052 th:TH_LOAD_LU
	scratch_load_b32 v93, off, off offset:1028
	scratch_load_b32 v252, off, off offset:960
	scratch_load_b32 v160, off, off offset:976 th:TH_LOAD_LU
	scratch_load_b32 v245, off, off offset:1196
	scratch_load_b32 v243, off, off offset:1192
	;; [unrolled: 1-line block ×15, first 2 shown]
	s_clause 0xc
	scratch_load_b32 v179, off, off offset:156
	scratch_load_b32 v195, off, off offset:128
	;; [unrolled: 1-line block ×12, first 2 shown]
	scratch_load_b32 v113, off, off offset:180 th:TH_LOAD_LU
	ds_load_b64 v[0:1], v0 offset:27200
	s_clause 0xc
	scratch_load_b32 v246, off, off offset:692
	scratch_load_b32 v184, off, off offset:112
	scratch_load_b32 v187, off, off offset:116
	scratch_load_b32 v188, off, off offset:120
	scratch_load_b32 v189, off, off offset:124
	scratch_load_b32 v212, off, off offset:12
	scratch_load_b32 v196, off, off offset:100
	scratch_load_b32 v163, off, off offset:104
	scratch_load_b32 v166, off, off offset:108
	scratch_load_b32 v198, off, off offset:376
	scratch_load_b32 v214, off, off offset:16
	scratch_load_b32 v215, off, off offset:20
	scratch_load_b32 v223, off, off offset:380
	s_wait_dscnt 0x4
	v_bfe_i32 v2, v14, 0, 8
	v_bfe_i32 v3, v14, 8, 8
	v_bfe_i32 v5, v14, 16, 8
	v_ashrrev_i32_e32 v6, 24, v14
	v_bfe_i32 v4, v15, 0, 8
	v_bfe_i32 v7, v15, 8, 8
	v_bfe_i32 v8, v15, 16, 8
	v_ashrrev_i32_e32 v9, 24, v15
	v_bfe_i32 v10, v16, 0, 8
	v_bfe_i32 v11, v16, 8, 8
	v_bfe_i32 v12, v16, 16, 8
	v_ashrrev_i32_e32 v13, 24, v16
	v_bfe_i32 v14, v17, 0, 8
	v_bfe_i32 v15, v17, 8, 8
	v_bfe_i32 v16, v17, 16, 8
	v_ashrrev_i32_e32 v17, 24, v17
	s_wait_dscnt 0x3
	v_bfe_i32 v19, v26, 8, 8
	v_bfe_i32 v18, v26, 0, 8
	v_bfe_i32 v20, v26, 16, 8
	v_ashrrev_i32_e32 v21, 24, v26
	v_bfe_i32 v22, v27, 0, 8
	v_bfe_i32 v23, v27, 8, 8
	v_bfe_i32 v24, v27, 16, 8
	v_ashrrev_i32_e32 v25, 24, v27
	v_bfe_i32 v26, v28, 0, 8
	v_bfe_i32 v27, v28, 8, 8
	v_bfe_i32 v38, v28, 16, 8
	v_ashrrev_i32_e32 v28, 24, v28
	v_bfe_i32 v39, v29, 0, 8
	v_bfe_i32 v40, v29, 8, 8
	v_bfe_i32 v41, v29, 16, 8
	v_ashrrev_i32_e32 v29, 24, v29
	;; [unrolled: 17-line block ×4, first 2 shown]
	v_mul_i32_i24_e32 v99, v139, v19
	scratch_load_b32 v139, off, off offset:964 ; 4-byte Folded Reload
	s_wait_loadcnt 0x3e
	v_mul_i32_i24_e32 v66, v218, v2
	v_mul_i32_i24_e32 v68, v170, v6
	v_mul_i32_i24_e32 v67, v216, v5
	s_delay_alu instid0(VALU_DEP_3) | instskip(SKIP_3) | instid1(VALU_DEP_4)
	v_mad_i32_i24 v66, v224, v3, v66
	v_mul_i32_i24_e32 v78, v247, v8
	v_mul_i32_i24_e32 v79, v228, v9
	;; [unrolled: 1-line block ×3, first 2 shown]
	v_add3_u32 v66, v66, v67, v68
	v_mul_i32_i24_e32 v68, v248, v7
	v_mul_i32_i24_e32 v119, v253, v27
	;; [unrolled: 1-line block ×11, first 2 shown]
	v_add3_u32 v66, v66, v67, v68
	v_mul_i32_i24_e32 v68, v190, v42
	s_delay_alu instid0(VALU_DEP_2)
	v_add3_u32 v66, v66, v78, v79
	v_mul_i32_i24_e32 v78, v191, v44
	s_wait_loadcnt 0x3a
	v_mul_i32_i24_e32 v79, v177, v30
	v_mad_i32_i24 v68, v219, v43, v68
	s_wait_loadcnt 0x38
	v_mul_i32_i24_e32 v121, v242, v28
	v_add3_u32 v66, v66, v80, v81
	s_wait_loadcnt 0x35
	v_mul_i32_i24_e32 v129, v172, v37
	v_add3_u32 v68, v68, v78, v79
	s_wait_loadcnt 0x33
	v_mul_i32_i24_e32 v126, v204, v65
	s_wait_loadcnt 0x32
	v_mul_i32_i24_e32 v78, v69, v45
	scratch_load_b32 v69, off, off offset:432 ; 4-byte Folded Reload
	s_wait_loadcnt 0x32
	v_mul_i32_i24_e32 v84, v84, v14
	s_wait_dscnt 0x0
	v_fma_mix_f32 v67, v227, v0, 0 op_sel:[0,1,0] op_sel_hi:[0,1,0]
	v_add3_u32 v66, v66, v82, v83
	v_mul_i32_i24_e32 v82, v165, v48
	s_wait_loadcnt 0x2d
	v_mul_i32_i24_e32 v93, v93, v18
	s_wait_loadcnt 0x2c
	v_mul_i32_i24_e32 v102, v252, v21
	v_fma_mix_f32 v67, v206, v1, v67 op_sel:[0,1,0] op_sel_hi:[0,1,0]
	s_wait_loadcnt 0x2a
	v_mul_i32_i24_e32 v103, v245, v22
	s_wait_loadcnt 0x29
	v_mul_i32_i24_e32 v104, v243, v23
	;; [unrolled: 2-line block ×4, first 2 shown]
	v_add3_u32 v66, v66, v84, v85
	scratch_load_b32 v85, off, off offset:1036 ; 4-byte Folded Reload
	s_wait_loadcnt 0x27
	v_mul_i32_i24_e32 v84, v225, v50
	s_wait_loadcnt 0x25
	v_mul_f32_e32 v67, v67, v176
	v_add3_u32 v66, v66, v86, v88
	v_mul_i32_i24_e32 v86, v199, v51
	v_mul_i32_i24_e32 v88, v193, v52
	s_wait_loadcnt 0x1f
	v_mul_i32_i24_e32 v122, v186, v39
	s_wait_loadcnt 0x1e
	;; [unrolled: 2-line block ×4, first 2 shown]
	v_mul_i32_i24_e32 v124, v179, v41
	v_add3_u32 v66, v66, v93, v99
	scratch_load_b32 v99, off, off offset:1040 ; 4-byte Folded Reload
	v_mul_i32_i24_e32 v93, v171, v53
	s_wait_loadcnt 0x3
	v_mul_i32_i24_e32 v101, v139, v20
	s_delay_alu instid0(VALU_DEP_1) | instskip(SKIP_2) | instid1(VALU_DEP_3)
	v_add3_u32 v66, v66, v101, v102
	v_mul_i32_i24_e32 v101, v162, v54
	v_mul_i32_i24_e32 v102, v200, v55
	v_add3_u32 v66, v66, v103, v104
	scratch_load_b32 v103, off, off offset:1044 ; 4-byte Folded Reload
	v_mul_i32_i24_e32 v104, v161, v34
	v_add3_u32 v66, v66, v116, v117
	v_mul_i32_i24_e32 v116, v168, v57
	v_mul_i32_i24_e32 v117, v202, v58
	s_delay_alu instid0(VALU_DEP_3) | instskip(SKIP_2) | instid1(VALU_DEP_3)
	v_add3_u32 v66, v66, v118, v119
	v_mul_i32_i24_e32 v118, v167, v59
	v_mul_i32_i24_e32 v119, v201, v35
	v_add3_u32 v66, v66, v120, v121
	v_mul_i32_i24_e32 v120, v203, v60
	v_mul_i32_i24_e32 v121, v236, v61
	s_delay_alu instid0(VALU_DEP_3) | instskip(SKIP_2) | instid1(VALU_DEP_3)
	v_add3_u32 v66, v66, v122, v123
	v_mul_i32_i24_e32 v122, v234, v62
	v_mul_i32_i24_e32 v123, v226, v36
	v_add3_u32 v66, v66, v124, v125
	v_mul_i32_i24_e32 v124, v205, v63
	v_mul_i32_i24_e32 v125, v174, v64
	s_delay_alu instid0(VALU_DEP_3) | instskip(NEXT) | instid1(VALU_DEP_1)
	v_mul_lo_u32 v66, v66, v164
	v_cvt_f32_i32_e32 v66, v66
	s_delay_alu instid0(VALU_DEP_1)
	v_fma_mix_f32 v66, v0, v66, 0 op_sel_hi:[1,0,0]
	s_wait_loadcnt 0x3
	v_mul_i32_i24_e32 v79, v69, v46
	scratch_load_b32 v69, off, off offset:968 ; 4-byte Folded Reload
	v_add3_u32 v68, v68, v78, v79
	v_mul_i32_i24_e32 v78, v8, v246
	v_mul_i32_i24_e32 v79, v9, v183
	s_wait_loadcnt 0x3
	v_mul_i32_i24_e32 v85, v85, v32
	s_wait_loadcnt 0x2
	;; [unrolled: 2-line block ×4, first 2 shown]
	v_mul_i32_i24_e32 v80, v69, v47
	scratch_load_b32 v69, off, off offset:980 ; 4-byte Folded Reload
	s_wait_loadcnt 0x0
	v_mul_i32_i24_e32 v81, v69, v31
	scratch_load_b32 v69, off, off offset:712 ; 4-byte Folded Reload
	v_add3_u32 v68, v68, v80, v81
	v_mul_i32_i24_e32 v80, v10, v184
	v_mul_i32_i24_e32 v81, v11, v187
	s_wait_loadcnt 0x0
	v_mul_i32_i24_e32 v83, v69, v49
	s_delay_alu instid0(VALU_DEP_1) | instskip(SKIP_2) | instid1(VALU_DEP_3)
	v_add3_u32 v68, v68, v82, v83
	v_mul_i32_i24_e32 v82, v12, v188
	v_mul_i32_i24_e32 v83, v13, v189
	v_add3_u32 v68, v68, v84, v85
	v_mul_i32_i24_e32 v84, v14, v192
	v_mul_i32_i24_e32 v85, v15, v195
	s_delay_alu instid0(VALU_DEP_3) | instskip(SKIP_2) | instid1(VALU_DEP_3)
	v_add3_u32 v68, v68, v86, v88
	v_mul_i32_i24_e32 v86, v16, v197
	v_mul_i32_i24_e32 v88, v17, v198
	v_add3_u32 v68, v68, v93, v99
	v_mul_i32_i24_e32 v93, v18, v208
	v_mul_i32_i24_e32 v99, v19, v209
	s_delay_alu instid0(VALU_DEP_3) | instskip(SKIP_2) | instid1(VALU_DEP_3)
	;; [unrolled: 7-line block ×3, first 2 shown]
	v_add3_u32 v68, v68, v116, v117
	v_mul_i32_i24_e32 v116, v24, v212
	v_mul_i32_i24_e32 v117, v25, v215
	v_add3_u32 v68, v68, v118, v119
	v_mul_i32_i24_e32 v118, v26, v217
	v_mul_i32_i24_e32 v119, v27, v223
	s_delay_alu instid0(VALU_DEP_3)
	v_add3_u32 v68, v68, v120, v121
	v_mul_i32_i24_e32 v120, v38, v111
	scratch_load_b32 v111, off, off offset:32 ; 4-byte Folded Reload
	v_add3_u32 v68, v68, v122, v123
	v_mul_i32_i24_e32 v123, v40, v230
	scratch_load_b32 v230, off, off offset:356 ; 4-byte Folded Reload
	v_add3_u32 v68, v68, v124, v125
	s_delay_alu instid0(VALU_DEP_1) | instskip(SKIP_4) | instid1(VALU_DEP_1)
	v_add3_u32 v68, v68, v126, v129
	v_mul_i32_i24_e32 v126, v65, v166
	v_mul_i32_i24_e32 v129, v37, v131
	scratch_load_b32 v131, off, off offset:1000 th:TH_LOAD_LU ; 4-byte Folded Reload
	v_mul_lo_u32 v68, v68, v175
	v_cvt_f32_i32_e32 v68, v68
	s_delay_alu instid0(VALU_DEP_1) | instskip(SKIP_1) | instid1(VALU_DEP_2)
	v_fma_mix_f32 v66, v1, v68, v66 op_sel_hi:[1,0,0]
	v_mul_i32_i24_e32 v68, v6, v222
	v_fma_f32 v66, v66, v207, -v67
	scratch_load_b32 v67, off, off offset:744 ; 4-byte Folded Reload
	s_wait_loadcnt 0x3
	v_mul_i32_i24_e32 v121, v28, v111
	scratch_load_b32 v111, off, off offset:48 ; 4-byte Folded Reload
	s_wait_loadcnt 0x1
	v_add_f32_e32 v67, v67, v66
	v_mul_i32_i24_e32 v66, v2, v220
	scratch_store_b32 off, v67, off offset:744 ; 4-byte Folded Spill
	v_mul_i32_i24_e32 v67, v5, v221
	v_mad_i32_i24 v66, v3, v194, v66
	s_delay_alu instid0(VALU_DEP_1) | instskip(SKIP_2) | instid1(VALU_DEP_1)
	v_add3_u32 v66, v66, v67, v68
	v_mul_i32_i24_e32 v67, v4, v237
	v_mul_i32_i24_e32 v68, v7, v240
	v_add3_u32 v66, v66, v67, v68
	s_clause 0x1
	scratch_load_b32 v67, off, off offset:596
	scratch_load_b32 v68, off, off offset:36
	v_add3_u32 v66, v66, v78, v79
	s_clause 0x1
	scratch_load_b32 v78, off, off offset:40
	scratch_load_b32 v79, off, off offset:52
	;; [unrolled: 4-line block ×3, first 2 shown]
	v_add3_u32 v66, v66, v82, v83
	scratch_load_b32 v82, off, off offset:460 ; 4-byte Folded Reload
	v_mul_i32_i24_e32 v83, v49, v230
	v_add3_u32 v66, v66, v84, v85
	scratch_load_b32 v85, off, off offset:444 ; 4-byte Folded Reload
	v_mul_i32_i24_e32 v84, v50, v196
	v_add3_u32 v66, v66, v86, v88
	s_clause 0x1
	scratch_load_b32 v86, off, off offset:184
	scratch_load_b32 v88, off, off offset:472
	v_add3_u32 v66, v66, v93, v99
	s_clause 0x1
	scratch_load_b32 v93, off, off offset:192
	scratch_load_b32 v99, off, off offset:188
	v_add3_u32 v66, v66, v101, v102
	v_mul_i32_i24_e32 v101, v54, v163
	v_mul_i32_i24_e32 v102, v55, v239
	s_delay_alu instid0(VALU_DEP_3) | instskip(SKIP_4) | instid1(VALU_DEP_1)
	v_add3_u32 v66, v66, v103, v104
	s_clause 0x1
	scratch_load_b32 v103, off, off offset:440
	scratch_load_b32 v104, off, off offset:196
	v_add3_u32 v66, v66, v116, v117
	v_add3_u32 v66, v66, v118, v119
	s_delay_alu instid0(VALU_DEP_1)
	v_add3_u32 v66, v66, v120, v121
	v_mul_i32_i24_e32 v121, v61, v143
	scratch_load_b32 v143, off, off offset:1204 th:TH_LOAD_LU ; 4-byte Folded Reload
	s_wait_loadcnt 0xf
	v_mul_i32_i24_e32 v122, v39, v111
	scratch_load_b32 v111, off, off offset:56 ; 4-byte Folded Reload
	v_add3_u32 v66, v66, v122, v123
	v_mul_i32_i24_e32 v122, v62, v140
	v_dual_mov_b32 v140, v141 :: v_dual_mov_b32 v141, v144
	scratch_load_b32 v144, off, off offset:1212 th:TH_LOAD_LU ; 4-byte Folded Reload
	s_wait_loadcnt 0xf
	v_mul_i32_i24_e32 v68, v42, v68
	s_wait_loadcnt 0xe
	v_mul_i32_i24_e32 v78, v44, v78
	;; [unrolled: 2-line block ×3, first 2 shown]
	s_wait_loadcnt 0xc
	v_mad_i32_i24 v68, v43, v80, v68
	scratch_load_b32 v80, off, off offset:64 ; 4-byte Folded Reload
	s_wait_loadcnt 0xc
	v_mul_i32_i24_e32 v81, v31, v81
	v_add3_u32 v68, v68, v78, v79
	s_clause 0x1
	scratch_load_b32 v78, off, off offset:60
	scratch_load_b32 v79, off, off offset:452
	s_wait_loadcnt 0xd
	v_mul_i32_i24_e32 v82, v48, v82
	s_wait_loadcnt 0xc
	v_mul_i32_i24_e32 v85, v32, v85
	s_wait_loadcnt 0xb
	v_mul_i32_i24_e32 v86, v51, v86
	s_wait_loadcnt 0xa
	v_mul_i32_i24_e32 v88, v52, v88
	s_wait_loadcnt 0x9
	v_mul_i32_i24_e32 v93, v53, v93
	s_wait_loadcnt 0x8
	v_mul_i32_i24_e32 v99, v33, v99
	s_wait_loadcnt 0x7
	v_mul_i32_i24_e32 v103, v56, v103
	s_wait_loadcnt 0x6
	v_mul_i32_i24_e32 v104, v34, v104
	s_wait_loadcnt 0x4
	v_mul_i32_i24_e32 v124, v41, v111
	scratch_load_b32 v111, off, off offset:448 ; 4-byte Folded Reload
	s_wait_loadcnt 0x3
	v_mul_i32_i24_e32 v80, v47, v80
	s_wait_loadcnt 0x2
	v_mul_i32_i24_e32 v78, v45, v78
	;; [unrolled: 2-line block ×3, first 2 shown]
	s_delay_alu instid0(VALU_DEP_1)
	v_add3_u32 v68, v68, v78, v79
	s_clause 0x1
	scratch_load_b32 v78, off, off offset:208
	scratch_load_b32 v79, off, off offset:224
	v_add3_u32 v68, v68, v80, v81
	s_clause 0x1
	scratch_load_b32 v80, off, off offset:228
	scratch_load_b32 v81, off, off offset:232
	;; [unrolled: 4-line block ×6, first 2 shown]
	v_add3_u32 v68, v68, v101, v102
	v_mul_i32_i24_e32 v101, v20, v154
	v_mul_i32_i24_e32 v102, v21, v156
	v_mov_b32_e32 v156, v158
	s_clause 0x1
	scratch_load_b32 v158, off, off offset:1100 th:TH_LOAD_LU
	scratch_load_b32 v154, off, off offset:1096 th:TH_LOAD_LU
	v_add3_u32 v68, v68, v103, v104
	v_mul_i32_i24_e32 v103, v22, v106
	v_mul_i32_i24_e32 v104, v23, v105
	scratch_load_b32 v106, off, off offset:1108 th:TH_LOAD_LU ; 4-byte Folded Reload
	v_mov_b32_e32 v105, v109
	scratch_load_b32 v109, off, off offset:436 th:TH_LOAD_LU ; 4-byte Folded Reload
	s_wait_loadcnt 0x10
	v_mul_i32_i24_e32 v125, v29, v111
	scratch_load_b32 v111, off, off offset:24 ; 4-byte Folded Reload
	v_add3_u32 v66, v66, v124, v125
	s_delay_alu instid0(VALU_DEP_1) | instskip(SKIP_2) | instid1(VALU_DEP_1)
	v_mul_lo_u32 v66, v66, v67
	scratch_load_b32 v67, off, off offset:604 ; 4-byte Folded Reload
	v_cvt_f32_i32_e32 v66, v66
	v_fma_mix_f32 v66, v0, v66, 0 op_sel_hi:[1,0,0]
	s_wait_loadcnt 0x10
	v_mul_i32_i24_e32 v79, v9, v79
	s_wait_loadcnt 0xf
	v_mul_i32_i24_e32 v80, v10, v80
	;; [unrolled: 2-line block ×12, first 2 shown]
	scratch_load_b32 v111, off, off offset:200 ; 4-byte Folded Reload
	s_wait_loadcnt 0x1
	v_fma_mix_f32 v67, v67, v0, 0 op_sel:[0,1,0] op_sel_hi:[0,1,0]
	s_wait_loadcnt 0x0
	v_mul_i32_i24_e32 v117, v58, v111
	scratch_load_b32 v111, off, off offset:992 ; 4-byte Folded Reload
	v_add3_u32 v68, v68, v116, v117
	v_mul_i32_i24_e32 v116, v24, v96
	v_mul_i32_i24_e32 v117, v25, v77
	s_clause 0x1
	scratch_load_b32 v77, off, off offset:284
	scratch_load_b32 v96, off, off offset:300
	s_wait_loadcnt 0x2
	v_mul_i32_i24_e32 v118, v59, v111
	scratch_load_b32 v111, off, off offset:464 ; 4-byte Folded Reload
	s_wait_loadcnt 0x0
	v_mul_i32_i24_e32 v119, v35, v111
	scratch_load_b32 v111, off, off offset:204 ; 4-byte Folded Reload
	v_add3_u32 v68, v68, v118, v119
	v_mul_i32_i24_e32 v118, v26, v92
	v_mul_i32_i24_e32 v119, v27, v97
	scratch_load_b32 v92, off, off offset:292 ; 4-byte Folded Reload
	v_mov_b32_e32 v97, v127
	scratch_load_b32 v127, off, off offset:312 ; 4-byte Folded Reload
	s_wait_loadcnt 0x2
	v_mul_i32_i24_e32 v120, v60, v111
	scratch_load_b32 v111, off, off offset:480 ; 4-byte Folded Reload
	v_add3_u32 v68, v68, v120, v121
	v_mul_i32_i24_e32 v120, v38, v70
	scratch_load_b32 v70, off, off offset:492 ; 4-byte Folded Reload
	s_wait_loadcnt 0x1
	v_mul_i32_i24_e32 v123, v36, v111
	scratch_load_b32 v111, off, off offset:476 ; 4-byte Folded Reload
	v_add3_u32 v68, v68, v122, v123
	s_wait_loadcnt 0x1
	v_mul_i32_i24_e32 v121, v28, v70
	scratch_load_b32 v70, off, off offset:496 ; 4-byte Folded Reload
	s_wait_loadcnt 0x1
	v_mul_i32_i24_e32 v124, v63, v111
	scratch_load_b32 v111, off, off offset:468 ; 4-byte Folded Reload
	;; [unrolled: 3-line block ×3, first 2 shown]
	s_wait_loadcnt 0x1
	v_mul_i32_i24_e32 v125, v64, v111
	scratch_load_b32 v111, off, off offset:1112 th:TH_LOAD_LU ; 4-byte Folded Reload
	v_add3_u32 v68, v68, v124, v125
	s_wait_loadcnt 0x1
	v_mul_i32_i24_e32 v123, v40, v70
	scratch_load_b32 v70, off, off offset:96 ; 4-byte Folded Reload
	v_mul_i32_i24_e32 v124, v41, v180
	v_mov_b32_e32 v180, v137
	scratch_load_b32 v137, off, off offset:660 ; 4-byte Folded Reload
	v_add3_u32 v68, v68, v126, v129
	v_mul_i32_i24_e32 v126, v65, v148
	v_mul_i32_i24_e32 v129, v37, v136
	s_clause 0x1
	scratch_load_b32 v136, off, off offset:656
	scratch_load_b32 v148, off, off offset:332
	v_mul_lo_u32 v68, v68, v169
	s_delay_alu instid0(VALU_DEP_1) | instskip(NEXT) | instid1(VALU_DEP_1)
	v_cvt_f32_i32_e32 v68, v68
	v_fma_mix_f32 v66, v1, v68, v66 op_sel_hi:[1,0,0]
	scratch_load_b32 v68, off, off offset:988 ; 4-byte Folded Reload
	s_wait_loadcnt 0x4
	v_mul_i32_i24_e32 v125, v29, v70
	scratch_load_b32 v70, off, off offset:88 ; 4-byte Folded Reload
	v_mul_i32_i24_e32 v29, v29, v74
	scratch_load_b32 v74, off, off offset:272 ; 4-byte Folded Reload
	s_wait_loadcnt 0x2
	v_fma_mix_f32 v67, v68, v1, v67 op_sel:[0,1,0] op_sel_hi:[0,1,0]
	scratch_load_b32 v68, off, off offset:256 ; 4-byte Folded Reload
	s_wait_loadcnt 0x0
	v_mul_f32_e32 v67, v67, v68
	scratch_load_b32 v68, off, off offset:644 ; 4-byte Folded Reload
	s_wait_loadcnt 0x0
	v_fma_f32 v66, v66, v68, -v67
	s_clause 0x1
	scratch_load_b32 v67, off, off offset:740
	scratch_load_b32 v68, off, off offset:212
	s_wait_loadcnt 0x1
	v_add_f32_e32 v67, v67, v66
	scratch_load_b32 v66, off, off offset:592 ; 4-byte Folded Reload
	s_wait_loadcnt 0x1
	v_mul_i32_i24_e32 v68, v6, v68
	scratch_store_b32 off, v67, off offset:740 ; 4-byte Folded Spill
	scratch_load_b32 v67, off, off offset:540 ; 4-byte Folded Reload
	s_wait_loadcnt 0x1
	v_mul_i32_i24_e32 v66, v2, v66
	s_wait_loadcnt 0x0
	v_mul_i32_i24_e32 v67, v5, v67
	s_delay_alu instid0(VALU_DEP_2)
	v_mad_i32_i24 v66, v3, v78, v66
	scratch_load_b32 v78, off, off offset:220 ; 4-byte Folded Reload
	v_mul_i32_i24_e32 v5, v5, v143
	v_add3_u32 v66, v66, v67, v68
	s_clause 0x1
	scratch_load_b32 v67, off, off offset:544
	scratch_load_b32 v68, off, off offset:216
	s_wait_loadcnt 0x2
	v_mul_i32_i24_e32 v78, v8, v78
	s_wait_loadcnt 0x1
	v_mul_i32_i24_e32 v67, v4, v67
	s_wait_loadcnt 0x0
	v_mul_i32_i24_e32 v68, v7, v68
	s_delay_alu instid0(VALU_DEP_1)
	v_add3_u32 v66, v66, v67, v68
	scratch_load_b32 v67, off, off offset:488 ; 4-byte Folded Reload
	v_mul_i32_i24_e32 v68, v42, v149
	v_mov_b32_e32 v149, v151
	scratch_load_b32 v151, off, off offset:972 th:TH_LOAD_LU ; 4-byte Folded Reload
	v_add3_u32 v66, v66, v78, v79
	v_mul_i32_i24_e32 v79, v30, v142
	scratch_load_b32 v142, off, off offset:1048 th:TH_LOAD_LU ; 4-byte Folded Reload
	v_mul_i32_i24_e32 v78, v44, v98
	v_mad_i32_i24 v68, v43, v152, v68
	s_clause 0x1
	scratch_load_b32 v152, off, off offset:1088 th:TH_LOAD_LU
	scratch_load_b32 v98, off, off offset:308
	v_add3_u32 v66, v66, v80, v81
	v_mul_i32_i24_e32 v80, v47, v138
	v_add3_u32 v68, v68, v78, v79
	v_mul_i32_i24_e32 v78, v45, v182
	v_mul_i32_i24_e32 v79, v46, v180
	;; [unrolled: 1-line block ×3, first 2 shown]
	s_clause 0x1
	scratch_load_b32 v138, off, off offset:664
	scratch_load_b32 v95, off, off offset:296
	v_add3_u32 v66, v66, v82, v83
	v_mul_i32_i24_e32 v82, v48, v70
	scratch_load_b32 v70, off, off offset:92 ; 4-byte Folded Reload
	v_mul_i32_i24_e32 v83, v49, v145
	scratch_load_b32 v145, off, off offset:1200 th:TH_LOAD_LU ; 4-byte Folded Reload
	v_add3_u32 v68, v68, v78, v79
	v_add3_u32 v66, v66, v84, v85
	v_mul_i32_i24_e32 v84, v50, v75
	v_mul_i32_i24_e32 v85, v32, v178
	scratch_load_b32 v75, off, off offset:276 ; 4-byte Folded Reload
	v_add3_u32 v68, v68, v80, v81
	scratch_load_b32 v178, off, off offset:1172 ; 4-byte Folded Reload
	v_add3_u32 v66, v66, v86, v88
	v_mul_i32_i24_e32 v88, v52, v255
	scratch_load_b32 v255, off, off offset:1208 th:TH_LOAD_LU ; 4-byte Folded Reload
	v_add3_u32 v68, v68, v82, v83
	v_add3_u32 v66, v66, v93, v99
	v_mul_i32_i24_e32 v93, v53, v76
	v_mul_i32_i24_e32 v99, v33, v87
	s_delay_alu instid0(VALU_DEP_4)
	v_add3_u32 v68, v68, v84, v85
	v_mov_b32_e32 v76, v251
	s_clause 0x1
	scratch_load_b32 v251, off, off offset:8
	scratch_load_b32 v87, off, off offset:252
	v_add3_u32 v66, v66, v101, v102
	s_delay_alu instid0(VALU_DEP_1)
	v_add3_u32 v66, v66, v103, v104
	v_mul_i32_i24_e32 v103, v56, v89
	v_mul_i32_i24_e32 v104, v34, v90
	s_clause 0x1
	scratch_load_b32 v89, off, off offset:76
	scratch_load_b32 v90, off, off offset:288
	v_add3_u32 v66, v66, v116, v117
	v_mul_i32_i24_e32 v116, v57, v107
	v_dual_mov_b32 v107, v110 :: v_dual_mov_b32 v110, v115
	scratch_load_b32 v115, off, off offset:984 th:TH_LOAD_LU ; 4-byte Folded Reload
	v_add3_u32 v66, v66, v118, v119
	v_mul_i32_i24_e32 v119, v35, v72
	scratch_load_b32 v72, off, off offset:260 ; 4-byte Folded Reload
	v_add3_u32 v66, v66, v120, v121
	v_mul_i32_i24_e32 v120, v60, v91
	scratch_load_b32 v91, off, off offset:80 ; 4-byte Folded Reload
	v_add3_u32 v66, v66, v122, v123
	v_mul_i32_i24_e32 v122, v62, v135
	v_mul_i32_i24_e32 v123, v36, v100
	s_clause 0x1
	scratch_load_b32 v135, off, off offset:652
	scratch_load_b32 v100, off, off offset:1104 th:TH_LOAD_LU
	v_add3_u32 v66, v66, v124, v125
	v_mul_i32_i24_e32 v124, v63, v112
	v_mul_i32_i24_e32 v125, v64, v173
	v_mov_b32_e32 v112, v114
	scratch_load_b32 v114, off, off offset:1120 th:TH_LOAD_LU ; 4-byte Folded Reload
	v_mul_lo_u32 v66, v66, v94
	scratch_load_b32 v94, off, off offset:84 ; 4-byte Folded Reload
	v_cvt_f32_i32_e32 v66, v66
	s_delay_alu instid0(VALU_DEP_1) | instskip(SKIP_2) | instid1(VALU_DEP_1)
	v_fma_mix_f32 v66, v0, v66, 0 op_sel_hi:[1,0,0]
	s_wait_loadcnt 0x16
	v_fma_mix_f32 v67, v67, v0, 0 op_sel:[0,1,0] op_sel_hi:[0,1,0]
	v_fma_mix_f32 v67, v133, v1, v67 op_sel:[0,1,0] op_sel_hi:[0,1,0]
	scratch_load_b32 v133, off, off offset:324 ; 4-byte Folded Reload
	s_wait_loadcnt 0x15
	v_mul_i32_i24_e32 v2, v2, v142
	s_wait_loadcnt 0x10
	v_mul_i32_i24_e32 v86, v51, v70
	scratch_load_b32 v70, off, off offset:504 ; 4-byte Folded Reload
	s_wait_loadcnt 0x10
	v_mul_i32_i24_e32 v6, v6, v145
	v_add3_u32 v68, v68, v86, v88
	s_wait_loadcnt 0xe
	v_mul_f32_e32 v67, v67, v178
	s_delay_alu instid0(VALU_DEP_2) | instskip(SKIP_2) | instid1(VALU_DEP_1)
	v_add3_u32 v68, v68, v93, v99
	s_wait_loadcnt 0x1
	v_mad_i32_i24 v2, v3, v133, v2
	v_add3_u32 v2, v2, v5, v6
	v_mul_i32_i24_e32 v6, v9, v137
	v_mul_i32_i24_e32 v9, v12, v140
	;; [unrolled: 1-line block ×7, first 2 shown]
	scratch_load_b32 v27, off, off offset:608 ; 4-byte Folded Reload
	v_mul_i32_i24_e32 v5, v8, v136
	v_mul_i32_i24_e32 v8, v11, v255
	;; [unrolled: 1-line block ×8, first 2 shown]
	scratch_load_b32 v130, off, off offset:320 ; 4-byte Folded Reload
	v_mul_i32_i24_e32 v28, v40, v128
	scratch_load_b32 v128, off, off offset:316 ; 4-byte Folded Reload
	s_wait_loadcnt 0x3
	v_mul_i32_i24_e32 v101, v54, v70
	scratch_load_b32 v70, off, off offset:484 ; 4-byte Folded Reload
	s_wait_loadcnt 0x3
	v_mul_i32_i24_e32 v27, v39, v27
	s_wait_loadcnt 0x0
	v_mul_i32_i24_e32 v102, v55, v70
	scratch_load_b32 v70, off, off offset:512 ; 4-byte Folded Reload
	v_add3_u32 v68, v68, v101, v102
	s_delay_alu instid0(VALU_DEP_1)
	v_add3_u32 v68, v68, v103, v104
	s_wait_loadcnt 0x0
	v_mul_i32_i24_e32 v117, v58, v70
	scratch_load_b32 v70, off, off offset:508 ; 4-byte Folded Reload
	v_add3_u32 v68, v68, v116, v117
	s_wait_loadcnt 0x0
	v_mul_i32_i24_e32 v118, v59, v70
	scratch_load_b32 v70, off, off offset:516 ; 4-byte Folded Reload
	;; [unrolled: 4-line block ×3, first 2 shown]
	v_add3_u32 v68, v68, v120, v121
	s_delay_alu instid0(VALU_DEP_1) | instskip(NEXT) | instid1(VALU_DEP_1)
	v_add3_u32 v68, v68, v122, v123
	v_add3_u32 v68, v68, v124, v125
	s_delay_alu instid0(VALU_DEP_1) | instskip(NEXT) | instid1(VALU_DEP_1)
	v_add3_u32 v68, v68, v126, v129
	v_mul_lo_u32 v68, v68, v134
	scratch_load_b32 v134, off, off offset:328 ; 4-byte Folded Reload
	v_cvt_f32_i32_e32 v68, v68
	s_delay_alu instid0(VALU_DEP_1) | instskip(NEXT) | instid1(VALU_DEP_1)
	v_fma_mix_f32 v66, v1, v68, v66 op_sel_hi:[1,0,0]
	v_fma_f32 v66, v66, v87, -v67
	scratch_load_b32 v67, off, off offset:736 ; 4-byte Folded Reload
	s_wait_loadcnt 0x1
	v_mul_i32_i24_e32 v3, v4, v134
	v_mul_i32_i24_e32 v4, v7, v135
	;; [unrolled: 1-line block ×10, first 2 shown]
	scratch_load_b32 v73, off, off offset:72 ; 4-byte Folded Reload
	v_add3_u32 v2, v2, v3, v4
	v_mul_i32_i24_e32 v3, v42, v130
	v_mul_i32_i24_e32 v4, v44, v131
	s_delay_alu instid0(VALU_DEP_3) | instskip(SKIP_1) | instid1(VALU_DEP_4)
	v_add3_u32 v2, v2, v5, v6
	v_mul_i32_i24_e32 v5, v30, v132
	v_mad_i32_i24 v3, v43, v128, v3
	v_mul_i32_i24_e32 v6, v47, v74
	v_mul_i32_i24_e32 v30, v65, v114
	v_add3_u32 v2, v2, v7, v8
	v_mul_i32_i24_e32 v7, v31, v76
	v_add3_u32 v3, v3, v4, v5
	v_mul_i32_i24_e32 v5, v46, v75
	v_mul_i32_i24_e32 v8, v48, v77
	;; [unrolled: 1-line block ×3, first 2 shown]
	s_wait_loadcnt 0x1
	v_add_f32_e32 v67, v67, v66
	v_add3_u32 v2, v2, v9, v10
	v_mul_i32_i24_e32 v9, v49, v89
	v_mul_i32_i24_e32 v10, v50, v251
	scratch_store_b32 off, v67, off offset:736 ; 4-byte Folded Spill
	v_add3_u32 v2, v2, v11, v12
	v_mul_i32_i24_e32 v11, v32, v90
	v_mul_i32_i24_e32 v12, v51, v91
	s_delay_alu instid0(VALU_DEP_3) | instskip(SKIP_2) | instid1(VALU_DEP_3)
	v_add3_u32 v2, v2, v13, v14
	v_mul_i32_i24_e32 v13, v52, v94
	v_mul_i32_i24_e32 v14, v53, v92
	v_add3_u32 v2, v2, v15, v16
	v_mul_i32_i24_e32 v15, v33, v95
	v_mul_i32_i24_e32 v16, v54, v96
	s_delay_alu instid0(VALU_DEP_3) | instskip(SKIP_2) | instid1(VALU_DEP_3)
	v_add3_u32 v2, v2, v17, v18
	v_mul_i32_i24_e32 v17, v55, v98
	v_mul_i32_i24_e32 v18, v56, v97
	;; [unrolled: 7-line block ×4, first 2 shown]
	v_add3_u32 v2, v2, v27, v28
	v_mul_i32_i24_e32 v27, v36, v112
	v_mul_i32_i24_e32 v28, v63, v113
	s_delay_alu instid0(VALU_DEP_3) | instskip(SKIP_1) | instid1(VALU_DEP_2)
	v_add3_u32 v2, v2, v38, v29
	v_mul_i32_i24_e32 v29, v64, v115
	v_mul_lo_u32 v2, v2, v160
	s_delay_alu instid0(VALU_DEP_1) | instskip(NEXT) | instid1(VALU_DEP_1)
	v_cvt_f32_i32_e32 v2, v2
	v_fma_mix_f32 v2, v0, v2, 0 op_sel_hi:[1,0,0]
	v_fma_mix_f32 v0, v71, v0, 0 op_sel:[0,1,0] op_sel_hi:[0,1,0]
	scratch_load_b32 v71, off, off offset:1116 th:TH_LOAD_LU ; 4-byte Folded Reload
	s_wait_loadcnt 0x1
	v_mul_i32_i24_e32 v4, v45, v73
	s_delay_alu instid0(VALU_DEP_1) | instskip(NEXT) | instid1(VALU_DEP_1)
	v_add3_u32 v3, v3, v4, v5
	v_add3_u32 v3, v3, v6, v7
	s_delay_alu instid0(VALU_DEP_1) | instskip(NEXT) | instid1(VALU_DEP_1)
	v_add3_u32 v3, v3, v8, v9
	v_add3_u32 v3, v3, v10, v11
	;; [unrolled: 3-line block ×7, first 2 shown]
	s_delay_alu instid0(VALU_DEP_1) | instskip(NEXT) | instid1(VALU_DEP_1)
	v_mul_lo_u32 v3, v3, v72
	v_cvt_f32_i32_e32 v3, v3
	s_delay_alu instid0(VALU_DEP_1)
	v_fma_mix_f32 v2, v1, v3, v2 op_sel_hi:[1,0,0]
	s_wait_loadcnt 0x0
	v_fma_mix_f32 v0, v71, v1, v0 op_sel:[0,1,0] op_sel_hi:[0,1,0]
	scratch_load_b32 v1, off, off           ; 4-byte Folded Reload
	s_wait_loadcnt 0x0
	v_mul_f32_e32 v0, v0, v1
	scratch_load_b32 v1, off, off offset:28 ; 4-byte Folded Reload
	s_wait_loadcnt 0x0
	v_fma_f32 v0, v2, v1, -v0
	scratch_load_b32 v1, off, off offset:732 ; 4-byte Folded Reload
	s_wait_loadcnt 0x0
	v_add_f32_e32 v1, v1, v0
	scratch_load_b32 v0, off, off offset:1272 ; 4-byte Folded Reload
	scratch_store_b32 off, v1, off offset:732 ; 4-byte Folded Spill
	s_wait_loadcnt 0x0
	v_or_b32_e32 v0, s13, v0
	s_delay_alu instid0(VALU_DEP_1)
	v_lshlrev_b32_e32 v1, 2, v0
	v_lshrrev_b32_e32 v0, 1, v0
	ds_load_b128 v[14:17], v1 offset:16896
	ds_load_b128 v[30:33], v1 offset:16912
	;; [unrolled: 1-line block ×4, first 2 shown]
	ds_load_b64 v[0:1], v0 offset:27200
	s_wait_dscnt 0x4
	v_ashrrev_i32_e32 v5, 24, v14
	v_bfe_i32 v2, v14, 0, 8
	v_bfe_i32 v4, v14, 16, 8
	;; [unrolled: 1-line block ×6, first 2 shown]
	v_ashrrev_i32_e32 v9, 24, v15
	v_bfe_i32 v10, v16, 0, 8
	v_bfe_i32 v11, v16, 8, 8
	;; [unrolled: 1-line block ×3, first 2 shown]
	v_ashrrev_i32_e32 v13, 24, v16
	v_bfe_i32 v14, v17, 0, 8
	v_bfe_i32 v15, v17, 8, 8
	;; [unrolled: 1-line block ×3, first 2 shown]
	v_ashrrev_i32_e32 v17, 24, v17
	s_wait_dscnt 0x3
	v_bfe_i32 v18, v30, 0, 8
	v_bfe_i32 v19, v30, 8, 8
	v_bfe_i32 v20, v30, 16, 8
	v_ashrrev_i32_e32 v21, 24, v30
	v_bfe_i32 v22, v31, 0, 8
	v_bfe_i32 v23, v31, 8, 8
	v_bfe_i32 v24, v31, 16, 8
	v_ashrrev_i32_e32 v25, 24, v31
	;; [unrolled: 4-line block ×4, first 2 shown]
	s_wait_dscnt 0x2
	v_bfe_i32 v49, v36, 8, 8
	v_bfe_i32 v42, v34, 0, 8
	;; [unrolled: 1-line block ×4, first 2 shown]
	v_ashrrev_i32_e32 v34, 24, v34
	v_bfe_i32 v45, v35, 0, 8
	v_bfe_i32 v46, v35, 8, 8
	v_bfe_i32 v47, v35, 16, 8
	v_ashrrev_i32_e32 v35, 24, v35
	v_bfe_i32 v48, v36, 0, 8
	v_bfe_i32 v50, v36, 16, 8
	v_ashrrev_i32_e32 v36, 24, v36
	v_bfe_i32 v51, v37, 0, 8
	v_bfe_i32 v52, v37, 8, 8
	;; [unrolled: 1-line block ×3, first 2 shown]
	v_ashrrev_i32_e32 v37, 24, v37
	s_wait_dscnt 0x1
	v_bfe_i32 v54, v38, 0, 8
	v_bfe_i32 v55, v38, 8, 8
	v_bfe_i32 v56, v38, 16, 8
	v_ashrrev_i32_e32 v38, 24, v38
	v_bfe_i32 v57, v39, 0, 8
	v_bfe_i32 v58, v39, 8, 8
	v_bfe_i32 v59, v39, 16, 8
	v_ashrrev_i32_e32 v39, 24, v39
	v_bfe_i32 v60, v40, 0, 8
	v_bfe_i32 v61, v40, 8, 8
	v_bfe_i32 v62, v40, 16, 8
	v_ashrrev_i32_e32 v40, 24, v40
	v_bfe_i32 v63, v41, 0, 8
	v_bfe_i32 v64, v41, 8, 8
	v_bfe_i32 v65, v41, 16, 8
	v_ashrrev_i32_e32 v41, 24, v41
	v_mul_i32_i24_e32 v68, v170, v5
	scratch_load_b32 v170, off, off offset:1032 th:TH_LOAD_LU ; 4-byte Folded Reload
	v_mul_i32_i24_e32 v66, v218, v2
	v_mul_i32_i24_e32 v67, v216, v4
	s_clause 0x1
	scratch_load_b32 v216, off, off offset:1028 th:TH_LOAD_LU
	scratch_load_b32 v218, off, off offset:1244 th:TH_LOAD_LU
	v_mul_i32_i24_e32 v78, v247, v8
	v_mul_i32_i24_e32 v79, v228, v9
	;; [unrolled: 1-line block ×9, first 2 shown]
	s_clause 0x8
	scratch_load_b32 v250, off, off offset:968 th:TH_LOAD_LU
	scratch_load_b32 v232, off, off offset:980 th:TH_LOAD_LU
	;; [unrolled: 1-line block ×9, first 2 shown]
	v_mul_i32_i24_e32 v101, v139, v20
	v_mul_i32_i24_e32 v102, v252, v21
	;; [unrolled: 1-line block ×14, first 2 shown]
	s_clause 0xd
	scratch_load_b32 v252, off, off offset:432 th:TH_LOAD_LU
	scratch_load_b32 v139, off, off offset:1040 th:TH_LOAD_LU
	;; [unrolled: 1-line block ×14, first 2 shown]
	v_mul_i32_i24_e32 v126, v204, v65
	v_mul_i32_i24_e32 v129, v172, v41
	s_clause 0x1
	scratch_load_b32 v172, off, off offset:992 th:TH_LOAD_LU
	scratch_load_b32 v204, off, off offset:1152 th:TH_LOAD_LU
	v_mad_i32_i24 v66, v224, v3, v66
	scratch_load_b32 v224, off, off offset:484 th:TH_LOAD_LU ; 4-byte Folded Reload
	v_add3_u32 v66, v66, v67, v68
	v_mul_i32_i24_e32 v67, v229, v6
	v_mul_i32_i24_e32 v68, v248, v7
	s_clause 0x1
	scratch_load_b32 v229, off, off offset:216 th:TH_LOAD_LU
	scratch_load_b32 v248, off, off offset:488 th:TH_LOAD_LU
	v_add3_u32 v66, v66, v67, v68
	v_mul_i32_i24_e32 v68, v190, v42
	s_wait_dscnt 0x0
	v_fma_mix_f32 v67, v227, v0, 0 op_sel:[0,1,0] op_sel_hi:[0,1,0]
	s_clause 0x1
	scratch_load_b32 v190, off, off offset:472 th:TH_LOAD_LU
	scratch_load_b32 v227, off, off offset:212 th:TH_LOAD_LU
	v_add3_u32 v66, v66, v78, v79
	v_mul_i32_i24_e32 v78, v191, v44
	v_mul_i32_i24_e32 v79, v177, v34
	v_mad_i32_i24 v68, v219, v43, v68
	v_fma_mix_f32 v67, v206, v1, v67 op_sel:[0,1,0] op_sel_hi:[0,1,0]
	s_clause 0x3
	scratch_load_b32 v177, off, off offset:24 th:TH_LOAD_LU
	scratch_load_b32 v191, off, off offset:468 th:TH_LOAD_LU
	;; [unrolled: 1-line block ×4, first 2 shown]
	v_add3_u32 v66, v66, v80, v81
	v_add3_u32 v68, v68, v78, v79
	v_mul_f32_e32 v67, v67, v176
	scratch_load_b32 v176, off, off offset:196 th:TH_LOAD_LU ; 4-byte Folded Reload
	v_add3_u32 v66, v66, v82, v83
	v_mul_i32_i24_e32 v83, v69, v49
	scratch_load_b32 v69, off, off offset:1036 th:TH_LOAD_LU ; 4-byte Folded Reload
	v_mul_i32_i24_e32 v82, v165, v48
	scratch_load_b32 v165, off, off offset:444 th:TH_LOAD_LU ; 4-byte Folded Reload
	s_wait_loadcnt 0x27
	v_mul_i32_i24_e32 v84, v170, v14
	s_wait_loadcnt 0x26
	v_mul_i32_i24_e32 v93, v216, v18
	;; [unrolled: 2-line block ×3, first 2 shown]
	v_add3_u32 v66, v66, v84, v85
	v_mul_i32_i24_e32 v84, v225, v50
	scratch_load_b32 v225, off, off offset:540 th:TH_LOAD_LU ; 4-byte Folded Reload
	v_add3_u32 v66, v66, v86, v88
	v_mul_i32_i24_e32 v86, v199, v51
	v_mul_i32_i24_e32 v88, v193, v52
	scratch_load_b32 v193, off, off offset:592 th:TH_LOAD_LU ; 4-byte Folded Reload
	s_wait_loadcnt 0x26
	v_mul_i32_i24_e32 v80, v250, v47
	s_wait_loadcnt 0x25
	v_mul_i32_i24_e32 v81, v232, v35
	scratch_load_b32 v199, off, off offset:616 th:TH_LOAD_LU ; 4-byte Folded Reload
	v_add3_u32 v66, v66, v93, v99
	v_mul_i32_i24_e32 v93, v171, v53
	scratch_load_b32 v171, off, off offset:188 th:TH_LOAD_LU ; 4-byte Folded Reload
	v_add3_u32 v66, v66, v101, v102
	v_mul_i32_i24_e32 v101, v162, v54
	v_mul_i32_i24_e32 v102, v200, v55
	scratch_load_b32 v162, off, off offset:600 th:TH_LOAD_LU ; 4-byte Folded Reload
	v_add3_u32 v66, v66, v103, v104
	v_mul_i32_i24_e32 v104, v161, v38
	scratch_load_b32 v161, off, off offset:1164 th:TH_LOAD_LU ; 4-byte Folded Reload
	v_add3_u32 v66, v66, v116, v117
	v_mul_i32_i24_e32 v116, v168, v57
	v_mul_i32_i24_e32 v117, v202, v58
	s_clause 0x1
	scratch_load_b32 v168, off, off offset:184 th:TH_LOAD_LU
	scratch_load_b32 v202, off, off offset:1148 th:TH_LOAD_LU
	s_wait_loadcnt 0x23
	v_mul_i32_i24_e32 v79, v252, v46
	s_wait_loadcnt 0x22
	v_mul_i32_i24_e32 v99, v139, v37
	;; [unrolled: 2-line block ×3, first 2 shown]
	v_add3_u32 v66, v66, v118, v119
	v_mul_i32_i24_e32 v118, v167, v59
	v_mul_i32_i24_e32 v119, v201, v39
	s_clause 0x1
	scratch_load_b32 v167, off, off offset:460 th:TH_LOAD_LU
	scratch_load_b32 v201, off, off offset:620 th:TH_LOAD_LU
	v_add3_u32 v66, v66, v120, v121
	v_mul_i32_i24_e32 v120, v203, v60
	v_mul_i32_i24_e32 v121, v236, v61
	s_clause 0x1
	scratch_load_b32 v236, off, off offset:240 th:TH_LOAD_LU
	scratch_load_b32 v203, off, off offset:624 th:TH_LOAD_LU
	;; [unrolled: 6-line block ×4, first 2 shown]
	v_mul_lo_u32 v66, v66, v164
	scratch_load_b32 v164, off, off offset:588 th:TH_LOAD_LU ; 4-byte Folded Reload
	v_cvt_f32_i32_e32 v66, v66
	s_delay_alu instid0(VALU_DEP_1) | instskip(SKIP_4) | instid1(VALU_DEP_1)
	v_fma_mix_f32 v66, v0, v66, 0 op_sel_hi:[1,0,0]
	s_wait_loadcnt 0x12
	v_mul_i32_i24_e32 v85, v69, v36
	s_wait_loadcnt 0x0
	v_mul_i32_i24_e32 v78, v164, v45
	v_add3_u32 v68, v68, v78, v79
	v_mul_i32_i24_e32 v78, v8, v246
	v_mul_i32_i24_e32 v79, v9, v183
	s_clause 0x1
	scratch_load_b32 v183, off, off offset:480 th:TH_LOAD_LU
	scratch_load_b32 v246, off, off offset:1060 th:TH_LOAD_LU
	v_add3_u32 v68, v68, v80, v81
	v_mul_i32_i24_e32 v80, v10, v184
	v_mul_i32_i24_e32 v81, v11, v187
	s_clause 0x1
	scratch_load_b32 v184, off, off offset:452 th:TH_LOAD_LU
	scratch_load_b32 v187, off, off offset:596 th:TH_LOAD_LU
	;; [unrolled: 6-line block ×3, first 2 shown]
	v_add3_u32 v68, v68, v84, v85
	v_mul_i32_i24_e32 v84, v14, v192
	v_mul_i32_i24_e32 v85, v15, v195
	s_clause 0x1
	scratch_load_b32 v192, off, off offset:256
	scratch_load_b32 v195, off, off offset:516 th:TH_LOAD_LU
	v_add3_u32 v68, v68, v86, v88
	v_mul_i32_i24_e32 v86, v16, v197
	v_mul_i32_i24_e32 v88, v17, v198
	s_clause 0x1
	scratch_load_b32 v197, off, off offset:568 th:TH_LOAD_LU
	scratch_load_b32 v198, off, off offset:248 th:TH_LOAD_LU
	v_add3_u32 v68, v68, v93, v99
	v_mul_i32_i24_e32 v93, v18, v208
	v_mul_i32_i24_e32 v99, v19, v209
	s_clause 0x1
	scratch_load_b32 v208, off, off offset:632 th:TH_LOAD_LU
	;; [unrolled: 6-line block ×5, first 2 shown]
	scratch_load_b32 v215, off, off offset:1160 th:TH_LOAD_LU
	v_add3_u32 v68, v68, v118, v119
	v_mul_i32_i24_e32 v118, v26, v217
	scratch_load_b32 v217, off, off offset:456 th:TH_LOAD_LU ; 4-byte Folded Reload
	v_mul_i32_i24_e32 v119, v27, v223
	scratch_load_b32 v223, off, off offset:448 th:TH_LOAD_LU ; 4-byte Folded Reload
	v_add3_u32 v68, v68, v120, v121
	scratch_load_b32 v121, off, off offset:32 ; 4-byte Folded Reload
	v_mul_i32_i24_e32 v120, v28, v162
	v_add3_u32 v68, v68, v122, v123
	s_clause 0x1
	scratch_load_b32 v122, off, off offset:48
	scratch_load_b32 v123, off, off offset:264
	v_add3_u32 v68, v68, v124, v125
	scratch_load_b32 v124, off, off offset:56 ; 4-byte Folded Reload
	v_add3_u32 v68, v68, v126, v129
	v_mul_i32_i24_e32 v126, v65, v166
	v_mul_i32_i24_e32 v129, v41, v161
	scratch_load_b32 v166, off, off offset:644 ; 4-byte Folded Reload
	v_mul_lo_u32 v68, v68, v175
	scratch_load_b32 v175, off, off offset:192 th:TH_LOAD_LU ; 4-byte Folded Reload
	v_cvt_f32_i32_e32 v68, v68
	s_delay_alu instid0(VALU_DEP_1) | instskip(SKIP_1) | instid1(VALU_DEP_2)
	v_fma_mix_f32 v66, v1, v68, v66 op_sel_hi:[1,0,0]
	v_mul_i32_i24_e32 v68, v5, v222
	v_fma_f32 v66, v66, v207, -v67
	s_clause 0x1
	scratch_load_b32 v67, off, off offset:728
	scratch_load_b32 v207, off, off offset:1124 th:TH_LOAD_LU
	s_wait_loadcnt 0x8
	v_mul_i32_i24_e32 v125, v33, v223
	s_wait_loadcnt 0x7
	v_mul_i32_i24_e32 v121, v29, v121
	s_wait_loadcnt 0x6
	v_mul_i32_i24_e32 v122, v30, v122
	s_wait_loadcnt 0x5
	v_mul_i32_i24_e32 v123, v31, v123
	s_wait_loadcnt 0x4
	v_mul_i32_i24_e32 v124, v32, v124
	s_wait_loadcnt 0x1
	v_add_f32_e32 v67, v67, v66
	v_mul_i32_i24_e32 v66, v2, v220
	scratch_load_b32 v220, off, off offset:1144 th:TH_LOAD_LU ; 4-byte Folded Reload
	scratch_store_b32 off, v67, off offset:728 ; 4-byte Folded Spill
	v_mul_i32_i24_e32 v67, v4, v221
	v_mad_i32_i24 v66, v3, v194, v66
	s_clause 0x1
	scratch_load_b32 v194, off, off offset:508 th:TH_LOAD_LU
	scratch_load_b32 v221, off, off offset:636 th:TH_LOAD_LU
	v_add3_u32 v66, v66, v67, v68
	v_mul_i32_i24_e32 v67, v6, v237
	v_mul_i32_i24_e32 v68, v7, v240
	s_clause 0x1
	scratch_load_b32 v237, off, off offset:548 th:TH_LOAD_LU
	scratch_load_b32 v240, off, off offset:556 th:TH_LOAD_LU
	v_add3_u32 v66, v66, v67, v68
	scratch_load_b32 v68, off, off offset:36 ; 4-byte Folded Reload
	v_fma_mix_f32 v67, v189, v0, 0 op_sel:[0,1,0] op_sel_hi:[0,1,0]
	v_add3_u32 v66, v66, v78, v79
	s_clause 0x1
	scratch_load_b32 v78, off, off offset:40
	scratch_load_b32 v79, off, off offset:52
	v_add3_u32 v66, v66, v80, v81
	scratch_load_b32 v80, off, off offset:44 ; 4-byte Folded Reload
	v_mul_i32_i24_e32 v81, v35, v217
	v_add3_u32 v66, v66, v82, v83
	v_mul_i32_i24_e32 v82, v48, v167
	v_mul_i32_i24_e32 v83, v49, v230
	scratch_load_b32 v230, off, off offset:220 th:TH_LOAD_LU ; 4-byte Folded Reload
	v_add3_u32 v66, v66, v84, v85
	v_mul_i32_i24_e32 v84, v50, v196
	v_mul_i32_i24_e32 v85, v36, v165
	scratch_load_b32 v196, off, off offset:640 th:TH_LOAD_LU ; 4-byte Folded Reload
	v_add3_u32 v66, v66, v86, v88
	v_mul_i32_i24_e32 v86, v51, v168
	v_mul_i32_i24_e32 v88, v52, v190
	s_delay_alu instid0(VALU_DEP_3) | instskip(SKIP_2) | instid1(VALU_DEP_3)
	v_add3_u32 v66, v66, v93, v99
	v_mul_i32_i24_e32 v93, v53, v175
	v_mul_i32_i24_e32 v99, v37, v171
	v_add3_u32 v66, v66, v101, v102
	v_mul_i32_i24_e32 v101, v54, v163
	scratch_load_b32 v163, off, off offset:440 th:TH_LOAD_LU ; 4-byte Folded Reload
	v_mul_i32_i24_e32 v102, v55, v239
	scratch_load_b32 v239, off, off offset:552 th:TH_LOAD_LU ; 4-byte Folded Reload
	v_add3_u32 v66, v66, v103, v104
	v_mul_i32_i24_e32 v104, v38, v176
	s_delay_alu instid0(VALU_DEP_2) | instskip(SKIP_2) | instid1(VALU_DEP_3)
	v_add3_u32 v66, v66, v116, v117
	v_mul_i32_i24_e32 v116, v57, v177
	v_mul_i32_i24_e32 v117, v58, v179
	v_add3_u32 v66, v66, v118, v119
	v_mul_i32_i24_e32 v118, v59, v172
	v_mul_i32_i24_e32 v119, v39, v188
	s_delay_alu instid0(VALU_DEP_3) | instskip(SKIP_2) | instid1(VALU_DEP_3)
	v_add3_u32 v66, v66, v120, v121
	v_mul_i32_i24_e32 v120, v60, v181
	v_mul_i32_i24_e32 v121, v61, v186
	v_add3_u32 v66, v66, v122, v123
	v_mul_i32_i24_e32 v122, v62, v185
	v_mul_i32_i24_e32 v123, v40, v183
	s_delay_alu instid0(VALU_DEP_3) | instskip(SKIP_2) | instid1(VALU_DEP_3)
	v_add3_u32 v66, v66, v124, v125
	v_mul_i32_i24_e32 v124, v63, v174
	v_mul_i32_i24_e32 v125, v64, v191
	v_mul_lo_u32 v66, v66, v187
	s_delay_alu instid0(VALU_DEP_1) | instskip(NEXT) | instid1(VALU_DEP_1)
	v_cvt_f32_i32_e32 v66, v66
	v_fma_mix_f32 v66, v0, v66, 0 op_sel_hi:[1,0,0]
	s_wait_loadcnt 0x7
	v_mul_i32_i24_e32 v68, v42, v68
	s_wait_loadcnt 0x6
	v_mul_i32_i24_e32 v78, v44, v78
	;; [unrolled: 2-line block ×3, first 2 shown]
	s_wait_loadcnt 0x4
	v_mad_i32_i24 v68, v43, v80, v68
	scratch_load_b32 v80, off, off offset:64 ; 4-byte Folded Reload
	v_add3_u32 v68, v68, v78, v79
	scratch_load_b32 v78, off, off offset:60 ; 4-byte Folded Reload
	v_mul_i32_i24_e32 v79, v46, v184
	s_wait_loadcnt 0x3
	v_mul_i32_i24_e32 v103, v56, v163
	s_wait_loadcnt 0x1
	;; [unrolled: 2-line block ×3, first 2 shown]
	v_mul_i32_i24_e32 v78, v45, v78
	s_delay_alu instid0(VALU_DEP_1) | instskip(SKIP_2) | instid1(VALU_DEP_3)
	v_add3_u32 v68, v68, v78, v79
	v_mul_i32_i24_e32 v78, v8, v230
	v_mul_i32_i24_e32 v79, v9, v231
	v_add3_u32 v68, v68, v80, v81
	v_mul_i32_i24_e32 v80, v10, v233
	v_mul_i32_i24_e32 v81, v11, v234
	s_delay_alu instid0(VALU_DEP_3) | instskip(SKIP_2) | instid1(VALU_DEP_3)
	v_add3_u32 v68, v68, v82, v83
	v_mul_i32_i24_e32 v82, v12, v235
	v_mul_i32_i24_e32 v83, v13, v236
	v_add3_u32 v68, v68, v84, v85
	v_mul_i32_i24_e32 v84, v14, v237
	v_mul_i32_i24_e32 v85, v15, v238
	s_delay_alu instid0(VALU_DEP_3) | instskip(SKIP_2) | instid1(VALU_DEP_3)
	;; [unrolled: 7-line block ×3, first 2 shown]
	v_add3_u32 v68, v68, v101, v102
	v_mul_i32_i24_e32 v101, v20, v197
	v_mul_i32_i24_e32 v102, v21, v198
	v_add3_u32 v68, v68, v103, v104
	scratch_load_b32 v104, off, off offset:176 ; 4-byte Folded Reload
	v_mul_i32_i24_e32 v103, v22, v199
	v_add3_u32 v68, v68, v116, v117
	v_mul_i32_i24_e32 v116, v24, v201
	v_mul_i32_i24_e32 v117, v25, v202
	s_delay_alu instid0(VALU_DEP_3) | instskip(SKIP_2) | instid1(VALU_DEP_3)
	v_add3_u32 v68, v68, v118, v119
	v_mul_i32_i24_e32 v118, v26, v203
	v_mul_i32_i24_e32 v119, v27, v204
	v_add3_u32 v68, v68, v120, v121
	v_mul_i32_i24_e32 v120, v28, v206
	v_mul_i32_i24_e32 v121, v29, v249
	s_delay_alu instid0(VALU_DEP_3) | instskip(SKIP_2) | instid1(VALU_DEP_3)
	v_add3_u32 v68, v68, v122, v123
	v_mul_i32_i24_e32 v122, v30, v253
	v_mul_i32_i24_e32 v123, v31, v254
	v_add3_u32 v68, v68, v124, v125
	scratch_load_b32 v125, off, off offset:96 ; 4-byte Folded Reload
	v_mul_i32_i24_e32 v124, v32, v210
	v_add3_u32 v68, v68, v126, v129
	v_mul_i32_i24_e32 v129, v41, v243
	s_delay_alu instid0(VALU_DEP_2) | instskip(SKIP_2) | instid1(VALU_DEP_1)
	v_mul_lo_u32 v68, v68, v169
	scratch_load_b32 v169, off, off offset:988 th:TH_LOAD_LU ; 4-byte Folded Reload
	v_cvt_f32_i32_e32 v68, v68
	v_fma_mix_f32 v66, v1, v68, v66 op_sel_hi:[1,0,0]
	v_mul_i32_i24_e32 v68, v5, v227
	v_mul_i32_i24_e32 v5, v5, v145
	s_wait_loadcnt 0x2
	v_mul_i32_i24_e32 v104, v23, v104
	s_wait_loadcnt 0x1
	v_mul_i32_i24_e32 v125, v33, v125
	s_wait_loadcnt 0x0
	v_fma_mix_f32 v67, v169, v1, v67 op_sel:[0,1,0] op_sel_hi:[0,1,0]
	s_delay_alu instid0(VALU_DEP_1) | instskip(NEXT) | instid1(VALU_DEP_1)
	v_mul_f32_e32 v67, v67, v192
	v_fma_f32 v66, v66, v166, -v67
	scratch_load_b32 v67, off, off offset:724 ; 4-byte Folded Reload
	s_wait_loadcnt 0x0
	v_add_f32_e32 v67, v67, v66
	v_mul_i32_i24_e32 v66, v2, v193
	v_mul_i32_i24_e32 v2, v2, v142
	scratch_store_b32 off, v67, off offset:724 ; 4-byte Folded Spill
	v_mul_i32_i24_e32 v67, v4, v225
	v_mad_i32_i24 v66, v3, v226, v66
	v_mul_i32_i24_e32 v4, v4, v143
	v_mad_i32_i24 v2, v3, v133, v2
	scratch_load_b32 v133, off, off offset:580 th:TH_LOAD_LU ; 4-byte Folded Reload
	v_mul_i32_i24_e32 v3, v6, v134
	scratch_load_b32 v134, off, off offset:584 th:TH_LOAD_LU ; 4-byte Folded Reload
	v_add3_u32 v66, v66, v67, v68
	v_mul_i32_i24_e32 v67, v6, v228
	v_mul_i32_i24_e32 v68, v7, v229
	v_add3_u32 v2, v2, v4, v5
	v_mul_i32_i24_e32 v4, v7, v135
	v_mul_i32_i24_e32 v5, v8, v136
	s_clause 0x1
	scratch_load_b32 v135, off, off offset:608 th:TH_LOAD_LU
	scratch_load_b32 v136, off, off offset:1240 th:TH_LOAD_LU
	v_mul_i32_i24_e32 v7, v10, v138
	scratch_load_b32 v138, off, off offset:572 th:TH_LOAD_LU ; 4-byte Folded Reload
	v_mul_i32_i24_e32 v6, v9, v137
	scratch_load_b32 v137, off, off offset:576 th:TH_LOAD_LU ; 4-byte Folded Reload
	v_mul_i32_i24_e32 v8, v11, v255
	v_mul_i32_i24_e32 v9, v12, v140
	;; [unrolled: 1-line block ×18, first 2 shown]
	v_dual_mov_b32 v148, v149 :: v_dual_mov_b32 v149, v150
	v_dual_mov_b32 v150, v151 :: v_dual_mov_b32 v151, v152
	;; [unrolled: 1-line block ×5, first 2 shown]
	v_add3_u32 v66, v66, v67, v68
	v_mul_i32_i24_e32 v68, v42, v207
	v_add3_u32 v2, v2, v3, v4
	v_mul_i32_i24_e32 v3, v42, v130
	v_mul_i32_i24_e32 v4, v44, v131
	v_fma_mix_f32 v67, v248, v0, 0 op_sel:[0,1,0] op_sel_hi:[0,1,0]
	v_add3_u32 v66, v66, v78, v79
	scratch_load_b32 v79, off, off offset:340 ; 4-byte Folded Reload
	v_mul_i32_i24_e32 v78, v44, v208
	v_mad_i32_i24 v68, v43, v209, v68
	v_add3_u32 v2, v2, v5, v6
	v_mul_i32_i24_e32 v5, v34, v132
	v_mad_i32_i24 v3, v43, v128, v3
	v_mul_i32_i24_e32 v6, v47, v74
	v_add3_u32 v66, v66, v80, v81
	v_mul_i32_i24_e32 v81, v35, v211
	v_add3_u32 v2, v2, v7, v8
	v_add3_u32 v3, v3, v4, v5
	v_mul_i32_i24_e32 v4, v45, v73
	v_mul_i32_i24_e32 v5, v46, v75
	;; [unrolled: 1-line block ×4, first 2 shown]
	v_add3_u32 v66, v66, v82, v83
	scratch_load_b32 v82, off, off offset:88 ; 4-byte Folded Reload
	v_mul_i32_i24_e32 v83, v49, v246
	v_add3_u32 v3, v3, v4, v5
	v_add3_u32 v2, v2, v9, v10
	v_mul_i32_i24_e32 v9, v49, v89
	v_mul_i32_i24_e32 v10, v50, v251
	v_mov_b32_e32 v251, v71
	v_add3_u32 v66, v66, v84, v85
	v_mul_i32_i24_e32 v84, v50, v212
	v_mul_i32_i24_e32 v85, v36, v213
	v_add3_u32 v3, v3, v6, v7
	v_add3_u32 v2, v2, v11, v12
	v_mul_i32_i24_e32 v11, v36, v90
	v_mul_i32_i24_e32 v12, v51, v91
	v_add3_u32 v66, v66, v86, v88
	scratch_load_b32 v86, off, off offset:92 ; 4-byte Folded Reload
	v_mul_i32_i24_e32 v88, v52, v247
	v_add3_u32 v3, v3, v8, v9
	v_add3_u32 v2, v2, v13, v14
	v_mul_i32_i24_e32 v13, v52, v94
	v_mul_i32_i24_e32 v14, v53, v92
	v_add3_u32 v66, v66, v93, v99
	v_mul_i32_i24_e32 v93, v53, v214
	v_mul_i32_i24_e32 v99, v37, v215
	v_add3_u32 v3, v3, v10, v11
	v_add3_u32 v2, v2, v15, v16
	v_mul_i32_i24_e32 v15, v37, v95
	v_mul_i32_i24_e32 v16, v54, v96
	v_add3_u32 v66, v66, v101, v102
	v_mul_i32_i24_e32 v101, v54, v245
	v_mul_i32_i24_e32 v102, v55, v224
	v_add3_u32 v3, v3, v12, v13
	v_add3_u32 v2, v2, v17, v18
	v_mul_i32_i24_e32 v17, v55, v98
	v_mul_i32_i24_e32 v18, v56, v97
	v_add3_u32 v66, v66, v103, v104
	s_clause 0x1
	scratch_load_b32 v103, off, off offset:68
	scratch_load_b32 v104, off, off offset:268
	v_add3_u32 v3, v3, v14, v15
	v_add3_u32 v2, v2, v19, v20
	v_mul_i32_i24_e32 v19, v38, v100
	v_mul_i32_i24_e32 v20, v57, v105
	v_add3_u32 v66, v66, v116, v117
	v_mul_i32_i24_e32 v116, v57, v219
	v_add3_u32 v3, v3, v16, v17
	v_add3_u32 v2, v2, v21, v22
	v_mul_i32_i24_e32 v21, v58, v107
	v_mul_i32_i24_e32 v22, v59, v106
	v_add3_u32 v66, v66, v118, v119
	v_mul_i32_i24_e32 v118, v59, v194
	v_mul_i32_i24_e32 v119, v39, v220
	v_add3_u32 v3, v3, v18, v19
	v_add3_u32 v2, v2, v23, v24
	v_mul_i32_i24_e32 v23, v39, v108
	v_mul_i32_i24_e32 v24, v60, v109
	v_add3_u32 v66, v66, v120, v121
	v_mul_i32_i24_e32 v120, v60, v221
	v_mul_i32_i24_e32 v121, v61, v195
	v_add3_u32 v3, v3, v20, v21
	s_delay_alu instid0(VALU_DEP_4)
	v_add3_u32 v66, v66, v122, v123
	scratch_load_b32 v123, off, off offset:520 ; 4-byte Folded Reload
	v_mul_i32_i24_e32 v122, v62, v244
	v_add3_u32 v3, v3, v22, v23
	v_add3_u32 v66, v66, v124, v125
	v_mul_i32_i24_e32 v125, v64, v173
	scratch_load_b32 v173, off, off offset:1072 th:TH_LOAD_LU ; 4-byte Folded Reload
	v_mul_i32_i24_e32 v124, v63, v196
	v_mul_lo_u32 v66, v66, v205
	s_delay_alu instid0(VALU_DEP_1) | instskip(NEXT) | instid1(VALU_DEP_1)
	v_cvt_f32_i32_e32 v66, v66
	v_fma_mix_f32 v66, v0, v66, 0 op_sel_hi:[1,0,0]
	s_wait_loadcnt 0xc
	v_mul_i32_i24_e32 v26, v29, v133
	s_delay_alu instid0(VALU_DEP_1)
	v_add3_u32 v2, v2, v25, v26
	v_mul_i32_i24_e32 v25, v61, v111
	v_mul_i32_i24_e32 v26, v62, v110
	s_wait_loadcnt 0xa
	v_mul_i32_i24_e32 v27, v30, v135
	s_wait_loadcnt 0x9
	v_mul_i32_i24_e32 v28, v31, v136
	v_mul_i32_i24_e32 v30, v33, v134
	s_wait_loadcnt 0x8
	v_mul_i32_i24_e32 v29, v32, v138
	v_mul_i32_i24_e32 v31, v41, v127
	v_add3_u32 v3, v3, v24, v25
	v_add3_u32 v2, v2, v27, v28
	v_mul_i32_i24_e32 v27, v40, v112
	v_mul_i32_i24_e32 v28, v63, v113
	s_delay_alu instid0(VALU_DEP_3) | instskip(SKIP_1) | instid1(VALU_DEP_4)
	v_add3_u32 v2, v2, v29, v30
	v_mul_i32_i24_e32 v29, v64, v115
	v_add3_u32 v3, v3, v26, v27
	v_mul_i32_i24_e32 v30, v65, v114
	s_delay_alu instid0(VALU_DEP_4) | instskip(NEXT) | instid1(VALU_DEP_3)
	v_mul_lo_u32 v2, v2, v160
	v_add3_u32 v3, v3, v28, v29
	s_delay_alu instid0(VALU_DEP_1) | instskip(NEXT) | instid1(VALU_DEP_3)
	v_add3_u32 v3, v3, v30, v31
	v_cvt_f32_i32_e32 v2, v2
	s_delay_alu instid0(VALU_DEP_2) | instskip(NEXT) | instid1(VALU_DEP_2)
	v_mul_lo_u32 v3, v3, v72
	v_fma_mix_f32 v2, v0, v2, 0 op_sel_hi:[1,0,0]
	s_wait_loadcnt 0x7
	v_fma_mix_f32 v0, v137, v0, 0 op_sel:[0,1,0] op_sel_hi:[0,1,0]
	s_delay_alu instid0(VALU_DEP_1) | instskip(NEXT) | instid1(VALU_DEP_4)
	v_fma_mix_f32 v0, v71, v1, v0 op_sel:[0,1,0] op_sel_hi:[0,1,0]
	v_cvt_f32_i32_e32 v3, v3
	s_wait_loadcnt 0x6
	v_mul_i32_i24_e32 v79, v34, v79
	s_delay_alu instid0(VALU_DEP_2) | instskip(NEXT) | instid1(VALU_DEP_2)
	v_fma_mix_f32 v2, v1, v3, v2 op_sel_hi:[1,0,0]
	v_add3_u32 v68, v68, v78, v79
	v_mul_i32_i24_e32 v79, v46, v180
	scratch_load_b32 v180, off, off offset:1056 th:TH_LOAD_LU ; 4-byte Folded Reload
	v_mul_i32_i24_e32 v78, v45, v182
	scratch_load_b32 v182, off, off offset:512 th:TH_LOAD_LU ; 4-byte Folded Reload
	v_add3_u32 v68, v68, v78, v79
	s_wait_loadcnt 0x7
	v_mul_i32_i24_e32 v82, v48, v82
	s_wait_loadcnt 0x6
	v_mul_i32_i24_e32 v86, v51, v86
	;; [unrolled: 2-line block ×8, first 2 shown]
	s_delay_alu instid0(VALU_DEP_2) | instskip(NEXT) | instid1(VALU_DEP_1)
	v_add3_u32 v68, v68, v80, v81
	v_add3_u32 v68, v68, v82, v83
	s_delay_alu instid0(VALU_DEP_1) | instskip(NEXT) | instid1(VALU_DEP_1)
	v_add3_u32 v68, v68, v84, v85
	v_add3_u32 v68, v68, v86, v88
	s_delay_alu instid0(VALU_DEP_1) | instskip(NEXT) | instid1(VALU_DEP_1)
	;; [unrolled: 3-line block ×5, first 2 shown]
	v_add3_u32 v68, v68, v122, v123
	v_add3_u32 v68, v68, v124, v125
	s_delay_alu instid0(VALU_DEP_1)
	v_add3_u32 v68, v68, v126, v129
	s_clause 0x1
	scratch_load_b32 v129, off, off offset:1080 th:TH_LOAD_LU
	scratch_load_b32 v126, off, off offset:1084 th:TH_LOAD_LU
	s_wait_loadcnt 0x1
	v_mul_lo_u32 v68, v68, v129
	s_wait_loadcnt 0x0
	v_fma_mix_f32 v67, v126, v1, v67 op_sel:[0,1,0] op_sel_hi:[0,1,0]
	s_delay_alu instid0(VALU_DEP_1) | instskip(NEXT) | instid1(VALU_DEP_3)
	v_mul_f32_e32 v67, v67, v178
	v_cvt_f32_i32_e32 v68, v68
	s_delay_alu instid0(VALU_DEP_1)
	v_fma_mix_f32 v66, v1, v68, v66 op_sel_hi:[1,0,0]
	scratch_load_b32 v1, off, off           ; 4-byte Folded Reload
	v_fma_f32 v66, v66, v87, -v67
	scratch_load_b32 v67, off, off offset:720 ; 4-byte Folded Reload
	s_wait_loadcnt 0x1
	v_mul_f32_e32 v0, v0, v1
	scratch_load_b32 v1, off, off offset:28 ; 4-byte Folded Reload
	s_wait_loadcnt 0x1
	v_add_f32_e32 v67, v67, v66
	s_wait_loadcnt 0x0
	v_fma_f32 v0, v2, v1, -v0
	scratch_load_b32 v1, off, off offset:716 ; 4-byte Folded Reload
	s_wait_loadcnt 0x0
	v_add_f32_e32 v1, v1, v0
	scratch_load_b32 v0, off, off offset:1276 ; 4-byte Folded Reload
	s_clause 0x1
	scratch_store_b32 off, v67, off offset:720
	scratch_store_b32 off, v1, off offset:716
	s_wait_loadcnt 0x0
	v_or_b32_e32 v0, s13, v0
	s_delay_alu instid0(VALU_DEP_1)
	v_lshlrev_b32_e32 v1, 2, v0
	v_lshrrev_b32_e32 v16, 1, v0
	ds_load_b128 v[8:11], v1 offset:16896
	ds_load_b128 v[12:15], v1 offset:16912
	;; [unrolled: 1-line block ×4, first 2 shown]
	s_clause 0x3
	scratch_load_b32 v66, off, off offset:708 th:TH_LOAD_LU
	scratch_load_b32 v70, off, off offset:912 th:TH_LOAD_LU
	;; [unrolled: 1-line block ×4, first 2 shown]
	s_wait_dscnt 0x3
	v_bfe_i32 v62, v8, 0, 8
	v_bfe_i32 v65, v8, 8, 8
	;; [unrolled: 1-line block ×3, first 2 shown]
	v_ashrrev_i32_e32 v60, 24, v9
	v_bfe_i32 v58, v10, 0, 8
	v_bfe_i32 v56, v10, 8, 8
	;; [unrolled: 1-line block ×3, first 2 shown]
	v_ashrrev_i32_e32 v54, 24, v10
	v_bfe_i32 v52, v11, 8, 8
	v_bfe_i32 v51, v11, 16, 8
	v_ashrrev_i32_e32 v50, 24, v11
	v_bfe_i32 v59, v8, 16, 8
	v_ashrrev_i32_e32 v57, 24, v8
	v_bfe_i32 v64, v9, 0, 8
	v_bfe_i32 v63, v9, 8, 8
	;; [unrolled: 1-line block ×3, first 2 shown]
	s_wait_dscnt 0x2
	v_bfe_i32 v47, v12, 16, 8
	v_ashrrev_i32_e32 v46, 24, v12
	v_bfe_i32 v45, v13, 0, 8
	v_bfe_i32 v44, v13, 8, 8
	;; [unrolled: 1-line block ×3, first 2 shown]
	s_wait_dscnt 0x1
	v_ashrrev_i32_e32 v25, 24, v6
	v_mul_i32_i24_e32 v84, v170, v53
	v_ashrrev_i32_e32 v42, 24, v13
	v_bfe_i32 v26, v7, 0, 8
	v_bfe_i32 v41, v14, 0, 8
	;; [unrolled: 1-line block ×8, first 2 shown]
	v_mul_i32_i24_e32 v93, v216, v49
	v_mul_i32_i24_e32 v99, v218, v48
	s_wait_dscnt 0x0
	v_bfe_i32 v17, v0, 0, 8
	v_ashrrev_i32_e32 v38, 24, v14
	ds_load_b64 v[11:12], v16 offset:27200
	v_bfe_i32 v16, v0, 8, 8
	v_bfe_i32 v37, v15, 0, 8
	;; [unrolled: 1-line block ×4, first 2 shown]
	v_ashrrev_i32_e32 v34, 24, v15
	v_ashrrev_i32_e32 v15, 24, v0
	v_bfe_i32 v13, v1, 0, 8
	v_bfe_i32 v14, v1, 8, 8
	;; [unrolled: 1-line block ×4, first 2 shown]
	v_ashrrev_i32_e32 v9, 24, v1
	v_bfe_i32 v20, v4, 0, 8
	v_bfe_i32 v21, v4, 8, 8
	v_ashrrev_i32_e32 v18, 24, v4
	v_bfe_i32 v4, v2, 0, 8
	v_bfe_i32 v33, v5, 0, 8
	;; [unrolled: 1-line block ×4, first 2 shown]
	v_ashrrev_i32_e32 v29, 24, v5
	v_bfe_i32 v5, v2, 8, 8
	v_bfe_i32 v30, v6, 0, 8
	;; [unrolled: 1-line block ×5, first 2 shown]
	v_ashrrev_i32_e32 v2, 24, v2
	v_ashrrev_i32_e32 v22, 24, v7
	v_bfe_i32 v7, v3, 0, 8
	v_bfe_i32 v1, v3, 8, 8
	;; [unrolled: 1-line block ×4, first 2 shown]
	v_ashrrev_i32_e32 v3, 24, v3
	v_mul_i32_i24_e32 v94, v39, v162
	v_mul_i32_i24_e32 v97, v5, v186
	;; [unrolled: 1-line block ×8, first 2 shown]
	s_wait_loadcnt 0x3
	v_mul_i32_i24_e32 v66, v66, v62
	s_wait_loadcnt 0x1
	v_mul_i32_i24_e32 v67, v67, v59
	;; [unrolled: 2-line block ×3, first 2 shown]
	v_mad_i32_i24 v66, v70, v65, v66
	scratch_load_b32 v70, off, off offset:920 th:TH_LOAD_LU ; 4-byte Folded Reload
	v_add3_u32 v66, v66, v67, v68
	s_clause 0x1
	scratch_load_b32 v67, off, off offset:928 th:TH_LOAD_LU
	scratch_load_b32 v68, off, off offset:924 th:TH_LOAD_LU
	s_wait_loadcnt 0x2
	v_mul_i32_i24_e32 v78, v70, v61
	scratch_load_b32 v70, off, off offset:916 th:TH_LOAD_LU ; 4-byte Folded Reload
	s_wait_loadcnt 0x2
	v_mul_i32_i24_e32 v67, v67, v64
	s_wait_loadcnt 0x1
	v_mul_i32_i24_e32 v68, v68, v63
	s_delay_alu instid0(VALU_DEP_1)
	v_add3_u32 v66, v66, v67, v68
	s_clause 0x1
	scratch_load_b32 v67, off, off offset:172 th:TH_LOAD_LU
	scratch_load_b32 v68, off, off offset:880 th:TH_LOAD_LU
	s_wait_loadcnt 0x2
	v_mul_i32_i24_e32 v79, v70, v60
	scratch_load_b32 v70, off, off offset:944 th:TH_LOAD_LU ; 4-byte Folded Reload
	v_add3_u32 v66, v66, v78, v79
	s_wait_loadcnt 0x1
	v_mul_i32_i24_e32 v68, v68, v20
	s_wait_loadcnt 0x0
	v_mul_i32_i24_e32 v80, v70, v58
	scratch_load_b32 v70, off, off offset:940 th:TH_LOAD_LU ; 4-byte Folded Reload
	s_wait_loadcnt 0x0
	v_mul_i32_i24_e32 v81, v70, v56
	scratch_load_b32 v70, off, off offset:936 th:TH_LOAD_LU ; 4-byte Folded Reload
	v_add3_u32 v66, v66, v80, v81
	v_mul_i32_i24_e32 v80, v250, v28
	v_mul_i32_i24_e32 v81, v232, v29
	s_wait_loadcnt 0x0
	v_mul_i32_i24_e32 v82, v70, v55
	scratch_load_b32 v70, off, off offset:932 th:TH_LOAD_LU ; 4-byte Folded Reload
	s_wait_loadcnt 0x0
	v_mul_i32_i24_e32 v83, v70, v54
	scratch_load_b32 v70, off, off offset:956 th:TH_LOAD_LU ; 4-byte Folded Reload
	v_add3_u32 v66, v66, v82, v83
	s_wait_loadcnt 0x0
	v_mul_i32_i24_e32 v85, v70, v52
	scratch_load_b32 v70, off, off offset:952 th:TH_LOAD_LU ; 4-byte Folded Reload
	v_add3_u32 v66, v66, v84, v85
	v_mul_i32_i24_e32 v85, v69, v25
	scratch_load_b32 v69, off, off offset:852 th:TH_LOAD_LU ; 4-byte Folded Reload
	s_wait_loadcnt 0x1
	v_mul_i32_i24_e32 v86, v70, v51
	scratch_load_b32 v70, off, off offset:948 th:TH_LOAD_LU ; 4-byte Folded Reload
	s_wait_loadcnt 0x0
	v_mul_i32_i24_e32 v88, v70, v50
	scratch_load_b32 v70, off, off offset:964 th:TH_LOAD_LU ; 4-byte Folded Reload
	v_add3_u32 v66, v66, v86, v88
	v_mul_i32_i24_e32 v86, v69, v26
	scratch_load_b32 v69, off, off offset:848 th:TH_LOAD_LU ; 4-byte Folded Reload
	v_add3_u32 v66, v66, v93, v99
	v_mul_i32_i24_e32 v99, v139, v22
	s_wait_loadcnt 0x1
	v_mul_i32_i24_e32 v101, v70, v47
	scratch_load_b32 v70, off, off offset:960 th:TH_LOAD_LU ; 4-byte Folded Reload
	s_wait_loadcnt 0x1
	v_mul_i32_i24_e32 v88, v69, v24
	scratch_load_b32 v69, off, off offset:844 th:TH_LOAD_LU ; 4-byte Folded Reload
	;; [unrolled: 3-line block ×3, first 2 shown]
	v_add3_u32 v66, v66, v101, v102
	s_wait_loadcnt 0x1
	v_mul_i32_i24_e32 v93, v69, v23
	scratch_load_b32 v69, off, off offset:896 th:TH_LOAD_LU ; 4-byte Folded Reload
	s_wait_loadcnt 0x1
	v_mul_i32_i24_e32 v103, v70, v45
	scratch_load_b32 v70, off, off offset:1192 th:TH_LOAD_LU ; 4-byte Folded Reload
	;; [unrolled: 3-line block ×4, first 2 shown]
	v_add3_u32 v66, v66, v103, v104
	s_wait_loadcnt 0x1
	v_mul_i32_i24_e32 v102, v69, v16
	scratch_load_b32 v69, off, off offset:400 th:TH_LOAD_LU ; 4-byte Folded Reload
	v_mul_i32_i24_e32 v103, v147, v10
	s_wait_loadcnt 0x1
	v_mul_i32_i24_e32 v116, v70, v43
	scratch_load_b32 v70, off, off offset:1188 th:TH_LOAD_LU ; 4-byte Folded Reload
	s_wait_loadcnt 0x1
	v_mul_i32_i24_e32 v104, v69, v15
	scratch_load_b32 v69, off, off offset:900 th:TH_LOAD_LU ; 4-byte Folded Reload
	s_wait_loadcnt 0x1
	v_mul_i32_i24_e32 v117, v70, v42
	scratch_load_b32 v70, off, off offset:892 th:TH_LOAD_LU ; 4-byte Folded Reload
	v_add3_u32 v66, v66, v116, v117
	s_wait_loadcnt 0x1
	v_mul_i32_i24_e32 v77, v69, v13
	scratch_load_b32 v69, off, off offset:864 th:TH_LOAD_LU ; 4-byte Folded Reload
	s_wait_loadcnt 0x1
	v_mul_i32_i24_e32 v118, v70, v41
	scratch_load_b32 v70, off, off offset:888 th:TH_LOAD_LU ; 4-byte Folded Reload
	s_wait_loadcnt 0x1
	v_mul_i32_i24_e32 v116, v69, v14
	scratch_load_b32 v69, off, off offset:404 th:TH_LOAD_LU ; 4-byte Folded Reload
	s_wait_loadcnt 0x1
	v_mul_i32_i24_e32 v119, v70, v40
	scratch_load_b32 v70, off, off offset:884 th:TH_LOAD_LU ; 4-byte Folded Reload
	v_add3_u32 v66, v66, v118, v119
	s_wait_loadcnt 0x1
	v_mul_i32_i24_e32 v117, v69, v8
	scratch_load_b32 v69, off, off offset:860 th:TH_LOAD_LU ; 4-byte Folded Reload
	;; [unrolled: 13-line block ×4, first 2 shown]
	s_wait_loadcnt 0x1
	v_mul_i32_i24_e32 v124, v70, v35
	scratch_load_b32 v70, off, off offset:164 th:TH_LOAD_LU ; 4-byte Folded Reload
	s_wait_loadcnt 0x1
	v_mul_i32_i24_e32 v119, v69, v2
	s_wait_loadcnt 0x0
	v_mul_i32_i24_e32 v125, v70, v34
	scratch_load_b32 v70, off, off offset:876 th:TH_LOAD_LU ; 4-byte Folded Reload
	v_add3_u32 v66, v66, v124, v125
	s_delay_alu instid0(VALU_DEP_1) | instskip(SKIP_3) | instid1(VALU_DEP_1)
	v_mul_lo_u32 v66, v66, v67
	scratch_load_b32 v67, off, off offset:392 th:TH_LOAD_LU ; 4-byte Folded Reload
	v_cvt_f32_i32_e32 v66, v66
	s_wait_dscnt 0x0
	v_fma_mix_f32 v66, v11, v66, 0 op_sel_hi:[1,0,0]
	s_wait_loadcnt 0x1
	v_mul_i32_i24_e32 v78, v70, v19
	scratch_load_b32 v70, off, off offset:416 th:TH_LOAD_LU ; 4-byte Folded Reload
	s_wait_loadcnt 0x1
	v_fma_mix_f32 v67, v67, v11, 0 op_sel:[0,1,0] op_sel_hi:[0,1,0]
	s_wait_loadcnt 0x0
	v_mul_i32_i24_e32 v79, v70, v18
	scratch_load_b32 v70, off, off offset:384 th:TH_LOAD_LU ; 4-byte Folded Reload
	s_wait_loadcnt 0x0
	v_mad_i32_i24 v68, v70, v21, v68
	scratch_load_b32 v70, off, off offset:840 th:TH_LOAD_LU ; 4-byte Folded Reload
	v_add3_u32 v68, v68, v78, v79
	v_mul_i32_i24_e32 v78, v164, v33
	v_mul_i32_i24_e32 v79, v252, v32
	s_delay_alu instid0(VALU_DEP_1) | instskip(NEXT) | instid1(VALU_DEP_1)
	v_add3_u32 v68, v68, v78, v79
	v_add3_u32 v68, v68, v80, v81
	s_wait_loadcnt 0x0
	v_mul_i32_i24_e32 v82, v70, v30
	scratch_load_b32 v70, off, off offset:712 th:TH_LOAD_LU ; 4-byte Folded Reload
	s_wait_loadcnt 0x0
	v_mul_i32_i24_e32 v83, v70, v31
	s_clause 0x5
	scratch_load_b32 v70, off, off offset:420 th:TH_LOAD_LU
	scratch_load_b32 v130, off, off offset:828 th:TH_LOAD_LU
	;; [unrolled: 1-line block ×6, first 2 shown]
	v_add3_u32 v68, v68, v82, v83
	s_clause 0x3
	scratch_load_b32 v80, off, off offset:144 th:TH_LOAD_LU
	scratch_load_b32 v81, off, off offset:148 th:TH_LOAD_LU
	;; [unrolled: 1-line block ×4, first 2 shown]
	s_wait_loadcnt 0x9
	v_mul_i32_i24_e32 v84, v70, v27
	s_wait_loadcnt 0x7
	v_mul_i32_i24_e32 v70, v69, v7
	scratch_load_b32 v69, off, off offset:412 th:TH_LOAD_LU ; 4-byte Folded Reload
	s_wait_loadcnt 0x6
	v_mul_i32_i24_e32 v78, v50, v78
	s_wait_loadcnt 0x5
	v_mul_i32_i24_e32 v79, v49, v79
	v_add3_u32 v68, v68, v84, v85
	s_clause 0x1
	scratch_load_b32 v84, off, off offset:136 th:TH_LOAD_LU
	scratch_load_b32 v85, off, off offset:12 th:TH_LOAD_LU
	s_wait_loadcnt 0x6
	v_mul_i32_i24_e32 v80, v48, v80
	s_wait_loadcnt 0x5
	v_mul_i32_i24_e32 v81, v47, v81
	v_add3_u32 v68, v68, v86, v88
	v_mul_i32_i24_e32 v88, v41, v87
	s_clause 0x1
	scratch_load_b32 v87, off, off offset:380 th:TH_LOAD_LU
	scratch_load_b32 v86, off, off offset:20 th:TH_LOAD_LU
	s_wait_loadcnt 0x6
	v_mul_i32_i24_e32 v82, v46, v82
	v_add3_u32 v68, v68, v93, v99
	s_wait_loadcnt 0x5
	v_mul_i32_i24_e32 v83, v45, v83
	s_delay_alu instid0(VALU_DEP_2) | instskip(NEXT) | instid1(VALU_DEP_1)
	v_add3_u32 v68, v68, v101, v102
	v_add3_u32 v68, v68, v103, v104
	v_mul_i32_i24_e32 v104, v34, v223
	s_delay_alu instid0(VALU_DEP_2) | instskip(SKIP_2) | instid1(VALU_DEP_1)
	v_add3_u32 v68, v68, v77, v116
	scratch_load_b32 v77, off, off offset:372 th:TH_LOAD_LU ; 4-byte Folded Reload
	v_add3_u32 v68, v68, v117, v118
	v_add3_u32 v68, v68, v73, v75
	s_clause 0x1
	scratch_load_b32 v73, off, off offset:120 th:TH_LOAD_LU
	scratch_load_b32 v75, off, off offset:368 th:TH_LOAD_LU
	v_add3_u32 v68, v68, v76, v119
	scratch_load_b32 v76, off, off offset:128 th:TH_LOAD_LU ; 4-byte Folded Reload
	s_wait_loadcnt 0x8
	v_mul_i32_i24_e32 v71, v69, v1
	scratch_load_b32 v69, off, off offset:388 th:TH_LOAD_LU ; 4-byte Folded Reload
	s_wait_loadcnt 0x8
	v_mul_i32_i24_e32 v84, v44, v84
	v_add3_u32 v68, v68, v70, v71
	s_clause 0x1
	scratch_load_b32 v70, off, off offset:696 th:TH_LOAD_LU
	scratch_load_b32 v71, off, off offset:112 th:TH_LOAD_LU
	s_wait_loadcnt 0x9
	v_mul_i32_i24_e32 v85, v43, v85
	s_wait_loadcnt 0x8
	v_mul_i32_i24_e32 v93, v40, v87
	scratch_load_b32 v87, off, off offset:32 th:TH_LOAD_LU ; 4-byte Folded Reload
	s_wait_loadcnt 0x8
	v_mul_i32_i24_e32 v86, v42, v86
	s_wait_loadcnt 0x7
	v_mul_i32_i24_e32 v77, v51, v77
	;; [unrolled: 2-line block ×6, first 2 shown]
	scratch_load_b32 v69, off, off offset:408 th:TH_LOAD_LU ; 4-byte Folded Reload
	s_wait_loadcnt 0x3
	v_mul_i32_i24_e32 v70, v60, v70
	s_wait_loadcnt 0x2
	v_mul_i32_i24_e32 v71, v58, v71
	;; [unrolled: 2-line block ×4, first 2 shown]
	scratch_load_b32 v69, off, off offset:904 th:TH_LOAD_LU ; 4-byte Folded Reload
	v_add3_u32 v68, v68, v72, v74
	s_clause 0x1
	scratch_load_b32 v72, off, off offset:116 th:TH_LOAD_LU
	scratch_load_b32 v74, off, off offset:124 th:TH_LOAD_LU
	s_wait_loadcnt 0x2
	v_mul_lo_u32 v68, v68, v69
	scratch_load_b32 v69, off, off offset:684 th:TH_LOAD_LU ; 4-byte Folded Reload
	s_wait_loadcnt 0x2
	v_mul_i32_i24_e32 v72, v56, v72
	s_wait_loadcnt 0x1
	v_mul_i32_i24_e32 v74, v54, v74
	v_cvt_f32_i32_e32 v68, v68
	s_delay_alu instid0(VALU_DEP_1)
	v_fma_mix_f32 v66, v12, v68, v66 op_sel_hi:[1,0,0]
	scratch_load_b32 v68, off, off offset:1180 th:TH_LOAD_LU ; 4-byte Folded Reload
	s_wait_loadcnt 0x0
	v_fma_mix_f32 v67, v68, v12, v67 op_sel:[0,1,0] op_sel_hi:[0,1,0]
	scratch_load_b32 v68, off, off offset:648 ; 4-byte Folded Reload
	s_wait_loadcnt 0x0
	v_mul_f32_e32 v67, v67, v68
	scratch_load_b32 v68, off, off offset:1168 ; 4-byte Folded Reload
	s_wait_loadcnt 0x0
	v_fma_f32 v66, v66, v68, -v67
	s_clause 0x1
	scratch_load_b32 v67, off, off offset:680 th:TH_LOAD_LU
	scratch_load_b32 v68, off, off offset:352 th:TH_LOAD_LU
	v_add_f32_e32 v130, v130, v66
	scratch_load_b32 v66, off, off offset:1176 th:TH_LOAD_LU ; 4-byte Folded Reload
	s_wait_loadcnt 0x2
	v_mul_i32_i24_e32 v67, v59, v67
	s_wait_loadcnt 0x1
	v_mul_i32_i24_e32 v68, v57, v68
	;; [unrolled: 2-line block ×3, first 2 shown]
	s_delay_alu instid0(VALU_DEP_1)
	v_mad_i32_i24 v66, v65, v69, v66
	scratch_load_b32 v69, off, off offset:692 th:TH_LOAD_LU ; 4-byte Folded Reload
	v_add3_u32 v66, v66, v67, v68
	s_clause 0x5
	scratch_load_b32 v67, off, off offset:364 th:TH_LOAD_LU
	scratch_load_b32 v68, off, off offset:688 th:TH_LOAD_LU
	scratch_load_b32 v200, off, off offset:1288
	scratch_load_b32 v87, off, off offset:48 th:TH_LOAD_LU
	scratch_load_b32 v127, off, off offset:832
	scratch_load_b32 v128, off, off offset:1284
	s_wait_loadcnt 0x6
	v_mul_i32_i24_e32 v69, v61, v69
	s_wait_loadcnt 0x5
	v_mul_i32_i24_e32 v67, v64, v67
	;; [unrolled: 2-line block ×4, first 2 shown]
	scratch_load_b32 v87, off, off offset:264 th:TH_LOAD_LU ; 4-byte Folded Reload
	v_add3_u32 v66, v66, v67, v68
	scratch_load_b32 v68, off, off offset:36 th:TH_LOAD_LU ; 4-byte Folded Reload
	v_fma_mix_f32 v67, v189, v11, 0 op_sel:[0,1,0] op_sel_hi:[0,1,0]
	v_add3_u32 v66, v66, v69, v70
	s_clause 0x1
	scratch_load_b32 v69, off, off offset:40 th:TH_LOAD_LU
	scratch_load_b32 v70, off, off offset:52 th:TH_LOAD_LU
	v_fma_mix_f32 v67, v169, v12, v67 op_sel:[0,1,0] op_sel_hi:[0,1,0]
	v_add3_u32 v66, v66, v71, v72
	scratch_load_b32 v71, off, off offset:44 th:TH_LOAD_LU ; 4-byte Folded Reload
	v_mul_i32_i24_e32 v72, v29, v217
	v_mul_f32_e32 v67, v67, v192
	v_add3_u32 v66, v66, v73, v74
	scratch_load_b32 v74, off, off offset:356 th:TH_LOAD_LU ; 4-byte Folded Reload
	v_mul_i32_i24_e32 v73, v30, v167
	v_add3_u32 v66, v66, v75, v76
	scratch_load_b32 v75, off, off offset:100 th:TH_LOAD_LU ; 4-byte Folded Reload
	v_mul_i32_i24_e32 v76, v25, v165
	v_add3_u32 v66, v66, v77, v78
	v_mul_i32_i24_e32 v77, v26, v168
	v_mul_i32_i24_e32 v78, v24, v190
	s_delay_alu instid0(VALU_DEP_3) | instskip(SKIP_2) | instid1(VALU_DEP_3)
	v_add3_u32 v66, v66, v79, v80
	v_mul_i32_i24_e32 v79, v23, v175
	v_mul_i32_i24_e32 v80, v22, v171
	v_add3_u32 v66, v66, v81, v82
	s_clause 0x1
	scratch_load_b32 v81, off, off offset:104 th:TH_LOAD_LU
	scratch_load_b32 v82, off, off offset:360 th:TH_LOAD_LU
	v_add3_u32 v66, v66, v83, v84
	v_mul_i32_i24_e32 v83, v10, v163
	v_mul_i32_i24_e32 v84, v15, v176
	s_delay_alu instid0(VALU_DEP_3) | instskip(SKIP_2) | instid1(VALU_DEP_3)
	v_add3_u32 v66, v66, v85, v86
	v_mul_i32_i24_e32 v85, v13, v177
	v_mul_i32_i24_e32 v86, v14, v179
	v_add3_u32 v66, v66, v88, v93
	v_mul_i32_i24_e32 v88, v8, v172
	v_mul_i32_i24_e32 v93, v9, v188
	s_delay_alu instid0(VALU_DEP_3)
	v_add3_u32 v66, v66, v94, v99
	v_mul_i32_i24_e32 v94, v4, v181
	s_wait_loadcnt 0x8
	v_mul_i32_i24_e32 v102, v36, v87
	scratch_load_b32 v87, off, off offset:56 th:TH_LOAD_LU ; 4-byte Folded Reload
	s_wait_loadcnt 0x8
	v_mul_i32_i24_e32 v68, v20, v68
	v_add3_u32 v66, v66, v101, v102
	s_wait_loadcnt 0x7
	v_mul_i32_i24_e32 v69, v19, v69
	s_wait_loadcnt 0x6
	v_mul_i32_i24_e32 v70, v18, v70
	s_wait_loadcnt 0x5
	v_mad_i32_i24 v68, v21, v71, v68
	scratch_load_b32 v71, off, off offset:64 th:TH_LOAD_LU ; 4-byte Folded Reload
	v_add3_u32 v68, v68, v69, v70
	scratch_load_b32 v69, off, off offset:60 th:TH_LOAD_LU ; 4-byte Folded Reload
	v_mul_i32_i24_e32 v70, v32, v184
	s_wait_loadcnt 0x6
	v_mul_i32_i24_e32 v74, v31, v74
	s_wait_loadcnt 0x5
	;; [unrolled: 2-line block ×5, first 2 shown]
	v_mul_i32_i24_e32 v103, v35, v87
	scratch_load_b32 v87, off, off offset:108 th:TH_LOAD_LU ; 4-byte Folded Reload
	v_add3_u32 v66, v66, v103, v104
	s_delay_alu instid0(VALU_DEP_1)
	v_mul_lo_u32 v66, v66, v187
	scratch_load_b32 v187, off, off offset:1316 ; 4-byte Folded Reload
	s_wait_loadcnt 0x3
	v_mul_i32_i24_e32 v71, v28, v71
	v_cvt_f32_i32_e32 v66, v66
	s_wait_loadcnt 0x2
	v_mul_i32_i24_e32 v69, v33, v69
	s_delay_alu instid0(VALU_DEP_2) | instskip(NEXT) | instid1(VALU_DEP_2)
	v_fma_mix_f32 v66, v11, v66, 0 op_sel_hi:[1,0,0]
	v_add3_u32 v68, v68, v69, v70
	scratch_load_b32 v69, off, off offset:348 th:TH_LOAD_LU ; 4-byte Folded Reload
	v_mul_i32_i24_e32 v70, v60, v231
	v_add3_u32 v68, v68, v71, v72
	v_mul_i32_i24_e32 v71, v58, v233
	v_mul_i32_i24_e32 v72, v56, v234
	;; [unrolled: 1-line block ×3, first 2 shown]
	s_delay_alu instid0(VALU_DEP_4)
	v_add3_u32 v68, v68, v73, v74
	v_mul_i32_i24_e32 v73, v55, v235
	v_mul_i32_i24_e32 v74, v54, v236
	;; [unrolled: 1-line block ×4, first 2 shown]
	v_add3_u32 v68, v68, v75, v76
	v_mul_i32_i24_e32 v75, v53, v237
	v_mul_i32_i24_e32 v76, v52, v238
	;; [unrolled: 1-line block ×4, first 2 shown]
	v_add3_u32 v68, v68, v77, v78
	v_mul_i32_i24_e32 v77, v51, v239
	v_mul_i32_i24_e32 v78, v50, v240
	scratch_load_b32 v240, off, off offset:836 ; 4-byte Folded Reload
	v_mul_i32_i24_e32 v50, v50, v148
	v_add3_u32 v68, v68, v79, v80
	v_mul_i32_i24_e32 v79, v49, v241
	v_mul_i32_i24_e32 v80, v48, v242
	;; [unrolled: 1-line block ×4, first 2 shown]
	v_add3_u32 v68, v68, v81, v82
	v_mul_i32_i24_e32 v81, v47, v197
	v_mul_i32_i24_e32 v82, v46, v198
	;; [unrolled: 1-line block ×4, first 2 shown]
	v_add3_u32 v68, v68, v83, v84
	scratch_load_b32 v84, off, off offset:176 th:TH_LOAD_LU ; 4-byte Folded Reload
	v_mul_i32_i24_e32 v83, v45, v199
	v_mul_i32_i24_e32 v45, v45, v153
	v_add3_u32 v68, v68, v85, v86
	v_mul_i32_i24_e32 v85, v43, v201
	v_mul_i32_i24_e32 v86, v42, v202
	;; [unrolled: 1-line block ×4, first 2 shown]
	v_add3_u32 v68, v68, v88, v93
	v_mul_i32_i24_e32 v88, v40, v204
	v_mul_i32_i24_e32 v93, v35, v210
	;; [unrolled: 1-line block ×3, first 2 shown]
	s_delay_alu instid0(VALU_DEP_4)
	v_add3_u32 v68, v68, v94, v97
	s_clause 0x1
	scratch_load_b32 v97, off, off offset:824 th:TH_LOAD_LU
	scratch_load_b32 v94, off, off offset:96 th:TH_LOAD_LU
	v_add3_u32 v68, v68, v98, v95
	v_mul_i32_i24_e32 v95, v0, v173
	s_delay_alu instid0(VALU_DEP_2)
	v_add3_u32 v68, v68, v92, v91
	v_mul_i32_i24_e32 v91, v37, v253
	v_mul_i32_i24_e32 v92, v36, v254
	;; [unrolled: 1-line block ×4, first 2 shown]
	s_wait_loadcnt 0x6
	v_mul_i32_i24_e32 v96, v0, v87
	v_mul_i32_i24_e32 v87, v41, v203
	;; [unrolled: 1-line block ×4, first 2 shown]
	s_delay_alu instid0(VALU_DEP_4)
	v_add3_u32 v68, v68, v96, v90
	v_mul_i32_i24_e32 v90, v38, v249
	v_mul_i32_i24_e32 v96, v3, v243
	;; [unrolled: 1-line block ×3, first 2 shown]
	s_wait_loadcnt 0x4
	v_mul_lo_u32 v68, v68, v69
	v_mul_i32_i24_e32 v69, v61, v230
	s_delay_alu instid0(VALU_DEP_2) | instskip(NEXT) | instid1(VALU_DEP_1)
	v_cvt_f32_i32_e32 v68, v68
	v_fma_mix_f32 v66, v12, v68, v66 op_sel_hi:[1,0,0]
	v_mul_i32_i24_e32 v68, v57, v227
	v_mul_i32_i24_e32 v57, v57, v145
	s_delay_alu instid0(VALU_DEP_3)
	v_fma_f32 v66, v66, v166, -v67
	v_mul_i32_i24_e32 v67, v59, v225
	v_mul_i32_i24_e32 v59, v59, v143
	s_wait_loadcnt 0x2
	v_mul_i32_i24_e32 v84, v44, v84
	v_mul_i32_i24_e32 v44, v44, v154
	s_wait_loadcnt 0x1
	v_add_f32_e32 v97, v97, v66
	v_mul_i32_i24_e32 v66, v62, v193
	s_wait_loadcnt 0x0
	v_mul_i32_i24_e32 v94, v34, v94
	v_mul_i32_i24_e32 v62, v62, v142
	;; [unrolled: 1-line block ×3, first 2 shown]
	v_mad_i32_i24 v66, v65, v226, v66
	s_delay_alu instid0(VALU_DEP_1) | instskip(SKIP_2) | instid1(VALU_DEP_1)
	v_add3_u32 v66, v66, v67, v68
	v_mul_i32_i24_e32 v67, v64, v228
	v_mul_i32_i24_e32 v68, v63, v229
	v_add3_u32 v66, v66, v67, v68
	v_mul_i32_i24_e32 v68, v20, v207
	v_fma_mix_f32 v67, v248, v11, 0 op_sel:[0,1,0] op_sel_hi:[0,1,0]
	s_delay_alu instid0(VALU_DEP_3)
	v_add3_u32 v66, v66, v69, v70
	scratch_load_b32 v70, off, off offset:340 th:TH_LOAD_LU ; 4-byte Folded Reload
	v_mul_i32_i24_e32 v69, v19, v208
	v_mad_i32_i24 v68, v21, v209, v68
	v_fma_mix_f32 v67, v126, v12, v67 op_sel:[0,1,0] op_sel_hi:[0,1,0]
	v_add3_u32 v66, v66, v71, v72
	v_mul_i32_i24_e32 v71, v28, v180
	v_mul_i32_i24_e32 v72, v29, v211
	;; [unrolled: 1-line block ×3, first 2 shown]
	v_mul_f32_e32 v67, v67, v178
	v_add3_u32 v66, v66, v73, v74
	scratch_load_b32 v73, off, off offset:88 th:TH_LOAD_LU ; 4-byte Folded Reload
	v_mul_i32_i24_e32 v74, v31, v246
	v_add3_u32 v66, v66, v75, v76
	v_mul_i32_i24_e32 v75, v27, v212
	v_mul_i32_i24_e32 v76, v25, v213
	s_delay_alu instid0(VALU_DEP_3)
	v_add3_u32 v66, v66, v77, v78
	scratch_load_b32 v77, off, off offset:92 th:TH_LOAD_LU ; 4-byte Folded Reload
	v_mul_i32_i24_e32 v78, v24, v247
	v_add3_u32 v66, v66, v79, v80
	v_mul_i32_i24_e32 v79, v23, v214
	v_mul_i32_i24_e32 v80, v22, v215
	s_delay_alu instid0(VALU_DEP_3) | instskip(SKIP_2) | instid1(VALU_DEP_3)
	v_add3_u32 v66, v66, v81, v82
	v_mul_i32_i24_e32 v81, v17, v245
	v_mul_i32_i24_e32 v82, v16, v224
	v_add3_u32 v66, v66, v83, v84
	s_delay_alu instid0(VALU_DEP_1) | instskip(SKIP_3) | instid1(VALU_DEP_4)
	v_add3_u32 v66, v66, v85, v86
	v_mul_i32_i24_e32 v85, v13, v219
	v_mul_i32_i24_e32 v86, v14, v182
	;; [unrolled: 1-line block ×3, first 2 shown]
	v_add3_u32 v66, v66, v87, v88
	v_mul_i32_i24_e32 v87, v8, v194
	v_mul_i32_i24_e32 v88, v9, v220
	s_delay_alu instid0(VALU_DEP_3) | instskip(SKIP_2) | instid1(VALU_DEP_3)
	v_add3_u32 v66, v66, v89, v90
	v_mul_i32_i24_e32 v89, v4, v221
	v_mul_i32_i24_e32 v90, v5, v195
	v_add3_u32 v66, v66, v91, v92
	v_mul_i32_i24_e32 v91, v6, v244
	s_delay_alu instid0(VALU_DEP_2) | instskip(SKIP_1) | instid1(VALU_DEP_2)
	v_add3_u32 v66, v66, v93, v94
	v_mul_i32_i24_e32 v93, v7, v196
	v_mul_lo_u32 v66, v66, v205
	s_delay_alu instid0(VALU_DEP_1) | instskip(NEXT) | instid1(VALU_DEP_1)
	v_cvt_f32_i32_e32 v66, v66
	v_fma_mix_f32 v66, v11, v66, 0 op_sel_hi:[1,0,0]
	s_wait_loadcnt 0x2
	v_mul_i32_i24_e32 v70, v18, v70
	v_mul_i32_i24_e32 v18, v18, v132
	s_delay_alu instid0(VALU_DEP_2)
	v_add3_u32 v68, v68, v69, v70
	s_clause 0x8
	scratch_load_b32 v69, off, off offset:676 th:TH_LOAD_LU
	scratch_load_b32 v70, off, off offset:344 th:TH_LOAD_LU
	scratch_load_b32 v241, off, off offset:1292
	scratch_load_b32 v83, off, off offset:68 th:TH_LOAD_LU
	scratch_load_b32 v84, off, off offset:268 th:TH_LOAD_LU
	;; [unrolled: 1-line block ×3, first 2 shown]
	scratch_load_b32 v222, off, off offset:1320
	scratch_load_b32 v169, off, off offset:1296
	scratch_load_b32 v94, off, off offset:672 th:TH_LOAD_LU
	s_wait_loadcnt 0xa
	v_mul_i32_i24_e32 v73, v30, v73
	s_wait_loadcnt 0x9
	v_mul_i32_i24_e32 v77, v26, v77
	;; [unrolled: 2-line block ×7, first 2 shown]
	v_add3_u32 v68, v68, v69, v70
	s_wait_loadcnt 0x0
	v_mul_i32_i24_e32 v94, v1, v94
	s_delay_alu instid0(VALU_DEP_2) | instskip(SKIP_2) | instid1(VALU_DEP_1)
	v_add3_u32 v68, v68, v71, v72
	scratch_load_b32 v71, off, off offset:1248 ; 4-byte Folded Reload
	v_add3_u32 v68, v68, v73, v74
	v_add3_u32 v68, v68, v75, v76
	scratch_load_b32 v76, off, off offset:1280 ; 4-byte Folded Reload
	v_add3_u32 v68, v68, v77, v78
	s_clause 0x1
	scratch_load_b32 v78, off, off offset:1312
	scratch_load_b32 v77, off, off offset:1308
	v_add3_u32 v68, v68, v79, v80
	s_delay_alu instid0(VALU_DEP_1) | instskip(NEXT) | instid1(VALU_DEP_1)
	v_add3_u32 v68, v68, v81, v82
	v_add3_u32 v68, v68, v83, v84
	s_delay_alu instid0(VALU_DEP_1) | instskip(NEXT) | instid1(VALU_DEP_1)
	v_add3_u32 v68, v68, v85, v86
	;; [unrolled: 3-line block ×4, first 2 shown]
	v_add3_u32 v68, v68, v95, v96
	s_delay_alu instid0(VALU_DEP_1) | instskip(NEXT) | instid1(VALU_DEP_1)
	v_mul_lo_u32 v68, v68, v129
	v_cvt_f32_i32_e32 v68, v68
	s_delay_alu instid0(VALU_DEP_1)
	v_fma_mix_f32 v66, v12, v68, v66 op_sel_hi:[1,0,0]
	scratch_load_b32 v68, off, off offset:252 ; 4-byte Folded Reload
	s_wait_loadcnt 0x0
	v_fma_f32 v66, v66, v68, -v67
	scratch_load_b32 v67, off, off offset:4 ; 4-byte Folded Reload
	s_wait_loadcnt 0x0
	v_add_f32_e32 v67, v67, v66
	scratch_store_b32 off, v67, off offset:4 ; 4-byte Folded Spill
	s_clause 0x1
	scratch_load_b32 v66, off, off offset:4
	scratch_load_b32 v67, off, off offset:324 th:TH_LOAD_LU
	s_wait_loadcnt 0x0
	v_mad_i32_i24 v62, v65, v67, v62
	s_delay_alu instid0(VALU_DEP_1)
	v_add3_u32 v57, v62, v59, v57
	s_clause 0x1
	scratch_load_b32 v59, off, off offset:328 th:TH_LOAD_LU
	scratch_load_b32 v62, off, off offset:652 th:TH_LOAD_LU
	s_wait_loadcnt 0x1
	v_mul_i32_i24_e32 v59, v64, v59
	s_wait_loadcnt 0x0
	v_mul_i32_i24_e32 v62, v63, v62
	scratch_load_b32 v63, off, off offset:656 th:TH_LOAD_LU ; 4-byte Folded Reload
	v_add3_u32 v57, v57, v59, v62
	s_wait_loadcnt 0x0
	v_mul_i32_i24_e32 v61, v61, v63
	scratch_load_b32 v63, off, off offset:660 th:TH_LOAD_LU ; 4-byte Folded Reload
	s_wait_loadcnt 0x0
	v_mul_i32_i24_e32 v60, v60, v63
	scratch_load_b32 v63, off, off offset:664 th:TH_LOAD_LU ; 4-byte Folded Reload
	v_add3_u32 v57, v57, v61, v60
	s_wait_loadcnt 0x0
	v_mul_i32_i24_e32 v58, v58, v63
	scratch_load_b32 v63, off, off offset:332 th:TH_LOAD_LU ; 4-byte Folded Reload
	v_add3_u32 v56, v57, v58, v56
	s_delay_alu instid0(VALU_DEP_1) | instskip(NEXT) | instid1(VALU_DEP_1)
	v_add3_u32 v54, v56, v55, v54
	v_add3_u32 v52, v54, v53, v52
	s_wait_loadcnt 0x0
	v_mul_i32_i24_e32 v51, v51, v63
	scratch_load_b32 v63, off, off offset:668 th:TH_LOAD_LU ; 4-byte Folded Reload
	v_add3_u32 v50, v52, v51, v50
	s_delay_alu instid0(VALU_DEP_1) | instskip(NEXT) | instid1(VALU_DEP_1)
	v_add3_u32 v48, v50, v49, v48
	v_add3_u32 v46, v48, v47, v46
	s_delay_alu instid0(VALU_DEP_1)
	v_add3_u32 v44, v46, v45, v44
	scratch_load_b32 v45, off, off offset:820 th:TH_LOAD_LU ; 4-byte Folded Reload
	v_add3_u32 v42, v44, v43, v42
	s_wait_loadcnt 0x1
	v_mul_i32_i24_e32 v40, v40, v63
	scratch_load_b32 v63, off, off offset:336 th:TH_LOAD_LU ; 4-byte Folded Reload
	v_add3_u32 v40, v42, v41, v40
	s_wait_loadcnt 0x0
	v_mul_i32_i24_e32 v39, v39, v63
	s_delay_alu instid0(VALU_DEP_1) | instskip(NEXT) | instid1(VALU_DEP_1)
	v_add3_u32 v38, v40, v39, v38
	v_add3_u32 v36, v38, v37, v36
	s_delay_alu instid0(VALU_DEP_1) | instskip(SKIP_2) | instid1(VALU_DEP_1)
	v_add3_u32 v34, v36, v35, v34
	scratch_load_b32 v35, off, off offset:320 th:TH_LOAD_LU ; 4-byte Folded Reload
	v_mul_lo_u32 v34, v34, v160
	v_cvt_f32_i32_e32 v34, v34
	s_delay_alu instid0(VALU_DEP_1)
	v_fma_mix_f32 v34, v11, v34, 0 op_sel_hi:[1,0,0]
	v_fma_mix_f32 v11, v137, v11, 0 op_sel:[0,1,0] op_sel_hi:[0,1,0]
	s_wait_loadcnt 0x0
	v_mul_i32_i24_e32 v20, v20, v35
	scratch_load_b32 v35, off, off offset:316 th:TH_LOAD_LU ; 4-byte Folded Reload
	s_wait_loadcnt 0x0
	v_mad_i32_i24 v20, v21, v35, v20
	s_delay_alu instid0(VALU_DEP_1)
	v_add3_u32 v35, v20, v19, v18
	scratch_load_b32 v18, off, off offset:72 th:TH_LOAD_LU ; 4-byte Folded Reload
	s_wait_loadcnt 0x0
	v_mul_i32_i24_e32 v36, v33, v18
	scratch_load_b32 v18, off, off offset:276 th:TH_LOAD_LU ; 4-byte Folded Reload
	s_wait_loadcnt 0x0
	v_mul_i32_i24_e32 v37, v32, v18
	;; [unrolled: 3-line block ×14, first 2 shown]
	scratch_load_b32 v16, off, off offset:304 th:TH_LOAD_LU ; 4-byte Folded Reload
	v_mul_i32_i24_e32 v17, v15, v100
	v_mul_i32_i24_e32 v15, v13, v105
	;; [unrolled: 1-line block ×7, first 2 shown]
	s_wait_loadcnt 0x0
	v_mul_i32_i24_e32 v16, v10, v16
	v_mul_i32_i24_e32 v10, v8, v106
	;; [unrolled: 1-line block ×4, first 2 shown]
	scratch_load_b32 v1, off, off offset:312 th:TH_LOAD_LU ; 4-byte Folded Reload
	s_wait_loadcnt 0x0
	v_mul_i32_i24_e32 v1, v3, v1
	v_add3_u32 v3, v35, v36, v37
	s_delay_alu instid0(VALU_DEP_1) | instskip(NEXT) | instid1(VALU_DEP_1)
	v_add3_u32 v3, v3, v32, v33
	v_add3_u32 v3, v3, v29, v30
	s_delay_alu instid0(VALU_DEP_1) | instskip(NEXT) | instid1(VALU_DEP_1)
	v_add3_u32 v3, v3, v27, v28
	;; [unrolled: 3-line block ×6, first 2 shown]
	v_add3_u32 v2, v3, v2, v4
	s_delay_alu instid0(VALU_DEP_1)
	v_add3_u32 v0, v2, v0, v1
	s_clause 0x1
	scratch_load_b32 v1, off, off offset:260 th:TH_LOAD_LU
	scratch_load_b32 v2, off, off
	s_wait_loadcnt 0x1
	v_mul_lo_u32 v0, v0, v1
	v_fma_mix_f32 v1, v251, v12, v11 op_sel:[0,1,0] op_sel_hi:[0,1,0]
	s_wait_loadcnt 0x0
	s_delay_alu instid0(VALU_DEP_1) | instskip(SKIP_2) | instid1(VALU_DEP_1)
	v_mul_f32_e32 v1, v1, v2
	scratch_load_b32 v2, off, off offset:28 ; 4-byte Folded Reload
	v_cvt_f32_i32_e32 v0, v0
	v_fma_mix_f32 v0, v12, v0, v34 op_sel_hi:[1,0,0]
	s_wait_loadcnt 0x0
	s_delay_alu instid0(VALU_DEP_1) | instskip(NEXT) | instid1(VALU_DEP_1)
	v_fma_f32 v0, v0, v2, -v1
	v_add_f32_e32 v45, v45, v0
	s_cbranch_vccnz .LBB131_6
; %bb.7:                                ;   in Loop: Header=BB131_5 Depth=1
	scratch_load_b32 v0, off, off offset:1540 ; 4-byte Folded Reload
	s_wait_loadcnt 0x0
	s_wait_storecnt 0x0
	s_barrier_signal -1
	s_barrier_wait -1
	v_add_nc_u32_e32 v10, s5, v0
	scratch_load_b32 v0, off, off offset:1332 ; 4-byte Folded Reload
	s_wait_loadcnt 0x0
	global_inv scope:SCOPE_SE
	s_clause 0x6
	scratch_load_b32 v1, off, off offset:1336
	scratch_load_b32 v5, off, off offset:1344
	;; [unrolled: 1-line block ×4, first 2 shown]
	scratch_load_b64 v[17:18], off, off offset:1380
	scratch_load_b32 v7, off, off offset:1348
	scratch_load_b32 v13, off, off offset:1356
	s_mov_b32 s5, 16
	v_add_nc_u32_e32 v0, v10, v0
	s_wait_loadcnt 0x6
	v_add_nc_u32_e32 v2, v10, v1
	scratch_load_b32 v1, off, off offset:1340 ; 4-byte Folded Reload
	s_wait_loadcnt 0x5
	v_add_nc_u32_e32 v11, v10, v9
	v_add_nc_u32_e32 v6, v10, v5
	s_wait_loadcnt 0x4
	v_add_nc_u32_e32 v12, v10, v12
	s_wait_loadcnt 0x3
	v_mad_co_i64_i32 v[2:3], null, v2, 36, v[17:18]
	s_wait_loadcnt 0x1
	v_add_nc_u32_e32 v14, v10, v13
	scratch_load_b32 v13, off, off offset:1420 th:TH_LOAD_LU ; 4-byte Folded Reload
	v_add_nc_u32_e32 v8, v10, v7
	v_mad_co_i64_i32 v[6:7], null, v6, 36, v[17:18]
	v_mad_co_i64_i32 v[14:15], null, v14, 36, v[17:18]
	s_delay_alu instid0(VALU_DEP_3) | instskip(SKIP_4) | instid1(VALU_DEP_3)
	v_mad_co_i64_i32 v[8:9], null, v8, 36, v[17:18]
	s_wait_loadcnt 0x1
	v_add_nc_u32_e32 v4, v10, v1
	v_mad_co_i64_i32 v[10:11], null, v11, 36, v[17:18]
	v_mad_co_i64_i32 v[0:1], null, v0, 36, v[17:18]
	;; [unrolled: 1-line block ×3, first 2 shown]
	s_wait_loadcnt 0x0
	v_add_nc_u32_e32 v16, 4, v13
	v_mad_co_i64_i32 v[12:13], null, v12, 36, v[17:18]
	s_delay_alu instid0(VALU_DEP_2)
	v_mad_co_u64_u32 v[16:17], null, v16, 36, s[2:3]
	s_clause 0x8
	global_load_b32 v10, v[10:11], off offset:4
	global_load_b32 v0, v[0:1], off offset:4
	;; [unrolled: 1-line block ×8, first 2 shown]
	global_load_b32 v7, v[16:17], off
	scratch_load_b32 v8, off, off offset:1416 ; 4-byte Folded Reload
	s_wait_loadcnt 0x0
	ds_store_b32 v8, v10
	scratch_load_b32 v8, off, off offset:1388 ; 4-byte Folded Reload
	s_wait_loadcnt 0x0
	ds_store_b32 v8, v0
	;; [unrolled: 3-line block ×9, first 2 shown]
	s_wait_dscnt 0x0
	s_barrier_signal -1
	s_barrier_wait -1
	global_inv scope:SCOPE_SE
	s_clause 0x3
	scratch_load_b32 v0, off, off offset:1364
	scratch_load_b32 v1, off, off offset:1368
	;; [unrolled: 1-line block ×4, first 2 shown]
	s_wait_loadcnt 0x3
	ds_load_b32 v0, v0
	s_wait_loadcnt 0x2
	ds_load_b32 v1, v1 offset:128
	s_wait_loadcnt 0x1
	ds_load_b32 v2, v2 offset:256
	;; [unrolled: 2-line block ×3, first 2 shown]
	s_wait_dscnt 0x3
	v_lshrrev_b32_e32 v4, 16, v0
	v_cvt_f32_f16_e32 v0, v0
	scratch_store_b32 off, v0, off offset:140 ; 4-byte Folded Spill
	s_wait_dscnt 0x2
	v_cvt_f32_f16_e32 v0, v1
	scratch_store_b32 off, v0, off offset:144 ; 4-byte Folded Spill
	v_lshrrev_b32_e32 v0, 16, v1
	s_wait_dscnt 0x1
	v_cvt_f32_f16_e32 v1, v2
	s_delay_alu instid0(VALU_DEP_2)
	v_cvt_f32_f16_e32 v0, v0
	scratch_store_b32 off, v1, off offset:148 ; 4-byte Folded Spill
	v_lshrrev_b32_e32 v1, 16, v2
	s_wait_dscnt 0x0
	v_lshrrev_b32_e32 v2, 16, v3
	v_cvt_f32_f16_e32 v3, v3
	scratch_store_b32 off, v0, off offset:156 ; 4-byte Folded Spill
	v_cvt_f32_f16_e32 v0, v1
	scratch_store_b32 off, v0, off offset:160 ; 4-byte Folded Spill
	v_cvt_f32_f16_e32 v0, v2
	scratch_store_b32 off, v3, off          ; 4-byte Folded Spill
	v_cvt_f32_f16_e32 v3, v4
	s_clause 0x1
	scratch_store_b32 off, v0, off offset:24
	scratch_store_b32 off, v3, off offset:152
.LBB131_8:                              ;   Parent Loop BB131_5 Depth=1
                                        ; =>  This Inner Loop Header: Depth=2
	s_wait_alu 0xfffe
	s_lshl_b32 s16, s5, 2
	s_clause 0x3
	scratch_store_b32 off, v130, off offset:828
	scratch_store_b32 off, v97, off offset:824
	;; [unrolled: 1-line block ×4, first 2 shown]
	s_wait_alu 0xfffe
	v_add_nc_u32_e32 v9, s16, v76
	s_lshr_b32 s12, s5, 2
	s_wait_alu 0xfffe
	s_and_b32 s13, s12, 0x3ffffffe
	s_lshl_b32 s12, s5, 1
	ds_load_2addr_b32 v[17:18], v9 offset1:1
	s_wait_alu 0xfffe
	s_and_b32 s12, s12, 16
	s_addk_co_i32 s13, 0x6200
	s_wait_alu 0xfffe
	v_or_b32_e32 v0, s12, v71
	v_add3_u32 v8, s13, v77, v78
	s_delay_alu instid0(VALU_DEP_2)
	v_lshlrev_b32_e32 v1, 2, v0
	v_lshrrev_b32_e32 v92, 1, v0
	s_wait_dscnt 0x0
	v_and_b32_e32 v0, 0xf0f0f0f, v17
	v_bfe_u32 v138, v17, 24, 4
	v_bfe_u32 v137, v17, 16, 4
	v_lshrrev_b32_e32 v162, 28, v17
	v_bfe_u32 v216, v17, 20, 4
	v_lshrrev_b16 v14, 8, v0
	ds_load_b128 v[10:13], v1 offset:16896
	ds_load_b128 v[44:47], v1 offset:16912
	;; [unrolled: 1-line block ×4, first 2 shown]
	v_bfe_u32 v164, v17, 4, 4
	s_wait_dscnt 0x3
	v_lshrrev_b16 v15, 8, v10
	v_lshrrev_b16 v16, 8, v11
	v_ashrrev_i32_e32 v130, 24, v11
	v_bfe_i32 v109, v11, 16, 8
	v_bfe_i32 v107, v11, 0, 8
	;; [unrolled: 1-line block ×3, first 2 shown]
	v_bfe_u32 v15, v18, 24, 4
	v_bfe_i32 v108, v16, 0, 8
	v_bfe_u32 v11, v18, 16, 4
	v_and_b32_e32 v14, 0xffff, v14
	v_and_b32_e32 v16, 15, v18
	v_bfe_i32 v134, v10, 16, 8
	v_bfe_i32 v131, v10, 0, 8
	v_ashrrev_i32_e32 v132, 24, v10
	s_delay_alu instid0(VALU_DEP_4)
	v_dual_mov_b32 v247, v16 :: v_dual_and_b32 v136, 15, v17
	v_mul_i32_i24_e32 v48, v16, v107
	v_mov_b32_e32 v243, v11
	v_mul_i32_i24_e32 v10, v14, v133
	v_dual_mov_b32 v231, v14 :: v_dual_and_b32 v14, 0xf0f0f0f, v18
	v_mov_b32_e32 v165, v15
	v_mul_i32_i24_e32 v51, v15, v130
	ds_load_2addr_b32 v[15:16], v9 offset0:2 offset1:3
	v_lshrrev_b16 v26, 8, v12
	v_lshrrev_b16 v14, 8, v14
	v_ashrrev_i32_e32 v106, 24, v12
	v_bfe_i32 v105, v12, 16, 8
	v_bfe_i32 v103, v12, 0, 8
	v_mul_i32_i24_e32 v50, v11, v109
	v_bfe_i32 v104, v26, 0, 8
	v_lshrrev_b16 v30, 8, v13
	v_ashrrev_i32_e32 v98, 24, v13
	v_bfe_i32 v93, v13, 16, 8
	v_bfe_i32 v90, v13, 0, 8
	s_wait_dscnt 0x3
	v_lshrrev_b16 v38, 8, v45
	v_bfe_i32 v91, v30, 0, 8
	v_lshrrev_b16 v42, 8, v46
	v_ashrrev_i32_e32 v89, 24, v44
	v_bfe_i32 v88, v44, 16, 8
	v_bfe_i32 v86, v44, 0, 8
	v_ashrrev_i32_e32 v85, 24, v45
	v_bfe_i32 v82, v45, 0, 8
	s_wait_dscnt 0x0
	v_bfe_u32 v12, v15, 16, 4
	v_and_b32_e32 v14, 0xffff, v14
	v_bfe_u32 v13, v16, 16, 4
	v_bfe_u32 v248, v15, 24, 4
	v_mad_i32_i24 v51, v138, v132, v51
	v_mul_i32_i24_e32 v54, v12, v105
	v_mov_b32_e32 v249, v12
	v_bfe_u32 v12, v16, 24, 4
	v_and_b32_e32 v11, 0xf0f0f0f, v15
	v_mul_i32_i24_e32 v49, v14, v108
	v_dual_mov_b32 v245, v14 :: v_dual_and_b32 v14, 15, v16
	s_delay_alu instid0(VALU_DEP_4) | instskip(NEXT) | instid1(VALU_DEP_4)
	v_dual_mov_b32 v253, v13 :: v_dual_mov_b32 v170, v12
	v_lshrrev_b16 v11, 8, v11
	v_mul_i32_i24_e32 v59, v12, v98
	v_mul_i32_i24_e32 v58, v13, v93
	v_dual_mov_b32 v255, v14 :: v_dual_and_b32 v22, 15, v15
	s_delay_alu instid0(VALU_DEP_4) | instskip(SKIP_2) | instid1(VALU_DEP_4)
	v_and_b32_e32 v11, 0xffff, v11
	v_mul_i32_i24_e32 v56, v14, v90
	v_lshrrev_b16 v14, 8, v44
	v_mul_i32_i24_e32 v52, v22, v103
	v_mul_i32_i24_e32 v55, v248, v106
	;; [unrolled: 1-line block ×3, first 2 shown]
	v_dual_mov_b32 v250, v11 :: v_dual_and_b32 v11, 0xf0f0f0f, v16
	v_bfe_i32 v87, v14, 0, 8
	v_mad_i32_i24 v48, v136, v131, v48
	v_mad_i32_i24 v50, v137, v134, v50
	v_mov_b32_e32 v252, v22
	v_lshrrev_b16 v11, 8, v11
	v_lshrrev_b16 v60, 8, v47
	v_bfe_i32 v84, v45, 16, 8
	v_bfe_i32 v83, v38, 0, 8
	v_ashrrev_i32_e32 v81, 24, v46
	v_and_b32_e32 v11, 0xffff, v11
	v_bfe_i32 v79, v42, 0, 8
	v_bfe_i32 v78, v46, 0, 8
	v_ashrrev_i32_e32 v68, 24, v47
	v_bfe_i32 v67, v47, 16, 8
	v_mul_i32_i24_e32 v57, v11, v91
	v_mov_b32_e32 v254, v11
	ds_load_2addr_b32 v[11:12], v9 offset0:4 offset1:5
	v_bfe_i32 v47, v47, 0, 8
	v_add3_u32 v10, v10, v49, v53
	v_add3_u32 v49, v50, v54, v58
	;; [unrolled: 1-line block ×4, first 2 shown]
	v_bfe_i32 v80, v46, 16, 8
	v_bfe_i32 v66, v60, 0, 8
	;; [unrolled: 1-line block ×3, first 2 shown]
	v_ashrrev_i32_e32 v46, 24, v4
	v_lshrrev_b16 v55, 8, v6
	v_ashrrev_i32_e32 v45, 24, v5
	v_bfe_i32 v52, v5, 16, 8
	v_ashrrev_i32_e32 v43, 24, v6
	v_bfe_i32 v54, v6, 16, 8
	v_bfe_i32 v55, v55, 0, 8
	;; [unrolled: 1-line block ×3, first 2 shown]
	v_bfe_u32 v6, v15, 20, 4
	v_ashrrev_i32_e32 v41, 24, v7
	v_bfe_i32 v56, v7, 16, 8
	s_wait_dscnt 0x0
	v_and_b32_e32 v13, 0xf0f0f0f, v11
	v_bfe_u32 v224, v11, 24, 4
	v_and_b32_e32 v236, 15, v11
	v_bfe_u32 v172, v12, 24, 4
	v_and_b32_e32 v212, 15, v12
	v_lshrrev_b16 v13, 8, v13
	v_bfe_u32 v234, v11, 16, 4
	v_mul_i32_i24_e32 v61, v236, v86
	v_mul_i32_i24_e32 v64, v224, v89
	v_bfe_u32 v171, v12, 16, 4
	v_and_b32_e32 v235, 0xffff, v13
	v_and_b32_e32 v13, 0xf0f0f0f, v12
	v_mul_i32_i24_e32 v65, v212, v82
	v_mul_i32_i24_e32 v71, v172, v85
	v_mul_i32_i24_e32 v63, v234, v88
	v_mul_i32_i24_e32 v62, v235, v87
	v_lshrrev_b16 v13, 8, v13
	v_mul_i32_i24_e32 v70, v171, v84
	v_add3_u32 v50, v50, v64, v71
	v_add3_u32 v48, v48, v61, v65
	;; [unrolled: 1-line block ×3, first 2 shown]
	v_and_b32_e32 v223, 0xffff, v13
	ds_load_2addr_b32 v[13:14], v9 offset0:6 offset1:7
	v_add3_u32 v49, v49, v63, v70
	v_lshrrev_b16 v57, 8, v7
	v_bfe_i32 v40, v7, 0, 8
	v_mul_i32_i24_e32 v69, v223, v83
	v_bfe_u32 v226, v16, 4, 4
	v_ashrrev_i32_e32 v37, 24, v2
	v_bfe_i32 v64, v2, 16, 8
	v_bfe_i32 v36, v2, 0, 8
	;; [unrolled: 1-line block ×3, first 2 shown]
	v_mul_i32_i24_e32 v110, v226, v40
	v_lshrrev_b32_e32 v147, 28, v11
	v_ashrrev_i32_e32 v39, 24, v0
	v_bfe_u32 v150, v11, 4, 4
	v_lshrrev_b32_e32 v151, 28, v12
	v_ashrrev_i32_e32 v38, 24, v1
	v_bfe_i32 v63, v1, 0, 8
	v_bfe_u32 v154, v12, 4, 4
	v_lshrrev_b16 v70, 8, v3
	v_bfe_i32 v58, v0, 16, 8
	s_wait_dscnt 0x0
	v_and_b32_e32 v9, 0xf0f0f0f, v13
	v_and_b32_e32 v44, 0xf0f0f0f, v14
	v_bfe_u32 v22, v13, 24, 4
	v_and_b32_e32 v140, 15, v13
	v_bfe_u32 v143, v14, 24, 4
	v_lshrrev_b16 v9, 8, v9
	v_lshrrev_b16 v75, 8, v44
	v_and_b32_e32 v141, 15, v14
	v_bfe_u32 v145, v13, 16, 4
	v_mul_i32_i24_e32 v74, v22, v81
	v_and_b32_e32 v139, 0xffff, v9
	v_mul_i32_i24_e32 v9, v140, v78
	v_bfe_u32 v23, v14, 16, 4
	v_and_b32_e32 v142, 0xffff, v75
	v_mul_i32_i24_e32 v60, v141, v47
	v_mul_i32_i24_e32 v72, v139, v79
	;; [unrolled: 1-line block ×6, first 2 shown]
	v_add3_u32 v10, v10, v69, v72
	v_add3_u32 v9, v48, v9, v60
	;; [unrolled: 1-line block ×3, first 2 shown]
	scratch_store_b32 off, v22, off offset:408 ; 4-byte Folded Spill
	v_add3_u32 v49, v49, v73, v76
	scratch_store_b32 off, v23, off offset:1188 ; 4-byte Folded Spill
	v_bfe_i32 v44, v5, 0, 8
	v_add3_u32 v10, v10, v75, v48
	v_lshrrev_b16 v48, 8, v5
	v_bfe_u32 v5, v18, 20, 4
	v_bfe_i32 v60, v0, 0, 8
	v_bfe_u32 v148, v11, 20, 4
	v_add3_u32 v9, v9, v49, v10
	ds_load_u16 v10, v8
	ds_load_u16 v69, v8 offset:8
	v_bfe_i32 v49, v4, 16, 8
	v_bfe_i32 v53, v48, 0, 8
	v_mul_i32_i24_e32 v100, v5, v52
	v_lshrrev_b16 v48, 8, v2
	v_bfe_u32 v2, v13, 4, 4
	v_mul_i32_i24_e32 v116, v147, v39
	v_bfe_i32 v61, v1, 16, 8
	v_mad_i32_i24 v100, v216, v49, v100
	v_bfe_i32 v65, v48, 0, 8
	v_bfe_u32 v152, v12, 20, 4
	v_mul_i32_i24_e32 v119, v151, v38
	v_ashrrev_i32_e32 v35, 24, v3
	v_bfe_i32 v33, v3, 0, 8
	v_bfe_u32 v7, v14, 4, 4
	v_mul_i32_i24_e32 v115, v148, v58
	v_mul_i32_i24_e32 v118, v152, v61
	v_bfe_i32 v48, v3, 16, 8
	v_bfe_i32 v34, v70, 0, 8
	s_wait_dscnt 0x1
	v_lshrrev_b16 v94, 8, v10
	v_and_b32_e32 v144, 0xff, v10
	v_lshrrev_b16 v10, 8, v4
	v_lshrrev_b32_e32 v4, 4, v18
	v_mov_b32_e32 v77, v137
	s_wait_dscnt 0x0
	v_cvt_f32_ubyte0_e32 v75, v69
	v_mul_lo_u32 v8, v9, v144
	v_bfe_u32 v9, v18, 4, 4
	v_lshrrev_b16 v4, 8, v4
	v_bfe_i32 v50, v10, 0, 8
	v_bfe_u32 v166, v14, 20, 4
	v_mul_i32_i24_e32 v3, v7, v33
	v_mul_i32_i24_e32 v97, v9, v44
	v_and_b32_e32 v4, 15, v4
	v_cvt_f32_i32_e32 v95, v8
	v_lshrrev_b32_e32 v8, 4, v17
	v_mul_i32_i24_e32 v123, v166, v48
	v_mad_i32_i24 v97, v164, v51, v97
	v_and_b32_e32 v4, 0xffff, v4
	v_mov_b32_e32 v168, v7
	v_lshrrev_b16 v8, 8, v8
	scratch_load_b32 v214, off, off offset:140 ; 4-byte Folded Reload
	scratch_store_b32 off, v166, off offset:428 ; 4-byte Folded Spill
	v_mul_i32_i24_e32 v99, v4, v53
	v_mov_b32_e32 v76, v4
	v_lshrrev_b32_e32 v4, 4, v15
	v_and_b32_e32 v8, 15, v8
	scratch_store_b32 off, v5, off offset:376 ; 4-byte Folded Spill
	v_lshrrev_b32_e32 v5, 28, v15
	scratch_store_b32 off, v9, off offset:384 ; 4-byte Folded Spill
	v_lshrrev_b16 v4, 8, v4
	v_and_b32_e32 v163, 0xffff, v8
	v_lshrrev_b32_e32 v8, 28, v18
	scratch_store_b32 off, v5, off offset:388 ; 4-byte Folded Spill
	v_mul_i32_i24_e32 v9, v6, v54
	v_and_b32_e32 v4, 15, v4
	v_mul_i32_i24_e32 v10, v5, v43
	s_clause 0x1
	scratch_store_b32 off, v8, off offset:372
	scratch_store_b32 off, v76, off offset:380
	v_mul_i32_i24_e32 v101, v8, v45
	v_and_b32_e32 v4, 0xffff, v4
	v_bfe_u32 v8, v15, 4, 4
	scratch_store_b32 off, v6, off offset:392 ; 4-byte Folded Spill
	v_bfe_u32 v6, v16, 20, 4
	v_lshrrev_b32_e32 v5, 28, v16
	s_clause 0x1
	scratch_store_b32 off, v4, off offset:396
	scratch_store_b32 off, v8, off offset:400
	v_mul_i32_i24_e32 v102, v8, v42
	v_mul_i32_i24_e32 v8, v4, v55
	v_lshrrev_b32_e32 v4, 4, v16
	scratch_store_b32 off, v5, off offset:880 ; 4-byte Folded Spill
	v_mul_i32_i24_e32 v113, v5, v41
	v_lshrrev_b16 v5, 8, v0
	v_mul_i32_i24_e32 v96, v163, v50
	v_lshrrev_b16 v4, 8, v4
	scratch_store_b32 off, v6, off offset:404 ; 4-byte Folded Spill
	v_mul_i32_i24_e32 v112, v6, v56
	v_lshrrev_b16 v6, 8, v1
	v_bfe_i32 v59, v5, 0, 8
	v_and_b32_e32 v4, 15, v4
	v_lshrrev_b32_e32 v5, 28, v13
	v_mad_i32_i24 v101, v162, v46, v101
	v_mul_i32_i24_e32 v0, v150, v60
	v_bfe_i32 v62, v6, 0, 8
	v_and_b32_e32 v156, 0xffff, v4
	v_lshrrev_b32_e32 v4, 4, v11
	v_mul_i32_i24_e32 v1, v154, v63
	scratch_store_b32 off, v5, off offset:412 ; 4-byte Folded Spill
	v_bfe_u32 v6, v13, 20, 4
	v_mul_i32_i24_e32 v111, v156, v57
	v_lshrrev_b16 v4, 8, v4
	v_mul_i32_i24_e32 v122, v5, v37
	v_lshrrev_b32_e32 v5, 28, v14
	v_add3_u32 v96, v96, v99, v8
	v_add3_u32 v99, v100, v9, v112
	v_and_b32_e32 v4, 15, v4
	v_add3_u32 v97, v97, v102, v110
	v_add3_u32 v100, v101, v10, v113
	s_clause 0x2
	scratch_store_b32 off, v6, off offset:932
	scratch_store_b32 off, v2, off offset:420
	;; [unrolled: 1-line block ×3, first 2 shown]
	v_and_b32_e32 v149, 0xffff, v4
	v_lshrrev_b32_e32 v4, 4, v12
	v_mul_i32_i24_e32 v2, v2, v36
	v_mul_i32_i24_e32 v121, v6, v64
	;; [unrolled: 1-line block ×4, first 2 shown]
	v_lshrrev_b16 v4, 8, v4
	v_add3_u32 v100, v100, v116, v119
	v_add3_u32 v0, v97, v0, v1
	;; [unrolled: 1-line block ×4, first 2 shown]
	v_and_b32_e32 v4, 15, v4
	v_dual_mov_b32 v114, v255 :: v_dual_mov_b32 v255, v254
	v_mov_b32_e32 v254, v253
	v_add3_u32 v0, v0, v2, v3
	s_delay_alu instid0(VALU_DEP_4)
	v_and_b32_e32 v153, 0xffff, v4
	v_lshrrev_b32_e32 v4, 4, v13
	v_add3_u32 v2, v100, v122, v124
	v_add3_u32 v1, v1, v121, v123
	v_mov_b32_e32 v253, v170
	v_mul_i32_i24_e32 v117, v153, v62
	v_lshrrev_b16 v4, 8, v4
	s_delay_alu instid0(VALU_DEP_1) | instskip(NEXT) | instid1(VALU_DEP_1)
	v_and_b32_e32 v4, 15, v4
	v_and_b32_e32 v4, 0xffff, v4
	scratch_store_b32 off, v4, off offset:416 ; 4-byte Folded Spill
	v_mul_i32_i24_e32 v120, v4, v65
	v_lshrrev_b32_e32 v4, 4, v14
	s_delay_alu instid0(VALU_DEP_2) | instskip(NEXT) | instid1(VALU_DEP_2)
	v_add3_u32 v96, v96, v117, v120
	v_lshrrev_b16 v4, 8, v4
	s_delay_alu instid0(VALU_DEP_1) | instskip(SKIP_1) | instid1(VALU_DEP_2)
	v_and_b32_e32 v71, 15, v4
	v_cvt_f32_ubyte1_e32 v4, v69
	v_and_b32_e32 v6, 0xffff, v71
	s_clause 0x1
	scratch_store_b32 off, v4, off offset:444
	scratch_store_b32 off, v6, off offset:432
	v_mul_i32_i24_e32 v14, v6, v34
	s_delay_alu instid0(VALU_DEP_1) | instskip(NEXT) | instid1(VALU_DEP_1)
	v_add3_u32 v2, v96, v14, v2
	v_add3_u32 v0, v0, v1, v2
	ds_load_b64 v[2:3], v92 offset:27200
	v_and_b32_e32 v1, 0xffff, v94
	s_clause 0x1
	scratch_store_b32 off, v168, off offset:436
	scratch_store_b32 off, v1, off offset:440
	v_mul_lo_u32 v0, v0, v1
	s_delay_alu instid0(VALU_DEP_1) | instskip(SKIP_3) | instid1(VALU_DEP_2)
	v_cvt_f32_i32_e32 v0, v0
	s_wait_dscnt 0x0
	v_fma_mix_f32 v1, v95, v2, 0 op_sel_hi:[0,1,0]
	v_fma_mix_f32 v14, v75, v2, 0 op_sel:[0,1,0] op_sel_hi:[0,1,0]
	v_fma_mix_f32 v0, v0, v3, v1 op_sel_hi:[0,1,0]
	s_delay_alu instid0(VALU_DEP_2) | instskip(SKIP_3) | instid1(VALU_DEP_1)
	v_fma_mix_f32 v1, v4, v3, v14 op_sel:[0,1,0] op_sel_hi:[0,1,0]
	scratch_load_b32 v4, off, off offset:152 ; 4-byte Folded Reload
	s_wait_loadcnt 0x0
	v_mul_f32_e32 v1, v1, v4
	v_fma_f32 v0, v0, v214, -v1
	v_add_nc_u32_e32 v1, s16, v200
	s_delay_alu instid0(VALU_DEP_2)
	v_add_f32_e32 v127, v127, v0
	ds_load_2addr_b32 v[94:95], v1 offset1:1
	ds_load_2addr_b32 v[125:126], v1 offset0:4 offset1:5
	v_add3_u32 v0, s13, v187, v128
	scratch_store_b32 off, v127, off offset:832 ; 4-byte Folded Spill
	ds_load_2addr_b32 v[127:128], v1 offset0:6 offset1:7
	s_wait_dscnt 0x2
	v_and_b32_e32 v238, 15, v94
	v_bfe_u32 v221, v94, 8, 4
	v_bfe_u32 v218, v94, 16, 4
	;; [unrolled: 1-line block ×3, first 2 shown]
	v_and_b32_e32 v230, 15, v95
	v_mul_i32_i24_e32 v14, v131, v238
	v_bfe_u32 v229, v95, 8, 4
	v_mul_i32_i24_e32 v92, v134, v218
	v_mul_i32_i24_e32 v96, v132, v233
	v_bfe_u32 v228, v95, 16, 4
	v_mad_i32_i24 v14, v133, v221, v14
	v_bfe_u32 v227, v95, 24, 4
	s_wait_dscnt 0x1
	v_and_b32_e32 v99, 15, v125
	v_bfe_u32 v4, v125, 8, 4
	v_mul_i32_i24_e32 v97, v109, v228
	v_add3_u32 v14, v14, v92, v96
	v_mul_i32_i24_e32 v92, v107, v230
	v_mul_i32_i24_e32 v96, v108, v229
	;; [unrolled: 1-line block ×3, first 2 shown]
	v_bfe_u32 v160, v125, 16, 4
	v_bfe_u32 v158, v125, 24, 4
	v_and_b32_e32 v157, 15, v126
	v_add3_u32 v14, v14, v96, v92
	v_bfe_u32 v146, v126, 8, 4
	s_clause 0x4
	scratch_store_b32 off, v160, off offset:352
	scratch_store_b32 off, v158, off offset:356
	;; [unrolled: 1-line block ×5, first 2 shown]
	v_add3_u32 v14, v14, v97, v100
	ds_load_2addr_b32 v[96:97], v1 offset0:2 offset1:3
	v_bfe_u32 v246, v126, 24, 4
	s_wait_dscnt 0x1
	v_and_b32_e32 v72, 15, v127
	s_clause 0x6
	scratch_store_b32 off, v238, off offset:868
	scratch_store_b32 off, v218, off offset:872
	;; [unrolled: 1-line block ×7, first 2 shown]
	v_mul_i32_i24_e32 v1, v78, v72
	s_clause 0x1
	scratch_store_b32 off, v99, off offset:348
	scratch_store_b32 off, v72, off offset:1088
	v_bfe_u32 v5, v94, 4, 4
	s_wait_dscnt 0x0
	v_and_b32_e32 v225, 15, v96
	v_bfe_u32 v220, v96, 8, 4
	v_bfe_u32 v219, v96, 16, 4
	;; [unrolled: 1-line block ×3, first 2 shown]
	v_and_b32_e32 v215, 15, v97
	v_mul_i32_i24_e32 v92, v103, v225
	v_mul_i32_i24_e32 v100, v104, v220
	;; [unrolled: 1-line block ×4, first 2 shown]
	v_bfe_u32 v213, v97, 8, 4
	v_bfe_u32 v189, v97, 16, 4
	v_add3_u32 v14, v14, v100, v92
	v_mul_i32_i24_e32 v92, v90, v215
	v_bfe_u32 v174, v97, 24, 4
	v_mul_i32_i24_e32 v100, v91, v213
	s_clause 0x6
	scratch_store_b32 off, v220, off offset:320
	scratch_store_b32 off, v219, off offset:324
	;; [unrolled: 1-line block ×7, first 2 shown]
	v_add3_u32 v14, v14, v101, v102
	v_mul_i32_i24_e32 v101, v93, v189
	v_mul_i32_i24_e32 v102, v98, v174
	s_delay_alu instid0(VALU_DEP_3) | instskip(SKIP_3) | instid1(VALU_DEP_4)
	v_add3_u32 v14, v14, v100, v92
	v_mul_i32_i24_e32 v92, v86, v99
	v_mul_i32_i24_e32 v100, v87, v4
	v_bfe_u32 v4, v126, 16, 4
	v_add3_u32 v14, v14, v101, v102
	v_mul_i32_i24_e32 v101, v88, v160
	v_mul_i32_i24_e32 v102, v89, v158
	scratch_store_b32 off, v4, off offset:564 ; 4-byte Folded Spill
	v_add3_u32 v14, v14, v100, v92
	v_mul_i32_i24_e32 v92, v82, v157
	v_mul_i32_i24_e32 v100, v83, v146
	s_delay_alu instid0(VALU_DEP_3) | instskip(SKIP_3) | instid1(VALU_DEP_4)
	v_add3_u32 v14, v14, v101, v102
	v_mul_i32_i24_e32 v101, v84, v4
	v_bfe_u32 v4, v127, 8, 4
	v_mul_i32_i24_e32 v102, v85, v246
	v_add3_u32 v14, v14, v100, v92
	scratch_store_b32 off, v4, off offset:460 ; 4-byte Folded Spill
	v_mul_i32_i24_e32 v92, v79, v4
	v_bfe_u32 v4, v127, 16, 4
	v_add3_u32 v14, v14, v101, v102
	scratch_store_b32 off, v4, off offset:252 ; 4-byte Folded Spill
	v_mul_i32_i24_e32 v100, v80, v4
	v_bfe_u32 v4, v127, 24, 4
	v_add3_u32 v1, v14, v92, v1
	scratch_store_b32 off, v4, off offset:256 ; 4-byte Folded Spill
	v_mul_i32_i24_e32 v101, v81, v4
	v_and_b32_e32 v4, 15, v128
	s_delay_alu instid0(VALU_DEP_2)
	v_add3_u32 v1, v1, v100, v101
	scratch_store_b32 off, v4, off offset:260 ; 4-byte Folded Spill
	v_mul_i32_i24_e32 v14, v47, v4
	v_bfe_u32 v4, v128, 8, 4
	scratch_store_b32 off, v4, off offset:264 ; 4-byte Folded Spill
	v_mul_i32_i24_e32 v92, v66, v4
	v_bfe_u32 v4, v128, 16, 4
	s_delay_alu instid0(VALU_DEP_2) | instskip(SKIP_4) | instid1(VALU_DEP_2)
	v_add3_u32 v1, v1, v92, v14
	scratch_store_b32 off, v4, off offset:268 ; 4-byte Folded Spill
	v_mul_i32_i24_e32 v100, v67, v4
	v_bfe_u32 v4, v128, 24, 4
	v_mul_i32_i24_e32 v92, v51, v5
	v_mul_i32_i24_e32 v101, v68, v4
	scratch_store_b32 off, v4, off offset:272 ; 4-byte Folded Spill
	v_add3_u32 v1, v1, v100, v101
	v_dual_mov_b32 v101, v138 :: v_dual_mov_b32 v138, v145
	s_clause 0x1
	scratch_store_b32 off, v227, off offset:312
	scratch_store_b32 off, v225, off offset:316
	ds_load_u16 v14, v0
	ds_load_u16 v0, v0 offset:8
	s_clause 0x1
	scratch_load_b32 v232, off, off offset:156
	scratch_load_b32 v237, off, off offset:144
	s_wait_dscnt 0x1
	v_and_b32_e32 v4, 0xff, v14
	v_lshrrev_b16 v129, 8, v14
	s_clause 0x1
	scratch_store_b32 off, v4, off offset:580
	scratch_store_b32 off, v5, off offset:588
	v_mul_lo_u32 v1, v1, v4
	s_wait_dscnt 0x0
	v_cvt_f32_ubyte0_e32 v4, v0
	v_bfe_u32 v5, v94, 12, 4
	v_cvt_f32_ubyte1_e32 v0, v0
	scratch_store_b32 off, v4, off offset:592 ; 4-byte Folded Spill
	v_fma_mix_f32 v14, v2, v4, 0 op_sel:[1,0,0] op_sel_hi:[1,0,0]
	v_bfe_u32 v4, v94, 20, 4
	v_mad_i32_i24 v92, v50, v5, v92
	v_cvt_f32_i32_e32 v1, v1
	scratch_store_b32 off, v0, off offset:640 ; 4-byte Folded Spill
	v_fma_mix_f32 v0, v3, v0, v14 op_sel:[1,0,0] op_sel_hi:[1,0,0]
	scratch_store_b32 off, v4, off offset:996 ; 4-byte Folded Spill
	v_mul_i32_i24_e32 v100, v49, v4
	v_lshrrev_b32_e32 v4, 28, v94
	v_fma_mix_f32 v1, v2, v1, 0 op_sel_hi:[1,0,0]
	v_add3_u32 v14, s13, v222, v241
	v_mov_b32_e32 v241, v165
	scratch_store_b32 off, v4, off offset:100 ; 4-byte Folded Spill
	v_mul_i32_i24_e32 v94, v46, v4
	v_bfe_u32 v4, v95, 20, 4
	s_delay_alu instid0(VALU_DEP_2)
	v_add3_u32 v182, v92, v100, v94
	scratch_store_b32 off, v4, off offset:584 ; 4-byte Folded Spill
	v_mul_i32_i24_e32 v185, v52, v4
	v_lshrrev_b32_e32 v4, 28, v95
	scratch_store_b32 off, v5, off offset:596 ; 4-byte Folded Spill
	v_bfe_u32 v5, v95, 4, 4
	v_mov_b32_e32 v94, v136
	v_mov_b32_e32 v136, v172
	scratch_store_b32 off, v4, off offset:600 ; 4-byte Folded Spill
	v_mul_i32_i24_e32 v186, v45, v4
	v_bfe_u32 v4, v96, 20, 4
	v_mul_i32_i24_e32 v183, v44, v5
	scratch_store_b32 off, v4, off offset:604 ; 4-byte Folded Spill
	v_mul_i32_i24_e32 v191, v54, v4
	v_lshrrev_b32_e32 v4, 28, v96
	scratch_store_b32 off, v5, off offset:548 ; 4-byte Folded Spill
	v_bfe_u32 v5, v95, 12, 4
	scratch_store_b32 off, v4, off offset:552 ; 4-byte Folded Spill
	v_mul_i32_i24_e32 v192, v43, v4
	scratch_store_b32 off, v5, off offset:104 ; 4-byte Folded Spill
	v_mul_i32_i24_e32 v184, v53, v5
	v_bfe_u32 v5, v96, 4, 4
	v_bfe_u32 v4, v97, 20, 4
	s_delay_alu instid0(VALU_DEP_3)
	v_add3_u32 v182, v182, v183, v184
	scratch_store_b32 off, v5, off offset:1192 ; 4-byte Folded Spill
	v_mul_i32_i24_e32 v187, v42, v5
	v_bfe_u32 v5, v96, 12, 4
	scratch_store_b32 off, v4, off offset:608 ; 4-byte Folded Spill
	v_add3_u32 v182, v182, v185, v186
	v_mul_i32_i24_e32 v195, v56, v4
	v_lshrrev_b32_e32 v4, 28, v97
	scratch_store_b32 off, v5, off offset:276 ; 4-byte Folded Spill
	v_mul_i32_i24_e32 v190, v55, v5
	v_bfe_u32 v5, v97, 4, 4
	scratch_store_b32 off, v4, off offset:612 ; 4-byte Folded Spill
	v_mul_i32_i24_e32 v196, v41, v4
	v_add3_u32 v182, v182, v187, v190
	scratch_store_b32 off, v5, off offset:1156 ; 4-byte Folded Spill
	v_mul_i32_i24_e32 v193, v40, v5
	v_bfe_u32 v5, v97, 12, 4
	v_bfe_u32 v4, v125, 20, 4
	v_add3_u32 v182, v182, v191, v192
	scratch_store_b32 off, v5, off offset:108 ; 4-byte Folded Spill
	v_mul_i32_i24_e32 v194, v57, v5
	v_bfe_u32 v5, v125, 4, 4
	scratch_store_b32 off, v4, off offset:568 ; 4-byte Folded Spill
	v_mul_i32_i24_e32 v199, v58, v4
	v_lshrrev_b32_e32 v4, 28, v125
	v_add3_u32 v182, v182, v193, v194
	scratch_store_b32 off, v5, off offset:1160 ; 4-byte Folded Spill
	v_mul_i32_i24_e32 v197, v60, v5
	v_bfe_u32 v5, v125, 12, 4
	scratch_store_b32 off, v4, off offset:572 ; 4-byte Folded Spill
	v_mul_i32_i24_e32 v200, v39, v4
	v_bfe_u32 v4, v126, 20, 4
	v_add3_u32 v182, v182, v195, v196
	scratch_store_b32 off, v5, off offset:280 ; 4-byte Folded Spill
	v_mul_i32_i24_e32 v198, v59, v5
	v_bfe_u32 v5, v126, 4, 4
	scratch_store_b32 off, v4, off offset:448 ; 4-byte Folded Spill
	v_mul_i32_i24_e32 v203, v61, v4
	v_lshrrev_b32_e32 v4, 28, v126
	v_add3_u32 v182, v182, v197, v198
	scratch_store_b32 off, v5, off offset:576 ; 4-byte Folded Spill
	v_mul_i32_i24_e32 v201, v63, v5
	v_bfe_u32 v5, v126, 12, 4
	v_mul_i32_i24_e32 v204, v38, v4
	v_add3_u32 v182, v182, v199, v200
	v_bfe_u32 v126, v128, 12, 4
	scratch_store_b32 off, v5, off offset:112 ; 4-byte Folded Spill
	v_mul_i32_i24_e32 v202, v62, v5
	v_bfe_u32 v5, v127, 4, 4
	scratch_store_b32 off, v4, off offset:464 ; 4-byte Folded Spill
	v_bfe_u32 v4, v127, 20, 4
	v_mul_i32_i24_e32 v210, v34, v126
	v_add3_u32 v182, v182, v201, v202
	v_mul_i32_i24_e32 v205, v36, v5
	s_clause 0x1
	scratch_store_b32 off, v126, off offset:288
	scratch_store_b32 off, v4, off offset:452
	v_mul_i32_i24_e32 v207, v64, v4
	v_lshrrev_b32_e32 v4, 28, v127
	scratch_store_b32 off, v5, off offset:468 ; 4-byte Folded Spill
	v_bfe_u32 v5, v127, 12, 4
	v_add3_u32 v182, v182, v203, v204
	v_bfe_u32 v127, v128, 4, 4
	scratch_store_b32 off, v4, off offset:472 ; 4-byte Folded Spill
	v_mul_i32_i24_e32 v208, v37, v4
	v_mul_i32_i24_e32 v206, v65, v5
	v_bfe_u32 v4, v128, 20, 4
	v_mul_i32_i24_e32 v209, v33, v127
	scratch_store_b32 off, v5, off offset:284 ; 4-byte Folded Spill
	v_add3_u32 v182, v182, v205, v206
	scratch_store_b32 off, v4, off offset:456 ; 4-byte Folded Spill
	v_mul_i32_i24_e32 v211, v48, v4
	v_lshrrev_b32_e32 v4, 28, v128
	v_add3_u32 v182, v182, v207, v208
	v_mov_b32_e32 v207, v156
	s_delay_alu instid0(VALU_DEP_3) | instskip(SKIP_3) | instid1(VALU_DEP_2)
	v_mul_i32_i24_e32 v128, v35, v4
	scratch_store_b32 off, v4, off offset:476 ; 4-byte Folded Spill
	v_add3_u32 v182, v182, v209, v210
	v_and_b32_e32 v4, 0xffff, v129
	v_add3_u32 v182, v182, v211, v128
	scratch_store_b32 off, v4, off offset:480 ; 4-byte Folded Spill
	v_mul_lo_u32 v129, v182, v4
	s_delay_alu instid0(VALU_DEP_1) | instskip(NEXT) | instid1(VALU_DEP_1)
	v_cvt_f32_i32_e32 v129, v129
	v_fma_mix_f32 v1, v3, v129, v1 op_sel_hi:[1,0,0]
	s_wait_loadcnt 0x1
	v_mul_f32_e32 v0, v0, v232
	s_wait_loadcnt 0x0
	s_delay_alu instid0(VALU_DEP_1) | instskip(NEXT) | instid1(VALU_DEP_1)
	v_fma_f32 v0, v1, v237, -v0
	v_add_f32_e32 v240, v240, v0
	v_add_nc_u32_e32 v0, s16, v169
	scratch_store_b32 off, v240, off offset:836 ; 4-byte Folded Spill
	ds_load_2addr_b32 v[182:183], v0 offset1:1
	s_wait_dscnt 0x0
	v_and_b32_e32 v1, 15, v182
	v_bfe_u32 v4, v182, 8, 4
	v_bfe_u32 v208, v182, 16, 4
	v_bfe_u32 v5, v182, 24, 4
	v_and_b32_e32 v210, 15, v183
	s_clause 0x1
	scratch_store_b32 off, v1, off offset:616
	scratch_store_b32 off, v4, off offset:620
	v_mul_i32_i24_e32 v1, v131, v1
	v_mul_i32_i24_e32 v184, v134, v208
	;; [unrolled: 1-line block ×3, first 2 shown]
	v_bfe_u32 v211, v183, 8, 4
	v_mov_b32_e32 v209, v5
	v_mad_i32_i24 v1, v133, v4, v1
	v_bfe_u32 v4, v183, 16, 4
	v_mov_b32_e32 v137, v212
	v_bfe_u32 v5, v182, 4, 4
	v_lshrrev_b32_e32 v244, 28, v183
	v_add3_u32 v1, v1, v184, v185
	v_mul_i32_i24_e32 v184, v107, v210
	v_mul_i32_i24_e32 v185, v108, v211
	scratch_store_b32 off, v4, off offset:624 ; 4-byte Folded Spill
	v_mul_i32_i24_e32 v186, v109, v4
	v_bfe_u32 v4, v183, 24, 4
	scratch_store_b32 off, v209, off offset:32 ; 4-byte Folded Spill
	v_add3_u32 v1, v1, v185, v184
	ds_load_2addr_b32 v[184:185], v0 offset0:2 offset1:3
	v_mov_b32_e32 v212, v171
	scratch_store_b32 off, v4, off offset:36 ; 4-byte Folded Spill
	v_mul_i32_i24_e32 v187, v130, v4
	s_delay_alu instid0(VALU_DEP_1)
	v_add3_u32 v1, v1, v186, v187
	s_wait_dscnt 0x0
	v_and_b32_e32 v4, 15, v184
	v_bfe_u32 v74, v184, 4, 4
	scratch_store_b32 off, v4, off offset:40 ; 4-byte Folded Spill
	v_mul_i32_i24_e32 v186, v103, v4
	v_bfe_u32 v4, v184, 8, 4
	v_mul_i32_i24_e32 v28, v42, v74
	scratch_store_b32 off, v4, off offset:44 ; 4-byte Folded Spill
	v_mul_i32_i24_e32 v187, v104, v4
	v_bfe_u32 v4, v184, 16, 4
	s_delay_alu instid0(VALU_DEP_2)
	v_add3_u32 v1, v1, v187, v186
	scratch_store_b32 off, v4, off offset:48 ; 4-byte Folded Spill
	v_mul_i32_i24_e32 v190, v105, v4
	v_bfe_u32 v4, v184, 24, 4
	scratch_store_b32 off, v4, off offset:52 ; 4-byte Folded Spill
	v_mul_i32_i24_e32 v191, v106, v4
	v_and_b32_e32 v4, 15, v185
	s_delay_alu instid0(VALU_DEP_2) | instskip(SKIP_3) | instid1(VALU_DEP_1)
	v_add3_u32 v1, v1, v190, v191
	scratch_store_b32 off, v4, off offset:56 ; 4-byte Folded Spill
	v_mul_i32_i24_e32 v186, v90, v4
	v_bfe_u32 v4, v185, 8, 4
	v_mul_i32_i24_e32 v187, v91, v4
	scratch_store_b32 off, v4, off offset:628 ; 4-byte Folded Spill
	v_bfe_u32 v4, v185, 16, 4
	v_add3_u32 v1, v1, v187, v186
	ds_load_2addr_b32 v[186:187], v0 offset0:4 offset1:5
	scratch_store_b32 off, v4, off offset:632 ; 4-byte Folded Spill
	v_mul_i32_i24_e32 v190, v93, v4
	v_bfe_u32 v4, v185, 24, 4
	scratch_store_b32 off, v4, off offset:636 ; 4-byte Folded Spill
	v_mul_i32_i24_e32 v191, v98, v4
	s_delay_alu instid0(VALU_DEP_1)
	v_add3_u32 v1, v1, v190, v191
	s_wait_dscnt 0x0
	v_and_b32_e32 v4, 15, v186
	v_bfe_u32 v239, v186, 8, 4
	v_bfe_u32 v240, v186, 24, 4
	v_and_b32_e32 v129, 15, v187
	v_bfe_u32 v251, v187, 8, 4
	scratch_store_b32 off, v4, off offset:1164 ; 4-byte Folded Spill
	v_mul_i32_i24_e32 v190, v86, v4
	v_mul_i32_i24_e32 v191, v87, v239
	v_bfe_u32 v4, v186, 16, 4
	v_mul_i32_i24_e32 v193, v89, v240
	v_bfe_u32 v102, v187, 16, 4
	v_bfe_u32 v100, v187, 24, 4
	v_add3_u32 v1, v1, v191, v190
	v_mul_i32_i24_e32 v192, v88, v4
	v_mul_i32_i24_e32 v190, v82, v129
	;; [unrolled: 1-line block ×3, first 2 shown]
	s_clause 0x2
	scratch_store_b32 off, v4, off offset:1168
	scratch_store_b32 off, v251, off offset:1148
	;; [unrolled: 1-line block ×3, first 2 shown]
	v_add3_u32 v1, v1, v192, v193
	v_mul_i32_i24_e32 v192, v84, v102
	v_mul_i32_i24_e32 v193, v85, v100
	scratch_store_b32 off, v239, off offset:1108 ; 4-byte Folded Spill
	v_add3_u32 v1, v1, v191, v190
	s_delay_alu instid0(VALU_DEP_1)
	v_add3_u32 v190, v1, v192, v193
	ds_load_2addr_b32 v[0:1], v0 offset0:6 offset1:7
	s_wait_dscnt 0x0
	v_and_b32_e32 v4, 15, v0
	v_bfe_u32 v155, v0, 24, 4
	v_bfe_u32 v125, v1, 8, 4
	s_clause 0x2
	scratch_store_b32 off, v129, off offset:1144
	scratch_store_b32 off, v100, off offset:1132
	;; [unrolled: 1-line block ×3, first 2 shown]
	v_mul_i32_i24_e32 v191, v78, v4
	v_bfe_u32 v4, v0, 8, 4
	v_mul_i32_i24_e32 v194, v81, v155
	s_clause 0x1
	scratch_store_b32 off, v155, off offset:1136
	scratch_store_b32 off, v125, off offset:1140
	v_bfe_u32 v96, v0, 20, 4
	scratch_store_b32 off, v4, off offset:860 ; 4-byte Folded Spill
	v_mul_i32_i24_e32 v192, v79, v4
	v_bfe_u32 v4, v0, 16, 4
	v_bfe_u32 v179, v0, 12, 4
	;; [unrolled: 1-line block ×3, first 2 shown]
	v_mul_i32_i24_e32 v7, v64, v96
	v_add3_u32 v190, v190, v192, v191
	scratch_store_b32 off, v4, off offset:848 ; 4-byte Folded Spill
	v_mul_i32_i24_e32 v193, v80, v4
	v_and_b32_e32 v4, 15, v1
	v_mul_i32_i24_e32 v192, v66, v125
	v_mul_i32_i24_e32 v8, v65, v179
	s_delay_alu instid0(VALU_DEP_4) | instskip(SKIP_3) | instid1(VALU_DEP_2)
	v_add3_u32 v190, v190, v193, v194
	scratch_store_b32 off, v4, off offset:844 ; 4-byte Folded Spill
	v_mul_i32_i24_e32 v191, v47, v4
	v_bfe_u32 v4, v1, 16, 4
	v_add3_u32 v190, v190, v192, v191
	scratch_store_b32 off, v4, off offset:852 ; 4-byte Folded Spill
	v_mul_i32_i24_e32 v193, v67, v4
	v_bfe_u32 v4, v1, 24, 4
	scratch_store_b32 off, v4, off offset:864 ; 4-byte Folded Spill
	ds_load_u16 v191, v14
	ds_load_u16 v14, v14 offset:8
	v_mul_i32_i24_e32 v194, v68, v4
	s_clause 0x3
	scratch_store_b32 off, v5, off offset:1172
	scratch_store_b32 off, v244, off offset:644
	;; [unrolled: 1-line block ×4, first 2 shown]
	v_add3_u32 v190, v190, v193, v194
	s_wait_dscnt 0x1
	v_and_b32_e32 v4, 0xff, v191
	v_lshrrev_b16 v16, 8, v191
	s_wait_dscnt 0x0
	v_cvt_f32_ubyte0_e32 v242, v14
	s_delay_alu instid0(VALU_DEP_3) | instskip(NEXT) | instid1(VALU_DEP_2)
	v_mul_lo_u32 v190, v190, v4
	v_fma_mix_f32 v32, v2, v242, 0 op_sel:[1,0,0] op_sel_hi:[1,0,0]
	s_delay_alu instid0(VALU_DEP_2) | instskip(NEXT) | instid1(VALU_DEP_1)
	v_cvt_f32_i32_e32 v190, v190
	v_fma_mix_f32 v15, v2, v190, 0 op_sel_hi:[1,0,0]
	v_mul_i32_i24_e32 v190, v51, v5
	v_bfe_u32 v5, v182, 12, 4
	scratch_store_b32 off, v4, off offset:664 ; 4-byte Folded Spill
	v_bfe_u32 v4, v182, 20, 4
	scratch_store_b32 off, v5, off offset:668 ; 4-byte Folded Spill
	v_mad_i32_i24 v190, v50, v5, v190
	v_bfe_u32 v5, v183, 4, 4
	scratch_store_b32 off, v4, off offset:248 ; 4-byte Folded Spill
	v_mul_i32_i24_e32 v191, v49, v4
	v_lshrrev_b32_e32 v4, 28, v182
	scratch_store_b32 off, v5, off offset:672 ; 4-byte Folded Spill
	v_mul_i32_i24_e32 v31, v44, v5
	v_bfe_u32 v5, v183, 12, 4
	scratch_store_b32 off, v4, off offset:660 ; 4-byte Folded Spill
	v_mul_i32_i24_e32 v182, v46, v4
	v_bfe_u32 v4, v183, 20, 4
	v_mul_i32_i24_e32 v183, v45, v244
	scratch_store_b32 off, v5, off offset:680 ; 4-byte Folded Spill
	v_mul_i32_i24_e32 v29, v53, v5
	v_bfe_u32 v5, v184, 12, 4
	s_clause 0x2
	scratch_store_b32 off, v74, off offset:648
	scratch_store_b32 off, v242, off offset:656
	;; [unrolled: 1-line block ×3, first 2 shown]
	v_mul_i32_i24_e32 v30, v52, v4
	v_bfe_u32 v4, v184, 20, 4
	v_add3_u32 v182, v190, v191, v182
	scratch_store_b32 off, v5, off offset:652 ; 4-byte Folded Spill
	v_mul_i32_i24_e32 v27, v55, v5
	v_bfe_u32 v5, v185, 4, 4
	scratch_store_b32 off, v4, off offset:1176 ; 4-byte Folded Spill
	v_mul_i32_i24_e32 v26, v54, v4
	v_lshrrev_b32_e32 v4, 28, v184
	v_add3_u32 v29, v182, v31, v29
	scratch_store_b32 off, v5, off offset:688 ; 4-byte Folded Spill
	v_mul_i32_i24_e32 v24, v40, v5
	v_bfe_u32 v5, v185, 12, 4
	scratch_store_b32 off, v4, off offset:684 ; 4-byte Folded Spill
	v_mul_i32_i24_e32 v25, v43, v4
	v_bfe_u32 v4, v185, 20, 4
	v_add3_u32 v29, v29, v30, v183
	v_mul_i32_i24_e32 v23, v57, v5
	scratch_store_b32 off, v4, off offset:692 ; 4-byte Folded Spill
	v_mul_i32_i24_e32 v22, v56, v4
	v_lshrrev_b32_e32 v4, 28, v185
	scratch_store_b32 off, v5, off offset:696 ; 4-byte Folded Spill
	v_bfe_u32 v5, v186, 4, 4
	v_add3_u32 v27, v29, v28, v27
	scratch_store_b32 off, v4, off offset:700 ; 4-byte Folded Spill
	v_mul_i32_i24_e32 v21, v41, v4
	v_bfe_u32 v4, v186, 20, 4
	scratch_store_b32 off, v5, off offset:136 ; 4-byte Folded Spill
	v_mul_i32_i24_e32 v20, v60, v5
	v_bfe_u32 v5, v186, 12, 4
	v_add3_u32 v25, v27, v26, v25
	scratch_store_b32 off, v4, off offset:704 ; 4-byte Folded Spill
	v_mul_i32_i24_e32 v18, v58, v4
	v_lshrrev_b32_e32 v4, 28, v186
	scratch_store_b32 off, v5, off offset:708 ; 4-byte Folded Spill
	v_mul_i32_i24_e32 v19, v59, v5
	v_bfe_u32 v5, v187, 4, 4
	v_add3_u32 v23, v25, v24, v23
	scratch_store_b32 off, v4, off offset:96 ; 4-byte Folded Spill
	v_mul_i32_i24_e32 v17, v39, v4
	v_bfe_u32 v4, v187, 20, 4
	scratch_store_b32 off, v5, off offset:712 ; 4-byte Folded Spill
	v_mul_i32_i24_e32 v13, v63, v5
	v_bfe_u32 v5, v187, 12, 4
	v_add3_u32 v21, v23, v22, v21
	v_mul_i32_i24_e32 v11, v61, v4
	scratch_store_b32 off, v5, off offset:8 ; 4-byte Folded Spill
	v_mul_i32_i24_e32 v12, v62, v5
	v_bfe_u32 v5, v0, 4, 4
	v_lshrrev_b32_e32 v0, 28, v0
	v_add3_u32 v19, v21, v20, v19
	s_delay_alu instid0(VALU_DEP_3)
	v_mul_i32_i24_e32 v9, v36, v5
	s_clause 0x1
	scratch_store_b32 off, v0, off offset:116
	scratch_store_b32 off, v5, off offset:132
	v_mul_i32_i24_e32 v6, v37, v0
	v_bfe_u32 v0, v1, 4, 4
	scratch_store_b32 off, v4, off offset:124 ; 4-byte Folded Spill
	v_lshrrev_b32_e32 v4, 28, v187
	v_add3_u32 v17, v19, v18, v17
	scratch_store_b32 off, v0, off offset:120 ; 4-byte Folded Spill
	v_mul_i32_i24_e32 v5, v33, v0
	v_mul_i32_i24_e32 v10, v38, v4
	v_add3_u32 v12, v17, v13, v12
	scratch_store_b32 off, v4, off offset:128 ; 4-byte Folded Spill
	v_bfe_u32 v0, v1, 12, 4
	scratch_store_b32 off, v69, off offset:12 ; 4-byte Folded Spill
	v_lshrrev_b32_e32 v1, 28, v1
	v_add3_u32 v10, v12, v11, v10
	v_mul_i32_i24_e32 v4, v48, v69
	scratch_store_b32 off, v0, off offset:16 ; 4-byte Folded Spill
	v_mul_i32_i24_e32 v0, v34, v0
	scratch_store_b32 off, v1, off offset:20 ; 4-byte Folded Spill
	v_add3_u32 v8, v10, v9, v8
	v_mul_i32_i24_e32 v1, v35, v1
	v_mov_b32_e32 v69, v75
	s_delay_alu instid0(VALU_DEP_3) | instskip(NEXT) | instid1(VALU_DEP_1)
	v_add3_u32 v6, v8, v7, v6
	v_add3_u32 v0, v6, v5, v0
	s_delay_alu instid0(VALU_DEP_1)
	v_add3_u32 v0, v0, v4, v1
	scratch_load_b32 v4, off, off offset:160 ; 4-byte Folded Reload
	v_and_b32_e32 v1, 0xffff, v16
	scratch_store_b32 off, v1, off offset:484 ; 4-byte Folded Spill
	v_mul_lo_u32 v0, v0, v1
	v_cvt_f32_ubyte1_e32 v1, v14
	scratch_store_b32 off, v1, off offset:488 ; 4-byte Folded Spill
	v_fma_mix_f32 v1, v3, v1, v32 op_sel:[1,0,0] op_sel_hi:[1,0,0]
	v_cvt_f32_i32_e32 v0, v0
	s_delay_alu instid0(VALU_DEP_1) | instskip(SKIP_1) | instid1(VALU_DEP_3)
	v_fma_mix_f32 v0, v3, v0, v15 op_sel_hi:[1,0,0]
	s_wait_loadcnt 0x0
	v_mul_f32_e32 v1, v1, v4
	scratch_load_b32 v4, off, off offset:148 ; 4-byte Folded Reload
	s_wait_loadcnt 0x0
	v_fma_f32 v0, v0, v4, -v1
	scratch_load_b32 v1, off, off offset:816 ; 4-byte Folded Reload
	s_wait_loadcnt 0x0
	v_add_f32_e32 v1, v1, v0
	scratch_store_b32 off, v1, off offset:816 ; 4-byte Folded Spill
	s_clause 0x1
	scratch_load_b32 v0, off, off offset:1300
	scratch_load_b32 v1, off, off offset:1324
	s_wait_loadcnt 0x0
	v_add3_u32 v4, s13, v1, v0
	scratch_load_b32 v0, off, off offset:1304 ; 4-byte Folded Reload
	s_wait_loadcnt 0x0
	v_add_nc_u32_e32 v5, s16, v0
	ds_load_2addr_b32 v[0:1], v5 offset1:1
	ds_load_2addr_b32 v[19:20], v5 offset0:2 offset1:3
	ds_load_2addr_b32 v[21:22], v5 offset0:4 offset1:5
	ds_load_2addr_b32 v[23:24], v5 offset0:6 offset1:7
	s_wait_dscnt 0x3
	v_and_b32_e32 v6, 15, v0
	v_bfe_u32 v9, v0, 8, 4
	v_bfe_u32 v7, v0, 16, 4
	;; [unrolled: 1-line block ×4, first 2 shown]
	scratch_store_b32 off, v6, off offset:1020 ; 4-byte Folded Spill
	v_mul_i32_i24_e32 v6, v131, v6
	scratch_store_b32 off, v7, off offset:1024 ; 4-byte Folded Spill
	v_mul_i32_i24_e32 v7, v134, v7
	;; [unrolled: 2-line block ×3, first 2 shown]
	v_mad_i32_i24 v6, v133, v9, v6
	s_wait_dscnt 0x0
	v_bfe_u32 v169, v23, 8, 4
	v_bfe_u32 v123, v20, 12, 4
	scratch_store_b32 off, v9, off offset:228 ; 4-byte Folded Spill
	v_bfe_u32 v9, v1, 16, 4
	v_add3_u32 v6, v6, v7, v8
	v_and_b32_e32 v7, 15, v1
	v_bfe_u32 v8, v1, 8, 4
	s_clause 0x1
	scratch_store_b32 off, v10, off offset:92
	scratch_store_b32 off, v9, off offset:88
	v_mul_i32_i24_e32 v9, v109, v9
	s_clause 0x1
	scratch_store_b32 off, v7, off offset:80
	scratch_store_b32 off, v8, off offset:84
	v_mul_i32_i24_e32 v7, v107, v7
	v_mul_i32_i24_e32 v8, v108, v8
	;; [unrolled: 1-line block ×3, first 2 shown]
	v_bfe_u32 v176, v21, 16, 4
	v_bfe_u32 v11, v21, 24, 4
	;; [unrolled: 1-line block ×3, first 2 shown]
	v_add3_u32 v6, v6, v8, v7
	v_and_b32_e32 v7, 15, v19
	v_bfe_u32 v8, v19, 8, 4
	v_mov_b32_e32 v180, v11
	v_bfe_u32 v135, v23, 24, 4
	v_add3_u32 v6, v6, v9, v10
	scratch_store_b32 off, v7, off offset:500 ; 4-byte Folded Spill
	v_mul_i32_i24_e32 v7, v103, v7
	v_bfe_u32 v9, v19, 16, 4
	scratch_store_b32 off, v8, off offset:504 ; 4-byte Folded Spill
	v_mul_i32_i24_e32 v8, v104, v8
	v_bfe_u32 v10, v19, 24, 4
	v_and_b32_e32 v73, 15, v24
	scratch_store_b32 off, v9, off offset:508 ; 4-byte Folded Spill
	v_mul_i32_i24_e32 v9, v105, v9
	v_add3_u32 v6, v6, v8, v7
	v_and_b32_e32 v7, 15, v20
	scratch_store_b32 off, v10, off offset:512 ; 4-byte Folded Spill
	v_mul_i32_i24_e32 v10, v106, v10
	v_bfe_u32 v8, v20, 8, 4
	s_clause 0x2
	scratch_store_b32 off, v176, off offset:1196
	scratch_store_b32 off, v180, off offset:1200
	;; [unrolled: 1-line block ×3, first 2 shown]
	v_add3_u32 v6, v6, v9, v10
	v_mul_i32_i24_e32 v7, v90, v7
	v_bfe_u32 v9, v20, 16, 4
	scratch_store_b32 off, v8, off offset:520 ; 4-byte Folded Spill
	v_mul_i32_i24_e32 v8, v91, v8
	v_bfe_u32 v10, v20, 24, 4
	s_clause 0x4
	scratch_store_b32 off, v169, off offset:232
	scratch_store_b32 off, v161, off offset:240
	;; [unrolled: 1-line block ×5, first 2 shown]
	v_mul_i32_i24_e32 v9, v93, v9
	v_mul_i32_i24_e32 v10, v98, v10
	v_add3_u32 v6, v6, v8, v7
	v_and_b32_e32 v7, 15, v21
	v_bfe_u32 v8, v21, 8, 4
	v_bfe_u32 v121, v21, 12, 4
	;; [unrolled: 1-line block ×3, first 2 shown]
	v_add3_u32 v6, v6, v9, v10
	scratch_store_b32 off, v7, off offset:1028 ; 4-byte Folded Spill
	v_mul_i32_i24_e32 v7, v86, v7
	scratch_store_b32 off, v8, off offset:492 ; 4-byte Folded Spill
	v_mul_i32_i24_e32 v8, v87, v8
	v_mul_i32_i24_e32 v9, v88, v176
	;; [unrolled: 1-line block ×3, first 2 shown]
	v_bfe_u32 v11, v22, 24, 4
	v_bfe_u32 v12, v19, 12, 4
	v_add3_u32 v6, v6, v8, v7
	v_and_b32_e32 v8, 15, v22
	v_bfe_u32 v17, v20, 20, 4
	s_delay_alu instid0(VALU_DEP_4) | instskip(NEXT) | instid1(VALU_DEP_4)
	v_dual_mov_b32 v186, v11 :: v_dual_mov_b32 v159, v12
	v_add3_u32 v6, v6, v9, v10
	v_bfe_u32 v9, v22, 8, 4
	v_mul_i32_i24_e32 v7, v82, v8
	v_mov_b32_e32 v181, v8
	v_bfe_u32 v10, v22, 16, 4
	v_bfe_u32 v124, v20, 4, 4
	v_mul_i32_i24_e32 v8, v83, v9
	v_mov_b32_e32 v184, v9
	scratch_store_b32 off, v181, off offset:1204 ; 4-byte Folded Spill
	v_mul_i32_i24_e32 v9, v84, v10
	v_mov_b32_e32 v185, v10
	v_mul_i32_i24_e32 v10, v85, v11
	v_add3_u32 v6, v6, v8, v7
	v_and_b32_e32 v7, 15, v23
	v_mul_i32_i24_e32 v8, v80, v161
	s_clause 0x1
	scratch_store_b32 off, v184, off offset:1116
	scratch_store_b32 off, v185, off offset:1120
	v_add3_u32 v6, v6, v9, v10
	v_mul_i32_i24_e32 v5, v78, v7
	v_mov_b32_e32 v188, v7
	v_mul_i32_i24_e32 v7, v79, v169
	v_mul_i32_i24_e32 v9, v81, v135
	scratch_store_b32 off, v186, off offset:1124 ; 4-byte Folded Spill
	v_bfe_u32 v10, v1, 20, 4
	scratch_store_b32 off, v188, off offset:1128 ; 4-byte Folded Spill
	v_add3_u32 v5, v6, v7, v5
	v_bfe_u32 v7, v24, 8, 4
	v_mul_i32_i24_e32 v6, v47, v73
	scratch_store_b32 off, v73, off offset:1184 ; 4-byte Folded Spill
	v_mul_i32_i24_e32 v11, v55, v12
	v_add3_u32 v5, v5, v8, v9
	v_bfe_u32 v8, v24, 16, 4
	v_bfe_u32 v9, v24, 24, 4
	scratch_store_b32 off, v7, off offset:1180 ; 4-byte Folded Spill
	v_mul_i32_i24_e32 v7, v66, v7
	v_mul_i32_i24_e32 v12, v54, v13
	s_clause 0x1
	scratch_store_b32 off, v8, off offset:556
	scratch_store_b32 off, v9, off offset:560
	v_mul_i32_i24_e32 v8, v67, v8
	v_add3_u32 v5, v5, v7, v6
	ds_load_u16 v6, v4
	ds_load_u16 v4, v4 offset:8
	v_mul_i32_i24_e32 v9, v68, v9
	scratch_load_b32 v116, off, off         ; 4-byte Folded Reload
	s_clause 0x1
	scratch_store_b32 off, v13, off offset:204
	scratch_store_b32 off, v124, off offset:216
	v_lshrrev_b32_e32 v13, 28, v19
	v_add3_u32 v5, v5, v8, v9
	v_bfe_u32 v8, v0, 20, 4
	v_bfe_u32 v9, v0, 12, 4
	s_clause 0x2
	scratch_store_b32 off, v159, off offset:208
	scratch_store_b32 off, v13, off offset:212
	;; [unrolled: 1-line block ×3, first 2 shown]
	v_mul_i32_i24_e32 v13, v43, v13
	scratch_store_b32 off, v9, off offset:992 ; 4-byte Folded Spill
	v_mul_i32_i24_e32 v14, v40, v124
	v_mul_i32_i24_e32 v15, v57, v123
	;; [unrolled: 1-line block ×3, first 2 shown]
	v_lshrrev_b32_e32 v17, 28, v20
	v_bfe_u32 v25, v21, 20, 4
	s_wait_dscnt 0x1
	v_lshrrev_b16 v7, 8, v6
	v_and_b32_e32 v175, 0xff, v6
	v_bfe_u32 v6, v0, 4, 4
	scratch_store_b32 off, v8, off offset:536 ; 4-byte Folded Spill
	v_lshrrev_b32_e32 v0, 28, v0
	v_mul_i32_i24_e32 v8, v49, v8
	v_mul_lo_u32 v5, v5, v175
	scratch_store_b32 off, v6, off offset:532 ; 4-byte Folded Spill
	v_mul_i32_i24_e32 v6, v51, v6
	scratch_store_b32 off, v0, off offset:76 ; 4-byte Folded Spill
	v_mul_i32_i24_e32 v0, v46, v0
	s_wait_dscnt 0x0
	v_cvt_f32_ubyte0_e32 v167, v4
	scratch_store_b32 off, v17, off offset:1096 ; 4-byte Folded Spill
	v_mad_i32_i24 v6, v50, v9, v6
	v_cvt_f32_i32_e32 v5, v5
	v_mul_i32_i24_e32 v9, v52, v10
	v_mul_i32_i24_e32 v17, v41, v17
	;; [unrolled: 1-line block ×3, first 2 shown]
	v_add3_u32 v0, v6, v8, v0
	v_bfe_u32 v6, v1, 4, 4
	v_bfe_u32 v8, v1, 12, 4
	scratch_store_b32 off, v10, off offset:60 ; 4-byte Folded Spill
	v_lshrrev_b32_e32 v1, 28, v1
	v_fma_mix_f32 v5, v2, v5, 0 op_sel_hi:[1,0,0]
	scratch_store_b32 off, v6, off offset:200 ; 4-byte Folded Spill
	v_mul_i32_i24_e32 v6, v44, v6
	s_clause 0x1
	scratch_store_b32 off, v8, off offset:64
	scratch_store_b32 off, v1, off offset:68
	v_mul_i32_i24_e32 v8, v53, v8
	v_mul_i32_i24_e32 v1, v45, v1
	v_fma_mix_f32 v2, v2, v167, 0 op_sel:[1,0,0] op_sel_hi:[1,0,0]
	v_bfe_u32 v10, v19, 4, 4
	v_bfe_u32 v19, v21, 4, 4
	v_add3_u32 v0, v0, v6, v8
	v_lshrrev_b32_e32 v21, 28, v21
	v_bfe_u32 v28, v22, 20, 4
	scratch_store_b32 off, v10, off offset:72 ; 4-byte Folded Spill
	v_mul_i32_i24_e32 v10, v42, v10
	v_add3_u32 v0, v0, v9, v1
	v_cvt_f32_ubyte1_e32 v1, v4
	v_mov_b32_e32 v178, v19
	scratch_store_b32 off, v167, off offset:1100 ; 4-byte Folded Spill
	v_mul_i32_i24_e32 v18, v60, v19
	v_add3_u32 v0, v0, v10, v11
	scratch_store_b32 off, v1, off offset:28 ; 4-byte Folded Spill
	v_fma_mix_f32 v1, v3, v1, v2 op_sel:[1,0,0] op_sel_hi:[1,0,0]
	scratch_load_b32 v2, off, off offset:24 ; 4-byte Folded Reload
	v_mul_i32_i24_e32 v19, v59, v121
	v_add3_u32 v0, v0, v12, v13
	scratch_store_b32 off, v21, off offset:1032 ; 4-byte Folded Spill
	v_mul_i32_i24_e32 v21, v39, v21
	v_bfe_u32 v120, v22, 4, 4
	v_bfe_u32 v119, v22, 12, 4
	v_add3_u32 v0, v0, v14, v15
	v_bfe_u32 v122, v23, 4, 4
	v_lshrrev_b32_e32 v22, 28, v22
	v_bfe_u32 v118, v24, 4, 4
	v_mul_i32_i24_e32 v26, v62, v119
	v_add3_u32 v0, v0, v16, v17
	s_clause 0x3
	scratch_store_b32 off, v122, off offset:1076
	scratch_store_b32 off, v25, off offset:1084
	;; [unrolled: 1-line block ×4, first 2 shown]
	v_add3_u32 v0, v0, v18, v19
	v_mul_i32_i24_e32 v25, v63, v120
	s_clause 0x1
	scratch_store_b32 off, v28, off offset:1036
	scratch_store_b32 off, v22, off offset:1040
	v_mul_i32_i24_e32 v27, v61, v28
	v_add3_u32 v0, v0, v20, v21
	v_mul_i32_i24_e32 v22, v38, v22
	v_bfe_u32 v173, v23, 12, 4
	v_bfe_u32 v31, v23, 20, 4
	v_mul_i32_i24_e32 v28, v36, v122
	v_add3_u32 v0, v0, v25, v26
	v_lshrrev_b32_e32 v23, 28, v23
	v_mul_i32_i24_e32 v29, v65, v173
	scratch_store_b32 off, v31, off offset:1044 ; 4-byte Folded Spill
	v_mul_i32_i24_e32 v30, v64, v31
	v_add3_u32 v0, v0, v27, v22
	v_bfe_u32 v36, v24, 20, 4
	scratch_store_b32 off, v23, off offset:1048 ; 4-byte Folded Spill
	v_mul_i32_i24_e32 v23, v37, v23
	v_bfe_u32 v177, v24, 12, 4
	v_add3_u32 v0, v0, v28, v29
	v_mul_i32_i24_e32 v31, v33, v118
	v_lshrrev_b32_e32 v24, 28, v24
	s_clause 0x5
	scratch_store_b32 off, v36, off offset:1052
	scratch_store_b32 off, v119, off offset:1060
	;; [unrolled: 1-line block ×6, first 2 shown]
	v_mul_i32_i24_e32 v32, v34, v177
	v_add3_u32 v0, v0, v30, v23
	v_mul_i32_i24_e32 v33, v48, v36
	v_mul_i32_i24_e32 v24, v35, v24
	v_and_b32_e32 v117, 0xffff, v7
	s_clause 0x1
	scratch_store_b32 off, v175, off offset:236
	scratch_store_b32 off, v123, off offset:224
	v_add3_u32 v0, v0, v31, v32
	s_clause 0x1
	scratch_store_b32 off, v121, off offset:1112
	scratch_store_b32 off, v117, off offset:164
	v_dual_mov_b32 v145, v141 :: v_dual_mov_b32 v70, v223
	v_add3_u32 v0, v0, v33, v24
	s_delay_alu instid0(VALU_DEP_1) | instskip(NEXT) | instid1(VALU_DEP_1)
	v_mul_lo_u32 v0, v0, v117
	v_cvt_f32_i32_e32 v0, v0
	s_delay_alu instid0(VALU_DEP_1) | instskip(SKIP_2) | instid1(VALU_DEP_1)
	v_fma_mix_f32 v0, v3, v0, v5 op_sel_hi:[1,0,0]
	s_wait_loadcnt 0x0
	v_mul_f32_e32 v1, v1, v2
	v_fma_f32 v0, v0, v116, -v1
	scratch_load_b32 v1, off, off offset:812 ; 4-byte Folded Reload
	s_wait_loadcnt 0x0
	v_add_f32_e32 v1, v1, v0
	scratch_load_b32 v0, off, off offset:1252 ; 4-byte Folded Reload
	scratch_store_b32 off, v1, off offset:812 ; 4-byte Folded Spill
	s_wait_loadcnt 0x0
	v_or_b32_e32 v0, s12, v0
	s_delay_alu instid0(VALU_DEP_1)
	v_lshlrev_b32_e32 v12, 2, v0
	v_lshrrev_b32_e32 v16, 1, v0
	ds_load_b128 v[0:3], v12 offset:16896
	ds_load_b128 v[4:7], v12 offset:16912
	ds_load_b128 v[8:11], v12 offset:16928
	ds_load_b128 v[12:15], v12 offset:16944
	s_clause 0x11
	scratch_load_b32 v71, off, off offset:408
	scratch_load_b32 v112, off, off offset:416
	;; [unrolled: 1-line block ×18, first 2 shown]
	s_wait_dscnt 0x3
	v_bfe_i32 v17, v0, 0, 8
	v_bfe_i32 v18, v0, 8, 8
	;; [unrolled: 1-line block ×3, first 2 shown]
	v_ashrrev_i32_e32 v20, 24, v0
	v_bfe_i32 v21, v1, 0, 8
	v_mul_i32_i24_e32 v66, v94, v17
	v_bfe_i32 v22, v1, 8, 8
	v_mul_i32_i24_e32 v67, v77, v19
	v_mul_i32_i24_e32 v68, v101, v20
	v_bfe_i32 v23, v1, 16, 8
	v_mad_i32_i24 v66, v231, v18, v66
	v_ashrrev_i32_e32 v24, 24, v1
	ds_load_b64 v[0:1], v16 offset:27200
	s_wait_dscnt 0x2
	v_bfe_i32 v16, v8, 0, 8
	v_bfe_i32 v25, v2, 0, 8
	v_add3_u32 v66, v66, v67, v68
	v_mul_i32_i24_e32 v67, v247, v21
	v_mul_i32_i24_e32 v68, v245, v22
	v_bfe_i32 v26, v2, 8, 8
	v_bfe_i32 v43, v8, 8, 8
	;; [unrolled: 1-line block ×3, first 2 shown]
	v_ashrrev_i32_e32 v8, 24, v8
	v_mul_i32_i24_e32 v78, v243, v23
	v_mul_i32_i24_e32 v79, v241, v24
	v_add3_u32 v66, v66, v67, v68
	v_mul_i32_i24_e32 v68, v164, v16
	v_bfe_i32 v27, v2, 16, 8
	v_ashrrev_i32_e32 v2, 24, v2
	v_bfe_i32 v46, v9, 8, 8
	v_mul_i32_i24_e32 v80, v252, v25
	v_mul_i32_i24_e32 v81, v250, v26
	v_add3_u32 v66, v66, v78, v79
	v_mul_i32_i24_e32 v78, v216, v44
	v_mul_i32_i24_e32 v79, v162, v8
	v_mad_i32_i24 v68, v163, v43, v68
	v_bfe_i32 v28, v3, 0, 8
	v_bfe_i32 v29, v3, 8, 8
	v_mul_i32_i24_e32 v82, v249, v27
	v_mul_i32_i24_e32 v83, v248, v2
	v_add3_u32 v66, v66, v80, v81
	v_add3_u32 v68, v68, v78, v79
	v_mul_i32_i24_e32 v79, v76, v46
	scratch_load_b32 v76, off, off offset:376 ; 4-byte Folded Reload
	v_bfe_i32 v30, v3, 16, 8
	v_ashrrev_i32_e32 v3, 24, v3
	v_mul_i32_i24_e32 v84, v114, v28
	v_mul_i32_i24_e32 v85, v255, v29
	v_add3_u32 v66, v66, v82, v83
	v_bfe_i32 v31, v4, 0, 8
	v_bfe_i32 v32, v4, 8, 8
	v_mul_i32_i24_e32 v86, v254, v30
	v_mul_i32_i24_e32 v87, v253, v3
	v_add3_u32 v66, v66, v84, v85
	v_bfe_i32 v33, v4, 16, 8
	v_ashrrev_i32_e32 v4, 24, v4
	v_mul_i32_i24_e32 v88, v236, v31
	v_mul_i32_i24_e32 v89, v235, v32
	v_add3_u32 v66, v66, v86, v87
	v_bfe_i32 v34, v5, 0, 8
	v_bfe_i32 v35, v5, 8, 8
	v_mul_i32_i24_e32 v90, v234, v33
	v_mul_i32_i24_e32 v91, v224, v4
	v_add3_u32 v66, v66, v88, v89
	s_clause 0x7
	scratch_load_b32 v156, off, off offset:404
	scratch_load_b32 v111, off, off offset:880
	;; [unrolled: 1-line block ×8, first 2 shown]
	v_bfe_i32 v36, v5, 16, 8
	v_ashrrev_i32_e32 v5, 24, v5
	v_mul_i32_i24_e32 v93, v137, v34
	v_mul_i32_i24_e32 v98, v70, v35
	v_add3_u32 v66, v66, v90, v91
	v_bfe_i32 v37, v6, 0, 8
	v_bfe_i32 v38, v6, 8, 8
	v_mul_i32_i24_e32 v103, v212, v36
	v_mul_i32_i24_e32 v104, v136, v5
	v_add3_u32 v66, v66, v93, v98
	v_bfe_i32 v39, v6, 16, 8
	v_ashrrev_i32_e32 v6, 24, v6
	v_mul_i32_i24_e32 v105, v140, v37
	v_mul_i32_i24_e32 v106, v139, v38
	v_add3_u32 v66, v66, v103, v104
	v_bfe_i32 v40, v7, 0, 8
	v_bfe_i32 v41, v7, 8, 8
	v_mul_i32_i24_e32 v107, v138, v39
	v_bfe_i32 v42, v7, 16, 8
	v_add3_u32 v66, v66, v105, v106
	v_ashrrev_i32_e32 v7, 24, v7
	v_mul_i32_i24_e32 v109, v145, v40
	v_mul_i32_i24_e32 v130, v142, v41
	scratch_load_b32 v165, off, off offset:420 ; 4-byte Folded Reload
	s_wait_dscnt 0x1
	v_bfe_i32 v63, v15, 0, 8
	v_mul_i32_i24_e32 v132, v143, v7
	v_bfe_i32 v65, v15, 16, 8
	s_clause 0x2
	scratch_load_b32 v170, off, off offset:440
	scratch_load_b32 v171, off, off offset:444
	;; [unrolled: 1-line block ×3, first 2 shown]
	v_bfe_i32 v45, v9, 0, 8
	v_mul_i32_i24_e32 v133, v166, v65
	scratch_load_b32 v166, off, off offset:424 ; 4-byte Folded Reload
	v_bfe_i32 v47, v9, 16, 8
	v_ashrrev_i32_e32 v9, 24, v9
	v_bfe_i32 v48, v10, 0, 8
	v_bfe_i32 v49, v10, 8, 8
	;; [unrolled: 1-line block ×3, first 2 shown]
	v_ashrrev_i32_e32 v10, 24, v10
	v_bfe_i32 v51, v11, 0, 8
	v_bfe_i32 v52, v11, 8, 8
	;; [unrolled: 1-line block ×3, first 2 shown]
	v_ashrrev_i32_e32 v11, 24, v11
	v_bfe_i32 v54, v12, 0, 8
	v_mul_i32_i24_e32 v86, v226, v51
	v_mul_i32_i24_e32 v87, v207, v52
	v_bfe_i32 v55, v12, 8, 8
	v_bfe_i32 v56, v12, 16, 8
	v_ashrrev_i32_e32 v12, 24, v12
	v_mul_i32_i24_e32 v90, v150, v54
	v_bfe_i32 v57, v13, 0, 8
	v_mul_i32_i24_e32 v91, v149, v55
	v_bfe_i32 v58, v13, 8, 8
	v_mul_i32_i24_e32 v93, v148, v56
	v_mul_i32_i24_e32 v98, v147, v12
	v_bfe_i32 v59, v13, 16, 8
	v_ashrrev_i32_e32 v13, 24, v13
	v_mul_i32_i24_e32 v103, v154, v57
	v_mul_i32_i24_e32 v104, v153, v58
	v_bfe_i32 v60, v14, 0, 8
	v_bfe_i32 v61, v14, 8, 8
	v_mul_i32_i24_e32 v105, v152, v59
	v_mul_i32_i24_e32 v106, v151, v13
	v_bfe_i32 v62, v14, 16, 8
	v_ashrrev_i32_e32 v14, 24, v14
	v_bfe_i32 v64, v15, 8, 8
	v_ashrrev_i32_e32 v15, 24, v15
	s_wait_dscnt 0x0
	v_fma_mix_f32 v67, v69, v0, 0 op_sel:[0,1,0] op_sel_hi:[0,1,0]
	s_clause 0x8
	scratch_load_b32 v223, off, off offset:272
	scratch_load_b32 v128, off, off offset:580
	scratch_load_b32 v190, off, off offset:584
	scratch_load_b32 v192, off, off offset:600
	scratch_load_b32 v198, off, off offset:568
	scratch_load_b32 v199, off, off offset:572
	scratch_load_b32 v202, off, off offset:468
	scratch_load_b32 v204, off, off offset:472
	scratch_load_b32 v206, off, off offset:476
	s_clause 0x1f
	scratch_store_b32 off, v231, off offset:936
	scratch_store_b32 off, v243, off offset:944
	;; [unrolled: 1-line block ×32, first 2 shown]
	s_clause 0x3
	scratch_store_b32 off, v208, off offset:1092
	scratch_store_b32 off, v77, off offset:172
	;; [unrolled: 1-line block ×4, first 2 shown]
	s_wait_loadcnt 0x28
	v_mul_i32_i24_e32 v108, v71, v6
	s_delay_alu instid0(VALU_DEP_1)
	v_add3_u32 v66, v66, v107, v108
	s_wait_loadcnt 0x27
	v_mul_i32_i24_e32 v108, v112, v61
	s_wait_loadcnt 0x21
	v_mul_i32_i24_e32 v82, v92, v48
	;; [unrolled: 2-line block ×4, first 2 shown]
	v_add3_u32 v66, v66, v109, v130
	s_wait_loadcnt 0x1e
	v_mul_i32_i24_e32 v81, v187, v9
	s_wait_loadcnt 0x1d
	v_mul_i32_i24_e32 v83, v95, v49
	;; [unrolled: 2-line block ×3, first 2 shown]
	v_add3_u32 v68, v68, v78, v79
	v_add3_u32 v66, v66, v131, v132
	v_mul_i32_i24_e32 v131, v168, v63
	scratch_load_b32 v168, off, off offset:432 ; 4-byte Folded Reload
	s_wait_loadcnt 0x1c
	v_mul_i32_i24_e32 v85, v110, v10
	v_mul_i32_i24_e32 v130, v115, v14
	v_mul_lo_u32 v66, v66, v144
	v_mul_i32_i24_e32 v78, v23, v228
	v_mul_i32_i24_e32 v79, v24, v227
	s_clause 0x1
	scratch_load_b32 v227, off, off offset:48
	scratch_load_b32 v228, off, off offset:52
	v_cvt_f32_i32_e32 v66, v66
	s_delay_alu instid0(VALU_DEP_1) | instskip(SKIP_2) | instid1(VALU_DEP_1)
	v_fma_mix_f32 v66, v0, v66, 0 op_sel_hi:[1,0,0]
	s_wait_loadcnt 0x19
	v_mul_i32_i24_e32 v80, v76, v47
	v_add3_u32 v68, v68, v80, v81
	v_mul_i32_i24_e32 v81, v26, v220
	scratch_load_b32 v220, off, off offset:460 ; 4-byte Folded Reload
	v_mul_i32_i24_e32 v80, v25, v225
	scratch_load_b32 v225, off, off offset:44 ; 4-byte Folded Reload
	v_add3_u32 v68, v68, v82, v83
	v_mul_i32_i24_e32 v82, v27, v219
	v_mul_i32_i24_e32 v83, v2, v217
	s_clause 0x1
	scratch_load_b32 v217, off, off offset:36
	scratch_load_b32 v219, off, off offset:40
	v_add3_u32 v68, v68, v84, v85
	v_mul_i32_i24_e32 v84, v28, v215
	v_mul_i32_i24_e32 v85, v29, v213
	s_clause 0x1
	scratch_load_b32 v213, off, off offset:576
	scratch_load_b32 v215, off, off offset:624
	v_add3_u32 v68, v68, v86, v87
	s_wait_loadcnt 0x1e
	v_mul_i32_i24_e32 v88, v156, v53
	s_wait_loadcnt 0x1d
	v_mul_i32_i24_e32 v89, v111, v11
	;; [unrolled: 2-line block ×3, first 2 shown]
	v_mul_i32_i24_e32 v86, v30, v189
	scratch_load_b32 v189, off, off offset:596 ; 4-byte Folded Reload
	v_mul_i32_i24_e32 v87, v3, v174
	v_add3_u32 v68, v68, v88, v89
	v_mul_i32_i24_e32 v88, v31, v99
	s_clause 0x1
	scratch_load_b32 v99, off, off offset:368
	scratch_load_b32 v174, off, off offset:592
	v_add3_u32 v68, v68, v90, v91
	v_mul_i32_i24_e32 v91, v4, v158
	scratch_load_b32 v158, off, off offset:252 ; 4-byte Folded Reload
	v_mul_i32_i24_e32 v90, v33, v160
	scratch_load_b32 v160, off, off offset:480 ; 4-byte Folded Reload
	v_add3_u32 v68, v68, v93, v98
	v_mul_i32_i24_e32 v93, v34, v157
	scratch_load_b32 v157, off, off offset:564 ; 4-byte Folded Reload
	v_mul_i32_i24_e32 v98, v35, v146
	scratch_load_b32 v146, off, off offset:616 ; 4-byte Folded Reload
	v_add3_u32 v68, v68, v103, v104
	v_mul_i32_i24_e32 v104, v5, v246
	s_delay_alu instid0(VALU_DEP_2) | instskip(SKIP_2) | instid1(VALU_DEP_1)
	v_add3_u32 v68, v68, v105, v106
	s_wait_loadcnt 0x1d
	v_mul_i32_i24_e32 v107, v165, v60
	v_add3_u32 v68, v68, v107, v108
	s_wait_loadcnt 0x1b
	v_fma_mix_f32 v67, v171, v1, v67 op_sel:[0,1,0] op_sel_hi:[0,1,0]
	s_wait_loadcnt 0x19
	v_mul_i32_i24_e32 v134, v166, v15
	v_add3_u32 v68, v68, v109, v130
	s_delay_alu instid0(VALU_DEP_3) | instskip(SKIP_2) | instid1(VALU_DEP_1)
	v_mul_f32_e32 v67, v67, v172
	s_wait_loadcnt 0xf
	v_mul_i32_i24_e32 v132, v168, v64
	v_add3_u32 v68, v68, v131, v132
	v_mul_i32_i24_e32 v131, v42, v222
	v_mul_i32_i24_e32 v132, v7, v223
	s_delay_alu instid0(VALU_DEP_3) | instskip(SKIP_2) | instid1(VALU_DEP_3)
	v_add3_u32 v68, v68, v133, v134
	v_mul_i32_i24_e32 v133, v65, v205
	v_mul_i32_i24_e32 v134, v15, v206
	v_mul_lo_u32 v68, v68, v170
	s_delay_alu instid0(VALU_DEP_1) | instskip(NEXT) | instid1(VALU_DEP_1)
	v_cvt_f32_i32_e32 v68, v68
	v_fma_mix_f32 v66, v1, v68, v66 op_sel_hi:[1,0,0]
	v_mul_i32_i24_e32 v68, v20, v233
	scratch_load_b32 v233, off, off offset:636 ; 4-byte Folded Reload
	v_fma_f32 v66, v66, v214, -v67
	s_clause 0x1
	scratch_load_b32 v67, off, off offset:808
	scratch_load_b32 v214, off, off offset:256
	s_wait_loadcnt 0xf
	v_mul_i32_i24_e32 v106, v38, v220
	s_wait_loadcnt 0x8
	v_mul_i32_i24_e32 v89, v32, v99
	;; [unrolled: 2-line block ×4, first 2 shown]
	s_wait_loadcnt 0x1
	v_add_f32_e32 v67, v67, v66
	v_mul_i32_i24_e32 v105, v37, v72
	scratch_load_b32 v72, off, off offset:996 ; 4-byte Folded Reload
	v_mul_i32_i24_e32 v66, v17, v238
	scratch_load_b32 v238, off, off offset:588 ; 4-byte Folded Reload
	scratch_store_b32 off, v67, off offset:808 ; 4-byte Folded Spill
	v_mul_i32_i24_e32 v67, v19, v218
	scratch_load_b32 v218, off, off offset:260 ; 4-byte Folded Reload
	v_mad_i32_i24 v66, v18, v221, v66
	scratch_load_b32 v221, off, off offset:264 ; 4-byte Folded Reload
	s_wait_loadcnt 0x4
	v_mul_i32_i24_e32 v108, v6, v214
	v_add3_u32 v66, v66, v67, v68
	v_mul_i32_i24_e32 v67, v21, v230
	v_mul_i32_i24_e32 v68, v22, v229
	s_clause 0x1
	scratch_load_b32 v229, off, off offset:56
	scratch_load_b32 v230, off, off offset:628
	v_add3_u32 v66, v66, v67, v68
	v_fma_mix_f32 v67, v174, v0, 0 op_sel:[0,1,0] op_sel_hi:[0,1,0]
	s_delay_alu instid0(VALU_DEP_2) | instskip(NEXT) | instid1(VALU_DEP_1)
	v_add3_u32 v66, v66, v78, v79
	v_add3_u32 v66, v66, v80, v81
	v_mul_i32_i24_e32 v80, v47, v190
	v_mul_i32_i24_e32 v81, v9, v192
	s_delay_alu instid0(VALU_DEP_3) | instskip(SKIP_2) | instid1(VALU_DEP_3)
	v_add3_u32 v66, v66, v82, v83
	v_mul_i32_i24_e32 v82, v48, v193
	v_mul_i32_i24_e32 v83, v49, v191
	v_add3_u32 v66, v66, v84, v85
	v_mul_i32_i24_e32 v84, v50, v194
	s_delay_alu instid0(VALU_DEP_2) | instskip(SKIP_4) | instid1(VALU_DEP_3)
	v_add3_u32 v66, v66, v86, v87
	scratch_load_b32 v87, off, off offset:108 ; 4-byte Folded Reload
	v_add3_u32 v66, v66, v88, v89
	v_mul_i32_i24_e32 v88, v53, v195
	v_mul_i32_i24_e32 v89, v11, v196
	v_add3_u32 v66, v66, v90, v91
	v_mul_i32_i24_e32 v90, v54, v197
	v_mul_i32_i24_e32 v91, v55, v182
	s_delay_alu instid0(VALU_DEP_3) | instskip(SKIP_2) | instid1(VALU_DEP_3)
	v_add3_u32 v66, v66, v93, v98
	v_mul_i32_i24_e32 v93, v56, v198
	v_mul_i32_i24_e32 v98, v12, v199
	v_add3_u32 v66, v66, v103, v104
	scratch_load_b32 v104, off, off offset:112 ; 4-byte Folded Reload
	v_mul_i32_i24_e32 v103, v57, v213
	v_add3_u32 v66, v66, v105, v106
	v_mul_i32_i24_e32 v105, v59, v200
	v_mul_i32_i24_e32 v106, v13, v201
	s_delay_alu instid0(VALU_DEP_3)
	v_add3_u32 v66, v66, v107, v108
	v_mul_i32_i24_e32 v107, v60, v202
	v_mul_i32_i24_e32 v108, v61, v183
	s_wait_loadcnt 0x7
	v_mul_i32_i24_e32 v78, v44, v72
	scratch_load_b32 v72, off, off offset:100 ; 4-byte Folded Reload
	s_wait_loadcnt 0x7
	v_mul_i32_i24_e32 v68, v16, v238
	s_wait_loadcnt 0x6
	v_mul_i32_i24_e32 v109, v40, v218
	s_delay_alu instid0(VALU_DEP_2) | instskip(SKIP_2) | instid1(VALU_DEP_1)
	v_mad_i32_i24 v68, v43, v189, v68
	s_wait_loadcnt 0x5
	v_mul_i32_i24_e32 v130, v41, v221
	v_add3_u32 v66, v66, v109, v130
	v_mul_i32_i24_e32 v109, v62, v203
	v_mul_i32_i24_e32 v130, v14, v204
	s_delay_alu instid0(VALU_DEP_3) | instskip(SKIP_4) | instid1(VALU_DEP_1)
	v_add3_u32 v66, v66, v131, v132
	v_mul_i32_i24_e32 v132, v64, v126
	scratch_load_b32 v126, off, off offset:640 ; 4-byte Folded Reload
	v_mul_i32_i24_e32 v131, v63, v127
	v_mul_lo_u32 v66, v66, v128
	v_cvt_f32_i32_e32 v66, v66
	s_delay_alu instid0(VALU_DEP_1)
	v_fma_mix_f32 v66, v0, v66, 0 op_sel_hi:[1,0,0]
	s_wait_loadcnt 0x3
	v_mul_i32_i24_e32 v87, v52, v87
	s_wait_loadcnt 0x2
	v_mul_i32_i24_e32 v104, v58, v104
	;; [unrolled: 2-line block ×3, first 2 shown]
	scratch_load_b32 v72, off, off offset:548 ; 4-byte Folded Reload
	v_add3_u32 v68, v68, v78, v79
	s_wait_loadcnt 0x1
	v_fma_mix_f32 v67, v126, v1, v67 op_sel:[0,1,0] op_sel_hi:[0,1,0]
	s_delay_alu instid0(VALU_DEP_1)
	v_mul_f32_e32 v67, v67, v232
	scratch_load_b32 v232, off, off offset:632 ; 4-byte Folded Reload
	s_wait_loadcnt 0x1
	v_mul_i32_i24_e32 v78, v45, v72
	scratch_load_b32 v72, off, off offset:104 ; 4-byte Folded Reload
	s_wait_loadcnt 0x0
	v_mul_i32_i24_e32 v79, v46, v72
	scratch_load_b32 v72, off, off offset:552 ; 4-byte Folded Reload
	v_add3_u32 v68, v68, v78, v79
	v_mul_i32_i24_e32 v78, v23, v215
	v_mul_i32_i24_e32 v79, v24, v217
	s_delay_alu instid0(VALU_DEP_3) | instskip(SKIP_2) | instid1(VALU_DEP_3)
	v_add3_u32 v68, v68, v80, v81
	v_mul_i32_i24_e32 v80, v25, v219
	v_mul_i32_i24_e32 v81, v26, v225
	v_add3_u32 v68, v68, v82, v83
	v_mul_i32_i24_e32 v82, v27, v227
	v_mul_i32_i24_e32 v83, v2, v228
	s_wait_loadcnt 0x0
	v_mul_i32_i24_e32 v85, v10, v72
	scratch_load_b32 v72, off, off offset:1156 ; 4-byte Folded Reload
	v_add3_u32 v68, v68, v84, v85
	v_mul_i32_i24_e32 v84, v28, v229
	v_mul_i32_i24_e32 v85, v29, v230
	s_wait_loadcnt 0x0
	v_mul_i32_i24_e32 v86, v51, v72
	s_delay_alu instid0(VALU_DEP_1) | instskip(SKIP_2) | instid1(VALU_DEP_3)
	v_add3_u32 v68, v68, v86, v87
	v_mul_i32_i24_e32 v86, v30, v232
	v_mul_i32_i24_e32 v87, v3, v233
	v_add3_u32 v68, v68, v88, v89
	v_mul_i32_i24_e32 v89, v32, v239
	scratch_load_b32 v239, off, off offset:1168 ; 4-byte Folded Reload
	v_add3_u32 v68, v68, v90, v91
	v_mul_i32_i24_e32 v91, v4, v240
	v_mul_i32_i24_e32 v4, v4, v180
	scratch_load_b32 v180, off, off offset:1036 ; 4-byte Folded Reload
	v_add3_u32 v68, v68, v93, v98
	v_mul_i32_i24_e32 v93, v34, v129
	scratch_load_b32 v129, off, off offset:848 ; 4-byte Folded Reload
	v_mul_i32_i24_e32 v98, v35, v251
	scratch_load_b32 v251, off, off offset:864 ; 4-byte Folded Reload
	v_add3_u32 v68, v68, v103, v104
	v_mul_i32_i24_e32 v103, v36, v102
	v_mul_i32_i24_e32 v104, v5, v100
	s_clause 0x1
	scratch_load_b32 v100, off, off offset:856
	scratch_load_b32 v102, off, off offset:860
	v_add3_u32 v68, v68, v105, v106
	v_mul_i32_i24_e32 v5, v5, v186
	scratch_load_b32 v186, off, off offset:1052 ; 4-byte Folded Reload
	v_add3_u32 v68, v68, v107, v108
	v_mul_i32_i24_e32 v108, v6, v155
	scratch_load_b32 v155, off, off offset:844 ; 4-byte Folded Reload
	v_mul_i32_i24_e32 v6, v6, v135
	scratch_load_b32 v135, off, off offset:28 ; 4-byte Folded Reload
	v_add3_u32 v68, v68, v109, v130
	v_mul_i32_i24_e32 v130, v41, v125
	scratch_load_b32 v125, off, off offset:852 ; 4-byte Folded Reload
	v_add3_u32 v68, v68, v131, v132
	s_delay_alu instid0(VALU_DEP_1) | instskip(NEXT) | instid1(VALU_DEP_1)
	v_add3_u32 v68, v68, v133, v134
	v_mul_lo_u32 v68, v68, v160
	s_delay_alu instid0(VALU_DEP_1) | instskip(NEXT) | instid1(VALU_DEP_1)
	v_cvt_f32_i32_e32 v68, v68
	v_fma_mix_f32 v66, v1, v68, v66 op_sel_hi:[1,0,0]
	v_mul_i32_i24_e32 v68, v20, v209
	scratch_load_b32 v209, off, off offset:620 ; 4-byte Folded Reload
	v_fma_f32 v66, v66, v237, -v67
	s_clause 0x1
	scratch_load_b32 v67, off, off offset:804
	scratch_load_b32 v237, off, off offset:1164
	s_wait_loadcnt 0xc
	v_mul_i32_i24_e32 v90, v33, v239
	s_wait_loadcnt 0xa
	v_mul_i32_i24_e32 v107, v39, v129
	;; [unrolled: 2-line block ×7, first 2 shown]
	s_wait_loadcnt 0x1
	v_add_f32_e32 v67, v67, v66
	v_mul_i32_i24_e32 v66, v17, v146
	s_wait_loadcnt 0x0
	v_mul_i32_i24_e32 v88, v31, v237
	scratch_store_b32 off, v67, off offset:804 ; 4-byte Folded Spill
	v_mul_i32_i24_e32 v67, v19, v208
	v_mad_i32_i24 v66, v18, v209, v66
	s_delay_alu instid0(VALU_DEP_1) | instskip(SKIP_2) | instid1(VALU_DEP_1)
	v_add3_u32 v66, v66, v67, v68
	v_mul_i32_i24_e32 v67, v21, v210
	v_mul_i32_i24_e32 v68, v22, v211
	v_add3_u32 v66, v66, v67, v68
	scratch_load_b32 v67, off, off offset:664 ; 4-byte Folded Reload
	v_add3_u32 v66, v66, v78, v79
	s_clause 0x1
	scratch_load_b32 v78, off, off offset:248
	scratch_load_b32 v79, off, off offset:660
	v_add3_u32 v66, v66, v80, v81
	scratch_load_b32 v80, off, off offset:668 ; 4-byte Folded Reload
	v_mul_i32_i24_e32 v81, v9, v244
	scratch_load_b32 v244, off, off offset:1176 ; 4-byte Folded Reload
	v_add3_u32 v66, v66, v82, v83
	v_mul_i32_i24_e32 v82, v48, v74
	scratch_load_b32 v74, off, off offset:652 ; 4-byte Folded Reload
	v_add3_u32 v66, v66, v84, v85
	scratch_load_b32 v85, off, off offset:684 ; 4-byte Folded Reload
	v_add3_u32 v66, v66, v86, v87
	s_clause 0x1
	scratch_load_b32 v86, off, off offset:688
	scratch_load_b32 v87, off, off offset:696
	v_add3_u32 v66, v66, v88, v89
	s_clause 0x1
	scratch_load_b32 v88, off, off offset:692
	scratch_load_b32 v89, off, off offset:700
	;; [unrolled: 4-line block ×6, first 2 shown]
	v_add3_u32 v66, v66, v107, v108
	scratch_load_b32 v107, off, off offset:132 ; 4-byte Folded Reload
	v_mul_i32_i24_e32 v108, v61, v179
	scratch_load_b32 v179, off, off offset:1032 ; 4-byte Folded Reload
	v_add3_u32 v66, v66, v109, v130
	v_mul_i32_i24_e32 v109, v62, v96
	scratch_load_b32 v96, off, off offset:116 ; 4-byte Folded Reload
	v_add3_u32 v66, v66, v131, v132
	s_wait_loadcnt 0x15
	s_delay_alu instid0(VALU_DEP_1)
	v_mul_lo_u32 v66, v66, v67
	v_fma_mix_f32 v67, v242, v0, 0 op_sel:[0,1,0] op_sel_hi:[0,1,0]
	scratch_load_b32 v242, off, off offset:1172 ; 4-byte Folded Reload
	s_wait_loadcnt 0x15
	v_mul_i32_i24_e32 v78, v44, v78
	s_wait_loadcnt 0x14
	v_mul_i32_i24_e32 v79, v8, v79
	v_cvt_f32_i32_e32 v66, v66
	s_wait_loadcnt 0x12
	v_mul_i32_i24_e32 v84, v50, v244
	s_delay_alu instid0(VALU_DEP_2)
	v_fma_mix_f32 v66, v0, v66, 0 op_sel_hi:[1,0,0]
	s_wait_loadcnt 0x11
	v_mul_i32_i24_e32 v83, v49, v74
	s_wait_loadcnt 0x10
	v_mul_i32_i24_e32 v85, v10, v85
	;; [unrolled: 2-line block ×17, first 2 shown]
	scratch_load_b32 v96, off, off offset:120 ; 4-byte Folded Reload
	s_wait_loadcnt 0x1
	v_mul_i32_i24_e32 v68, v16, v242
	s_delay_alu instid0(VALU_DEP_1)
	v_mad_i32_i24 v68, v43, v80, v68
	scratch_load_b32 v80, off, off offset:676 ; 4-byte Folded Reload
	v_add3_u32 v68, v68, v78, v79
	s_clause 0x1
	scratch_load_b32 v78, off, off offset:672
	scratch_load_b32 v79, off, off offset:680
	s_wait_loadcnt 0x3
	v_mul_i32_i24_e32 v131, v63, v96
	scratch_load_b32 v96, off, off offset:16 ; 4-byte Folded Reload
	s_wait_loadcnt 0x3
	v_mul_i32_i24_e32 v80, v47, v80
	s_wait_loadcnt 0x2
	v_mul_i32_i24_e32 v78, v45, v78
	;; [unrolled: 2-line block ×3, first 2 shown]
	s_delay_alu instid0(VALU_DEP_1) | instskip(SKIP_2) | instid1(VALU_DEP_1)
	v_add3_u32 v68, v68, v78, v79
	scratch_load_b32 v78, off, off offset:484 ; 4-byte Folded Reload
	v_add3_u32 v68, v68, v80, v81
	v_add3_u32 v68, v68, v82, v83
	s_delay_alu instid0(VALU_DEP_1) | instskip(NEXT) | instid1(VALU_DEP_1)
	v_add3_u32 v68, v68, v84, v85
	v_add3_u32 v68, v68, v86, v87
	s_delay_alu instid0(VALU_DEP_1) | instskip(NEXT) | instid1(VALU_DEP_1)
	;; [unrolled: 3-line block ×3, first 2 shown]
	v_add3_u32 v68, v68, v93, v98
	v_add3_u32 v68, v68, v103, v104
	s_wait_loadcnt 0x1
	v_mul_i32_i24_e32 v132, v64, v96
	scratch_load_b32 v96, off, off offset:12 ; 4-byte Folded Reload
	v_add3_u32 v68, v68, v105, v106
	s_delay_alu instid0(VALU_DEP_1) | instskip(NEXT) | instid1(VALU_DEP_1)
	v_add3_u32 v68, v68, v107, v108
	v_add3_u32 v68, v68, v109, v130
	s_delay_alu instid0(VALU_DEP_1)
	v_add3_u32 v68, v68, v131, v132
	s_wait_loadcnt 0x0
	v_mul_i32_i24_e32 v133, v65, v96
	scratch_load_b32 v96, off, off offset:20 ; 4-byte Folded Reload
	s_wait_loadcnt 0x0
	v_mul_i32_i24_e32 v134, v15, v96
	s_delay_alu instid0(VALU_DEP_1) | instskip(NEXT) | instid1(VALU_DEP_1)
	v_add3_u32 v68, v68, v133, v134
	v_mul_lo_u32 v68, v68, v78
	s_delay_alu instid0(VALU_DEP_1) | instskip(NEXT) | instid1(VALU_DEP_1)
	v_cvt_f32_i32_e32 v68, v68
	v_fma_mix_f32 v66, v1, v68, v66 op_sel_hi:[1,0,0]
	scratch_load_b32 v68, off, off offset:488 ; 4-byte Folded Reload
	s_wait_loadcnt 0x0
	v_fma_mix_f32 v67, v68, v1, v67 op_sel:[0,1,0] op_sel_hi:[0,1,0]
	scratch_load_b32 v68, off, off offset:160 ; 4-byte Folded Reload
	s_wait_loadcnt 0x0
	v_mul_f32_e32 v67, v67, v68
	scratch_load_b32 v68, off, off offset:148 ; 4-byte Folded Reload
	s_wait_loadcnt 0x0
	v_fma_f32 v66, v66, v68, -v67
	scratch_load_b32 v67, off, off offset:800 ; 4-byte Folded Reload
	s_wait_loadcnt 0x0
	v_add_f32_e32 v67, v67, v66
	scratch_load_b32 v66, off, off offset:1020 ; 4-byte Folded Reload
	s_wait_loadcnt 0x0
	v_mul_i32_i24_e32 v17, v17, v66
	scratch_load_b32 v66, off, off offset:1024 ; 4-byte Folded Reload
	s_wait_loadcnt 0x0
	v_mul_i32_i24_e32 v19, v19, v66
	;; [unrolled: 3-line block ×3, first 2 shown]
	scratch_load_b32 v66, off, off offset:228 ; 4-byte Folded Reload
	s_wait_loadcnt 0x0
	v_mad_i32_i24 v17, v18, v66, v17
	scratch_load_b32 v18, off, off offset:80 ; 4-byte Folded Reload
	v_add3_u32 v17, v17, v19, v20
	s_clause 0x1
	scratch_load_b32 v19, off, off offset:84
	scratch_load_b32 v20, off, off offset:88
	s_wait_loadcnt 0x2
	v_mul_i32_i24_e32 v18, v21, v18
	scratch_load_b32 v21, off, off offset:92 ; 4-byte Folded Reload
	s_wait_loadcnt 0x2
	v_mul_i32_i24_e32 v19, v22, v19
	scratch_load_b32 v22, off, off offset:500 ; 4-byte Folded Reload
	;; [unrolled: 3-line block ×3, first 2 shown]
	v_add3_u32 v17, v17, v18, v19
	v_mul_i32_i24_e32 v18, v52, v123
	s_wait_loadcnt 0x2
	v_mul_i32_i24_e32 v21, v24, v21
	scratch_load_b32 v24, off, off offset:508 ; 4-byte Folded Reload
	s_wait_loadcnt 0x2
	v_mul_i32_i24_e32 v22, v25, v22
	scratch_load_b32 v25, off, off offset:512 ; 4-byte Folded Reload
	;; [unrolled: 3-line block ×3, first 2 shown]
	v_add3_u32 v17, v17, v20, v21
	v_mul_i32_i24_e32 v20, v54, v178
	scratch_load_b32 v178, off, off offset:1084 ; 4-byte Folded Reload
	v_mul_i32_i24_e32 v21, v55, v121
	v_add3_u32 v17, v17, v22, v23
	v_mul_i32_i24_e32 v23, v57, v120
	s_wait_loadcnt 0x3
	v_mul_i32_i24_e32 v24, v27, v24
	scratch_load_b32 v27, off, off offset:524 ; 4-byte Folded Reload
	s_wait_loadcnt 0x3
	v_mul_i32_i24_e32 v2, v2, v25
	scratch_load_b32 v25, off, off offset:516 ; 4-byte Folded Reload
	;; [unrolled: 3-line block ×3, first 2 shown]
	v_add3_u32 v2, v17, v24, v2
	v_mul_i32_i24_e32 v17, v51, v124
	s_wait_loadcnt 0x3
	v_mul_i32_i24_e32 v22, v56, v178
	v_mul_i32_i24_e32 v24, v58, v119
	s_wait_loadcnt 0x2
	v_mul_i32_i24_e32 v27, v30, v27
	v_mul_i32_i24_e32 v30, v33, v176
	v_mul_i32_i24_e32 v33, v36, v185
	v_mul_i32_i24_e32 v36, v39, v161
	s_clause 0x1
	scratch_load_b32 v39, off, off offset:556
	scratch_load_b32 v161, off, off offset:212
	s_wait_loadcnt 0x3
	v_mul_i32_i24_e32 v25, v28, v25
	scratch_load_b32 v28, off, off offset:528 ; 4-byte Folded Reload
	s_wait_loadcnt 0x3
	v_mul_i32_i24_e32 v29, v32, v29
	v_mul_i32_i24_e32 v32, v35, v184
	;; [unrolled: 1-line block ×3, first 2 shown]
	v_add3_u32 v2, v2, v25, v26
	s_clause 0x2
	scratch_load_b32 v176, off, off offset:1096
	scratch_load_b32 v184, off, off offset:1044
	scratch_load_b32 v185, off, off offset:1048
	v_mul_i32_i24_e32 v25, v59, v180
	v_mul_i32_i24_e32 v26, v60, v122
	s_wait_loadcnt 0x5
	v_mul_i32_i24_e32 v39, v42, v39
	s_wait_loadcnt 0x4
	;; [unrolled: 2-line block ×3, first 2 shown]
	v_mul_i32_i24_e32 v3, v3, v28
	scratch_load_b32 v28, off, off offset:1028 ; 4-byte Folded Reload
	v_add3_u32 v2, v2, v27, v3
	scratch_load_b32 v3, off, off offset:532 ; 4-byte Folded Reload
	s_wait_loadcnt 0x4
	v_mul_i32_i24_e32 v11, v11, v176
	v_mul_i32_i24_e32 v27, v61, v173
	s_wait_loadcnt 0x2
	v_mul_i32_i24_e32 v14, v14, v185
	s_wait_loadcnt 0x1
	v_mul_i32_i24_e32 v28, v31, v28
	v_mul_i32_i24_e32 v31, v34, v181
	;; [unrolled: 1-line block ×4, first 2 shown]
	s_clause 0x1
	scratch_load_b32 v73, off, off offset:1180
	scratch_load_b32 v40, off, off offset:560
	v_add3_u32 v2, v2, v28, v29
	s_wait_loadcnt 0x2
	v_mul_i32_i24_e32 v3, v16, v3
	s_clause 0x1
	scratch_load_b32 v181, off, off offset:1040
	scratch_load_b32 v188, off, off offset:1056
	v_mul_i32_i24_e32 v28, v62, v184
	v_add3_u32 v2, v2, v30, v4
	scratch_load_b32 v4, off, off offset:536 ; 4-byte Folded Reload
	v_mul_i32_i24_e32 v29, v63, v118
	v_mul_i32_i24_e32 v30, v64, v177
	v_add3_u32 v2, v2, v31, v32
	v_mul_i32_i24_e32 v31, v65, v186
	s_delay_alu instid0(VALU_DEP_2) | instskip(SKIP_2) | instid1(VALU_DEP_1)
	v_add3_u32 v2, v2, v33, v5
	scratch_load_b32 v5, off, off offset:76 ; 4-byte Folded Reload
	v_add3_u32 v2, v2, v34, v35
	v_add3_u32 v2, v2, v36, v6
	scratch_load_b32 v6, off, off offset:992 ; 4-byte Folded Reload
	s_wait_loadcnt 0x6
	v_mul_i32_i24_e32 v38, v41, v73
	s_wait_loadcnt 0x5
	v_mul_i32_i24_e32 v7, v7, v40
	;; [unrolled: 2-line block ×3, first 2 shown]
	v_add3_u32 v2, v2, v37, v38
	s_wait_loadcnt 0x3
	v_mul_i32_i24_e32 v15, v15, v188
	s_wait_loadcnt 0x2
	v_mul_i32_i24_e32 v4, v44, v4
	v_add3_u32 v2, v2, v39, v7
	scratch_load_b32 v7, off, off offset:68 ; 4-byte Folded Reload
	v_mul_lo_u32 v2, v2, v175
	scratch_load_b32 v175, off, off offset:220 ; 4-byte Folded Reload
	s_wait_loadcnt 0x3
	v_mul_i32_i24_e32 v5, v8, v5
	scratch_load_b32 v8, off, off offset:72 ; 4-byte Folded Reload
	v_cvt_f32_i32_e32 v2, v2
	s_wait_loadcnt 0x3
	v_mad_i32_i24 v3, v43, v6, v3
	scratch_load_b32 v6, off, off offset:60 ; 4-byte Folded Reload
	v_fma_mix_f32 v2, v0, v2, 0 op_sel_hi:[1,0,0]
	v_fma_mix_f32 v0, v167, v0, 0 op_sel:[0,1,0] op_sel_hi:[0,1,0]
	v_add3_u32 v3, v3, v4, v5
	s_clause 0x1
	scratch_load_b32 v4, off, off offset:200
	scratch_load_b32 v5, off, off offset:64
	v_fma_mix_f32 v0, v135, v1, v0 op_sel:[0,1,0] op_sel_hi:[0,1,0]
	s_wait_loadcnt 0x5
	v_mul_i32_i24_e32 v7, v9, v7
	v_mul_i32_i24_e32 v9, v49, v159
	scratch_load_b32 v159, off, off offset:204 ; 4-byte Folded Reload
	s_wait_loadcnt 0x5
	v_mul_i32_i24_e32 v19, v53, v175
	s_wait_loadcnt 0x4
	v_mul_i32_i24_e32 v8, v48, v8
	;; [unrolled: 2-line block ×5, first 2 shown]
	s_delay_alu instid0(VALU_DEP_1) | instskip(NEXT) | instid1(VALU_DEP_1)
	v_add3_u32 v3, v3, v4, v5
	v_add3_u32 v3, v3, v6, v7
	s_delay_alu instid0(VALU_DEP_1) | instskip(SKIP_2) | instid1(VALU_DEP_1)
	v_add3_u32 v3, v3, v8, v9
	s_wait_loadcnt 0x0
	v_mul_i32_i24_e32 v16, v50, v159
	v_add3_u32 v3, v3, v16, v10
	s_delay_alu instid0(VALU_DEP_1) | instskip(NEXT) | instid1(VALU_DEP_1)
	v_add3_u32 v3, v3, v17, v18
	v_add3_u32 v3, v3, v19, v11
	s_delay_alu instid0(VALU_DEP_1) | instskip(NEXT) | instid1(VALU_DEP_1)
	v_add3_u32 v3, v3, v20, v21
	;; [unrolled: 3-line block ×5, first 2 shown]
	v_add3_u32 v3, v3, v31, v15
	s_delay_alu instid0(VALU_DEP_1) | instskip(NEXT) | instid1(VALU_DEP_1)
	v_mul_lo_u32 v3, v3, v117
	v_cvt_f32_i32_e32 v3, v3
	s_delay_alu instid0(VALU_DEP_1)
	v_fma_mix_f32 v2, v1, v3, v2 op_sel_hi:[1,0,0]
	scratch_load_b32 v1, off, off offset:24 ; 4-byte Folded Reload
	s_wait_loadcnt 0x0
	v_mul_f32_e32 v0, v0, v1
	scratch_load_b32 v1, off, off offset:796 ; 4-byte Folded Reload
	v_fma_f32 v0, v2, v116, -v0
	s_wait_loadcnt 0x0
	s_delay_alu instid0(VALU_DEP_1)
	v_add_f32_e32 v1, v1, v0
	scratch_load_b32 v0, off, off offset:1256 ; 4-byte Folded Reload
	s_clause 0x4
	scratch_store_b32 off, v94, off offset:176
	scratch_store_b32 off, v210, off offset:180
	scratch_store_b32 off, v143, off offset:188
	scratch_store_b32 off, v67, off offset:800
	scratch_store_b32 off, v1, off offset:796
	s_wait_loadcnt 0x0
	v_or_b32_e32 v0, s12, v0
	s_delay_alu instid0(VALU_DEP_1)
	v_lshlrev_b32_e32 v12, 2, v0
	v_lshrrev_b32_e32 v16, 1, v0
	ds_load_b128 v[0:3], v12 offset:16896
	ds_load_b128 v[4:7], v12 offset:16912
	;; [unrolled: 1-line block ×4, first 2 shown]
	s_clause 0xd
	scratch_load_b32 v169, off, off offset:436
	scratch_load_b32 v167, off, off offset:428
	;; [unrolled: 1-line block ×14, first 2 shown]
	scratch_store_b32 off, v207, off offset:884 ; 4-byte Folded Spill
	s_wait_dscnt 0x3
	v_bfe_i32 v17, v0, 0, 8
	s_wait_dscnt 0x2
	v_bfe_i32 v35, v5, 8, 8
	v_bfe_i32 v18, v0, 8, 8
	;; [unrolled: 1-line block ×3, first 2 shown]
	v_ashrrev_i32_e32 v20, 24, v0
	v_mul_i32_i24_e32 v66, v94, v17
	v_mul_i32_i24_e32 v98, v70, v35
	v_mov_b32_e32 v70, v71
	scratch_load_b32 v71, off, off offset:380 ; 4-byte Folded Reload
	v_bfe_i32 v21, v1, 0, 8
	v_bfe_i32 v22, v1, 8, 8
	;; [unrolled: 1-line block ×3, first 2 shown]
	v_ashrrev_i32_e32 v24, 24, v1
	ds_load_b64 v[0:1], v16 offset:27200
	v_mul_i32_i24_e32 v67, v77, v19
	v_mul_i32_i24_e32 v68, v101, v20
	v_mad_i32_i24 v66, v231, v18, v66
	s_wait_dscnt 0x2
	v_bfe_i32 v16, v8, 0, 8
	v_bfe_i32 v43, v8, 8, 8
	;; [unrolled: 1-line block ×3, first 2 shown]
	v_ashrrev_i32_e32 v8, 24, v8
	v_add3_u32 v66, v66, v67, v68
	v_mul_i32_i24_e32 v67, v247, v21
	v_mul_i32_i24_e32 v68, v245, v22
	;; [unrolled: 1-line block ×4, first 2 shown]
	v_bfe_i32 v25, v2, 0, 8
	v_bfe_i32 v26, v2, 8, 8
	v_add3_u32 v66, v66, v67, v68
	v_mul_i32_i24_e32 v68, v164, v16
	v_bfe_i32 v45, v9, 0, 8
	v_bfe_i32 v46, v9, 8, 8
	;; [unrolled: 1-line block ×3, first 2 shown]
	v_add3_u32 v66, v66, v78, v79
	v_mul_i32_i24_e32 v78, v216, v44
	v_mul_i32_i24_e32 v79, v162, v8
	v_mad_i32_i24 v68, v163, v43, v68
	v_ashrrev_i32_e32 v2, 24, v2
	v_bfe_i32 v36, v5, 16, 8
	v_bfe_i32 v47, v9, 16, 8
	v_ashrrev_i32_e32 v9, 24, v9
	v_mul_i32_i24_e32 v80, v252, v25
	v_mul_i32_i24_e32 v81, v250, v26
	s_wait_dscnt 0x0
	v_fma_mix_f32 v67, v69, v0, 0 op_sel:[0,1,0] op_sel_hi:[0,1,0]
	v_add3_u32 v68, v68, v78, v79
	v_mul_i32_i24_e32 v78, v75, v45
	v_mov_b32_e32 v69, v76
	v_bfe_i32 v28, v3, 0, 8
	v_bfe_i32 v29, v3, 8, 8
	;; [unrolled: 1-line block ×4, first 2 shown]
	v_mul_i32_i24_e32 v82, v249, v27
	v_mul_i32_i24_e32 v83, v248, v2
	;; [unrolled: 1-line block ×3, first 2 shown]
	v_add3_u32 v66, v66, v80, v81
	v_mul_i32_i24_e32 v80, v69, v47
	v_mul_i32_i24_e32 v81, v187, v9
	v_mov_b32_e32 v212, v92
	v_bfe_i32 v30, v3, 16, 8
	v_ashrrev_i32_e32 v3, 24, v3
	v_bfe_i32 v50, v10, 16, 8
	v_ashrrev_i32_e32 v10, 24, v10
	v_mul_i32_i24_e32 v84, v114, v28
	v_mul_i32_i24_e32 v85, v255, v29
	v_add3_u32 v66, v66, v82, v83
	v_mul_i32_i24_e32 v82, v212, v48
	v_mul_i32_i24_e32 v83, v95, v49
	v_mov_b32_e32 v92, v97
	v_mov_b32_e32 v76, v110
	v_bfe_i32 v31, v4, 0, 8
	v_bfe_i32 v32, v4, 8, 8
	v_bfe_i32 v33, v4, 16, 8
	v_bfe_i32 v51, v11, 0, 8
	v_bfe_i32 v52, v11, 8, 8
	v_mul_i32_i24_e32 v86, v254, v30
	v_mul_i32_i24_e32 v87, v253, v3
	v_add3_u32 v66, v66, v84, v85
	v_mul_i32_i24_e32 v84, v92, v50
	v_mul_i32_i24_e32 v85, v76, v10
	v_ashrrev_i32_e32 v4, 24, v4
	v_bfe_i32 v53, v11, 16, 8
	v_ashrrev_i32_e32 v11, 24, v11
	v_mul_i32_i24_e32 v88, v236, v31
	v_mul_i32_i24_e32 v89, v235, v32
	;; [unrolled: 1-line block ×3, first 2 shown]
	v_add3_u32 v66, v66, v86, v87
	v_mul_i32_i24_e32 v86, v226, v51
	v_mul_i32_i24_e32 v87, v207, v52
	v_mov_b32_e32 v234, v111
	v_bfe_i32 v34, v5, 0, 8
	v_bfe_i32 v54, v12, 0, 8
	v_bfe_i32 v55, v12, 8, 8
	v_mul_i32_i24_e32 v91, v224, v4
	v_add3_u32 v66, v66, v88, v89
	v_mul_i32_i24_e32 v88, v156, v53
	v_mul_i32_i24_e32 v89, v234, v11
	v_ashrrev_i32_e32 v5, 24, v5
	v_bfe_i32 v56, v12, 16, 8
	v_ashrrev_i32_e32 v12, 24, v12
	v_mul_i32_i24_e32 v93, v137, v34
	v_add3_u32 v66, v66, v90, v91
	v_mul_i32_i24_e32 v90, v150, v54
	v_mul_i32_i24_e32 v91, v149, v55
	v_bfe_i32 v37, v6, 0, 8
	v_bfe_i32 v38, v6, 8, 8
	;; [unrolled: 1-line block ×4, first 2 shown]
	v_mul_i32_i24_e32 v104, v136, v5
	v_add3_u32 v66, v66, v93, v98
	v_mul_i32_i24_e32 v93, v148, v56
	v_mul_i32_i24_e32 v98, v147, v12
	v_bfe_i32 v39, v6, 16, 8
	v_ashrrev_i32_e32 v6, 24, v6
	v_bfe_i32 v59, v13, 16, 8
	v_ashrrev_i32_e32 v13, 24, v13
	v_mul_i32_i24_e32 v105, v140, v37
	v_mul_i32_i24_e32 v106, v139, v38
	v_add3_u32 v66, v66, v103, v104
	v_mul_i32_i24_e32 v103, v154, v57
	v_mul_i32_i24_e32 v104, v153, v58
	v_bfe_i32 v40, v7, 0, 8
	v_bfe_i32 v41, v7, 8, 8
	;; [unrolled: 1-line block ×4, first 2 shown]
	v_mul_i32_i24_e32 v107, v138, v39
	v_mul_i32_i24_e32 v108, v70, v6
	v_add3_u32 v66, v66, v105, v106
	v_mul_i32_i24_e32 v105, v152, v59
	v_mul_i32_i24_e32 v106, v151, v13
	v_mov_b32_e32 v164, v112
	v_bfe_i32 v42, v7, 16, 8
	v_ashrrev_i32_e32 v7, 24, v7
	v_bfe_i32 v62, v14, 16, 8
	v_ashrrev_i32_e32 v14, 24, v14
	v_mul_i32_i24_e32 v109, v145, v40
	v_mul_i32_i24_e32 v130, v142, v41
	v_add3_u32 v66, v66, v107, v108
	v_mov_b32_e32 v248, v216
	v_dual_mov_b32 v216, v162 :: v_dual_mov_b32 v249, v163
	v_mul_i32_i24_e32 v107, v165, v60
	v_mul_i32_i24_e32 v108, v164, v61
	v_dual_mov_b32 v163, v113 :: v_dual_mov_b32 v162, v115
	v_bfe_i32 v63, v15, 0, 8
	v_bfe_i32 v64, v15, 8, 8
	v_mul_i32_i24_e32 v131, v141, v42
	v_mul_i32_i24_e32 v132, v143, v7
	v_add3_u32 v66, v66, v109, v130
	v_mul_i32_i24_e32 v109, v163, v62
	v_mul_i32_i24_e32 v130, v162, v14
	v_bfe_i32 v65, v15, 16, 8
	v_ashrrev_i32_e32 v15, 24, v15
	v_add3_u32 v66, v66, v131, v132
	v_mul_i32_i24_e32 v132, v168, v64
	v_fma_mix_f32 v67, v171, v1, v67 op_sel:[0,1,0] op_sel_hi:[0,1,0]
	scratch_load_b32 v110, off, off offset:868 ; 4-byte Folded Reload
	v_mul_i32_i24_e32 v134, v166, v15
	v_mul_lo_u32 v66, v66, v144
	v_dual_mov_b32 v154, v100 :: v_dual_mul_f32 v67, v67, v172
	s_clause 0x4
	scratch_load_b32 v111, off, off offset:872
	scratch_load_b32 v113, off, off offset:296
	;; [unrolled: 1-line block ×5, first 2 shown]
	v_cvt_f32_i32_e32 v66, v66
	s_clause 0x1
	scratch_load_b32 v77, off, off offset:344
	scratch_load_b32 v94, off, off offset:348
	v_mov_b32_e32 v231, v187
	v_mov_b32_e32 v187, v226
	v_fma_mix_f32 v66, v0, v66, 0 op_sel_hi:[1,0,0]
	v_mov_b32_e32 v226, v99
	s_clause 0x3
	scratch_load_b32 v97, off, off offset:360
	scratch_load_b32 v156, off, off offset:108
	;; [unrolled: 1-line block ×4, first 2 shown]
	v_dual_mov_b32 v252, v150 :: v_dual_mov_b32 v253, v149
	v_dual_mov_b32 v250, v148 :: v_dual_mov_b32 v245, v147
	;; [unrolled: 1-line block ×3, first 2 shown]
	s_clause 0x9
	scratch_store_b32 off, v248, off offset:928
	scratch_store_b32 off, v216, off offset:924
	;; [unrolled: 1-line block ×10, first 2 shown]
	v_dual_mov_b32 v241, v102 :: v_dual_mov_b32 v152, v155
	v_mov_b32_e32 v101, v141
	v_dual_mov_b32 v255, v137 :: v_dual_mov_b32 v224, v142
	v_mov_b32_e32 v153, v125
	v_mov_b32_e32 v243, v251
	s_wait_loadcnt 0x1a
	v_mul_i32_i24_e32 v131, v169, v63
	s_wait_loadcnt 0x19
	v_mul_i32_i24_e32 v133, v167, v65
	;; [unrolled: 2-line block ×3, first 2 shown]
	s_delay_alu instid0(VALU_DEP_1) | instskip(SKIP_2) | instid1(VALU_DEP_3)
	v_add3_u32 v68, v68, v78, v79
	v_mul_i32_i24_e32 v78, v23, v116
	v_mul_i32_i24_e32 v79, v24, v117
	v_add3_u32 v68, v68, v80, v81
	v_mul_i32_i24_e32 v80, v25, v118
	v_mul_i32_i24_e32 v81, v26, v119
	s_delay_alu instid0(VALU_DEP_3) | instskip(SKIP_2) | instid1(VALU_DEP_3)
	v_add3_u32 v68, v68, v82, v83
	v_mul_i32_i24_e32 v82, v27, v120
	v_mul_i32_i24_e32 v83, v2, v121
	v_add3_u32 v68, v68, v84, v85
	v_mul_i32_i24_e32 v84, v28, v122
	v_mul_i32_i24_e32 v85, v29, v123
	s_delay_alu instid0(VALU_DEP_3) | instskip(SKIP_1) | instid1(VALU_DEP_2)
	v_add3_u32 v68, v68, v86, v87
	v_mul_i32_i24_e32 v86, v30, v124
	v_add3_u32 v68, v68, v88, v89
	v_mul_i32_i24_e32 v89, v32, v99
	scratch_load_b32 v99, off, off offset:364 ; 4-byte Folded Reload
	v_add3_u32 v68, v68, v90, v91
	v_mul_i32_i24_e32 v90, v33, v177
	v_mul_i32_i24_e32 v91, v4, v96
	s_delay_alu instid0(VALU_DEP_3) | instskip(NEXT) | instid1(VALU_DEP_1)
	v_add3_u32 v68, v68, v93, v98
	v_add3_u32 v68, v68, v103, v104
	v_mul_i32_i24_e32 v104, v5, v246
	scratch_load_b32 v246, off, off offset:1088 ; 4-byte Folded Reload
	v_mul_i32_i24_e32 v103, v36, v157
	scratch_load_b32 v157, off, off offset:104 ; 4-byte Folded Reload
	v_add3_u32 v68, v68, v105, v106
	v_mul_i32_i24_e32 v106, v38, v220
	scratch_load_b32 v220, off, off offset:100 ; 4-byte Folded Reload
	v_add3_u32 v68, v68, v107, v108
	v_mul_i32_i24_e32 v107, v39, v158
	scratch_load_b32 v158, off, off offset:112 ; 4-byte Folded Reload
	v_mul_i32_i24_e32 v108, v6, v214
	v_add3_u32 v68, v68, v109, v130
	v_mul_i32_i24_e32 v109, v40, v218
	v_mul_i32_i24_e32 v130, v41, v221
	s_delay_alu instid0(VALU_DEP_3) | instskip(SKIP_2) | instid1(VALU_DEP_3)
	v_add3_u32 v68, v68, v131, v132
	v_mul_i32_i24_e32 v131, v42, v222
	v_mul_i32_i24_e32 v132, v7, v223
	v_add3_u32 v68, v68, v133, v134
	v_mul_i32_i24_e32 v133, v65, v205
	v_mul_i32_i24_e32 v134, v15, v206
	s_clause 0x1
	scratch_load_b32 v205, off, off offset:508
	scratch_load_b32 v206, off, off offset:512
	v_mul_lo_u32 v68, v68, v170
	s_delay_alu instid0(VALU_DEP_1) | instskip(NEXT) | instid1(VALU_DEP_1)
	v_cvt_f32_i32_e32 v68, v68
	v_fma_mix_f32 v66, v1, v68, v66 op_sel_hi:[1,0,0]
	s_delay_alu instid0(VALU_DEP_1)
	v_fma_f32 v66, v66, v173, -v67
	scratch_load_b32 v67, off, off offset:792 ; 4-byte Folded Reload
	s_wait_loadcnt 0x11
	v_mul_i32_i24_e32 v68, v20, v113
	s_wait_loadcnt 0xd
	v_mul_i32_i24_e32 v87, v3, v77
	;; [unrolled: 2-line block ×6, first 2 shown]
	s_wait_loadcnt 0x0
	v_add_f32_e32 v67, v67, v66
	v_mul_i32_i24_e32 v66, v17, v110
	scratch_store_b32 off, v67, off offset:792 ; 4-byte Folded Spill
	v_mul_i32_i24_e32 v67, v19, v111
	v_mad_i32_i24 v66, v18, v112, v66
	s_delay_alu instid0(VALU_DEP_1) | instskip(SKIP_2) | instid1(VALU_DEP_1)
	v_add3_u32 v66, v66, v67, v68
	v_mul_i32_i24_e32 v67, v21, v114
	v_mul_i32_i24_e32 v68, v22, v115
	v_add3_u32 v66, v66, v67, v68
	v_mul_i32_i24_e32 v68, v16, v238
	scratch_load_b32 v238, off, off offset:996 ; 4-byte Folded Reload
	v_fma_mix_f32 v67, v174, v0, 0 op_sel:[0,1,0] op_sel_hi:[0,1,0]
	scratch_load_b32 v174, off, off offset:288 ; 4-byte Folded Reload
	v_add3_u32 v66, v66, v78, v79
	v_mad_i32_i24 v68, v43, v189, v68
	scratch_load_b32 v189, off, off offset:548 ; 4-byte Folded Reload
	v_mul_i32_i24_e32 v79, v8, v220
	v_fma_mix_f32 v67, v126, v1, v67 op_sel:[0,1,0] op_sel_hi:[0,1,0]
	v_add3_u32 v66, v66, v80, v81
	v_mul_i32_i24_e32 v80, v47, v190
	v_mul_i32_i24_e32 v81, v9, v192
	v_mov_b32_e32 v126, v129
	s_delay_alu instid0(VALU_DEP_4) | instskip(SKIP_2) | instid1(VALU_DEP_3)
	v_add3_u32 v66, v66, v82, v83
	v_mul_i32_i24_e32 v82, v48, v193
	v_mul_i32_i24_e32 v83, v49, v191
	v_add3_u32 v66, v66, v84, v85
	v_mul_i32_i24_e32 v84, v50, v194
	scratch_load_b32 v194, off, off offset:552 ; 4-byte Folded Reload
	v_add3_u32 v66, v66, v86, v87
	v_mul_i32_i24_e32 v86, v51, v72
	v_mul_i32_i24_e32 v87, v52, v156
	scratch_load_b32 v72, off, off offset:1144 ; 4-byte Folded Reload
	v_add3_u32 v66, v66, v88, v89
	v_mul_i32_i24_e32 v88, v53, v195
	v_mul_i32_i24_e32 v89, v11, v196
	s_clause 0x1
	scratch_load_b32 v195, off, off offset:1020
	scratch_load_b32 v196, off, off offset:1024
	v_add3_u32 v66, v66, v90, v91
	v_mul_i32_i24_e32 v90, v54, v197
	v_mul_i32_i24_e32 v91, v55, v182
	scratch_load_b32 v197, off, off offset:228 ; 4-byte Folded Reload
	v_add3_u32 v66, v66, v93, v98
	v_mul_i32_i24_e32 v93, v56, v198
	v_mul_i32_i24_e32 v98, v12, v199
	s_clause 0x1
	scratch_load_b32 v198, off, off offset:496
	scratch_load_b32 v199, off, off offset:80
	;; [unrolled: 10-line block ×4, first 2 shown]
	v_add3_u32 v66, v66, v131, v132
	v_mul_i32_i24_e32 v131, v63, v127
	scratch_load_b32 v127, off, off offset:156 ; 4-byte Folded Reload
	v_mul_lo_u32 v66, v66, v128
	scratch_load_b32 v128, off, off offset:144 ; 4-byte Folded Reload
	v_cvt_f32_i32_e32 v66, v66
	s_delay_alu instid0(VALU_DEP_1) | instskip(SKIP_4) | instid1(VALU_DEP_2)
	v_fma_mix_f32 v66, v0, v66, 0 op_sel_hi:[1,0,0]
	s_wait_loadcnt 0x11
	v_mul_i32_i24_e32 v78, v44, v238
	s_wait_loadcnt 0x10
	v_mul_i32_i24_e32 v132, v64, v174
	v_add3_u32 v68, v68, v78, v79
	s_wait_loadcnt 0xf
	v_mul_i32_i24_e32 v78, v45, v189
	v_mul_i32_i24_e32 v79, v46, v157
	s_delay_alu instid0(VALU_DEP_1)
	v_add3_u32 v68, v68, v78, v79
	v_mul_i32_i24_e32 v78, v23, v215
	v_mul_i32_i24_e32 v79, v24, v217
	scratch_load_b32 v217, off, off offset:1184 ; 4-byte Folded Reload
	v_add3_u32 v68, v68, v80, v81
	v_mul_i32_i24_e32 v80, v25, v219
	v_mul_i32_i24_e32 v81, v26, v225
	s_wait_loadcnt 0xf
	v_mul_i32_i24_e32 v85, v10, v194
	v_mov_b32_e32 v219, v255
	v_add3_u32 v68, v68, v82, v83
	v_mul_i32_i24_e32 v82, v27, v227
	v_mul_i32_i24_e32 v83, v2, v228
	;; [unrolled: 1-line block ×3, first 2 shown]
	s_delay_alu instid0(VALU_DEP_4) | instskip(SKIP_2) | instid1(VALU_DEP_3)
	v_add3_u32 v68, v68, v84, v85
	v_mul_i32_i24_e32 v84, v28, v229
	v_mul_i32_i24_e32 v85, v29, v230
	v_add3_u32 v68, v68, v86, v87
	v_mul_i32_i24_e32 v86, v30, v232
	v_mul_i32_i24_e32 v87, v3, v233
	s_delay_alu instid0(VALU_DEP_3)
	v_add3_u32 v68, v68, v88, v89
	v_mul_i32_i24_e32 v88, v31, v237
	scratch_load_b32 v237, off, off offset:1204 ; 4-byte Folded Reload
	v_add3_u32 v68, v68, v90, v91
	v_mul_i32_i24_e32 v90, v33, v239
	v_mul_i32_i24_e32 v91, v4, v240
	v_mul_i32_i24_e32 v4, v4, v236
	s_delay_alu instid0(VALU_DEP_4) | instskip(SKIP_4) | instid1(VALU_DEP_1)
	v_add3_u32 v68, v68, v93, v98
	s_wait_loadcnt 0xf
	v_mul_i32_i24_e32 v93, v34, v72
	scratch_load_b32 v72, off, off offset:1148 ; 4-byte Folded Reload
	v_add3_u32 v68, v68, v103, v104
	v_add3_u32 v68, v68, v105, v106
	v_mul_i32_i24_e32 v105, v37, v100
	v_mul_i32_i24_e32 v106, v38, v102
	s_delay_alu instid0(VALU_DEP_3)
	v_add3_u32 v68, v68, v107, v108
	v_mul_i32_i24_e32 v107, v39, v129
	v_mov_b32_e32 v129, v224
	s_wait_loadcnt 0x4
	v_mul_f32_e32 v67, v67, v127
	v_add3_u32 v68, v68, v109, v130
	v_mul_i32_i24_e32 v109, v40, v155
	s_delay_alu instid0(VALU_DEP_2) | instskip(SKIP_2) | instid1(VALU_DEP_3)
	v_add3_u32 v68, v68, v131, v132
	v_mul_i32_i24_e32 v131, v42, v125
	v_mul_i32_i24_e32 v132, v7, v251
	v_add3_u32 v68, v68, v133, v134
	s_delay_alu instid0(VALU_DEP_1) | instskip(SKIP_2) | instid1(VALU_DEP_1)
	v_mul_lo_u32 v68, v68, v160
	scratch_load_b32 v160, off, off offset:1108 ; 4-byte Folded Reload
	v_cvt_f32_i32_e32 v68, v68
	v_fma_mix_f32 v66, v1, v68, v66 op_sel_hi:[1,0,0]
	scratch_load_b32 v68, off, off offset:32 ; 4-byte Folded Reload
	s_wait_loadcnt 0x5
	v_fma_f32 v66, v66, v128, -v67
	scratch_load_b32 v67, off, off offset:788 ; 4-byte Folded Reload
	s_wait_loadcnt 0x3
	v_mul_i32_i24_e32 v98, v35, v72
	scratch_load_b32 v72, off, off offset:1152 ; 4-byte Folded Reload
	s_wait_loadcnt 0x3
	v_mul_i32_i24_e32 v89, v32, v160
	s_wait_loadcnt 0x2
	v_mul_i32_i24_e32 v68, v20, v68
	v_mul_i32_i24_e32 v20, v20, v198
	s_wait_loadcnt 0x1
	v_add_f32_e32 v67, v67, v66
	v_mul_i32_i24_e32 v66, v17, v146
	v_mul_i32_i24_e32 v17, v17, v195
	scratch_store_b32 off, v67, off offset:788 ; 4-byte Folded Spill
	v_mul_i32_i24_e32 v67, v19, v208
	v_mad_i32_i24 v66, v18, v209, v66
	s_clause 0x1
	scratch_load_b32 v209, off, off offset:520
	scratch_load_b32 v208, off, off offset:516
	v_mul_i32_i24_e32 v19, v19, v196
	v_mad_i32_i24 v17, v18, v197, v17
	v_add3_u32 v66, v66, v67, v68
	v_mul_i32_i24_e32 v67, v21, v210
	v_mul_i32_i24_e32 v68, v22, v211
	scratch_load_b32 v210, off, off offset:524 ; 4-byte Folded Reload
	v_add3_u32 v17, v17, v19, v20
	v_mul_i32_i24_e32 v20, v23, v201
	v_mul_i32_i24_e32 v23, v26, v204
	v_add3_u32 v66, v66, v67, v68
	v_mul_i32_i24_e32 v19, v22, v200
	v_mul_i32_i24_e32 v22, v25, v203
	;; [unrolled: 1-line block ×4, first 2 shown]
	v_add3_u32 v66, v66, v78, v79
	scratch_load_b32 v79, off, off offset:660 ; 4-byte Folded Reload
	v_mul_i32_i24_e32 v21, v24, v202
	v_mul_i32_i24_e32 v24, v27, v205
	scratch_load_b32 v211, off, off offset:528 ; 4-byte Folded Reload
	v_add3_u32 v66, v66, v80, v81
	s_clause 0x1
	scratch_load_b32 v80, off, off offset:668
	scratch_load_b32 v81, off, off offset:644
	v_add3_u32 v17, v17, v18, v19
	scratch_load_b32 v67, off, off offset:664 ; 4-byte Folded Reload
	v_add3_u32 v66, v66, v82, v83
	v_mul_i32_i24_e32 v83, v49, v74
	s_clause 0x1
	scratch_load_b32 v74, off, off offset:684
	scratch_load_b32 v82, off, off offset:648
	v_add3_u32 v17, v17, v20, v21
	v_add3_u32 v66, v66, v84, v85
	v_mul_i32_i24_e32 v84, v50, v244
	s_clause 0x2
	scratch_load_b32 v18, off, off offset:224
	scratch_load_b32 v20, off, off offset:1104
	;; [unrolled: 1-line block ×3, first 2 shown]
	v_add3_u32 v66, v66, v86, v87
	v_add3_u32 v17, v17, v22, v23
	scratch_load_b32 v23, off, off offset:1072 ; 4-byte Folded Reload
	v_mul_i32_i24_e32 v19, v53, v175
	v_mul_i32_i24_e32 v22, v56, v178
	v_add3_u32 v66, v66, v88, v89
	v_add3_u32 v2, v17, v24, v2
	s_clause 0x1
	scratch_load_b32 v17, off, off offset:216
	scratch_load_b32 v24, off, off offset:1060
	v_add3_u32 v66, v66, v90, v91
	s_delay_alu instid0(VALU_DEP_1)
	v_add3_u32 v66, v66, v93, v98
	s_wait_loadcnt 0x10
	v_mul_i32_i24_e32 v103, v36, v72
	scratch_load_b32 v72, off, off offset:1132 ; 4-byte Folded Reload
	s_wait_loadcnt 0x10
	v_mul_i32_i24_e32 v26, v29, v209
	scratch_load_b32 v29, off, off offset:492 ; 4-byte Folded Reload
	s_wait_loadcnt 0x10
	v_mul_i32_i24_e32 v25, v28, v208
	v_mul_i32_i24_e32 v28, v31, v213
	;; [unrolled: 1-line block ×3, first 2 shown]
	scratch_load_b32 v34, off, off offset:1124 ; 4-byte Folded Reload
	s_wait_loadcnt 0x10
	v_mul_i32_i24_e32 v27, v30, v210
	v_mul_i32_i24_e32 v30, v33, v235
	scratch_load_b32 v33, off, off offset:1120 ; 4-byte Folded Reload
	v_add3_u32 v2, v2, v25, v26
	scratch_load_b32 v26, off, off offset:1076 ; 4-byte Folded Reload
	v_mul_i32_i24_e32 v25, v59, v180
	s_wait_loadcnt 0x11
	v_mul_i32_i24_e32 v79, v8, v79
	s_wait_loadcnt 0x10
	;; [unrolled: 2-line block ×3, first 2 shown]
	v_mad_i32_i24 v68, v43, v80, v68
	scratch_load_b32 v80, off, off offset:676 ; 4-byte Folded Reload
	s_wait_loadcnt 0xf
	v_mul_i32_i24_e32 v81, v9, v81
	v_add3_u32 v2, v2, v27, v3
	s_clause 0x1
	scratch_load_b32 v3, off, off offset:236
	scratch_load_b32 v27, off, off offset:1064
	s_wait_loadcnt 0xf
	v_mul_i32_i24_e32 v85, v10, v74
	scratch_load_b32 v74, off, off offset:688 ; 4-byte Folded Reload
	s_wait_loadcnt 0xf
	v_mul_i32_i24_e32 v82, v48, v82
	v_mul_i32_i24_e32 v10, v10, v161
	s_wait_loadcnt 0xe
	v_mul_i32_i24_e32 v18, v52, v18
	s_wait_loadcnt 0xd
	;; [unrolled: 2-line block ×7, first 2 shown]
	v_mul_i32_i24_e32 v104, v5, v72
	scratch_load_b32 v72, off, off offset:1136 ; 4-byte Folded Reload
	v_add3_u32 v66, v66, v103, v104
	s_delay_alu instid0(VALU_DEP_1)
	v_add3_u32 v66, v66, v105, v106
	s_wait_loadcnt 0x8
	v_mul_i32_i24_e32 v29, v32, v29
	scratch_load_b32 v32, off, off offset:1116 ; 4-byte Folded Reload
	s_wait_loadcnt 0x8
	v_mul_i32_i24_e32 v5, v5, v34
	scratch_load_b32 v34, off, off offset:1128 ; 4-byte Folded Reload
	v_add3_u32 v2, v2, v28, v29
	scratch_load_b32 v29, off, off offset:1080 ; 4-byte Folded Reload
	s_wait_loadcnt 0x9
	v_mul_i32_i24_e32 v33, v36, v33
	scratch_load_b32 v36, off, off offset:240 ; 4-byte Folded Reload
	s_wait_loadcnt 0x9
	v_mul_i32_i24_e32 v26, v60, v26
	v_add3_u32 v2, v2, v30, v4
	s_clause 0x1
	scratch_load_b32 v4, off, off offset:536
	scratch_load_b32 v30, off, off offset:1068
	v_mul_i32_i24_e32 v28, v62, v184
	v_mov_b32_e32 v184, v234
	s_wait_loadcnt 0xa
	v_mul_i32_i24_e32 v80, v47, v80
	s_wait_loadcnt 0x8
	v_mul_i32_i24_e32 v27, v61, v27
	s_wait_loadcnt 0x7
	v_mul_i32_i24_e32 v86, v51, v74
	scratch_load_b32 v74, off, off offset:696 ; 4-byte Folded Reload
	s_wait_loadcnt 0x7
	v_mul_i32_i24_e32 v108, v6, v72
	scratch_load_b32 v72, off, off offset:1140 ; 4-byte Folded Reload
	v_add3_u32 v66, v66, v107, v108
	s_wait_loadcnt 0x7
	v_mul_i32_i24_e32 v32, v35, v32
	scratch_load_b32 v35, off, off offset:232 ; 4-byte Folded Reload
	s_wait_loadcnt 0x7
	v_mul_i32_i24_e32 v34, v37, v34
	scratch_load_b32 v37, off, off offset:244 ; 4-byte Folded Reload
	v_add3_u32 v2, v2, v31, v32
	s_wait_loadcnt 0x7
	v_mul_i32_i24_e32 v29, v63, v29
	s_wait_loadcnt 0x6
	v_mul_i32_i24_e32 v36, v39, v36
	v_mul_i32_i24_e32 v31, v65, v186
	v_add3_u32 v2, v2, v33, v5
	scratch_load_b32 v5, off, off offset:76 ; 4-byte Folded Reload
	s_wait_loadcnt 0x6
	v_mul_i32_i24_e32 v4, v44, v4
	s_wait_loadcnt 0x5
	v_mul_i32_i24_e32 v30, v64, v30
	;; [unrolled: 2-line block ×3, first 2 shown]
	scratch_load_b32 v74, off, off offset:692 ; 4-byte Folded Reload
	s_wait_loadcnt 0x4
	v_mul_i32_i24_e32 v130, v41, v72
	scratch_load_b32 v72, off, off offset:248 ; 4-byte Folded Reload
	v_add3_u32 v66, v66, v109, v130
	s_delay_alu instid0(VALU_DEP_1) | instskip(NEXT) | instid1(VALU_DEP_1)
	v_add3_u32 v66, v66, v131, v132
	v_mul_lo_u32 v66, v66, v67
	scratch_load_b32 v67, off, off offset:656 ; 4-byte Folded Reload
	v_cvt_f32_i32_e32 v66, v66
	s_delay_alu instid0(VALU_DEP_1)
	v_fma_mix_f32 v66, v0, v66, 0 op_sel_hi:[1,0,0]
	s_wait_loadcnt 0x5
	v_mul_i32_i24_e32 v35, v38, v35
	v_mul_i32_i24_e32 v38, v41, v73
	scratch_load_b32 v73, off, off offset:556 ; 4-byte Folded Reload
	s_wait_loadcnt 0x5
	v_mul_i32_i24_e32 v6, v6, v37
	v_add3_u32 v2, v2, v34, v35
	v_mul_i32_i24_e32 v37, v40, v217
	s_delay_alu instid0(VALU_DEP_2)
	v_add3_u32 v2, v2, v36, v6
	scratch_load_b32 v6, off, off offset:992 ; 4-byte Folded Reload
	s_wait_loadcnt 0x5
	v_mul_i32_i24_e32 v5, v8, v5
	scratch_load_b32 v8, off, off offset:72 ; 4-byte Folded Reload
	v_add3_u32 v2, v2, v37, v38
	s_wait_loadcnt 0x5
	v_mul_i32_i24_e32 v88, v53, v74
	scratch_load_b32 v74, off, off offset:700 ; 4-byte Folded Reload
	s_wait_loadcnt 0x5
	v_mul_i32_i24_e32 v78, v44, v72
	s_delay_alu instid0(VALU_DEP_1)
	v_add3_u32 v68, v68, v78, v79
	s_clause 0x1
	scratch_load_b32 v78, off, off offset:672
	scratch_load_b32 v79, off, off offset:680
	s_wait_loadcnt 0x6
	v_fma_mix_f32 v67, v67, v0, 0 op_sel:[0,1,0] op_sel_hi:[0,1,0]
	s_wait_loadcnt 0x5
	v_mul_i32_i24_e32 v39, v42, v73
	s_wait_loadcnt 0x3
	v_mul_i32_i24_e32 v8, v48, v8
	;; [unrolled: 2-line block ×3, first 2 shown]
	scratch_load_b32 v74, off, off offset:136 ; 4-byte Folded Reload
	v_mul_i32_i24_e32 v11, v11, v176
	s_wait_loadcnt 0x2
	v_mul_i32_i24_e32 v78, v45, v78
	s_wait_loadcnt 0x1
	v_mul_i32_i24_e32 v79, v46, v79
	s_delay_alu instid0(VALU_DEP_1) | instskip(NEXT) | instid1(VALU_DEP_1)
	v_add3_u32 v68, v68, v78, v79
	v_add3_u32 v68, v68, v80, v81
	s_delay_alu instid0(VALU_DEP_1) | instskip(NEXT) | instid1(VALU_DEP_1)
	v_add3_u32 v68, v68, v82, v83
	v_add3_u32 v68, v68, v84, v85
	;; [unrolled: 3-line block ×3, first 2 shown]
	s_wait_loadcnt 0x0
	v_mul_i32_i24_e32 v90, v54, v74
	scratch_load_b32 v74, off, off offset:708 ; 4-byte Folded Reload
	s_wait_loadcnt 0x0
	v_mul_i32_i24_e32 v91, v55, v74
	scratch_load_b32 v74, off, off offset:704 ; 4-byte Folded Reload
	v_add3_u32 v68, v68, v90, v91
	s_wait_loadcnt 0x0
	v_mul_i32_i24_e32 v93, v56, v74
	scratch_load_b32 v74, off, off offset:96 ; 4-byte Folded Reload
	s_wait_loadcnt 0x0
	v_mul_i32_i24_e32 v98, v12, v74
	scratch_load_b32 v74, off, off offset:712 ; 4-byte Folded Reload
	v_mul_i32_i24_e32 v12, v12, v179
	v_add3_u32 v68, v68, v93, v98
	s_wait_loadcnt 0x0
	v_mul_i32_i24_e32 v103, v57, v74
	scratch_load_b32 v74, off, off offset:8 ; 4-byte Folded Reload
	s_wait_loadcnt 0x0
	v_mul_i32_i24_e32 v104, v58, v74
	scratch_load_b32 v74, off, off offset:124 ; 4-byte Folded Reload
	v_add3_u32 v68, v68, v103, v104
	s_wait_loadcnt 0x0
	v_mul_i32_i24_e32 v105, v59, v74
	scratch_load_b32 v74, off, off offset:128 ; 4-byte Folded Reload
	s_wait_loadcnt 0x0
	v_mul_i32_i24_e32 v106, v13, v74
	scratch_load_b32 v74, off, off offset:132 ; 4-byte Folded Reload
	v_mul_i32_i24_e32 v13, v13, v181
	v_add3_u32 v68, v68, v105, v106
	;; [unrolled: 15-line block ×4, first 2 shown]
	s_wait_loadcnt 0x0
	s_delay_alu instid0(VALU_DEP_1) | instskip(SKIP_2) | instid1(VALU_DEP_1)
	v_mul_lo_u32 v68, v68, v74
	scratch_load_b32 v74, off, off offset:560 ; 4-byte Folded Reload
	v_cvt_f32_i32_e32 v68, v68
	v_fma_mix_f32 v66, v1, v68, v66 op_sel_hi:[1,0,0]
	scratch_load_b32 v68, off, off offset:488 ; 4-byte Folded Reload
	s_wait_loadcnt 0x1
	v_mul_i32_i24_e32 v7, v7, v74
	s_delay_alu instid0(VALU_DEP_1)
	v_add3_u32 v2, v2, v39, v7
	scratch_load_b32 v7, off, off offset:68 ; 4-byte Folded Reload
	v_mul_lo_u32 v2, v2, v3
	scratch_load_b32 v3, off, off offset:1100 ; 4-byte Folded Reload
	s_wait_loadcnt 0x2
	v_fma_mix_f32 v67, v68, v1, v67 op_sel:[0,1,0] op_sel_hi:[0,1,0]
	scratch_load_b32 v68, off, off offset:160 ; 4-byte Folded Reload
	v_cvt_f32_i32_e32 v2, v2
	s_delay_alu instid0(VALU_DEP_1)
	v_fma_mix_f32 v2, v0, v2, 0 op_sel_hi:[1,0,0]
	s_wait_loadcnt 0x2
	v_mul_i32_i24_e32 v7, v9, v7
	scratch_load_b32 v9, off, off offset:208 ; 4-byte Folded Reload
	s_wait_loadcnt 0x2
	v_fma_mix_f32 v0, v3, v0, 0 op_sel:[0,1,0] op_sel_hi:[0,1,0]
	scratch_load_b32 v3, off, off offset:532 ; 4-byte Folded Reload
	s_wait_loadcnt 0x2
	v_mul_f32_e32 v67, v67, v68
	scratch_load_b32 v68, off, off offset:148 ; 4-byte Folded Reload
	v_fma_mix_f32 v0, v135, v1, v0 op_sel:[0,1,0] op_sel_hi:[0,1,0]
	s_wait_loadcnt 0x2
	v_mul_i32_i24_e32 v9, v49, v9
	s_wait_loadcnt 0x1
	v_mul_i32_i24_e32 v3, v16, v3
	v_mul_i32_i24_e32 v16, v50, v159
	s_wait_loadcnt 0x0
	v_fma_f32 v66, v66, v68, -v67
	scratch_load_b32 v67, off, off offset:784 ; 4-byte Folded Reload
	v_mad_i32_i24 v3, v43, v6, v3
	scratch_load_b32 v6, off, off offset:60 ; 4-byte Folded Reload
	v_add3_u32 v3, v3, v4, v5
	s_clause 0x1
	scratch_load_b32 v4, off, off offset:200
	scratch_load_b32 v5, off, off offset:64
	s_wait_loadcnt 0x3
	v_add_f32_e32 v67, v67, v66
	s_wait_loadcnt 0x2
	v_mul_i32_i24_e32 v6, v47, v6
	s_wait_loadcnt 0x1
	v_mul_i32_i24_e32 v4, v45, v4
	;; [unrolled: 2-line block ×3, first 2 shown]
	s_delay_alu instid0(VALU_DEP_1) | instskip(SKIP_2) | instid1(VALU_DEP_1)
	v_add3_u32 v3, v3, v4, v5
	scratch_load_b32 v4, off, off offset:164 ; 4-byte Folded Reload
	v_add3_u32 v3, v3, v6, v7
	v_add3_u32 v3, v3, v8, v9
	s_delay_alu instid0(VALU_DEP_1) | instskip(NEXT) | instid1(VALU_DEP_1)
	v_add3_u32 v3, v3, v16, v10
	v_add3_u32 v3, v3, v17, v18
	s_delay_alu instid0(VALU_DEP_1) | instskip(NEXT) | instid1(VALU_DEP_1)
	;; [unrolled: 3-line block ×5, first 2 shown]
	v_add3_u32 v3, v3, v28, v14
	v_add3_u32 v3, v3, v29, v30
	s_delay_alu instid0(VALU_DEP_1) | instskip(SKIP_1) | instid1(VALU_DEP_1)
	v_add3_u32 v3, v3, v31, v15
	s_wait_loadcnt 0x0
	v_mul_lo_u32 v3, v3, v4
	s_delay_alu instid0(VALU_DEP_1) | instskip(NEXT) | instid1(VALU_DEP_1)
	v_cvt_f32_i32_e32 v3, v3
	v_fma_mix_f32 v2, v1, v3, v2 op_sel_hi:[1,0,0]
	scratch_load_b32 v1, off, off offset:24 ; 4-byte Folded Reload
	s_wait_loadcnt 0x0
	v_mul_f32_e32 v0, v0, v1
	scratch_load_b32 v1, off, off           ; 4-byte Folded Reload
	s_wait_loadcnt 0x0
	v_fma_f32 v0, v2, v1, -v0
	scratch_load_b32 v1, off, off offset:780 ; 4-byte Folded Reload
	s_wait_loadcnt 0x0
	v_add_f32_e32 v1, v1, v0
	scratch_load_b32 v0, off, off offset:1260 ; 4-byte Folded Reload
	s_clause 0x1
	scratch_store_b32 off, v67, off offset:784
	scratch_store_b32 off, v1, off offset:780
	s_wait_loadcnt 0x0
	v_or_b32_e32 v0, s12, v0
	s_delay_alu instid0(VALU_DEP_1)
	v_lshlrev_b32_e32 v12, 2, v0
	v_lshrrev_b32_e32 v16, 1, v0
	ds_load_b128 v[0:3], v12 offset:16896
	ds_load_b128 v[4:7], v12 offset:16912
	;; [unrolled: 1-line block ×4, first 2 shown]
	s_clause 0x1f
	scratch_load_b32 v180, off, off offset:176
	scratch_load_b32 v155, off, off offset:168
	;; [unrolled: 1-line block ×32, first 2 shown]
	s_wait_dscnt 0x3
	v_bfe_i32 v17, v0, 0, 8
	v_bfe_i32 v18, v0, 8, 8
	v_bfe_i32 v19, v0, 16, 8
	v_ashrrev_i32_e32 v20, 24, v0
	v_bfe_i32 v21, v1, 0, 8
	v_bfe_i32 v22, v1, 8, 8
	v_bfe_i32 v23, v1, 16, 8
	v_ashrrev_i32_e32 v24, 24, v1
	;; [unrolled: 4-line block ×4, first 2 shown]
	s_wait_dscnt 0x1
	v_bfe_i32 v52, v11, 8, 8
	v_bfe_i32 v31, v4, 0, 8
	;; [unrolled: 1-line block ×4, first 2 shown]
	v_ashrrev_i32_e32 v4, 24, v4
	s_clause 0x5
	scratch_load_b32 v190, off, off offset:1236
	scratch_load_b32 v186, off, off offset:1228
	;; [unrolled: 1-line block ×6, first 2 shown]
	v_bfe_i32 v47, v9, 16, 8
	s_wait_dscnt 0x0
	v_bfe_i32 v55, v12, 8, 8
	scratch_load_b32 v224, off, off offset:1224 ; 4-byte Folded Reload
	ds_load_b64 v[0:1], v16 offset:27200
	v_bfe_i32 v16, v8, 0, 8
	v_bfe_i32 v43, v8, 8, 8
	;; [unrolled: 1-line block ×3, first 2 shown]
	v_ashrrev_i32_e32 v8, 24, v8
	v_bfe_i32 v45, v9, 0, 8
	v_bfe_i32 v46, v9, 8, 8
	v_ashrrev_i32_e32 v9, 24, v9
	v_bfe_i32 v48, v10, 0, 8
	v_bfe_i32 v49, v10, 8, 8
	;; [unrolled: 1-line block ×3, first 2 shown]
	v_ashrrev_i32_e32 v10, 24, v10
	v_bfe_i32 v51, v11, 0, 8
	v_bfe_i32 v53, v11, 16, 8
	v_ashrrev_i32_e32 v11, 24, v11
	v_bfe_i32 v34, v5, 0, 8
	v_bfe_i32 v35, v5, 8, 8
	;; [unrolled: 1-line block ×4, first 2 shown]
	v_ashrrev_i32_e32 v5, 24, v5
	v_bfe_i32 v56, v12, 16, 8
	v_ashrrev_i32_e32 v12, 24, v12
	v_mul_i32_i24_e32 v93, v219, v34
	v_bfe_i32 v37, v6, 0, 8
	v_bfe_i32 v38, v6, 8, 8
	v_bfe_i32 v57, v13, 0, 8
	v_bfe_i32 v58, v13, 8, 8
	v_bfe_i32 v39, v6, 16, 8
	v_ashrrev_i32_e32 v6, 24, v6
	v_bfe_i32 v59, v13, 16, 8
	v_ashrrev_i32_e32 v13, 24, v13
	v_bfe_i32 v40, v7, 0, 8
	v_bfe_i32 v41, v7, 8, 8
	;; [unrolled: 1-line block ×4, first 2 shown]
	v_mul_i32_i24_e32 v108, v70, v6
	v_bfe_i32 v42, v7, 16, 8
	v_ashrrev_i32_e32 v7, 24, v7
	v_bfe_i32 v62, v14, 16, 8
	v_ashrrev_i32_e32 v14, 24, v14
	v_mul_i32_i24_e32 v130, v129, v41
	v_bfe_i32 v63, v15, 0, 8
	v_bfe_i32 v64, v15, 8, 8
	v_mul_i32_i24_e32 v131, v101, v42
	v_bfe_i32 v65, v15, 16, 8
	v_ashrrev_i32_e32 v15, 24, v15
	s_clause 0x8
	scratch_load_b32 v70, off, off offset:564
	scratch_load_b32 v227, off, off offset:460
	;; [unrolled: 1-line block ×9, first 2 shown]
	v_mul_i32_i24_e32 v133, v167, v65
	v_mul_i32_i24_e32 v134, v166, v15
	s_clause 0x1
	scratch_load_b32 v234, off, off offset:584
	scratch_load_b32 v255, off, off offset:988
	v_mov_b32_e32 v233, v189
	s_clause 0x2
	scratch_load_b32 v166, off, off offset:700
	scratch_load_b32 v167, off, off offset:136
	scratch_load_b32 v189, off, off offset:16
	s_wait_loadcnt 0x34
	v_mul_i32_i24_e32 v66, v180, v17
	s_wait_loadcnt 0x33
	v_mul_i32_i24_e32 v68, v155, v20
	s_wait_loadcnt 0x32
	v_mul_i32_i24_e32 v109, v181, v40
	s_wait_loadcnt 0x30
	v_mul_i32_i24_e32 v132, v102, v7
	s_wait_loadcnt 0x2f
	v_mul_i32_i24_e32 v67, v179, v19
	s_wait_loadcnt 0x2c
	v_mad_i32_i24 v66, v135, v18, v66
	s_wait_loadcnt 0x2a
	v_mul_i32_i24_e32 v82, v141, v27
	s_wait_loadcnt 0x29
	v_mul_i32_i24_e32 v83, v140, v2
	v_add3_u32 v66, v66, v67, v68
	v_mul_i32_i24_e32 v67, v139, v21
	s_wait_loadcnt 0x28
	v_mul_i32_i24_e32 v68, v138, v22
	s_wait_loadcnt 0x27
	;; [unrolled: 2-line block ×5, first 2 shown]
	v_mul_i32_i24_e32 v84, v147, v28
	v_add3_u32 v66, v66, v67, v68
	s_wait_loadcnt 0x20
	v_mul_i32_i24_e32 v81, v142, v26
	v_mul_i32_i24_e32 v86, v145, v30
	s_wait_loadcnt 0x1d
	v_mul_i32_i24_e32 v85, v146, v29
	v_mul_i32_i24_e32 v87, v144, v3
	v_add3_u32 v66, v66, v78, v79
	s_wait_loadcnt 0x1c
	v_mul_i32_i24_e32 v88, v151, v31
	s_wait_loadcnt 0x1b
	v_mul_i32_i24_e32 v89, v150, v32
	v_mul_i32_i24_e32 v90, v149, v33
	v_mul_i32_i24_e32 v91, v148, v4
	v_add3_u32 v66, v66, v80, v81
	v_mul_i32_i24_e32 v80, v69, v47
	scratch_load_b32 v69, off, off offset:920 ; 4-byte Folded Reload
	s_wait_loadcnt 0x1b
	v_mul_i32_i24_e32 v68, v215, v16
	v_mul_i32_i24_e32 v78, v248, v44
	v_add3_u32 v66, v66, v82, v83
	v_mul_i32_i24_e32 v79, v216, v8
	v_mul_i32_i24_e32 v81, v231, v9
	v_mad_i32_i24 v68, v249, v43, v68
	v_mul_i32_i24_e32 v82, v212, v48
	v_add3_u32 v66, v66, v84, v85
	v_mul_i32_i24_e32 v83, v95, v49
	v_mul_i32_i24_e32 v84, v92, v50
	v_add3_u32 v68, v68, v78, v79
	v_mul_i32_i24_e32 v78, v75, v45
	v_add3_u32 v66, v66, v86, v87
	v_mul_i32_i24_e32 v87, v207, v52
	scratch_load_b32 v207, off, off offset:404 ; 4-byte Folded Reload
	v_mul_i32_i24_e32 v79, v71, v46
	v_mul_i32_i24_e32 v85, v76, v10
	v_add3_u32 v66, v66, v88, v89
	v_mul_i32_i24_e32 v86, v187, v51
	v_mul_i32_i24_e32 v89, v184, v11
	v_add3_u32 v68, v68, v78, v79
	s_wait_loadcnt 0x16
	v_mul_i32_i24_e32 v98, v190, v35
	v_add3_u32 v66, v66, v90, v91
	v_mul_i32_i24_e32 v91, v253, v55
	scratch_load_b32 v253, off, off offset:916 ; 4-byte Folded Reload
	v_add3_u32 v68, v68, v80, v81
	v_mul_i32_i24_e32 v90, v252, v54
	s_wait_loadcnt 0x16
	v_mul_i32_i24_e32 v103, v186, v36
	s_wait_loadcnt 0x14
	v_mul_i32_i24_e32 v104, v175, v5
	v_add3_u32 v66, v66, v93, v98
	v_add3_u32 v68, v68, v82, v83
	v_mul_i32_i24_e32 v93, v250, v56
	v_mul_i32_i24_e32 v98, v245, v12
	;; [unrolled: 1-line block ×4, first 2 shown]
	v_add3_u32 v68, v68, v84, v85
	v_add3_u32 v66, v66, v103, v104
	s_wait_loadcnt 0x13
	v_mul_i32_i24_e32 v107, v192, v39
	s_wait_loadcnt_dscnt 0x1100
	v_fma_mix_f32 v67, v224, v0, 0 op_sel:[0,1,0] op_sel_hi:[0,1,0]
	v_mul_i32_i24_e32 v79, v24, v117
	v_add3_u32 v68, v68, v86, v87
	v_add3_u32 v66, v66, v105, v106
	v_mul_i32_i24_e32 v105, v247, v59
	v_mul_i32_i24_e32 v106, v254, v13
	v_fma_mix_f32 v67, v171, v1, v67 op_sel:[0,1,0] op_sel_hi:[0,1,0]
	scratch_load_b32 v117, off, off offset:600 ; 4-byte Folded Reload
	v_add3_u32 v66, v66, v107, v108
	v_mul_i32_i24_e32 v107, v165, v60
	v_mul_i32_i24_e32 v108, v164, v61
	v_mul_f32_e32 v67, v67, v172
	v_mul_i32_i24_e32 v80, v25, v118
	v_add3_u32 v66, v66, v109, v130
	v_mul_i32_i24_e32 v109, v163, v62
	v_mul_i32_i24_e32 v130, v162, v14
	scratch_load_b32 v118, off, off offset:604 ; 4-byte Folded Reload
	v_mul_i32_i24_e32 v78, v23, v116
	v_add3_u32 v66, v66, v131, v132
	v_mul_i32_i24_e32 v131, v169, v63
	v_mul_i32_i24_e32 v132, v168, v64
	;; [unrolled: 1-line block ×3, first 2 shown]
	scratch_load_b32 v245, off, off offset:612 ; 4-byte Folded Reload
	v_mul_lo_u32 v66, v66, v176
	v_mul_i32_i24_e32 v82, v27, v120
	v_mul_i32_i24_e32 v83, v2, v121
	;; [unrolled: 1-line block ×4, first 2 shown]
	s_clause 0x1
	scratch_load_b32 v247, off, off offset:568
	scratch_load_b32 v248, off, off offset:572
	v_mul_i32_i24_e32 v86, v30, v124
	v_cvt_f32_i32_e32 v66, v66
	v_mul_i32_i24_e32 v87, v3, v77
	s_clause 0x2
	scratch_load_b32 v249, off, off offset:576
	scratch_load_b32 v250, off, off offset:448
	;; [unrolled: 1-line block ×3, first 2 shown]
	v_fma_mix_f32 v66, v0, v66, 0 op_sel_hi:[1,0,0]
	s_clause 0x3
	scratch_load_b32 v119, off, off offset:452
	scratch_load_b32 v254, off, off offset:472
	;; [unrolled: 1-line block ×4, first 2 shown]
	v_dual_mov_b32 v231, v238 :: v_dual_mov_b32 v238, v194
	s_clause 0x3
	scratch_load_b32 v75, off, off offset:616
	scratch_load_b32 v76, off, off offset:1092
	;; [unrolled: 1-line block ×4, first 2 shown]
	v_mov_b32_e32 v212, v110
	s_clause 0x2
	scratch_load_b32 v95, off, off offset:184
	scratch_load_b32 v116, off, off offset:52
	;; [unrolled: 1-line block ×3, first 2 shown]
	v_mov_b32_e32 v216, v111
	s_clause 0xc
	scratch_load_b32 v165, off, off offset:1216
	scratch_load_b32 v121, off, off offset:1132
	;; [unrolled: 1-line block ×13, first 2 shown]
	s_wait_loadcnt 0x22
	v_mul_i32_i24_e32 v103, v69, v57
	s_wait_loadcnt 0x21
	v_mul_i32_i24_e32 v88, v207, v53
	s_delay_alu instid0(VALU_DEP_1)
	v_add3_u32 v68, v68, v88, v89
	v_mul_i32_i24_e32 v89, v32, v226
	v_mov_b32_e32 v226, v246
	scratch_load_b32 v246, off, off offset:1160 ; 4-byte Folded Reload
	v_mul_i32_i24_e32 v88, v31, v94
	v_add3_u32 v68, v68, v90, v91
	s_wait_loadcnt 0x21
	v_mul_i32_i24_e32 v104, v253, v58
	v_mul_i32_i24_e32 v90, v33, v177
	scratch_load_b32 v177, off, off offset:252 ; 4-byte Folded Reload
	v_mul_i32_i24_e32 v91, v4, v96
	v_add3_u32 v68, v68, v93, v98
	v_mul_i32_i24_e32 v93, v34, v97
	v_mul_i32_i24_e32 v98, v35, v99
	s_clause 0x1
	scratch_load_b32 v96, off, off offset:624
	scratch_load_b32 v99, off, off offset:40
	v_add3_u32 v68, v68, v103, v104
	v_mul_i32_i24_e32 v103, v36, v70
	v_mul_i32_i24_e32 v104, v5, v225
	s_clause 0x1
	scratch_load_b32 v94, off, off offset:180
	scratch_load_b32 v97, off, off offset:36
	v_add3_u32 v68, v68, v105, v106
	v_mul_i32_i24_e32 v105, v37, v226
	v_mul_i32_i24_e32 v106, v38, v227
	s_delay_alu instid0(VALU_DEP_3)
	v_add3_u32 v68, v68, v107, v108
	v_mul_i32_i24_e32 v108, v6, v214
	scratch_load_b32 v214, off, off offset:484 ; 4-byte Folded Reload
	v_add3_u32 v68, v68, v109, v130
	v_mul_i32_i24_e32 v109, v40, v218
	v_mul_i32_i24_e32 v130, v41, v221
	s_clause 0x1
	scratch_load_b32 v218, off, off offset:680
	scratch_load_b32 v221, off, off offset:160
	v_add3_u32 v68, v68, v131, v132
	v_mul_i32_i24_e32 v131, v42, v222
	v_mul_i32_i24_e32 v132, v7, v223
	s_clause 0x1
	scratch_load_b32 v222, off, off offset:1140
	scratch_load_b32 v223, off, off offset:20
	v_add3_u32 v68, v68, v133, v134
	s_delay_alu instid0(VALU_DEP_1) | instskip(SKIP_2) | instid1(VALU_DEP_1)
	v_mul_lo_u32 v68, v68, v170
	scratch_load_b32 v170, off, off offset:96 ; 4-byte Folded Reload
	v_cvt_f32_i32_e32 v68, v68
	v_fma_mix_f32 v66, v1, v68, v66 op_sel_hi:[1,0,0]
	v_mul_i32_i24_e32 v68, v20, v113
	s_wait_loadcnt 0x21
	v_mul_i32_i24_e32 v133, v65, v120
	s_wait_loadcnt 0x20
	v_mul_i32_i24_e32 v134, v15, v71
	scratch_load_b32 v113, off, off offset:636 ; 4-byte Folded Reload
	v_fma_f32 v66, v66, v173, -v67
	s_clause 0x1
	scratch_load_b32 v67, off, off offset:776
	scratch_load_b32 v173, off, off offset:8
	s_wait_loadcnt 0xd
	v_mul_i32_i24_e32 v107, v39, v177
	s_wait_loadcnt 0x1
	v_add_f32_e32 v67, v67, v66
	v_mul_i32_i24_e32 v66, v17, v110
	scratch_load_b32 v110, off, off offset:56 ; 4-byte Folded Reload
	scratch_store_b32 off, v67, off offset:776 ; 4-byte Folded Spill
	v_mul_i32_i24_e32 v67, v19, v111
	v_mad_i32_i24 v66, v18, v112, v66
	s_clause 0x1
	scratch_load_b32 v112, off, off offset:632
	scratch_load_b32 v111, off, off offset:628
	v_add3_u32 v66, v66, v67, v68
	v_mul_i32_i24_e32 v67, v21, v114
	v_mul_i32_i24_e32 v68, v22, v115
	s_clause 0x1
	scratch_load_b32 v114, off, off offset:44
	scratch_load_b32 v115, off, off offset:48
	v_add3_u32 v66, v66, v67, v68
	v_mul_i32_i24_e32 v68, v16, v230
	v_fma_mix_f32 v67, v229, v0, 0 op_sel:[0,1,0] op_sel_hi:[0,1,0]
	s_delay_alu instid0(VALU_DEP_3)
	v_add3_u32 v66, v66, v78, v79
	v_mul_i32_i24_e32 v78, v44, v231
	v_mul_i32_i24_e32 v79, v8, v220
	v_mad_i32_i24 v68, v43, v232, v68
	scratch_load_b32 v220, off, off offset:148 ; 4-byte Folded Reload
	v_add3_u32 v66, v66, v80, v81
	v_mul_i32_i24_e32 v80, v47, v234
	v_mul_i32_i24_e32 v81, v9, v117
	v_add3_u32 v68, v68, v78, v79
	v_mul_i32_i24_e32 v78, v45, v233
	v_add3_u32 v66, v66, v82, v83
	v_mul_i32_i24_e32 v79, v46, v157
	v_mul_i32_i24_e32 v82, v48, v193
	;; [unrolled: 1-line block ×3, first 2 shown]
	scratch_load_b32 v191, off, off offset:1152 ; 4-byte Folded Reload
	v_add3_u32 v66, v66, v84, v85
	v_add3_u32 v68, v68, v78, v79
	v_mul_i32_i24_e32 v84, v50, v118
	v_mul_i32_i24_e32 v85, v10, v238
	v_mul_i32_i24_e32 v78, v23, v96
	v_add3_u32 v66, v66, v86, v87
	v_add3_u32 v68, v68, v80, v81
	v_mul_i32_i24_e32 v86, v51, v239
	v_mul_i32_i24_e32 v87, v52, v156
	v_mul_i32_i24_e32 v80, v25, v99
	;; [unrolled: 5-line block ×5, first 2 shown]
	v_add3_u32 v66, v66, v103, v104
	v_add3_u32 v68, v68, v88, v89
	v_mul_i32_i24_e32 v103, v57, v249
	v_mul_i32_i24_e32 v104, v58, v158
	scratch_load_b32 v206, off, off offset:1128 ; 4-byte Folded Reload
	v_add3_u32 v66, v66, v105, v106
	v_add3_u32 v68, v68, v90, v91
	v_mul_i32_i24_e32 v105, v59, v250
	v_mul_i32_i24_e32 v106, v13, v251
	v_mul_i32_i24_e32 v90, v33, v163
	v_add3_u32 v66, v66, v107, v108
	v_add3_u32 v68, v68, v93, v98
	v_mul_i32_i24_e32 v107, v60, v252
	v_mul_i32_i24_e32 v108, v61, v183
	v_mul_i32_i24_e32 v87, v3, v113
	;; [unrolled: 5-line block ×3, first 2 shown]
	v_add3_u32 v66, v66, v131, v132
	v_mul_i32_i24_e32 v132, v64, v174
	scratch_load_b32 v174, off, off offset:640 ; 4-byte Folded Reload
	v_add3_u32 v68, v68, v105, v106
	v_mul_i32_i24_e32 v131, v63, v255
	v_mul_lo_u32 v66, v66, v228
	v_mul_i32_i24_e32 v91, v4, v165
	v_mul_i32_i24_e32 v4, v4, v236
	v_add3_u32 v68, v68, v107, v108
	v_mul_i32_i24_e32 v88, v31, v125
	v_mul_i32_i24_e32 v89, v32, v160
	;; [unrolled: 1-line block ×4, first 2 shown]
	v_add3_u32 v68, v68, v109, v130
	v_cvt_f32_i32_e32 v66, v66
	v_mul_i32_i24_e32 v98, v35, v178
	v_mul_i32_i24_e32 v108, v6, v242
	;; [unrolled: 1-line block ×3, first 2 shown]
	v_add3_u32 v68, v68, v131, v132
	v_fma_mix_f32 v66, v0, v66, 0 op_sel_hi:[1,0,0]
	v_mul_i32_i24_e32 v106, v38, v241
	v_mul_i32_i24_e32 v107, v39, v126
	;; [unrolled: 1-line block ×3, first 2 shown]
	v_add3_u32 v68, v68, v133, v134
	v_mul_i32_i24_e32 v7, v7, v74
	s_clause 0x2
	scratch_load_b32 v241, off, off offset:116
	scratch_load_b32 v74, off, off offset:992 th:TH_LOAD_LU
	scratch_load_b32 v236, off, off offset:200
	v_mul_lo_u32 v68, v68, v161
	v_mul_i32_i24_e32 v109, v40, v152
	s_clause 0x3
	scratch_load_b32 v126, off, off offset:660
	scratch_load_b32 v152, off, off offset:644
	;; [unrolled: 1-line block ×4, first 2 shown]
	v_mul_i32_i24_e32 v130, v41, v222
	v_mul_i32_i24_e32 v131, v42, v153
	v_cvt_f32_i32_e32 v68, v68
	s_clause 0x3
	scratch_load_b32 v153, off, off offset:648
	scratch_load_b32 v154, off, off offset:1176
	;; [unrolled: 1-line block ×4, first 2 shown]
	v_fma_mix_f32 v66, v1, v68, v66 op_sel_hi:[1,0,0]
	v_mul_i32_i24_e32 v68, v20, v92
	v_mul_i32_i24_e32 v20, v20, v198
	s_clause 0x2
	scratch_load_b32 v198, off, off offset:72
	scratch_load_b32 v183, off, off offset:540
	;; [unrolled: 1-line block ×3, first 2 shown]
	v_mul_i32_i24_e32 v134, v15, v223
	scratch_load_b32 v182, off, off offset:488 ; 4-byte Folded Reload
	v_mul_i32_i24_e32 v133, v65, v188
	s_wait_loadcnt 0x17
	v_mul_i32_i24_e32 v84, v28, v110
	s_wait_loadcnt 0x16
	;; [unrolled: 2-line block ×7, first 2 shown]
	v_fma_mix_f32 v67, v174, v1, v67 op_sel:[0,1,0] op_sel_hi:[0,1,0]
	s_delay_alu instid0(VALU_DEP_1)
	v_mul_f32_e32 v67, v67, v127
	scratch_load_b32 v127, off, off offset:672 ; 4-byte Folded Reload
	v_fma_f32 v66, v66, v128, -v67
	s_clause 0x1
	scratch_load_b32 v67, off, off offset:772
	scratch_load_b32 v128, off, off offset:676
	s_wait_loadcnt 0x1
	v_add_f32_e32 v67, v67, v66
	v_mul_i32_i24_e32 v66, v17, v75
	v_mul_i32_i24_e32 v17, v17, v195
	scratch_load_b32 v195, off, off offset:1116 ; 4-byte Folded Reload
	scratch_store_b32 off, v67, off offset:772 ; 4-byte Folded Spill
	v_mul_i32_i24_e32 v67, v19, v76
	v_mul_i32_i24_e32 v19, v19, v196
	v_mad_i32_i24 v17, v18, v197, v17
	v_mad_i32_i24 v66, v18, v77, v66
	v_mul_i32_i24_e32 v18, v21, v199
	s_clause 0x1
	scratch_load_b32 v196, off, off offset:64
	scratch_load_b32 v197, off, off offset:68
	v_add3_u32 v17, v17, v19, v20
	v_mul_i32_i24_e32 v20, v23, v201
	v_mul_i32_i24_e32 v23, v26, v204
	scratch_load_b32 v204, off, off offset:1120 ; 4-byte Folded Reload
	v_add3_u32 v66, v66, v67, v68
	v_mul_i32_i24_e32 v68, v22, v95
	v_mul_i32_i24_e32 v19, v22, v200
	;; [unrolled: 1-line block ×5, first 2 shown]
	scratch_load_b32 v213, off, off offset:492 ; 4-byte Folded Reload
	v_mul_i32_i24_e32 v67, v21, v94
	v_mul_i32_i24_e32 v21, v24, v202
	;; [unrolled: 1-line block ×3, first 2 shown]
	s_clause 0x1
	scratch_load_b32 v205, off, off offset:1124
	scratch_load_b32 v208, off, off offset:232
	v_add3_u32 v17, v17, v18, v19
	v_mul_i32_i24_e32 v26, v29, v209
	v_mul_i32_i24_e32 v27, v30, v210
	;; [unrolled: 1-line block ×3, first 2 shown]
	scratch_load_b32 v209, off, off offset:244 ; 4-byte Folded Reload
	v_add3_u32 v17, v17, v20, v21
	scratch_load_b32 v210, off, off offset:1180 ; 4-byte Folded Reload
	v_mul_i32_i24_e32 v31, v34, v237
	scratch_load_b32 v20, off, off offset:1096 ; 4-byte Folded Reload
	v_mul_i32_i24_e32 v34, v37, v206
	v_add3_u32 v17, v17, v22, v23
	s_clause 0x1
	scratch_load_b32 v22, off, off offset:1084
	scratch_load_b32 v23, off, off offset:1032
	v_mul_i32_i24_e32 v37, v40, v217
	scratch_load_b32 v237, off, off offset:532 ; 4-byte Folded Reload
	v_add3_u32 v2, v17, v24, v2
	scratch_load_b32 v202, off, off offset:76 ; 4-byte Folded Reload
	v_add3_u32 v66, v66, v67, v68
	s_clause 0x1
	scratch_load_b32 v203, off, off offset:60
	scratch_load_b32 v199, off, off offset:208
	v_add3_u32 v2, v2, v25, v26
	s_clause 0x1
	scratch_load_b32 v25, off, off offset:1036
	scratch_load_b32 v26, off, off offset:1040
	v_add3_u32 v66, v66, v78, v79
	scratch_load_b32 v217, off, off offset:212 ; 4-byte Folded Reload
	v_add3_u32 v2, v2, v27, v3
	s_clause 0x1
	scratch_load_b32 v3, off, off offset:236
	scratch_load_b32 v27, off, off offset:1064
	v_add3_u32 v66, v66, v80, v81
	s_clause 0x3
	scratch_load_b32 v235, off, off offset:216
	scratch_load_b32 v200, off, off offset:224
	;; [unrolled: 1-line block ×4, first 2 shown]
	v_add3_u32 v66, v66, v82, v83
	scratch_load_b32 v24, off, off offset:1060 ; 4-byte Folded Reload
	v_fma_mix_f32 v67, v123, v0, 0 op_sel:[0,1,0] op_sel_hi:[0,1,0]
	v_mul_i32_i24_e32 v78, v44, v72
	v_mul_i32_i24_e32 v79, v8, v126
	v_add3_u32 v66, v66, v84, v85
	v_mul_i32_i24_e32 v81, v9, v152
	scratch_load_b32 v72, off, off offset:652 ; 4-byte Folded Reload
	v_mul_i32_i24_e32 v68, v16, v162
	v_mul_i32_i24_e32 v85, v10, v156
	v_add3_u32 v66, v66, v86, v87
	s_wait_loadcnt 0x1b
	v_mul_i32_i24_e32 v80, v47, v128
	v_mul_i32_i24_e32 v82, v48, v153
	v_mad_i32_i24 v68, v43, v124, v68
	v_mul_i32_i24_e32 v84, v50, v154
	v_add3_u32 v66, v66, v88, v89
	v_mul_i32_i24_e32 v89, v11, v166
	v_mul_i32_i24_e32 v86, v51, v157
	v_add3_u32 v68, v68, v78, v79
	v_mul_i32_i24_e32 v78, v45, v127
	v_add3_u32 v66, v66, v90, v91
	v_mul_i32_i24_e32 v79, v46, v218
	v_mul_i32_i24_e32 v87, v52, v159
	;; [unrolled: 1-line block ×4, first 2 shown]
	v_add3_u32 v66, v66, v93, v98
	v_mul_i32_i24_e32 v98, v12, v170
	v_add3_u32 v68, v68, v78, v79
	v_mul_i32_i24_e32 v91, v55, v194
	v_mul_i32_i24_e32 v93, v56, v168
	v_add3_u32 v66, v66, v103, v104
	v_mul_i32_i24_e32 v103, v57, v171
	v_add3_u32 v68, v68, v80, v81
	v_mul_i32_i24_e32 v104, v58, v173
	v_fma_mix_f32 v67, v182, v1, v67 op_sel:[0,1,0] op_sel_hi:[0,1,0]
	v_add3_u32 v66, v66, v105, v106
	v_mul_i32_i24_e32 v106, v13, v185
	v_mul_i32_i24_e32 v105, v59, v172
	s_delay_alu instid0(VALU_DEP_4) | instskip(NEXT) | instid1(VALU_DEP_4)
	v_mul_f32_e32 v67, v67, v221
	v_add3_u32 v66, v66, v107, v108
	v_mul_i32_i24_e32 v107, v60, v187
	v_mul_i32_i24_e32 v108, v61, v164
	s_delay_alu instid0(VALU_DEP_3) | instskip(SKIP_2) | instid1(VALU_DEP_3)
	v_add3_u32 v66, v66, v109, v130
	v_mul_i32_i24_e32 v130, v14, v241
	v_mul_i32_i24_e32 v109, v62, v183
	v_add3_u32 v66, v66, v131, v132
	v_mul_i32_i24_e32 v131, v63, v243
	v_mul_i32_i24_e32 v132, v64, v189
	s_delay_alu instid0(VALU_DEP_3) | instskip(NEXT) | instid1(VALU_DEP_1)
	v_mul_lo_u32 v66, v66, v122
	v_cvt_f32_i32_e32 v66, v66
	s_delay_alu instid0(VALU_DEP_1)
	v_fma_mix_f32 v66, v0, v66, 0 op_sel_hi:[1,0,0]
	s_wait_loadcnt 0x17
	v_mul_i32_i24_e32 v33, v36, v204
	scratch_load_b32 v36, off, off offset:240 ; 4-byte Folded Reload
	s_wait_loadcnt 0x17
	v_mul_i32_i24_e32 v29, v32, v213
	v_mul_i32_i24_e32 v32, v35, v195
	s_wait_loadcnt 0x16
	v_mul_i32_i24_e32 v5, v5, v205
	s_delay_alu instid0(VALU_DEP_3)
	v_add3_u32 v2, v2, v28, v29
	s_wait_loadcnt 0x15
	v_mul_i32_i24_e32 v35, v38, v208
	s_clause 0x1
	scratch_load_b32 v28, off, off offset:1044
	scratch_load_b32 v29, off, off offset:1048
	v_add3_u32 v2, v2, v30, v4
	s_wait_loadcnt 0x16
	v_mul_i32_i24_e32 v6, v6, v209
	s_wait_loadcnt 0x15
	v_mul_i32_i24_e32 v38, v41, v210
	scratch_load_b32 v30, off, off offset:1068 ; 4-byte Folded Reload
	s_wait_loadcnt 0x15
	v_mul_i32_i24_e32 v11, v11, v20
	v_add3_u32 v2, v2, v31, v32
	s_clause 0x2
	scratch_load_b32 v20, off, off offset:1104
	scratch_load_b32 v31, off, off offset:1052
	;; [unrolled: 1-line block ×3, first 2 shown]
	s_wait_loadcnt 0x16
	v_mul_i32_i24_e32 v12, v12, v23
	v_add3_u32 v2, v2, v33, v5
	scratch_load_b32 v23, off, off offset:1072 ; 4-byte Folded Reload
	s_wait_loadcnt 0x15
	v_mul_i32_i24_e32 v5, v8, v202
	v_mul_i32_i24_e32 v8, v48, v198
	;; [unrolled: 1-line block ×3, first 2 shown]
	v_add3_u32 v2, v2, v34, v35
	s_wait_loadcnt 0x12
	v_mul_i32_i24_e32 v25, v59, v25
	s_wait_loadcnt 0x11
	v_mul_i32_i24_e32 v13, v13, v26
	scratch_load_b32 v26, off, off offset:1076 ; 4-byte Folded Reload
	s_wait_loadcnt 0x11
	v_mul_i32_i24_e32 v10, v10, v217
	s_wait_loadcnt 0xf
	v_mul_i32_i24_e32 v27, v61, v27
	;; [unrolled: 2-line block ×8, first 2 shown]
	s_delay_alu instid0(VALU_DEP_1) | instskip(NEXT) | instid1(VALU_DEP_1)
	v_add3_u32 v68, v68, v82, v83
	v_add3_u32 v68, v68, v84, v85
	s_delay_alu instid0(VALU_DEP_1) | instskip(NEXT) | instid1(VALU_DEP_1)
	v_add3_u32 v68, v68, v86, v87
	v_add3_u32 v68, v68, v88, v89
	;; [unrolled: 3-line block ×6, first 2 shown]
	s_delay_alu instid0(VALU_DEP_1) | instskip(NEXT) | instid1(VALU_DEP_1)
	v_mul_lo_u32 v68, v68, v214
	v_cvt_f32_i32_e32 v68, v68
	s_delay_alu instid0(VALU_DEP_1) | instskip(NEXT) | instid1(VALU_DEP_1)
	v_fma_mix_f32 v66, v1, v68, v66 op_sel_hi:[1,0,0]
	v_fma_f32 v66, v66, v220, -v67
	scratch_load_b32 v67, off, off offset:768 ; 4-byte Folded Reload
	s_wait_loadcnt 0x9
	v_mul_i32_i24_e32 v36, v39, v36
	v_mul_i32_i24_e32 v39, v42, v73
	scratch_load_b32 v73, off, off offset:536 ; 4-byte Folded Reload
	v_add3_u32 v2, v2, v36, v6
	v_mul_i32_i24_e32 v6, v47, v203
	s_delay_alu instid0(VALU_DEP_2)
	v_add3_u32 v2, v2, v37, v38
	s_wait_loadcnt 0x9
	v_mul_i32_i24_e32 v28, v62, v28
	s_wait_loadcnt 0x8
	v_mul_i32_i24_e32 v14, v14, v29
	v_add3_u32 v2, v2, v39, v7
	scratch_load_b32 v29, off, off offset:1080 ; 4-byte Folded Reload
	v_mul_i32_i24_e32 v7, v9, v197
	v_mul_i32_i24_e32 v9, v49, v199
	s_wait_loadcnt 0x8
	v_mul_i32_i24_e32 v30, v64, v30
	v_mul_lo_u32 v2, v2, v3
	scratch_load_b32 v3, off, off offset:1100 ; 4-byte Folded Reload
	s_wait_loadcnt 0x8
	v_mul_i32_i24_e32 v20, v54, v20
	s_wait_loadcnt 0x7
	v_mul_i32_i24_e32 v31, v65, v31
	;; [unrolled: 2-line block ×4, first 2 shown]
	v_cvt_f32_i32_e32 v2, v2
	s_delay_alu instid0(VALU_DEP_1)
	v_fma_mix_f32 v2, v0, v2, 0 op_sel_hi:[1,0,0]
	s_wait_loadcnt 0x4
	v_mul_i32_i24_e32 v26, v60, v26
	s_wait_loadcnt 0x3
	v_add_f32_e32 v67, v67, v66
	s_wait_loadcnt 0x2
	v_mul_i32_i24_e32 v4, v44, v73
	s_wait_loadcnt 0x1
	v_mul_i32_i24_e32 v29, v63, v29
	s_wait_loadcnt 0x0
	v_fma_mix_f32 v0, v3, v0, 0 op_sel:[0,1,0] op_sel_hi:[0,1,0]
	v_mul_i32_i24_e32 v3, v16, v237
	v_mul_i32_i24_e32 v16, v50, v211
	s_delay_alu instid0(VALU_DEP_2) | instskip(NEXT) | instid1(VALU_DEP_1)
	v_mad_i32_i24 v3, v43, v74, v3
	v_add3_u32 v3, v3, v4, v5
	v_mul_i32_i24_e32 v4, v45, v236
	v_mul_i32_i24_e32 v5, v46, v196
	s_delay_alu instid0(VALU_DEP_1) | instskip(SKIP_2) | instid1(VALU_DEP_1)
	v_add3_u32 v3, v3, v4, v5
	scratch_load_b32 v4, off, off offset:164 ; 4-byte Folded Reload
	v_add3_u32 v3, v3, v6, v7
	v_add3_u32 v3, v3, v8, v9
	s_delay_alu instid0(VALU_DEP_1) | instskip(NEXT) | instid1(VALU_DEP_1)
	v_add3_u32 v3, v3, v16, v10
	v_add3_u32 v3, v3, v17, v18
	s_delay_alu instid0(VALU_DEP_1) | instskip(NEXT) | instid1(VALU_DEP_1)
	;; [unrolled: 3-line block ×5, first 2 shown]
	v_add3_u32 v3, v3, v28, v14
	v_add3_u32 v3, v3, v29, v30
	s_delay_alu instid0(VALU_DEP_1) | instskip(SKIP_1) | instid1(VALU_DEP_1)
	v_add3_u32 v3, v3, v31, v15
	s_wait_loadcnt 0x0
	v_mul_lo_u32 v3, v3, v4
	s_delay_alu instid0(VALU_DEP_1) | instskip(NEXT) | instid1(VALU_DEP_1)
	v_cvt_f32_i32_e32 v3, v3
	v_fma_mix_f32 v2, v1, v3, v2 op_sel_hi:[1,0,0]
	scratch_load_b32 v3, off, off offset:28 ; 4-byte Folded Reload
	s_wait_loadcnt 0x0
	v_fma_mix_f32 v0, v3, v1, v0 op_sel:[0,1,0] op_sel_hi:[0,1,0]
	scratch_load_b32 v1, off, off offset:24 ; 4-byte Folded Reload
	s_wait_loadcnt 0x0
	v_mul_f32_e32 v0, v0, v1
	scratch_load_b32 v1, off, off           ; 4-byte Folded Reload
	s_wait_loadcnt 0x0
	v_fma_f32 v0, v2, v1, -v0
	scratch_load_b32 v1, off, off offset:764 ; 4-byte Folded Reload
	s_wait_loadcnt 0x0
	v_add_f32_e32 v1, v1, v0
	scratch_load_b32 v0, off, off offset:1264 ; 4-byte Folded Reload
	s_clause 0x1
	scratch_store_b32 off, v67, off offset:768
	scratch_store_b32 off, v1, off offset:764
	s_wait_loadcnt 0x0
	v_or_b32_e32 v0, s12, v0
	s_delay_alu instid0(VALU_DEP_1)
	v_lshlrev_b32_e32 v12, 2, v0
	scratch_store_b32 off, v129, off offset:840 ; 4-byte Folded Spill
	v_lshrrev_b32_e32 v16, 1, v0
	ds_load_b128 v[0:3], v12 offset:16896
	ds_load_b128 v[4:7], v12 offset:16912
	;; [unrolled: 1-line block ×4, first 2 shown]
	scratch_load_b32 v108, off, off offset:408 ; 4-byte Folded Reload
	s_wait_dscnt 0x3
	v_bfe_i32 v63, v0, 0, 8
	v_bfe_i32 v50, v0, 8, 8
	v_bfe_i32 v64, v0, 16, 8
	v_ashrrev_i32_e32 v65, 24, v0
	v_bfe_i32 v51, v1, 0, 8
	v_bfe_i32 v52, v1, 8, 8
	v_bfe_i32 v53, v1, 16, 8
	v_ashrrev_i32_e32 v54, 24, v1
	;; [unrolled: 4-line block ×4, first 2 shown]
	s_wait_dscnt 0x2
	v_bfe_i32 v48, v4, 0, 8
	v_bfe_i32 v49, v4, 8, 8
	v_bfe_i32 v34, v4, 16, 8
	v_ashrrev_i32_e32 v35, 24, v4
	v_bfe_i32 v36, v5, 0, 8
	v_bfe_i32 v37, v5, 8, 8
	v_bfe_i32 v38, v5, 16, 8
	v_ashrrev_i32_e32 v39, 24, v5
	;; [unrolled: 4-line block ×4, first 2 shown]
	ds_load_b64 v[0:1], v16 offset:27200
	s_wait_dscnt 0x2
	v_bfe_i32 v31, v8, 0, 8
	v_bfe_i32 v16, v8, 8, 8
	v_bfe_i32 v32, v8, 16, 8
	v_ashrrev_i32_e32 v33, 24, v8
	v_bfe_i32 v17, v9, 0, 8
	v_bfe_i32 v18, v9, 8, 8
	v_bfe_i32 v19, v9, 16, 8
	v_ashrrev_i32_e32 v20, 24, v9
	;; [unrolled: 4-line block ×4, first 2 shown]
	s_wait_dscnt 0x1
	v_bfe_i32 v29, v12, 0, 8
	v_bfe_i32 v30, v12, 8, 8
	v_bfe_i32 v66, v12, 16, 8
	v_ashrrev_i32_e32 v2, 24, v12
	v_bfe_i32 v3, v13, 0, 8
	v_bfe_i32 v4, v13, 8, 8
	v_bfe_i32 v5, v13, 16, 8
	v_ashrrev_i32_e32 v6, 24, v13
	;; [unrolled: 4-line block ×4, first 2 shown]
	v_mul_i32_i24_e32 v15, v180, v63
	v_mul_i32_i24_e32 v67, v179, v64
	;; [unrolled: 1-line block ×5, first 2 shown]
	v_mad_i32_i24 v15, v135, v50, v15
	v_mul_i32_i24_e32 v80, v143, v55
	v_mul_i32_i24_e32 v81, v142, v56
	;; [unrolled: 1-line block ×4, first 2 shown]
	v_add3_u32 v15, v15, v67, v68
	v_mul_i32_i24_e32 v67, v139, v51
	v_mul_i32_i24_e32 v68, v138, v52
	;; [unrolled: 1-line block ×6, first 2 shown]
	v_add3_u32 v15, v15, v67, v68
	v_mul_i32_i24_e32 v88, v151, v48
	v_mul_i32_i24_e32 v89, v150, v49
	v_mul_i32_i24_e32 v90, v149, v34
	v_mul_i32_i24_e32 v91, v148, v35
	v_add3_u32 v15, v15, v78, v79
	v_mul_i32_i24_e32 v93, v219, v36
	v_mul_i32_i24_e32 v98, v190, v37
	v_mul_i32_i24_e32 v103, v186, v38
	v_mul_i32_i24_e32 v104, v175, v39
	;; [unrolled: 5-line block ×3, first 2 shown]
	v_add3_u32 v15, v15, v82, v83
	v_mul_i32_i24_e32 v130, v129, v45
	v_mul_i32_i24_e32 v131, v101, v46
	v_mul_i32_i24_e32 v132, v102, v47
	s_clause 0x1
	scratch_load_b32 v78, off, off offset:928
	scratch_load_b32 v79, off, off offset:924
	v_add3_u32 v15, v15, v84, v85
	s_clause 0x1
	scratch_load_b32 v80, off, off offset:876
	scratch_load_b32 v81, off, off offset:372
	v_mul_i32_i24_e32 v68, v215, v31
	s_clause 0x1
	scratch_load_b32 v82, off, off offset:400
	scratch_load_b32 v83, off, off offset:396
	v_add3_u32 v15, v15, v86, v87
	s_clause 0x3
	scratch_load_b32 v84, off, off offset:392
	scratch_load_b32 v85, off, off offset:388
	;; [unrolled: 1-line block ×4, first 2 shown]
	v_add3_u32 v15, v15, v88, v89
	v_mul_i32_i24_e32 v88, v207, v27
	scratch_load_b32 v207, off, off offset:932 ; 4-byte Folded Reload
	v_mul_i32_i24_e32 v89, v184, v28
	s_wait_dscnt 0x0
	v_fma_mix_f32 v67, v224, v0, 0 op_sel:[0,1,0] op_sel_hi:[0,1,0]
	v_add3_u32 v15, v15, v90, v91
	s_clause 0x1
	scratch_load_b32 v90, off, off offset:904
	scratch_load_b32 v91, off, off offset:900
	v_dual_mov_b32 v180, v219 :: v_dual_mov_b32 v179, v190
	v_mov_b32_e32 v148, v218
	v_add3_u32 v15, v15, v93, v98
	s_clause 0x1
	scratch_load_b32 v93, off, off offset:896
	scratch_load_b32 v98, off, off offset:892
	v_mov_b32_e32 v190, v186
	v_mov_b32_e32 v186, v215
	v_add3_u32 v15, v15, v103, v104
	v_mul_i32_i24_e32 v103, v69, v3
	scratch_load_b32 v69, off, off offset:912 ; 4-byte Folded Reload
	v_mul_i32_i24_e32 v104, v253, v4
	scratch_load_b32 v184, off, off offset:848 ; 4-byte Folded Reload
	v_add3_u32 v15, v15, v105, v106
	v_mov_b32_e32 v219, v175
	s_clause 0x3
	scratch_load_b32 v175, off, off offset:864
	scratch_load_b32 v143, off, off offset:1020 th:TH_LOAD_LU
	scratch_load_b32 v155, off, off offset:228
	scratch_load_b32 v147, off, off offset:1024 th:TH_LOAD_LU
	v_dual_mov_b32 v215, v225 :: v_dual_mov_b32 v138, v171
	s_clause 0x2
	scratch_load_b32 v102, off, off offset:1084 th:TH_LOAD_LU
	scratch_load_b32 v149, off, off offset:1028 th:TH_LOAD_LU
	;; [unrolled: 1-line block ×3, first 2 shown]
	v_dual_mov_b32 v181, v101 :: v_dual_mov_b32 v150, v166
	v_mov_b32_e32 v101, v122
	scratch_store_b32 off, v180, off offset:1244 ; 4-byte Folded Spill
	v_dual_mov_b32 v100, v240 :: v_dual_mov_b32 v139, v163
	v_mov_b32_e32 v135, v214
	v_dual_mov_b32 v137, v221 :: v_dual_mov_b32 v146, v178
	v_dual_mov_b32 v141, v191 :: v_dual_mov_b32 v142, v194
	v_mov_b32_e32 v140, v168
	v_mov_b32_e32 v136, v182
	;; [unrolled: 1-line block ×3, first 2 shown]
	s_wait_loadcnt 0x18
	v_mul_i32_i24_e32 v108, v108, v43
	s_delay_alu instid0(VALU_DEP_1) | instskip(NEXT) | instid1(VALU_DEP_1)
	v_add3_u32 v15, v15, v107, v108
	v_add3_u32 v15, v15, v109, v130
	s_delay_alu instid0(VALU_DEP_1) | instskip(NEXT) | instid1(VALU_DEP_1)
	v_add3_u32 v15, v15, v131, v132
	v_mul_lo_u32 v15, v15, v176
	v_mov_b32_e32 v176, v193
	s_delay_alu instid0(VALU_DEP_2) | instskip(NEXT) | instid1(VALU_DEP_1)
	v_cvt_f32_i32_e32 v15, v15
	v_fma_mix_f32 v15, v0, v15, 0 op_sel_hi:[1,0,0]
	s_wait_loadcnt 0x17
	v_mul_i32_i24_e32 v78, v78, v32
	s_wait_loadcnt 0x16
	v_mul_i32_i24_e32 v79, v79, v33
	s_wait_loadcnt 0x15
	v_mad_i32_i24 v68, v80, v16, v68
	scratch_load_b32 v80, off, off offset:376 ; 4-byte Folded Reload
	s_wait_loadcnt 0x15
	v_mul_i32_i24_e32 v81, v81, v20
	s_wait_loadcnt 0x14
	v_mul_i32_i24_e32 v82, v82, v21
	s_wait_loadcnt 0x13
	v_mul_i32_i24_e32 v83, v83, v22
	v_add3_u32 v68, v68, v78, v79
	s_clause 0x1
	scratch_load_b32 v78, off, off offset:384
	scratch_load_b32 v79, off, off offset:380
	s_wait_loadcnt 0x14
	v_mul_i32_i24_e32 v84, v84, v23
	s_wait_loadcnt 0x13
	v_mul_i32_i24_e32 v85, v85, v24
	;; [unrolled: 2-line block ×10, first 2 shown]
	scratch_load_b32 v69, off, off offset:908 ; 4-byte Folded Reload
	s_wait_loadcnt 0x3
	v_mul_i32_i24_e32 v80, v80, v19
	s_wait_loadcnt 0x2
	v_mul_i32_i24_e32 v78, v78, v17
	;; [unrolled: 2-line block ×3, first 2 shown]
	s_delay_alu instid0(VALU_DEP_1) | instskip(NEXT) | instid1(VALU_DEP_1)
	v_add3_u32 v68, v68, v78, v79
	v_add3_u32 v68, v68, v80, v81
	s_delay_alu instid0(VALU_DEP_1) | instskip(NEXT) | instid1(VALU_DEP_1)
	v_add3_u32 v68, v68, v82, v83
	v_add3_u32 v68, v68, v84, v85
	s_wait_loadcnt 0x0
	v_mul_i32_i24_e32 v106, v69, v6
	scratch_load_b32 v69, off, off offset:420 ; 4-byte Folded Reload
	v_add3_u32 v68, v68, v86, v87
	s_delay_alu instid0(VALU_DEP_1) | instskip(NEXT) | instid1(VALU_DEP_1)
	v_add3_u32 v68, v68, v88, v89
	v_add3_u32 v68, v68, v90, v91
	s_delay_alu instid0(VALU_DEP_1) | instskip(NEXT) | instid1(VALU_DEP_1)
	v_add3_u32 v68, v68, v93, v98
	v_add3_u32 v68, v68, v103, v104
	v_mul_i32_i24_e32 v103, v38, v70
	v_mul_i32_i24_e32 v104, v39, v225
	scratch_load_b32 v225, off, off offset:1096 th:TH_LOAD_LU ; 4-byte Folded Reload
	v_mov_b32_e32 v70, v121
	v_add3_u32 v68, v68, v105, v106
	v_mul_i32_i24_e32 v105, v40, v226
	v_mul_i32_i24_e32 v106, v41, v227
	v_mov_b32_e32 v226, v246
	s_wait_loadcnt 0x1
	v_mul_i32_i24_e32 v107, v69, v7
	scratch_load_b32 v69, off, off offset:416 ; 4-byte Folded Reload
	s_wait_loadcnt 0x0
	v_mul_i32_i24_e32 v108, v69, v8
	scratch_load_b32 v69, off, off offset:412 ; 4-byte Folded Reload
	v_add3_u32 v68, v68, v107, v108
	v_mul_i32_i24_e32 v107, v42, v177
	scratch_load_b32 v177, off, off offset:844 ; 4-byte Folded Reload
	s_wait_loadcnt 0x1
	v_mul_i32_i24_e32 v130, v69, v10
	scratch_load_b32 v69, off, off offset:436 ; 4-byte Folded Reload
	v_add3_u32 v68, v68, v109, v130
	s_wait_loadcnt 0x0
	v_mul_i32_i24_e32 v131, v69, v11
	scratch_load_b32 v69, off, off offset:432 ; 4-byte Folded Reload
	s_wait_loadcnt 0x0
	v_mul_i32_i24_e32 v132, v69, v12
	scratch_load_b32 v69, off, off offset:428 ; 4-byte Folded Reload
	v_add3_u32 v68, v68, v131, v132
	s_wait_loadcnt 0x0
	v_mul_i32_i24_e32 v133, v69, v13
	scratch_load_b32 v69, off, off offset:424 ; 4-byte Folded Reload
	s_wait_loadcnt 0x0
	v_mul_i32_i24_e32 v134, v69, v14
	scratch_load_b32 v69, off, off offset:440 ; 4-byte Folded Reload
	v_add3_u32 v68, v68, v133, v134
	v_mul_i32_i24_e32 v133, v13, v120
	v_mul_i32_i24_e32 v134, v14, v71
	s_clause 0x1
	scratch_load_b32 v71, off, off offset:560
	scratch_load_b32 v120, off, off offset:1080 th:TH_LOAD_LU
	s_wait_loadcnt 0x2
	v_mul_lo_u32 v68, v68, v69
	scratch_load_b32 v69, off, off offset:292 ; 4-byte Folded Reload
	v_cvt_f32_i32_e32 v68, v68
	s_delay_alu instid0(VALU_DEP_1)
	v_fma_mix_f32 v15, v1, v68, v15 op_sel_hi:[1,0,0]
	scratch_load_b32 v68, off, off offset:444 ; 4-byte Folded Reload
	s_wait_loadcnt 0x0
	v_fma_mix_f32 v67, v68, v1, v67 op_sel:[0,1,0] op_sel_hi:[0,1,0]
	scratch_load_b32 v68, off, off offset:152 ; 4-byte Folded Reload
	s_wait_loadcnt 0x0
	v_mul_f32_e32 v67, v67, v68
	scratch_load_b32 v68, off, off offset:140 ; 4-byte Folded Reload
	s_wait_loadcnt 0x0
	v_fma_f32 v15, v15, v68, -v67
	s_clause 0x1
	scratch_load_b32 v67, off, off offset:760
	scratch_load_b32 v68, off, off offset:296
	s_wait_loadcnt 0x1
	v_add_f32_e32 v67, v67, v15
	v_mul_i32_i24_e32 v15, v63, v212
	s_wait_loadcnt 0x0
	v_mul_i32_i24_e32 v68, v65, v68
	scratch_store_b32 off, v67, off offset:760 ; 4-byte Folded Spill
	v_mad_i32_i24 v15, v50, v69, v15
	scratch_load_b32 v69, off, off offset:308 ; 4-byte Folded Reload
	v_mul_i32_i24_e32 v67, v64, v216
	s_delay_alu instid0(VALU_DEP_1)
	v_add3_u32 v15, v15, v67, v68
	s_clause 0x1
	scratch_load_b32 v67, off, off offset:300
	scratch_load_b32 v68, off, off offset:304
	s_wait_loadcnt 0x2
	v_mul_i32_i24_e32 v78, v53, v69
	scratch_load_b32 v69, off, off offset:312 ; 4-byte Folded Reload
	s_wait_loadcnt 0x2
	v_mul_i32_i24_e32 v67, v51, v67
	s_wait_loadcnt 0x1
	v_mul_i32_i24_e32 v68, v52, v68
	s_delay_alu instid0(VALU_DEP_1) | instskip(SKIP_3) | instid1(VALU_DEP_3)
	v_add3_u32 v15, v15, v67, v68
	v_mul_i32_i24_e32 v68, v31, v230
	v_fma_mix_f32 v67, v229, v0, 0 op_sel:[0,1,0] op_sel_hi:[0,1,0]
	v_mov_b32_e32 v230, v231
	v_mad_i32_i24 v68, v16, v232, v68
	s_delay_alu instid0(VALU_DEP_3)
	v_fma_mix_f32 v67, v174, v1, v67 op_sel:[0,1,0] op_sel_hi:[0,1,0]
	scratch_load_b32 v174, off, off offset:860 ; 4-byte Folded Reload
	s_wait_loadcnt 0x1
	v_mul_i32_i24_e32 v79, v54, v69
	scratch_load_b32 v69, off, off offset:316 ; 4-byte Folded Reload
	v_add3_u32 v15, v15, v78, v79
	v_mul_i32_i24_e32 v78, v32, v231
	s_wait_loadcnt 0x0
	v_mul_i32_i24_e32 v80, v55, v69
	scratch_load_b32 v69, off, off offset:320 ; 4-byte Folded Reload
	s_wait_loadcnt 0x0
	v_mul_i32_i24_e32 v81, v56, v69
	scratch_load_b32 v69, off, off offset:324 ; 4-byte Folded Reload
	v_add3_u32 v15, v15, v80, v81
	v_mul_i32_i24_e32 v80, v19, v234
	v_mul_i32_i24_e32 v81, v20, v117
	scratch_load_b32 v117, off, off offset:1044 th:TH_LOAD_LU ; 4-byte Folded Reload
	s_wait_loadcnt 0x1
	v_mul_i32_i24_e32 v82, v57, v69
	scratch_load_b32 v69, off, off offset:328 ; 4-byte Folded Reload
	s_wait_loadcnt 0x0
	v_mul_i32_i24_e32 v83, v58, v69
	scratch_load_b32 v69, off, off offset:332 ; 4-byte Folded Reload
	v_add3_u32 v15, v15, v82, v83
	v_mul_i32_i24_e32 v82, v21, v193
	s_wait_loadcnt 0x0
	v_mul_i32_i24_e32 v84, v59, v69
	scratch_load_b32 v69, off, off offset:336 ; 4-byte Folded Reload
	s_wait_loadcnt 0x0
	v_mul_i32_i24_e32 v85, v60, v69
	scratch_load_b32 v69, off, off offset:340 ; 4-byte Folded Reload
	v_add3_u32 v15, v15, v84, v85
	v_mul_i32_i24_e32 v84, v23, v118
	v_mul_i32_i24_e32 v85, v24, v238
	scratch_load_b32 v118, off, off offset:1064 th:TH_LOAD_LU ; 4-byte Folded Reload
	s_wait_loadcnt 0x1
	v_mul_i32_i24_e32 v86, v61, v69
	scratch_load_b32 v69, off, off offset:344 ; 4-byte Folded Reload
	s_wait_loadcnt 0x0
	v_mul_i32_i24_e32 v87, v62, v69
	scratch_load_b32 v69, off, off offset:348 ; 4-byte Folded Reload
	v_add3_u32 v15, v15, v86, v87
	v_mul_i32_i24_e32 v86, v25, v239
	s_wait_loadcnt 0x0
	v_mul_i32_i24_e32 v88, v48, v69
	scratch_load_b32 v69, off, off offset:368 ; 4-byte Folded Reload
	s_wait_loadcnt 0x0
	v_mul_i32_i24_e32 v89, v49, v69
	scratch_load_b32 v69, off, off offset:352 ; 4-byte Folded Reload
	v_add3_u32 v15, v15, v88, v89
	v_mul_i32_i24_e32 v88, v27, v244
	v_mul_i32_i24_e32 v89, v28, v245
	s_wait_loadcnt 0x0
	v_mul_i32_i24_e32 v90, v34, v69
	scratch_load_b32 v69, off, off offset:356 ; 4-byte Folded Reload
	s_wait_loadcnt 0x0
	v_mul_i32_i24_e32 v91, v35, v69
	scratch_load_b32 v69, off, off offset:360 ; 4-byte Folded Reload
	v_add3_u32 v15, v15, v90, v91
	v_mul_i32_i24_e32 v90, v29, v246
	s_wait_loadcnt 0x0
	v_mul_i32_i24_e32 v93, v36, v69
	scratch_load_b32 v69, off, off offset:364 ; 4-byte Folded Reload
	s_wait_loadcnt 0x0
	v_mul_i32_i24_e32 v98, v37, v69
	scratch_load_b32 v69, off, off offset:256 ; 4-byte Folded Reload
	v_add3_u32 v15, v15, v93, v98
	v_mul_i32_i24_e32 v93, v66, v247
	v_mul_i32_i24_e32 v98, v2, v248
	scratch_load_b32 v247, off, off offset:1104 th:TH_LOAD_LU ; 4-byte Folded Reload
	v_add3_u32 v15, v15, v103, v104
	v_mul_i32_i24_e32 v103, v3, v249
	s_delay_alu instid0(VALU_DEP_2)
	v_add3_u32 v15, v15, v105, v106
	v_mul_i32_i24_e32 v105, v5, v250
	v_mul_i32_i24_e32 v106, v6, v251
	s_wait_loadcnt 0x1
	v_mul_i32_i24_e32 v108, v43, v69
	scratch_load_b32 v69, off, off offset:260 ; 4-byte Folded Reload
	v_add3_u32 v15, v15, v107, v108
	v_mul_i32_i24_e32 v107, v7, v252
	s_wait_loadcnt 0x0
	v_mul_i32_i24_e32 v109, v44, v69
	scratch_load_b32 v69, off, off offset:264 ; 4-byte Folded Reload
	s_wait_loadcnt 0x0
	v_mul_i32_i24_e32 v130, v45, v69
	scratch_load_b32 v69, off, off offset:268 ; 4-byte Folded Reload
	v_add3_u32 v15, v15, v109, v130
	v_mul_i32_i24_e32 v109, v9, v119
	v_mul_i32_i24_e32 v130, v10, v254
	scratch_load_b32 v119, off, off offset:1048 th:TH_LOAD_LU ; 4-byte Folded Reload
	s_wait_loadcnt 0x1
	v_mul_i32_i24_e32 v131, v46, v69
	scratch_load_b32 v69, off, off offset:272 ; 4-byte Folded Reload
	s_wait_loadcnt 0x0
	v_mul_i32_i24_e32 v132, v47, v69
	scratch_load_b32 v69, off, off offset:100 ; 4-byte Folded Reload
	v_add3_u32 v15, v15, v131, v132
	v_mul_i32_i24_e32 v131, v11, v255
	s_delay_alu instid0(VALU_DEP_2) | instskip(NEXT) | instid1(VALU_DEP_1)
	v_mul_lo_u32 v15, v15, v228
	v_cvt_f32_i32_e32 v15, v15
	s_delay_alu instid0(VALU_DEP_1)
	v_fma_mix_f32 v15, v0, v15, 0 op_sel_hi:[1,0,0]
	s_wait_loadcnt 0x0
	v_mul_i32_i24_e32 v79, v33, v69
	scratch_load_b32 v69, off, off offset:104 ; 4-byte Folded Reload
	v_add3_u32 v68, v68, v78, v79
	v_mul_i32_i24_e32 v78, v17, v233
	s_wait_loadcnt 0x0
	v_mul_i32_i24_e32 v79, v18, v69
	scratch_load_b32 v69, off, off offset:276 ; 4-byte Folded Reload
	v_add3_u32 v68, v68, v78, v79
	v_mul_i32_i24_e32 v78, v53, v96
	scratch_load_b32 v96, off, off offset:248 ; 4-byte Folded Reload
	v_mul_i32_i24_e32 v79, v54, v97
	scratch_load_b32 v97, off, off offset:220 ; 4-byte Folded Reload
	v_add3_u32 v68, v68, v80, v81
	v_mul_i32_i24_e32 v80, v55, v99
	v_mul_i32_i24_e32 v81, v56, v114
	scratch_load_b32 v114, off, off offset:1060 th:TH_LOAD_LU ; 4-byte Folded Reload
	s_wait_loadcnt 0x3
	v_mul_i32_i24_e32 v83, v22, v69
	scratch_load_b32 v69, off, off offset:108 ; 4-byte Folded Reload
	v_add3_u32 v68, v68, v82, v83
	v_mul_i32_i24_e32 v82, v57, v115
	v_mul_i32_i24_e32 v83, v58, v116
	s_clause 0x1
	scratch_load_b32 v115, off, off offset:1040 th:TH_LOAD_LU
	scratch_load_b32 v116, off, off offset:1076 th:TH_LOAD_LU
	v_add3_u32 v68, v68, v84, v85
	v_mul_i32_i24_e32 v84, v59, v110
	v_mul_i32_i24_e32 v85, v60, v111
	scratch_load_b32 v111, off, off offset:1032 th:TH_LOAD_LU ; 4-byte Folded Reload
	v_mov_b32_e32 v110, v159
	s_wait_loadcnt 0x3
	v_mul_i32_i24_e32 v87, v26, v69
	scratch_load_b32 v69, off, off offset:280 ; 4-byte Folded Reload
	v_add3_u32 v68, v68, v86, v87
	v_mul_i32_i24_e32 v86, v61, v112
	v_mul_i32_i24_e32 v87, v62, v113
	s_clause 0x1
	scratch_load_b32 v112, off, off offset:1072 th:TH_LOAD_LU
	scratch_load_b32 v113, off, off offset:1036 th:TH_LOAD_LU
	v_add3_u32 v68, v68, v88, v89
	v_mul_i32_i24_e32 v88, v48, v125
	v_mul_i32_i24_e32 v89, v49, v160
	;; [unrolled: 1-line block ×4, first 2 shown]
	s_wait_loadcnt 0x2
	v_mul_i32_i24_e32 v91, v30, v69
	scratch_load_b32 v69, off, off offset:112 ; 4-byte Folded Reload
	v_add3_u32 v68, v68, v90, v91
	v_mul_i32_i24_e32 v90, v34, v163
	v_mul_i32_i24_e32 v91, v35, v165
	v_mul_i32_i24_e32 v34, v34, v151
	s_delay_alu instid0(VALU_DEP_4)
	v_add3_u32 v68, v68, v93, v98
	v_mul_i32_i24_e32 v93, v36, v169
	v_mul_i32_i24_e32 v98, v37, v178
	;; [unrolled: 1-line block ×3, first 2 shown]
	s_wait_loadcnt 0x0
	v_mul_i32_i24_e32 v104, v4, v69
	scratch_load_b32 v69, off, off offset:284 ; 4-byte Folded Reload
	v_add3_u32 v68, v68, v103, v104
	v_mul_i32_i24_e32 v103, v38, v191
	v_mul_i32_i24_e32 v104, v39, v121
	scratch_load_b32 v121, off, off offset:1052 th:TH_LOAD_LU ; 4-byte Folded Reload
	v_mul_i32_i24_e32 v38, v38, v204
	v_add3_u32 v68, v68, v105, v106
	v_mul_i32_i24_e32 v106, v41, v174
	v_mul_i32_i24_e32 v39, v39, v205
	v_mul_i32_i24_e32 v41, v41, v208
	s_wait_loadcnt 0x1
	v_mul_i32_i24_e32 v108, v8, v69
	scratch_load_b32 v69, off, off offset:288 ; 4-byte Folded Reload
	v_add3_u32 v68, v68, v107, v108
	v_mul_i32_i24_e32 v107, v42, v184
	v_mul_i32_i24_e32 v108, v43, v242
	v_mul_i32_i24_e32 v43, v43, v209
	s_delay_alu instid0(VALU_DEP_4)
	v_add3_u32 v68, v68, v109, v130
	v_mul_i32_i24_e32 v109, v44, v177
	v_mul_i32_i24_e32 v130, v45, v222
	;; [unrolled: 1-line block ×3, first 2 shown]
	s_wait_loadcnt 0x0
	v_mul_i32_i24_e32 v132, v12, v69
	scratch_load_b32 v69, off, off offset:240 ; 4-byte Folded Reload
	v_add3_u32 v68, v68, v131, v132
	v_mul_i32_i24_e32 v132, v47, v175
	v_mul_i32_i24_e32 v47, v47, v71
	s_delay_alu instid0(VALU_DEP_3) | instskip(SKIP_3) | instid1(VALU_DEP_4)
	v_add3_u32 v68, v68, v133, v134
	v_mul_i32_i24_e32 v133, v13, v188
	v_mul_i32_i24_e32 v134, v14, v223
	;; [unrolled: 1-line block ×3, first 2 shown]
	v_mul_lo_u32 v68, v68, v161
	scratch_load_b32 v161, off, off offset:1100 th:TH_LOAD_LU ; 4-byte Folded Reload
	v_cvt_f32_i32_e32 v68, v68
	s_delay_alu instid0(VALU_DEP_1)
	v_fma_mix_f32 v15, v1, v68, v15 op_sel_hi:[1,0,0]
	scratch_load_b32 v68, off, off offset:156 ; 4-byte Folded Reload
	s_wait_loadcnt 0x2
	v_mul_i32_i24_e32 v42, v42, v69
	s_wait_loadcnt 0x0
	v_mul_f32_e32 v67, v67, v68
	scratch_load_b32 v68, off, off offset:144 ; 4-byte Folded Reload
	s_wait_loadcnt 0x0
	v_fma_f32 v15, v15, v68, -v67
	scratch_load_b32 v67, off, off offset:756 ; 4-byte Folded Reload
	v_mul_i32_i24_e32 v68, v65, v92
	scratch_load_b32 v92, off, off offset:852 ; 4-byte Folded Reload
	v_mov_b32_e32 v99, v169
	s_wait_loadcnt 0x1
	v_add_f32_e32 v67, v67, v15
	v_mul_i32_i24_e32 v15, v63, v75
	s_wait_loadcnt 0x0
	v_mul_i32_i24_e32 v131, v46, v92
	v_mov_b32_e32 v75, v210
	scratch_store_b32 off, v67, off offset:756 ; 4-byte Folded Spill
	v_mul_i32_i24_e32 v67, v64, v76
	v_mad_i32_i24 v15, v50, v77, v15
	s_clause 0x1
	scratch_load_b32 v76, off, off offset:1184
	scratch_load_b32 v77, off, off offset:556
	v_add3_u32 v15, v15, v67, v68
	v_mul_i32_i24_e32 v67, v51, v94
	scratch_load_b32 v94, off, off offset:856 ; 4-byte Folded Reload
	v_mul_i32_i24_e32 v68, v52, v95
	v_mov_b32_e32 v95, v242
	s_delay_alu instid0(VALU_DEP_2)
	v_add3_u32 v15, v15, v67, v68
	v_mul_i32_i24_e32 v68, v31, v162
	v_fma_mix_f32 v67, v123, v0, 0 op_sel:[0,1,0] op_sel_hi:[0,1,0]
	v_mul_i32_i24_e32 v31, v31, v237
	scratch_load_b32 v123, off, off offset:1056 th:TH_LOAD_LU ; 4-byte Folded Reload
	v_add3_u32 v15, v15, v78, v79
	v_mul_i32_i24_e32 v78, v32, v96
	v_mul_i32_i24_e32 v79, v33, v126
	v_mad_i32_i24 v68, v16, v124, v68
	v_fma_mix_f32 v67, v182, v1, v67 op_sel:[0,1,0] op_sel_hi:[0,1,0]
	v_add3_u32 v15, v15, v80, v81
	v_mul_i32_i24_e32 v80, v19, v128
	v_mul_i32_i24_e32 v81, v20, v152
	v_add3_u32 v68, v68, v78, v79
	v_mul_i32_i24_e32 v78, v17, v127
	v_mul_i32_i24_e32 v79, v18, v218
	;; [unrolled: 3-line block ×3, first 2 shown]
	v_mul_f32_e32 v67, v67, v221
	v_add3_u32 v68, v68, v78, v79
	v_add3_u32 v15, v15, v84, v85
	v_mul_i32_i24_e32 v84, v23, v154
	v_mul_i32_i24_e32 v85, v24, v156
	scratch_load_b32 v152, off, off offset:1200 th:TH_LOAD_LU ; 4-byte Folded Reload
	v_add3_u32 v68, v68, v80, v81
	v_add3_u32 v15, v15, v86, v87
	v_mul_i32_i24_e32 v86, v25, v157
	v_mul_i32_i24_e32 v87, v26, v159
	scratch_load_b32 v153, off, off offset:1204 th:TH_LOAD_LU ; 4-byte Folded Reload
	v_add3_u32 v68, v68, v82, v83
	v_add3_u32 v15, v15, v88, v89
	v_mul_i32_i24_e32 v88, v27, v158
	v_mul_i32_i24_e32 v89, v28, v166
	;; [unrolled: 1-line block ×3, first 2 shown]
	v_add3_u32 v68, v68, v84, v85
	v_add3_u32 v15, v15, v90, v91
	v_mul_i32_i24_e32 v90, v29, v167
	v_mul_i32_i24_e32 v91, v30, v194
	;; [unrolled: 1-line block ×3, first 2 shown]
	v_add3_u32 v68, v68, v86, v87
	v_add3_u32 v15, v15, v93, v98
	v_mul_i32_i24_e32 v93, v66, v168
	v_mul_i32_i24_e32 v98, v2, v170
	v_mad_i32_i24 v16, v16, v74, v31
	v_add3_u32 v68, v68, v88, v89
	v_add3_u32 v15, v15, v103, v104
	v_mul_i32_i24_e32 v103, v3, v171
	v_mul_i32_i24_e32 v104, v4, v173
	v_add3_u32 v16, v16, v32, v33
	v_add3_u32 v68, v68, v90, v91
	v_mul_i32_i24_e32 v17, v17, v236
	v_mul_i32_i24_e32 v18, v18, v196
	;; [unrolled: 1-line block ×4, first 2 shown]
	v_add3_u32 v68, v68, v93, v98
	v_mul_i32_i24_e32 v21, v21, v198
	v_add3_u32 v16, v16, v17, v18
	v_mul_i32_i24_e32 v22, v22, v199
	v_mul_i32_i24_e32 v23, v23, v211
	v_add3_u32 v68, v68, v103, v104
	v_mul_i32_i24_e32 v24, v24, v217
	v_add3_u32 v16, v16, v19, v20
	v_mul_i32_i24_e32 v25, v25, v235
	v_mul_i32_i24_e32 v26, v26, v200
	;; [unrolled: 1-line block ×4, first 2 shown]
	v_add3_u32 v16, v16, v21, v22
	scratch_load_b32 v159, off, off offset:236 ; 4-byte Folded Reload
	v_mul_i32_i24_e32 v29, v29, v247
	v_mul_i32_i24_e32 v30, v30, v201
	scratch_load_b32 v72, off, off offset:164 ; 4-byte Folded Reload
	v_add3_u32 v16, v16, v23, v24
	v_mul_i32_i24_e32 v31, v66, v102
	v_mul_i32_i24_e32 v2, v2, v111
	;; [unrolled: 1-line block ×4, first 2 shown]
	v_add3_u32 v16, v16, v25, v26
	v_dual_mov_b32 v73, v74 :: v_dual_mov_b32 v74, v236
	v_mov_b32_e32 v129, v222
	v_mov_b32_e32 v171, v96
	s_delay_alu instid0(VALU_DEP_4) | instskip(NEXT) | instid1(VALU_DEP_1)
	v_add3_u32 v16, v16, v27, v28
	v_add3_u32 v16, v16, v29, v30
	s_delay_alu instid0(VALU_DEP_1) | instskip(NEXT) | instid1(VALU_DEP_1)
	v_add3_u32 v2, v16, v31, v2
	v_add3_u32 v2, v2, v3, v4
	scratch_load_b32 v3, off, off offset:28 ; 4-byte Folded Reload
	s_wait_loadcnt 0x8
	v_mul_i32_i24_e32 v44, v44, v76
	s_wait_loadcnt 0x7
	v_mul_i32_i24_e32 v46, v46, v77
	;; [unrolled: 2-line block ×3, first 2 shown]
	v_mul_i32_i24_e32 v40, v40, v206
	v_mov_b32_e32 v173, v94
	s_delay_alu instid0(VALU_DEP_3)
	v_add3_u32 v15, v15, v105, v106
	v_mul_i32_i24_e32 v105, v5, v172
	v_mul_i32_i24_e32 v106, v6, v185
	v_mul_i32_i24_e32 v5, v5, v113
	v_mul_i32_i24_e32 v6, v6, v115
	v_add3_u32 v15, v15, v107, v108
	v_mul_i32_i24_e32 v107, v7, v187
	v_mul_i32_i24_e32 v108, v8, v164
	v_add3_u32 v68, v68, v105, v106
	v_mul_i32_i24_e32 v7, v7, v116
	v_add3_u32 v15, v15, v109, v130
	v_mul_i32_i24_e32 v109, v9, v183
	v_mul_i32_i24_e32 v130, v10, v241
	v_add3_u32 v68, v68, v107, v108
	v_mul_i32_i24_e32 v8, v8, v118
	v_add3_u32 v15, v15, v131, v132
	v_mul_i32_i24_e32 v131, v11, v243
	v_mul_i32_i24_e32 v132, v12, v189
	v_add3_u32 v68, v68, v109, v130
	v_add3_u32 v2, v2, v5, v6
	v_mul_lo_u32 v15, v15, v122
	scratch_load_b32 v122, off, off offset:1068 th:TH_LOAD_LU ; 4-byte Folded Reload
	v_mul_i32_i24_e32 v9, v9, v117
	v_add3_u32 v68, v68, v131, v132
	v_mul_i32_i24_e32 v10, v10, v119
	s_wait_loadcnt 0x5
	v_mul_i32_i24_e32 v35, v35, v152
	v_add3_u32 v2, v2, v7, v8
	v_mul_i32_i24_e32 v11, v11, v120
	v_add3_u32 v68, v68, v133, v134
	v_cvt_f32_i32_e32 v15, v15
	s_wait_loadcnt 0x4
	v_mul_i32_i24_e32 v36, v36, v153
	v_add3_u32 v2, v2, v9, v10
	v_mul_i32_i24_e32 v14, v14, v123
	v_mul_lo_u32 v68, v68, v214
	v_fma_mix_f32 v15, v0, v15, 0 op_sel_hi:[1,0,0]
	v_mov_b32_e32 v172, v92
	s_delay_alu instid0(VALU_DEP_3) | instskip(NEXT) | instid1(VALU_DEP_1)
	v_cvt_f32_i32_e32 v68, v68
	v_fma_mix_f32 v15, v1, v68, v15 op_sel_hi:[1,0,0]
	s_delay_alu instid0(VALU_DEP_1) | instskip(SKIP_3) | instid1(VALU_DEP_1)
	v_fma_f32 v15, v15, v220, -v67
	scratch_load_b32 v67, off, off offset:752 ; 4-byte Folded Reload
	s_wait_loadcnt 0x1
	v_mul_i32_i24_e32 v12, v12, v122
	v_add3_u32 v2, v2, v11, v12
	s_delay_alu instid0(VALU_DEP_1) | instskip(NEXT) | instid1(VALU_DEP_1)
	v_add3_u32 v2, v2, v13, v14
	v_mul_lo_u32 v2, v2, v72
	s_delay_alu instid0(VALU_DEP_1)
	v_cvt_f32_i32_e32 v2, v2
	s_wait_loadcnt 0x0
	v_add_f32_e32 v67, v67, v15
	v_mul_i32_i24_e32 v15, v63, v143
	v_mul_i32_i24_e32 v63, v64, v147
	scratch_load_b32 v64, off, off offset:496 ; 4-byte Folded Reload
	v_mad_i32_i24 v15, v50, v155, v15
	scratch_load_b32 v50, off, off offset:80 ; 4-byte Folded Reload
	s_wait_loadcnt 0x1
	v_mul_i32_i24_e32 v64, v65, v64
	s_wait_loadcnt 0x0
	v_mul_i32_i24_e32 v50, v51, v50
	scratch_load_b32 v51, off, off offset:84 ; 4-byte Folded Reload
	v_add3_u32 v15, v15, v63, v64
	s_wait_loadcnt 0x0
	v_mul_i32_i24_e32 v51, v52, v51
	scratch_load_b32 v52, off, off offset:88 ; 4-byte Folded Reload
	v_add3_u32 v15, v15, v50, v51
	s_wait_loadcnt 0x0
	v_mul_i32_i24_e32 v52, v53, v52
	scratch_load_b32 v53, off, off offset:92 ; 4-byte Folded Reload
	s_wait_loadcnt 0x0
	v_mul_i32_i24_e32 v53, v54, v53
	scratch_load_b32 v54, off, off offset:500 ; 4-byte Folded Reload
	v_add3_u32 v15, v15, v52, v53
	s_wait_loadcnt 0x0
	v_mul_i32_i24_e32 v54, v55, v54
	scratch_load_b32 v55, off, off offset:504 ; 4-byte Folded Reload
	s_wait_loadcnt 0x0
	v_mul_i32_i24_e32 v55, v56, v55
	scratch_load_b32 v56, off, off offset:508 ; 4-byte Folded Reload
	v_add3_u32 v15, v15, v54, v55
	s_wait_loadcnt 0x0
	v_mul_i32_i24_e32 v56, v57, v56
	scratch_load_b32 v57, off, off offset:512 ; 4-byte Folded Reload
	s_wait_loadcnt 0x0
	v_mul_i32_i24_e32 v57, v58, v57
	scratch_load_b32 v58, off, off offset:516 ; 4-byte Folded Reload
	v_add3_u32 v15, v15, v56, v57
	s_wait_loadcnt 0x0
	v_mul_i32_i24_e32 v58, v59, v58
	scratch_load_b32 v59, off, off offset:520 ; 4-byte Folded Reload
	s_wait_loadcnt 0x0
	v_mul_i32_i24_e32 v59, v60, v59
	scratch_load_b32 v60, off, off offset:524 ; 4-byte Folded Reload
	v_add3_u32 v15, v15, v58, v59
	s_wait_loadcnt 0x0
	v_mul_i32_i24_e32 v60, v61, v60
	scratch_load_b32 v61, off, off offset:528 ; 4-byte Folded Reload
	s_wait_loadcnt 0x0
	v_mul_i32_i24_e32 v61, v62, v61
	s_delay_alu instid0(VALU_DEP_1) | instskip(NEXT) | instid1(VALU_DEP_1)
	v_add3_u32 v15, v15, v60, v61
	v_add3_u32 v15, v15, v48, v49
	s_delay_alu instid0(VALU_DEP_1) | instskip(NEXT) | instid1(VALU_DEP_1)
	v_add3_u32 v15, v15, v34, v35
	v_add3_u32 v15, v15, v36, v37
	;; [unrolled: 3-line block ×4, first 2 shown]
	s_delay_alu instid0(VALU_DEP_1) | instskip(NEXT) | instid1(VALU_DEP_1)
	v_add3_u32 v15, v15, v46, v47
	v_mul_lo_u32 v15, v15, v159
	s_delay_alu instid0(VALU_DEP_1) | instskip(NEXT) | instid1(VALU_DEP_1)
	v_cvt_f32_i32_e32 v15, v15
	v_fma_mix_f32 v15, v0, v15, 0 op_sel_hi:[1,0,0]
	v_fma_mix_f32 v0, v161, v0, 0 op_sel:[0,1,0] op_sel_hi:[0,1,0]
	s_delay_alu instid0(VALU_DEP_2) | instskip(NEXT) | instid1(VALU_DEP_2)
	v_fma_mix_f32 v2, v1, v2, v15 op_sel_hi:[1,0,0]
	v_fma_mix_f32 v0, v3, v1, v0 op_sel:[0,1,0] op_sel_hi:[0,1,0]
	scratch_load_b32 v1, off, off offset:24 ; 4-byte Folded Reload
	s_wait_loadcnt 0x0
	v_dual_mov_b32 v145, v165 :: v_dual_mul_f32 v0, v0, v1
	scratch_load_b32 v1, off, off           ; 4-byte Folded Reload
	s_wait_loadcnt 0x0
	v_fma_f32 v0, v2, v1, -v0
	scratch_load_b32 v1, off, off offset:748 ; 4-byte Folded Reload
	s_wait_loadcnt 0x0
	v_add_f32_e32 v1, v1, v0
	scratch_load_b32 v0, off, off offset:1268 ; 4-byte Folded Reload
	s_clause 0x1
	scratch_store_b32 off, v67, off offset:752
	scratch_store_b32 off, v1, off offset:748
	s_wait_loadcnt 0x0
	v_or_b32_e32 v0, s12, v0
	s_delay_alu instid0(VALU_DEP_1)
	v_lshlrev_b32_e32 v1, 2, v0
	v_lshrrev_b32_e32 v4, 1, v0
	ds_load_b128 v[20:23], v1 offset:16896
	ds_load_b128 v[34:37], v1 offset:16912
	;; [unrolled: 1-line block ×4, first 2 shown]
	s_clause 0xf
	scratch_load_b32 v66, off, off offset:176
	scratch_load_b32 v68, off, off offset:168
	;; [unrolled: 1-line block ×16, first 2 shown]
	s_wait_dscnt 0x3
	v_bfe_i32 v7, v21, 0, 8
	s_wait_dscnt 0x2
	v_bfe_i32 v31, v36, 8, 8
	v_bfe_i32 v8, v21, 8, 8
	;; [unrolled: 1-line block ×3, first 2 shown]
	v_ashrrev_i32_e32 v10, 24, v21
	v_bfe_i32 v11, v22, 0, 8
	v_mul_i32_i24_e32 v106, v100, v31
	scratch_load_b32 v100, off, off offset:192 ; 4-byte Folded Reload
	v_bfe_i32 v12, v22, 8, 8
	v_bfe_i32 v13, v22, 16, 8
	v_ashrrev_i32_e32 v14, 24, v22
	v_bfe_i32 v15, v23, 0, 8
	v_bfe_i32 v16, v23, 8, 8
	v_bfe_i32 v17, v23, 16, 8
	v_ashrrev_i32_e32 v21, 24, v23
	v_bfe_i32 v22, v34, 0, 8
	;; [unrolled: 4-line block ×3, first 2 shown]
	s_clause 0xe
	scratch_load_b32 v234, off, off offset:952
	scratch_load_b32 v240, off, off offset:968
	scratch_load_b32 v237, off, off offset:960
	scratch_load_b32 v236, off, off offset:956
	scratch_load_b32 v233, off, off offset:948
	scratch_load_b32 v244, off, off offset:976
	scratch_load_b32 v243, off, off offset:972
	scratch_load_b32 v238, off, off offset:964
	scratch_load_b32 v246, off, off offset:984
	scratch_load_b32 v88, off, off offset:1016
	scratch_load_b32 v89, off, off offset:1008
	scratch_load_b32 v91, off, off offset:1000
	scratch_load_b32 v245, off, off offset:980
	scratch_load_b32 v105, off, off offset:1012
	scratch_load_b32 v90, off, off offset:1004
	v_bfe_i32 v18, v20, 0, 8
	s_clause 0x7
	scratch_load_b32 v204, off, off offset:408
	scratch_load_b32 v252, off, off offset:400
	;; [unrolled: 1-line block ×8, first 2 shown]
	v_bfe_i32 v6, v20, 8, 8
	v_bfe_i32 v19, v20, 16, 8
	v_ashrrev_i32_e32 v20, 24, v20
	v_bfe_i32 v26, v35, 0, 8
	v_bfe_i32 v27, v35, 8, 8
	;; [unrolled: 1-line block ×3, first 2 shown]
	v_ashrrev_i32_e32 v29, 24, v35
	v_bfe_i32 v35, v37, 8, 8
	s_clause 0x17
	scratch_load_b32 v232, off, off offset:876
	scratch_load_b32 v212, off, off offset:420
	;; [unrolled: 1-line block ×24, first 2 shown]
	v_mul_i32_i24_e32 v93, v180, v26
	v_mul_i32_i24_e32 v98, v179, v27
	v_bfe_i32 v30, v36, 0, 8
	v_mul_i32_i24_e32 v103, v190, v28
	v_mul_i32_i24_e32 v104, v219, v29
	scratch_load_b32 v219, off, off offset:432 ; 4-byte Folded Reload
	v_bfe_i32 v32, v36, 16, 8
	v_ashrrev_i32_e32 v33, 24, v36
	ds_load_b64 v[4:5], v4 offset:27200
	v_bfe_i32 v36, v37, 16, 8
	v_ashrrev_i32_e32 v37, 24, v37
	v_mul_i32_i24_e32 v107, v192, v32
	s_wait_dscnt 0x2
	v_bfe_i32 v38, v50, 0, 8
	v_bfe_i32 v39, v50, 8, 8
	v_mul_i32_i24_e32 v131, v181, v36
	v_bfe_i32 v40, v50, 16, 8
	v_ashrrev_i32_e32 v41, 24, v50
	v_bfe_i32 v42, v51, 0, 8
	v_bfe_i32 v43, v51, 8, 8
	v_bfe_i32 v44, v51, 16, 8
	v_ashrrev_i32_e32 v45, 24, v51
	v_bfe_i32 v46, v52, 0, 8
	v_bfe_i32 v47, v52, 8, 8
	;; [unrolled: 4-line block ×3, first 2 shown]
	v_bfe_i32 v52, v53, 16, 8
	v_ashrrev_i32_e32 v53, 24, v53
	s_wait_dscnt 0x1
	v_bfe_i32 v54, v0, 0, 8
	v_bfe_i32 v55, v0, 8, 8
	v_bfe_i32 v56, v0, 16, 8
	v_ashrrev_i32_e32 v0, 24, v0
	v_bfe_i32 v57, v1, 0, 8
	v_bfe_i32 v58, v1, 8, 8
	v_bfe_i32 v59, v1, 16, 8
	v_ashrrev_i32_e32 v1, 24, v1
	;; [unrolled: 4-line block ×4, first 2 shown]
	s_clause 0x17
	scratch_load_b32 v179, off, off offset:296
	scratch_load_b32 v178, off, off offset:292
	;; [unrolled: 1-line block ×24, first 2 shown]
	s_wait_loadcnt 0x3e
	v_mul_i32_i24_e32 v66, v66, v18
	v_mul_i32_i24_e32 v68, v68, v20
	;; [unrolled: 1-line block ×3, first 2 shown]
	s_delay_alu instid0(VALU_DEP_3) | instskip(SKIP_2) | instid1(VALU_DEP_3)
	v_mad_i32_i24 v66, v228, v6, v66
	v_mul_i32_i24_e32 v78, v231, v9
	v_mul_i32_i24_e32 v79, v229, v10
	v_add3_u32 v66, v66, v67, v68
	v_mul_i32_i24_e32 v109, v100, v34
	scratch_load_b32 v100, off, off offset:840 ; 4-byte Folded Reload
	v_mul_i32_i24_e32 v67, v234, v7
	v_mul_i32_i24_e32 v80, v240, v11
	;; [unrolled: 1-line block ×9, first 2 shown]
	v_add3_u32 v66, v66, v67, v68
	scratch_load_b32 v67, off, off offset:196 ; 4-byte Folded Reload
	v_mul_i32_i24_e32 v88, v88, v22
	s_wait_loadcnt 0x3d
	v_mul_i32_i24_e32 v85, v245, v16
	v_mul_i32_i24_e32 v89, v89, v23
	v_add3_u32 v66, v66, v78, v79
	s_wait_loadcnt 0x3b
	v_mul_i32_i24_e32 v90, v90, v24
	v_mul_i32_i24_e32 v91, v91, v25
	;; [unrolled: 1-line block ×3, first 2 shown]
	s_wait_loadcnt 0x3a
	v_mul_i32_i24_e32 v108, v204, v33
	v_add3_u32 v66, v66, v80, v81
	v_mul_i32_i24_e32 v68, v186, v38
	v_mul_i32_i24_e32 v78, v170, v40
	;; [unrolled: 1-line block ×3, first 2 shown]
	scratch_load_b32 v186, off, off offset:316 ; 4-byte Folded Reload
	v_add3_u32 v66, v66, v82, v83
	s_wait_loadcnt 0x3a
	v_mul_i32_i24_e32 v82, v252, v46
	s_wait_loadcnt 0x36
	v_mul_i32_i24_e32 v83, v251, v47
	v_add3_u32 v66, v66, v84, v85
	s_wait_loadcnt 0x35
	v_mul_i32_i24_e32 v84, v250, v48
	s_wait_loadcnt 0x34
	v_mul_i32_i24_e32 v85, v249, v49
	s_wait_loadcnt 0x33
	v_mad_i32_i24 v68, v232, v39, v68
	v_add3_u32 v66, v66, v86, v87
	s_wait_loadcnt 0x30
	v_mul_i32_i24_e32 v134, v213, v3
	s_delay_alu instid0(VALU_DEP_3) | instskip(NEXT) | instid1(VALU_DEP_3)
	v_add3_u32 v68, v68, v78, v79
	v_add3_u32 v66, v66, v88, v89
	s_wait_loadcnt 0x2b
	v_mul_i32_i24_e32 v78, v248, v42
	s_wait_loadcnt 0x2a
	v_mul_i32_i24_e32 v79, v194, v43
	;; [unrolled: 2-line block ×4, first 2 shown]
	v_add3_u32 v66, v66, v90, v91
	v_mul_i32_i24_e32 v88, v254, v52
	v_add3_u32 v68, v68, v78, v79
	v_mul_i32_i24_e32 v133, v214, v65
	s_wait_loadcnt 0x23
	v_mul_i32_i24_e32 v86, v187, v50
	v_add3_u32 v66, v66, v93, v98
	s_wait_loadcnt 0x22
	v_mul_i32_i24_e32 v90, v164, v54
	v_add3_u32 v68, v68, v80, v81
	s_wait_loadcnt 0x1f
	v_mul_i32_i24_e32 v87, v255, v51
	v_mul_i32_i24_e32 v93, v182, v56
	v_add3_u32 v66, v66, v103, v104
	s_wait_loadcnt 0x1c
	v_mul_i32_i24_e32 v89, v253, v53
	v_add3_u32 v68, v68, v82, v83
	v_mul_i32_i24_e32 v91, v163, v55
	v_mul_i32_i24_e32 v98, v216, v0
	v_add3_u32 v66, v66, v105, v106
	v_mul_i32_i24_e32 v103, v168, v57
	v_add3_u32 v68, v68, v84, v85
	v_mul_i32_i24_e32 v104, v167, v58
	v_mul_i32_i24_e32 v105, v166, v59
	v_add3_u32 v66, v66, v107, v108
	v_mul_i32_i24_e32 v106, v165, v1
	v_add3_u32 v68, v68, v86, v87
	v_mul_i32_i24_e32 v107, v212, v60
	v_mul_i32_i24_e32 v108, v208, v61
	s_delay_alu instid0(VALU_DEP_3) | instskip(SKIP_1) | instid1(VALU_DEP_2)
	v_add3_u32 v68, v68, v88, v89
	v_mul_i32_i24_e32 v89, v23, v201
	v_add3_u32 v68, v68, v90, v91
	v_mul_i32_i24_e32 v91, v25, v198
	s_delay_alu instid0(VALU_DEP_2) | instskip(SKIP_2) | instid1(VALU_DEP_3)
	v_add3_u32 v68, v68, v93, v98
	v_mul_i32_i24_e32 v93, v26, v199
	v_mul_i32_i24_e32 v98, v27, v200
	v_add3_u32 v68, v68, v103, v104
	scratch_load_b32 v103, off, off offset:564 ; 4-byte Folded Reload
	v_mul_i32_i24_e32 v104, v29, v215
	scratch_load_b32 v215, off, off offset:268 ; 4-byte Folded Reload
	v_add3_u32 v68, v68, v105, v106
	s_clause 0x1
	scratch_load_b32 v105, off, off offset:1088
	scratch_load_b32 v106, off, off offset:460
	v_add3_u32 v68, v68, v107, v108
	v_mul_i32_i24_e32 v107, v32, v203
	s_wait_loadcnt 0x1c
	v_mul_i32_i24_e32 v78, v9, v183
	s_wait_loadcnt 0x1b
	v_mul_i32_i24_e32 v108, v33, v205
	s_wait_loadcnt 0x13
	v_mul_i32_i24_e32 v79, v10, v185
	s_wait_loadcnt 0x12
	v_mul_i32_i24_e32 v81, v12, v188
	s_wait_loadcnt 0x11
	v_mul_i32_i24_e32 v82, v13, v189
	s_wait_loadcnt 0x10
	v_mul_i32_i24_e32 v84, v15, v191
	s_wait_loadcnt 0xf
	v_mul_i32_i24_e32 v86, v17, v193
	s_wait_loadcnt 0xe
	v_mul_i32_i24_e32 v87, v21, v195
	s_wait_loadcnt 0xd
	v_mul_i32_i24_e32 v88, v22, v196
	s_wait_loadcnt 0xc
	v_mul_i32_i24_e32 v90, v24, v197
	s_wait_loadcnt 0xb
	v_mul_i32_i24_e32 v83, v14, v190
	s_wait_loadcnt 0xa
	v_mul_i32_i24_e32 v85, v16, v192
	s_wait_loadcnt 0x6
	v_mul_i32_i24_e32 v130, v100, v35
	scratch_load_b32 v100, off, off offset:188 ; 4-byte Folded Reload
	v_add3_u32 v66, v66, v109, v130
	v_mul_i32_i24_e32 v109, v207, v62
	v_mul_i32_i24_e32 v130, v206, v2
	s_delay_alu instid0(VALU_DEP_1)
	v_add3_u32 v68, v68, v109, v130
	v_mul_i32_i24_e32 v109, v34, v209
	v_mul_i32_i24_e32 v130, v35, v211
	s_wait_loadcnt 0x5
	v_mul_i32_i24_e32 v80, v11, v186
	s_wait_loadcnt 0x4
	;; [unrolled: 2-line block ×5, first 2 shown]
	v_mul_i32_i24_e32 v132, v100, v37
	scratch_load_b32 v100, off, off offset:868 ; 4-byte Folded Reload
	v_add3_u32 v66, v66, v131, v132
	v_mul_i32_i24_e32 v131, v220, v63
	v_mul_i32_i24_e32 v132, v219, v64
	s_delay_alu instid0(VALU_DEP_3)
	v_mul_lo_u32 v66, v66, v67
	s_wait_dscnt 0x0
	v_fma_mix_f32 v67, v224, v4, 0 op_sel:[0,1,0] op_sel_hi:[0,1,0]
	scratch_load_b32 v224, off, off offset:152 ; 4-byte Folded Reload
	v_add3_u32 v68, v68, v131, v132
	v_mul_i32_i24_e32 v131, v36, v215
	v_mul_i32_i24_e32 v132, v37, v217
	v_fma_mix_f32 v67, v223, v5, v67 op_sel:[0,1,0] op_sel_hi:[0,1,0]
	s_delay_alu instid0(VALU_DEP_4)
	v_add3_u32 v68, v68, v133, v134
	v_cvt_f32_i32_e32 v66, v66
	s_clause 0x1
	scratch_load_b32 v133, off, off offset:456
	scratch_load_b32 v134, off, off offset:476
	v_mul_lo_u32 v68, v68, v221
	v_fma_mix_f32 v66, v4, v66, 0 op_sel_hi:[1,0,0]
	s_delay_alu instid0(VALU_DEP_2) | instskip(NEXT) | instid1(VALU_DEP_1)
	v_cvt_f32_i32_e32 v68, v68
	v_fma_mix_f32 v66, v5, v68, v66 op_sel_hi:[1,0,0]
	v_mul_i32_i24_e32 v68, v20, v179
	s_wait_loadcnt 0x2
	v_mul_f32_e32 v67, v67, v224
	s_delay_alu instid0(VALU_DEP_1)
	v_fma_f32 v66, v66, v169, -v67
	scratch_load_b32 v67, off, off offset:744 ; 4-byte Folded Reload
	s_wait_loadcnt 0x2
	v_mul_i32_i24_e32 v133, v65, v133
	s_wait_loadcnt 0x1
	v_mul_i32_i24_e32 v134, v3, v134
	s_wait_loadcnt 0x0
	v_add_f32_e32 v67, v67, v66
	v_mul_i32_i24_e32 v66, v18, v100
	scratch_store_b32 off, v67, off offset:744 ; 4-byte Folded Spill
	v_mul_i32_i24_e32 v67, v19, v227
	v_mad_i32_i24 v66, v6, v178, v66
	s_delay_alu instid0(VALU_DEP_1) | instskip(SKIP_2) | instid1(VALU_DEP_1)
	v_add3_u32 v66, v66, v67, v68
	v_mul_i32_i24_e32 v67, v7, v180
	v_mul_i32_i24_e32 v68, v8, v181
	v_add3_u32 v66, v66, v67, v68
	s_clause 0x1
	scratch_load_b32 v67, off, off offset:580
	scratch_load_b32 v68, off, off offset:588
	v_add3_u32 v66, v66, v78, v79
	v_mul_i32_i24_e32 v78, v40, v230
	v_mul_i32_i24_e32 v79, v41, v210
	scratch_load_b32 v230, off, off offset:280 ; 4-byte Folded Reload
	v_add3_u32 v66, v66, v80, v81
	s_clause 0x1
	scratch_load_b32 v80, off, off offset:596
	scratch_load_b32 v81, off, off offset:600
	v_add3_u32 v66, v66, v82, v83
	v_mul_i32_i24_e32 v82, v46, v176
	scratch_load_b32 v176, off, off offset:108 ; 4-byte Folded Reload
	v_mul_i32_i24_e32 v83, v47, v222
	v_add3_u32 v66, v66, v84, v85
	s_clause 0x1
	scratch_load_b32 v84, off, off offset:604
	scratch_load_b32 v85, off, off offset:552
	v_add3_u32 v66, v66, v86, v87
	v_mul_i32_i24_e32 v86, v50, v239
	scratch_load_b32 v239, off, off offset:284 ; 4-byte Folded Reload
	v_add3_u32 v66, v66, v88, v89
	s_clause 0x1
	scratch_load_b32 v88, off, off offset:608
	scratch_load_b32 v89, off, off offset:612
	v_add3_u32 v66, v66, v90, v91
	v_mul_i32_i24_e32 v90, v54, v226
	scratch_load_b32 v226, off, off offset:144 ; 4-byte Folded Reload
	v_add3_u32 v66, v66, v93, v98
	s_clause 0x1
	scratch_load_b32 v93, off, off offset:568
	scratch_load_b32 v98, off, off offset:572
	v_add3_u32 v66, v66, v103, v104
	scratch_load_b32 v103, off, off offset:576 ; 4-byte Folded Reload
	v_mul_i32_i24_e32 v104, v58, v235
	v_add3_u32 v66, v66, v105, v106
	s_clause 0x1
	scratch_load_b32 v105, off, off offset:448
	scratch_load_b32 v106, off, off offset:464
	v_add3_u32 v66, v66, v107, v108
	scratch_load_b32 v107, off, off offset:468 ; 4-byte Folded Reload
	v_add3_u32 v66, v66, v109, v130
	s_clause 0x1
	scratch_load_b32 v109, off, off offset:452
	scratch_load_b32 v130, off, off offset:472
	v_add3_u32 v66, v66, v131, v132
	scratch_load_b32 v131, off, off offset:988 ; 4-byte Folded Reload
	v_mul_i32_i24_e32 v132, v64, v160
	s_wait_loadcnt 0x14
	v_mul_lo_u32 v66, v66, v67
	s_wait_loadcnt 0x13
	v_mul_i32_i24_e32 v68, v38, v68
	scratch_load_b32 v67, off, off offset:592 ; 4-byte Folded Reload
	s_wait_loadcnt 0x13
	v_mul_i32_i24_e32 v91, v55, v230
	v_cvt_f32_i32_e32 v66, v66
	s_wait_loadcnt 0x12
	v_mad_i32_i24 v68, v39, v80, v68
	scratch_load_b32 v80, off, off offset:584 ; 4-byte Folded Reload
	s_wait_loadcnt 0x12
	v_mul_i32_i24_e32 v81, v45, v81
	v_fma_mix_f32 v66, v4, v66, 0 op_sel_hi:[1,0,0]
	v_add3_u32 v68, v68, v78, v79
	scratch_load_b32 v78, off, off offset:548 ; 4-byte Folded Reload
	v_mul_i32_i24_e32 v79, v43, v218
	s_wait_loadcnt 0x12
	v_mul_i32_i24_e32 v87, v51, v176
	s_wait_loadcnt 0x11
	;; [unrolled: 2-line block ×16, first 2 shown]
	v_fma_mix_f32 v67, v67, v4, 0 op_sel:[0,1,0] op_sel_hi:[0,1,0]
	s_wait_loadcnt 0x1
	v_mul_i32_i24_e32 v80, v44, v80
	s_wait_loadcnt 0x0
	v_mul_i32_i24_e32 v78, v42, v78
	s_delay_alu instid0(VALU_DEP_1)
	v_add3_u32 v68, v68, v78, v79
	s_clause 0x1
	scratch_load_b32 v78, off, off offset:480
	scratch_load_b32 v79, off, off offset:36
	v_add3_u32 v68, v68, v80, v81
	s_clause 0x1
	scratch_load_b32 v80, off, off offset:40
	scratch_load_b32 v81, off, off offset:44
	v_add3_u32 v68, v68, v82, v83
	s_clause 0x1
	scratch_load_b32 v82, off, off offset:48
	scratch_load_b32 v83, off, off offset:52
	v_add3_u32 v68, v68, v84, v85
	s_clause 0x1
	scratch_load_b32 v84, off, off offset:56
	scratch_load_b32 v85, off, off offset:628
	v_add3_u32 v68, v68, v86, v87
	s_clause 0x1
	scratch_load_b32 v86, off, off offset:632
	scratch_load_b32 v87, off, off offset:636
	v_add3_u32 v68, v68, v88, v89
	scratch_load_b32 v89, off, off offset:1108 ; 4-byte Folded Reload
	v_mul_i32_i24_e32 v88, v22, v125
	scratch_load_b32 v125, off, off offset:532 th:TH_LOAD_LU ; 4-byte Folded Reload
	v_add3_u32 v68, v68, v90, v91
	v_mul_i32_i24_e32 v90, v24, v139
	v_mul_i32_i24_e32 v91, v25, v145
	s_clause 0x1
	scratch_load_b32 v145, off, off offset:496 th:TH_LOAD_LU
	scratch_load_b32 v139, off, off offset:504 th:TH_LOAD_LU
	v_add3_u32 v68, v68, v93, v98
	v_mul_i32_i24_e32 v93, v26, v99
	v_mul_i32_i24_e32 v98, v27, v146
	s_clause 0x1
	scratch_load_b32 v146, off, off offset:520 th:TH_LOAD_LU
	scratch_load_b32 v99, off, off offset:224
	v_add3_u32 v68, v68, v103, v104
	v_mul_i32_i24_e32 v104, v29, v70
	scratch_load_b32 v70, off, off offset:644 ; 4-byte Folded Reload
	v_add3_u32 v68, v68, v105, v106
	v_mul_i32_i24_e32 v105, v30, v173
	v_mul_i32_i24_e32 v106, v31, v174
	s_delay_alu instid0(VALU_DEP_3) | instskip(SKIP_1) | instid1(VALU_DEP_2)
	v_add3_u32 v68, v68, v107, v108
	v_mul_i32_i24_e32 v107, v32, v184
	v_add3_u32 v68, v68, v109, v130
	v_mul_i32_i24_e32 v109, v34, v177
	s_delay_alu instid0(VALU_DEP_2) | instskip(SKIP_2) | instid1(VALU_DEP_3)
	v_add3_u32 v68, v68, v131, v132
	v_mul_i32_i24_e32 v131, v36, v172
	v_mul_i32_i24_e32 v132, v37, v175
	v_add3_u32 v68, v68, v133, v134
	s_wait_loadcnt 0x10
	s_delay_alu instid0(VALU_DEP_1)
	v_mul_lo_u32 v68, v68, v78
	scratch_load_b32 v78, off, off offset:620 ; 4-byte Folded Reload
	s_wait_loadcnt 0x10
	v_mul_i32_i24_e32 v79, v10, v79
	s_wait_loadcnt 0xf
	v_mul_i32_i24_e32 v80, v11, v80
	s_wait_loadcnt 0xe
	v_mul_i32_i24_e32 v81, v12, v81
	v_cvt_f32_i32_e32 v68, v68
	s_wait_loadcnt 0xd
	v_mul_i32_i24_e32 v82, v13, v82
	s_wait_loadcnt 0xc
	v_mul_i32_i24_e32 v83, v14, v83
	v_fma_mix_f32 v66, v5, v68, v66 op_sel_hi:[1,0,0]
	scratch_load_b32 v68, off, off offset:640 ; 4-byte Folded Reload
	s_wait_loadcnt 0xc
	v_mul_i32_i24_e32 v84, v15, v84
	s_wait_loadcnt 0xb
	v_mul_i32_i24_e32 v85, v16, v85
	;; [unrolled: 2-line block ×7, first 2 shown]
	s_wait_loadcnt 0x0
	v_fma_mix_f32 v67, v68, v5, v67 op_sel:[0,1,0] op_sel_hi:[0,1,0]
	scratch_load_b32 v68, off, off offset:156 ; 4-byte Folded Reload
	s_wait_loadcnt 0x0
	v_mul_f32_e32 v67, v67, v68
	scratch_load_b32 v68, off, off offset:32 ; 4-byte Folded Reload
	v_fma_f32 v66, v66, v226, -v67
	scratch_load_b32 v67, off, off offset:740 ; 4-byte Folded Reload
	s_wait_loadcnt 0x1
	v_mul_i32_i24_e32 v68, v20, v68
	v_mul_i32_i24_e32 v20, v20, v145
	s_wait_loadcnt 0x0
	v_add_f32_e32 v67, v67, v66
	scratch_load_b32 v66, off, off offset:616 ; 4-byte Folded Reload
	scratch_store_b32 off, v67, off offset:740 ; 4-byte Folded Spill
	scratch_load_b32 v67, off, off offset:1092 ; 4-byte Folded Reload
	s_wait_loadcnt 0x1
	v_mul_i32_i24_e32 v66, v18, v66
	s_wait_loadcnt 0x0
	v_mul_i32_i24_e32 v67, v19, v67
	s_delay_alu instid0(VALU_DEP_2)
	v_mad_i32_i24 v66, v6, v78, v66
	scratch_load_b32 v78, off, off offset:624 ; 4-byte Folded Reload
	v_add3_u32 v66, v66, v67, v68
	s_clause 0x1
	scratch_load_b32 v67, off, off offset:180
	scratch_load_b32 v68, off, off offset:184
	s_wait_loadcnt 0x2
	v_mul_i32_i24_e32 v78, v9, v78
	s_wait_loadcnt 0x1
	v_mul_i32_i24_e32 v67, v7, v67
	;; [unrolled: 2-line block ×3, first 2 shown]
	s_delay_alu instid0(VALU_DEP_1)
	v_add3_u32 v66, v66, v67, v68
	v_mul_i32_i24_e32 v68, v38, v162
	s_clause 0x1
	scratch_load_b32 v67, off, off offset:656
	scratch_load_b32 v162, off, off offset:24
	v_add3_u32 v66, v66, v78, v79
	v_mad_i32_i24 v68, v39, v124, v68
	v_mov_b32_e32 v124, v73
	v_mul_i32_i24_e32 v130, v35, v129
	v_mul_i32_i24_e32 v78, v40, v171
	v_add3_u32 v66, v66, v80, v81
	v_mul_i32_i24_e32 v81, v45, v70
	scratch_load_b32 v70, off, off offset:648 ; 4-byte Folded Reload
	v_mul_i32_i24_e32 v80, v44, v128
	v_mov_b32_e32 v128, v155
	v_add3_u32 v66, v66, v82, v83
	v_mul_i32_i24_e32 v108, v33, v95
	v_mul_i32_i24_e32 v79, v41, v126
	s_clause 0x1
	scratch_load_b32 v155, off, off offset:1120 th:TH_LOAD_LU
	scratch_load_b32 v129, off, off offset:80
	v_add3_u32 v66, v66, v84, v85
	v_mul_i32_i24_e32 v85, v49, v156
	scratch_load_b32 v156, off, off offset:1124 th:TH_LOAD_LU ; 4-byte Folded Reload
	v_add3_u32 v68, v68, v78, v79
	v_mul_i32_i24_e32 v79, v43, v148
	v_add3_u32 v66, v66, v86, v87
	v_mul_i32_i24_e32 v84, v48, v154
	v_mul_i32_i24_e32 v86, v50, v157
	s_clause 0x1
	scratch_load_b32 v148, off, off offset:528 th:TH_LOAD_LU
	scratch_load_b32 v154, off, off offset:1116 th:TH_LOAD_LU
	v_add3_u32 v66, v66, v88, v89
	v_mul_i32_i24_e32 v89, v53, v150
	scratch_load_b32 v150, off, off offset:492 th:TH_LOAD_LU ; 4-byte Folded Reload
	v_mul_i32_i24_e32 v88, v52, v158
	scratch_load_b32 v158, off, off offset:232 ; 4-byte Folded Reload
	v_add3_u32 v66, v66, v90, v91
	v_mul_i32_i24_e32 v91, v55, v142
	v_mov_b32_e32 v142, v143
	v_mul_i32_i24_e32 v103, v28, v141
	scratch_load_b32 v157, off, off offset:1128 th:TH_LOAD_LU ; 4-byte Folded Reload
	v_add3_u32 v66, v66, v93, v98
	v_mul_i32_i24_e32 v78, v42, v127
	v_mul_i32_i24_e32 v87, v51, v110
	v_mul_i32_i24_e32 v93, v56, v140
	v_mul_i32_i24_e32 v18, v18, v142
	v_add3_u32 v66, v66, v103, v104
	v_add3_u32 v68, v68, v78, v79
	v_mul_i32_i24_e32 v103, v57, v138
	v_mov_b32_e32 v143, v147
	v_mad_i32_i24 v6, v6, v128, v18
	v_add3_u32 v66, v66, v105, v106
	v_add3_u32 v68, v68, v80, v81
	scratch_load_b32 v126, off, off offset:536 th:TH_LOAD_LU ; 4-byte Folded Reload
	v_mul_i32_i24_e32 v19, v19, v143
	scratch_load_b32 v127, off, off offset:76 ; 4-byte Folded Reload
	v_add3_u32 v66, v66, v107, v108
	s_clause 0x1
	scratch_load_b32 v138, off, off offset:500 th:TH_LOAD_LU
	scratch_load_b32 v140, off, off offset:508 th:TH_LOAD_LU
	v_add3_u32 v6, v6, v19, v20
	scratch_load_b32 v141, off, off offset:512 th:TH_LOAD_LU ; 4-byte Folded Reload
	v_add3_u32 v66, v66, v109, v130
	v_mul_i32_i24_e32 v19, v22, v149
	v_mul_i32_i24_e32 v22, v25, v152
	v_mov_b32_e32 v73, v74
	scratch_load_b32 v74, off, off offset:60 ; 4-byte Folded Reload
	v_add3_u32 v66, v66, v131, v132
	s_clause 0x2
	scratch_load_b32 v147, off, off offset:524 th:TH_LOAD_LU
	scratch_load_b32 v95, off, off offset:212
	scratch_load_b32 v110, off, off offset:1112 th:TH_LOAD_LU
	v_mul_lo_u32 v66, v66, v101
	scratch_load_b32 v101, off, off offset:96 ; 4-byte Folded Reload
	v_cvt_f32_i32_e32 v66, v66
	s_delay_alu instid0(VALU_DEP_1) | instskip(SKIP_2) | instid1(VALU_DEP_1)
	v_fma_mix_f32 v66, v4, v66, 0 op_sel_hi:[1,0,0]
	s_wait_loadcnt 0x14
	v_fma_mix_f32 v67, v67, v4, 0 op_sel:[0,1,0] op_sel_hi:[0,1,0]
	v_fma_mix_f32 v67, v136, v5, v67 op_sel:[0,1,0] op_sel_hi:[0,1,0]
	scratch_load_b32 v136, off, off offset:88 ; 4-byte Folded Reload
	s_wait_loadcnt 0x13
	v_mul_i32_i24_e32 v82, v46, v70
	scratch_load_b32 v70, off, off offset:652 ; 4-byte Folded Reload
	v_mul_f32_e32 v67, v67, v137
	scratch_load_b32 v137, off, off offset:92 ; 4-byte Folded Reload
	s_wait_loadcnt 0x14
	v_mul_i32_i24_e32 v25, v28, v155
	s_wait_loadcnt 0x13
	v_mul_i32_i24_e32 v7, v7, v129
	;; [unrolled: 2-line block ×3, first 2 shown]
	v_mul_i32_i24_e32 v21, v24, v151
	s_wait_loadcnt 0x10
	v_mul_i32_i24_e32 v24, v27, v154
	s_wait_loadcnt 0xf
	v_mul_i32_i24_e32 v20, v23, v150
	v_mul_i32_i24_e32 v23, v26, v153
	;; [unrolled: 1-line block ×5, first 2 shown]
	scratch_load_b32 v75, off, off offset:64 ; 4-byte Folded Reload
	s_wait_loadcnt 0xf
	v_mul_i32_i24_e32 v28, v31, v158
	v_mul_i32_i24_e32 v31, v34, v76
	scratch_load_b32 v76, off, off offset:68 ; 4-byte Folded Reload
	s_wait_loadcnt 0xf
	v_mul_i32_i24_e32 v27, v30, v157
	v_mul_i32_i24_e32 v34, v37, v71
	scratch_load_b32 v71, off, off offset:28 ; 4-byte Folded Reload
	s_wait_loadcnt 0xd
	v_mul_i32_i24_e32 v11, v11, v138
	s_wait_loadcnt 0xc
	v_mul_i32_i24_e32 v13, v13, v140
	;; [unrolled: 2-line block ×5, first 2 shown]
	v_mul_i32_i24_e32 v0, v0, v111
	s_wait_loadcnt 0x5
	v_mul_i32_i24_e32 v9, v9, v136
	s_wait_loadcnt 0x4
	v_mul_i32_i24_e32 v83, v47, v70
	scratch_load_b32 v70, off, off offset:136 ; 4-byte Folded Reload
	s_wait_loadcnt 0x4
	v_mul_i32_i24_e32 v10, v10, v137
	v_add3_u32 v68, v68, v82, v83
	s_delay_alu instid0(VALU_DEP_1) | instskip(NEXT) | instid1(VALU_DEP_1)
	v_add3_u32 v68, v68, v84, v85
	v_add3_u32 v68, v68, v86, v87
	s_delay_alu instid0(VALU_DEP_1) | instskip(SKIP_4) | instid1(VALU_DEP_1)
	v_add3_u32 v68, v68, v88, v89
	s_wait_loadcnt 0x0
	v_mul_i32_i24_e32 v90, v54, v70
	scratch_load_b32 v70, off, off offset:8 ; 4-byte Folded Reload
	v_add3_u32 v68, v68, v90, v91
	v_add3_u32 v68, v68, v93, v98
	s_wait_loadcnt 0x0
	v_mul_i32_i24_e32 v104, v58, v70
	scratch_load_b32 v70, off, off offset:124 ; 4-byte Folded Reload
	v_add3_u32 v68, v68, v103, v104
	s_wait_loadcnt 0x0
	v_mul_i32_i24_e32 v105, v59, v70
	scratch_load_b32 v70, off, off offset:128 ; 4-byte Folded Reload
	s_wait_loadcnt 0x0
	v_mul_i32_i24_e32 v106, v1, v70
	scratch_load_b32 v70, off, off offset:132 ; 4-byte Folded Reload
	v_mul_i32_i24_e32 v1, v1, v115
	v_add3_u32 v68, v68, v105, v106
	s_wait_loadcnt 0x0
	v_mul_i32_i24_e32 v107, v60, v70
	scratch_load_b32 v70, off, off offset:544 ; 4-byte Folded Reload
	s_wait_loadcnt 0x0
	v_mul_i32_i24_e32 v108, v61, v70
	scratch_load_b32 v70, off, off offset:540 ; 4-byte Folded Reload
	v_add3_u32 v68, v68, v107, v108
	s_wait_loadcnt 0x0
	v_mul_i32_i24_e32 v109, v62, v70
	scratch_load_b32 v70, off, off offset:116 ; 4-byte Folded Reload
	s_wait_loadcnt 0x0
	v_mul_i32_i24_e32 v130, v2, v70
	scratch_load_b32 v70, off, off offset:120 ; 4-byte Folded Reload
	v_mul_i32_i24_e32 v2, v2, v119
	v_add3_u32 v68, v68, v109, v130
	s_wait_loadcnt 0x0
	v_mul_i32_i24_e32 v131, v63, v70
	scratch_load_b32 v70, off, off offset:16 ; 4-byte Folded Reload
	s_wait_loadcnt 0x0
	v_mul_i32_i24_e32 v132, v64, v70
	scratch_load_b32 v70, off, off offset:12 ; 4-byte Folded Reload
	v_add3_u32 v68, v68, v131, v132
	s_wait_loadcnt 0x0
	v_mul_i32_i24_e32 v133, v65, v70
	scratch_load_b32 v70, off, off offset:20 ; 4-byte Folded Reload
	s_wait_loadcnt 0x0
	v_mul_i32_i24_e32 v134, v3, v70
	scratch_load_b32 v70, off, off offset:244 ; 4-byte Folded Reload
	v_mul_i32_i24_e32 v3, v3, v123
	v_add3_u32 v68, v68, v133, v134
	s_delay_alu instid0(VALU_DEP_1) | instskip(SKIP_2) | instid1(VALU_DEP_1)
	v_mul_lo_u32 v68, v68, v135
	scratch_load_b32 v135, off, off offset:84 ; 4-byte Folded Reload
	v_cvt_f32_i32_e32 v68, v68
	v_fma_mix_f32 v66, v5, v68, v66 op_sel_hi:[1,0,0]
	s_delay_alu instid0(VALU_DEP_1)
	v_fma_f32 v66, v66, v144, -v67
	s_clause 0x1
	scratch_load_b32 v67, off, off offset:736
	scratch_load_b32 v144, off, off offset:516 th:TH_LOAD_LU
	s_wait_loadcnt 0x3
	v_mul_i32_i24_e32 v30, v33, v70
	v_mul_i32_i24_e32 v33, v36, v77
	scratch_load_b32 v77, off, off offset:72 ; 4-byte Folded Reload
	s_wait_loadcnt 0x3
	v_mul_i32_i24_e32 v8, v8, v135
	s_delay_alu instid0(VALU_DEP_1) | instskip(SKIP_2) | instid1(VALU_DEP_3)
	v_add3_u32 v6, v6, v7, v8
	v_mul_i32_i24_e32 v7, v38, v125
	v_mul_i32_i24_e32 v8, v40, v126
	v_add3_u32 v6, v6, v9, v10
	v_mul_i32_i24_e32 v9, v41, v127
	s_delay_alu instid0(VALU_DEP_4) | instskip(SKIP_1) | instid1(VALU_DEP_4)
	v_mad_i32_i24 v7, v39, v124, v7
	v_mul_i32_i24_e32 v10, v44, v74
	v_add3_u32 v6, v6, v11, v12
	v_mul_i32_i24_e32 v11, v45, v76
	s_delay_alu instid0(VALU_DEP_4)
	v_add3_u32 v7, v7, v8, v9
	v_mul_i32_i24_e32 v8, v42, v73
	v_mul_i32_i24_e32 v9, v43, v75
	s_wait_loadcnt 0x1
	v_mul_i32_i24_e32 v15, v15, v144
	v_add3_u32 v6, v6, v13, v14
	v_mul_i32_i24_e32 v13, v47, v94
	v_mul_i32_i24_e32 v14, v48, v92
	v_add3_u32 v7, v7, v8, v9
	v_add_f32_e32 v67, v67, v66
	v_add3_u32 v6, v6, v15, v16
	v_mul_i32_i24_e32 v15, v49, v95
	v_mul_i32_i24_e32 v16, v50, v96
	v_add3_u32 v7, v7, v10, v11
	s_delay_alu instid0(VALU_DEP_4) | instskip(SKIP_2) | instid1(VALU_DEP_3)
	v_add3_u32 v6, v6, v17, v18
	v_mul_i32_i24_e32 v17, v51, v99
	v_mul_i32_i24_e32 v18, v52, v97
	v_add3_u32 v6, v6, v19, v20
	v_mul_i32_i24_e32 v19, v53, v225
	v_mul_i32_i24_e32 v20, v54, v247
	s_delay_alu instid0(VALU_DEP_3) | instskip(SKIP_2) | instid1(VALU_DEP_3)
	v_add3_u32 v6, v6, v21, v22
	v_mul_i32_i24_e32 v21, v55, v110
	v_mul_i32_i24_e32 v22, v56, v102
	v_add3_u32 v6, v6, v23, v24
	v_mul_i32_i24_e32 v23, v57, v112
	v_mul_i32_i24_e32 v24, v58, v114
	s_delay_alu instid0(VALU_DEP_3) | instskip(SKIP_2) | instid1(VALU_DEP_3)
	;; [unrolled: 7-line block ×3, first 2 shown]
	v_add3_u32 v6, v6, v29, v30
	v_mul_i32_i24_e32 v29, v63, v120
	v_mul_i32_i24_e32 v30, v64, v122
	v_add3_u32 v6, v6, v31, v32
	v_mul_i32_i24_e32 v31, v65, v121
	s_delay_alu instid0(VALU_DEP_2) | instskip(NEXT) | instid1(VALU_DEP_1)
	v_add3_u32 v6, v6, v33, v34
	v_mul_lo_u32 v6, v6, v159
	s_delay_alu instid0(VALU_DEP_1) | instskip(NEXT) | instid1(VALU_DEP_1)
	v_cvt_f32_i32_e32 v6, v6
	v_fma_mix_f32 v6, v4, v6, 0 op_sel_hi:[1,0,0]
	v_fma_mix_f32 v4, v161, v4, 0 op_sel:[0,1,0] op_sel_hi:[0,1,0]
	s_wait_loadcnt 0x0
	v_mul_i32_i24_e32 v12, v46, v77
	s_delay_alu instid0(VALU_DEP_1) | instskip(NEXT) | instid1(VALU_DEP_1)
	v_add3_u32 v7, v7, v12, v13
	v_add3_u32 v7, v7, v14, v15
	s_delay_alu instid0(VALU_DEP_1) | instskip(NEXT) | instid1(VALU_DEP_1)
	v_add3_u32 v7, v7, v16, v17
	v_add3_u32 v7, v7, v18, v19
	;; [unrolled: 3-line block ×4, first 2 shown]
	v_fma_mix_f32 v1, v71, v5, v4 op_sel:[0,1,0] op_sel_hi:[0,1,0]
	s_delay_alu instid0(VALU_DEP_2) | instskip(NEXT) | instid1(VALU_DEP_2)
	v_add3_u32 v0, v0, v26, v27
	v_mul_f32_e32 v1, v1, v162
	s_delay_alu instid0(VALU_DEP_2) | instskip(SKIP_2) | instid1(VALU_DEP_1)
	v_add3_u32 v0, v0, v28, v2
	scratch_load_b32 v2, off, off           ; 4-byte Folded Reload
	v_add3_u32 v0, v0, v29, v30
	v_add3_u32 v0, v0, v31, v3
	s_delay_alu instid0(VALU_DEP_1) | instskip(NEXT) | instid1(VALU_DEP_1)
	v_mul_lo_u32 v0, v0, v72
	v_cvt_f32_i32_e32 v0, v0
	s_delay_alu instid0(VALU_DEP_1) | instskip(SKIP_1) | instid1(VALU_DEP_1)
	v_fma_mix_f32 v0, v5, v0, v6 op_sel_hi:[1,0,0]
	s_wait_loadcnt 0x0
	v_fma_f32 v0, v0, v2, -v1
	scratch_load_b32 v1, off, off offset:732 ; 4-byte Folded Reload
	s_wait_loadcnt 0x0
	v_add_f32_e32 v1, v1, v0
	scratch_load_b32 v0, off, off offset:1272 ; 4-byte Folded Reload
	s_clause 0x1
	scratch_store_b32 off, v67, off offset:736
	scratch_store_b32 off, v1, off offset:732
	s_wait_loadcnt 0x0
	v_or_b32_e32 v0, s12, v0
	s_delay_alu instid0(VALU_DEP_1)
	v_lshlrev_b32_e32 v1, 2, v0
	v_lshrrev_b32_e32 v11, 1, v0
	ds_load_b128 v[24:27], v1 offset:16896
	ds_load_b128 v[38:41], v1 offset:16912
	;; [unrolled: 1-line block ×4, first 2 shown]
	s_clause 0x5
	scratch_load_b32 v66, off, off offset:176
	scratch_load_b32 v68, off, off offset:168
	;; [unrolled: 1-line block ×6, first 2 shown]
	ds_load_b64 v[11:12], v11 offset:27200
	s_wait_dscnt 0x4
	v_bfe_i32 v22, v24, 0, 8
	s_wait_dscnt 0x3
	v_ashrrev_i32_e32 v37, 24, v40
	v_bfe_i32 v8, v24, 8, 8
	v_bfe_i32 v23, v24, 16, 8
	v_ashrrev_i32_e32 v24, 24, v24
	v_bfe_i32 v10, v25, 8, 8
	v_mul_i32_i24_e32 v108, v204, v37
	scratch_load_b32 v204, off, off offset:1208 th:TH_LOAD_LU ; 4-byte Folded Reload
	v_bfe_i32 v13, v25, 16, 8
	v_ashrrev_i32_e32 v14, 24, v25
	v_bfe_i32 v9, v25, 0, 8
	v_bfe_i32 v15, v26, 0, 8
	v_ashrrev_i32_e32 v25, 24, v27
	v_mul_i32_i24_e32 v78, v231, v13
	v_mul_i32_i24_e32 v79, v229, v14
	s_clause 0x1
	scratch_load_b32 v231, off, off offset:1004 th:TH_LOAD_LU
	scratch_load_b32 v229, off, off offset:1000 th:TH_LOAD_LU
	v_bfe_i32 v16, v26, 8, 8
	v_bfe_i32 v17, v26, 16, 8
	v_mul_i32_i24_e32 v80, v240, v15
	v_mul_i32_i24_e32 v87, v243, v25
	s_clause 0x1
	scratch_load_b32 v243, off, off offset:1244 th:TH_LOAD_LU
	scratch_load_b32 v240, off, off offset:1236 th:TH_LOAD_LU
	v_bfe_i32 v20, v27, 8, 8
	v_bfe_i32 v21, v27, 16, 8
	v_mul_i32_i24_e32 v81, v238, v16
	v_mul_i32_i24_e32 v82, v237, v17
	s_clause 0x1
	scratch_load_b32 v237, off, off offset:1228 th:TH_LOAD_LU
	scratch_load_b32 v238, off, off offset:1232 th:TH_LOAD_LU
	v_mul_i32_i24_e32 v85, v245, v20
	v_mul_i32_i24_e32 v86, v244, v21
	s_clause 0x1
	scratch_load_b32 v245, off, off offset:1012 th:TH_LOAD_LU
	scratch_load_b32 v244, off, off offset:1240 th:TH_LOAD_LU
	v_bfe_i32 v19, v27, 0, 8
	v_ashrrev_i32_e32 v18, 24, v26
	s_wait_dscnt 0x2
	v_bfe_i32 v51, v4, 0, 8
	v_bfe_i32 v42, v4, 8, 8
	;; [unrolled: 1-line block ×3, first 2 shown]
	v_mul_i32_i24_e32 v84, v246, v19
	scratch_load_b32 v246, off, off offset:1188 th:TH_LOAD_LU ; 4-byte Folded Reload
	v_mul_i32_i24_e32 v83, v236, v18
	scratch_load_b32 v236, off, off offset:1224 th:TH_LOAD_LU ; 4-byte Folded Reload
	v_ashrrev_i32_e32 v53, 24, v4
	v_bfe_i32 v4, v5, 0, 8
	v_bfe_i32 v43, v5, 8, 8
	v_bfe_i32 v44, v5, 16, 8
	v_ashrrev_i32_e32 v5, 24, v5
	v_bfe_i32 v45, v6, 0, 8
	v_bfe_i32 v46, v6, 8, 8
	v_bfe_i32 v47, v6, 16, 8
	;; [unrolled: 4-line block ×3, first 2 shown]
	v_bfe_i32 v49, v7, 8, 8
	v_bfe_i32 v28, v38, 16, 8
	v_ashrrev_i32_e32 v29, 24, v38
	v_bfe_i32 v50, v7, 16, 8
	v_ashrrev_i32_e32 v7, 24, v7
	v_bfe_i32 v30, v39, 0, 8
	v_bfe_i32 v31, v39, 8, 8
	s_wait_dscnt 0x1
	v_bfe_i32 v54, v0, 0, 8
	v_bfe_i32 v55, v0, 8, 8
	;; [unrolled: 1-line block ×3, first 2 shown]
	v_ashrrev_i32_e32 v33, 24, v39
	v_bfe_i32 v56, v0, 16, 8
	v_ashrrev_i32_e32 v0, 24, v0
	v_bfe_i32 v34, v40, 0, 8
	v_bfe_i32 v35, v40, 8, 8
	v_bfe_i32 v57, v1, 0, 8
	v_bfe_i32 v58, v1, 8, 8
	v_bfe_i32 v36, v40, 16, 8
	v_bfe_i32 v59, v1, 16, 8
	v_ashrrev_i32_e32 v1, 24, v1
	v_bfe_i32 v38, v41, 0, 8
	v_bfe_i32 v39, v41, 8, 8
	;; [unrolled: 1-line block ×5, first 2 shown]
	v_ashrrev_i32_e32 v41, 24, v41
	v_bfe_i32 v62, v2, 16, 8
	v_ashrrev_i32_e32 v2, 24, v2
	v_bfe_i32 v63, v3, 0, 8
	v_bfe_i32 v64, v3, 8, 8
	;; [unrolled: 1-line block ×3, first 2 shown]
	v_ashrrev_i32_e32 v3, 24, v3
	s_delay_alu instid0(VALU_DEP_2) | instskip(NEXT) | instid1(VALU_DEP_2)
	v_mul_i32_i24_e32 v133, v214, v65
	v_mul_i32_i24_e32 v134, v213, v3
	s_clause 0x1
	scratch_load_b32 v214, off, off offset:696 th:TH_LOAD_LU
	scratch_load_b32 v213, off, off offset:692 th:TH_LOAD_LU
	s_wait_loadcnt 0x12
	v_mul_i32_i24_e32 v66, v66, v22
	s_wait_loadcnt 0x11
	v_mul_i32_i24_e32 v68, v68, v24
	;; [unrolled: 2-line block ×6, first 2 shown]
	v_mad_i32_i24 v66, v228, v8, v66
	scratch_load_b32 v228, off, off offset:1016 th:TH_LOAD_LU ; 4-byte Folded Reload
	v_add3_u32 v66, v66, v67, v68
	v_mul_i32_i24_e32 v68, v233, v10
	scratch_load_b32 v233, off, off offset:1008 th:TH_LOAD_LU ; 4-byte Folded Reload
	v_mul_i32_i24_e32 v67, v234, v9
	scratch_load_b32 v234, off, off offset:1212 th:TH_LOAD_LU ; 4-byte Folded Reload
	v_add3_u32 v66, v66, v67, v68
	scratch_load_b32 v67, off, off offset:196 ; 4-byte Folded Reload
	s_wait_loadcnt 0x10
	v_mul_i32_i24_e32 v68, v204, v51
	v_add3_u32 v66, v66, v78, v79
	v_mul_i32_i24_e32 v78, v170, v52
	v_mul_i32_i24_e32 v79, v202, v53
	scratch_load_b32 v170, off, off offset:156 ; 4-byte Folded Reload
	v_mad_i32_i24 v68, v232, v42, v68
	v_add3_u32 v66, v66, v80, v81
	v_mul_i32_i24_e32 v80, v242, v44
	v_mul_i32_i24_e32 v81, v241, v5
	s_wait_loadcnt 0x10
	v_mul_i32_i24_e32 v90, v231, v28
	v_add3_u32 v68, v68, v78, v79
	v_mul_i32_i24_e32 v78, v248, v4
	v_mul_i32_i24_e32 v79, v194, v43
	v_add3_u32 v66, v66, v82, v83
	v_mul_i32_i24_e32 v82, v252, v45
	v_mul_i32_i24_e32 v83, v251, v46
	s_wait_loadcnt 0xf
	v_mul_i32_i24_e32 v91, v229, v29
	v_add3_u32 v68, v68, v78, v79
	v_add3_u32 v66, v66, v84, v85
	v_mul_i32_i24_e32 v84, v250, v47
	v_mul_i32_i24_e32 v85, v249, v6
	s_wait_loadcnt 0xe
	v_mul_i32_i24_e32 v93, v243, v30
	v_add3_u32 v68, v68, v80, v81
	;; [unrolled: 6-line block ×3, first 2 shown]
	s_wait_loadcnt 0xc
	v_mul_i32_i24_e32 v103, v237, v32
	s_wait_loadcnt 0xb
	v_mul_i32_i24_e32 v104, v238, v33
	;; [unrolled: 2-line block ×4, first 2 shown]
	v_add3_u32 v68, v68, v84, v85
	s_wait_loadcnt 0x8
	v_mul_i32_i24_e32 v131, v246, v40
	v_mul_i32_i24_e32 v79, v14, v185
	scratch_load_b32 v185, off, off offset:1220 th:TH_LOAD_LU ; 4-byte Folded Reload
	v_mul_i32_i24_e32 v80, v15, v186
	v_add3_u32 v68, v68, v86, v87
	scratch_load_b32 v186, off, off offset:1088 th:TH_LOAD_LU ; 4-byte Folded Reload
	v_mul_i32_i24_e32 v82, v17, v189
	scratch_load_b32 v189, off, off offset:588 th:TH_LOAD_LU ; 4-byte Folded Reload
	v_mul_i32_i24_e32 v78, v13, v183
	v_mul_i32_i24_e32 v81, v16, v188
	;; [unrolled: 1-line block ×3, first 2 shown]
	scratch_load_b32 v192, off, off offset:600 th:TH_LOAD_LU ; 4-byte Folded Reload
	v_mul_i32_i24_e32 v83, v18, v190
	v_mul_i32_i24_e32 v84, v19, v191
	scratch_load_b32 v194, off, off offset:552 th:TH_LOAD_LU ; 4-byte Folded Reload
	v_mul_i32_i24_e32 v86, v21, v193
	v_mul_i32_i24_e32 v87, v25, v195
	s_clause 0x10
	scratch_load_b32 v190, off, off offset:464 th:TH_LOAD_LU
	scratch_load_b32 v183, off, off offset:468 th:TH_LOAD_LU
	;; [unrolled: 1-line block ×17, first 2 shown]
	s_wait_loadcnt 0x1a
	v_mul_i32_i24_e32 v88, v228, v26
	s_wait_loadcnt 0x19
	v_mul_i32_i24_e32 v89, v233, v27
	;; [unrolled: 2-line block ×3, first 2 shown]
	s_delay_alu instid0(VALU_DEP_2)
	v_add3_u32 v66, v66, v88, v89
	v_mul_i32_i24_e32 v88, v254, v50
	v_mul_i32_i24_e32 v89, v253, v7
	s_clause 0x1
	scratch_load_b32 v253, off, off offset:1144 th:TH_LOAD_LU
	scratch_load_b32 v254, off, off offset:1148 th:TH_LOAD_LU
	v_add3_u32 v66, v66, v90, v91
	v_mul_i32_i24_e32 v90, v164, v54
	v_mul_i32_i24_e32 v91, v163, v55
	v_add3_u32 v68, v68, v88, v89
	scratch_load_b32 v164, off, off offset:564 th:TH_LOAD_LU ; 4-byte Folded Reload
	v_add3_u32 v66, v66, v93, v98
	v_mul_i32_i24_e32 v93, v182, v56
	v_mul_i32_i24_e32 v98, v216, v0
	v_add3_u32 v68, v68, v90, v91
	v_mul_i32_i24_e32 v88, v26, v196
	v_add3_u32 v66, v66, v103, v104
	v_mul_i32_i24_e32 v103, v168, v57
	v_mul_i32_i24_e32 v104, v167, v58
	v_add3_u32 v68, v68, v93, v98
	v_mul_i32_i24_e32 v98, v31, v200
	v_add3_u32 v66, v66, v105, v106
	v_mul_i32_i24_e32 v105, v166, v59
	v_mul_i32_i24_e32 v106, v165, v1
	v_add3_u32 v68, v68, v103, v104
	scratch_load_b32 v200, off, off offset:460 th:TH_LOAD_LU ; 4-byte Folded Reload
	v_add3_u32 v66, v66, v107, v108
	v_mul_i32_i24_e32 v107, v212, v60
	v_mul_i32_i24_e32 v108, v208, v61
	v_add3_u32 v68, v68, v105, v106
	scratch_load_b32 v165, off, off offset:596 th:TH_LOAD_LU ; 4-byte Folded Reload
	;; [unrolled: 5-line block ×4, first 2 shown]
	s_wait_loadcnt 0x1e
	v_mul_lo_u32 v66, v66, v67
	s_wait_dscnt 0x0
	v_fma_mix_f32 v67, v236, v11, 0 op_sel:[0,1,0] op_sel_hi:[0,1,0]
	v_mul_i32_i24_e32 v89, v27, v201
	v_add3_u32 v68, v68, v131, v132
	s_clause 0x1
	scratch_load_b32 v168, off, off offset:608 th:TH_LOAD_LU
	scratch_load_b32 v196, off, off offset:612 th:TH_LOAD_LU
	v_fma_mix_f32 v67, v223, v12, v67 op_sel:[0,1,0] op_sel_hi:[0,1,0]
	v_mul_i32_i24_e32 v90, v28, v197
	v_add3_u32 v68, v68, v133, v134
	v_cvt_f32_i32_e32 v66, v66
	v_mul_i32_i24_e32 v91, v29, v198
	v_mul_f32_e32 v67, v67, v224
	v_mul_i32_i24_e32 v93, v30, v199
	v_mul_lo_u32 v68, v68, v221
	v_fma_mix_f32 v66, v11, v66, 0 op_sel_hi:[1,0,0]
	scratch_load_b32 v198, off, off offset:572 th:TH_LOAD_LU ; 4-byte Folded Reload
	s_wait_loadcnt 0x1f
	v_mul_i32_i24_e32 v104, v33, v185
	scratch_load_b32 v182, off, off offset:576 th:TH_LOAD_LU ; 4-byte Folded Reload
	s_wait_loadcnt 0x1f
	v_mul_i32_i24_e32 v105, v34, v186
	v_mul_i32_i24_e32 v107, v36, v203
	v_mul_i32_i24_e32 v108, v37, v205
	v_cvt_f32_i32_e32 v68, v68
	v_mul_i32_i24_e32 v109, v38, v209
	v_mul_i32_i24_e32 v130, v39, v211
	scratch_load_b32 v163, off, off offset:452 th:TH_LOAD_LU ; 4-byte Folded Reload
	v_mul_i32_i24_e32 v131, v40, v215
	v_fma_mix_f32 v66, v12, v68, v66 op_sel_hi:[1,0,0]
	v_mul_i32_i24_e32 v68, v24, v179
	scratch_load_b32 v179, off, off offset:548 th:TH_LOAD_LU ; 4-byte Folded Reload
	v_mul_i32_i24_e32 v132, v41, v217
	scratch_load_b32 v197, off, off offset:480 th:TH_LOAD_LU ; 4-byte Folded Reload
	v_fma_f32 v66, v66, v169, -v67
	s_clause 0x2
	scratch_load_b32 v67, off, off offset:728
	scratch_load_b32 v169, off, off offset:568 th:TH_LOAD_LU
	scratch_load_b32 v199, off, off offset:640 th:TH_LOAD_LU
	s_wait_loadcnt 0x1d
	v_mul_i32_i24_e32 v134, v3, v195
	s_clause 0x10
	scratch_load_b32 v201, off, off offset:616 th:TH_LOAD_LU
	scratch_load_b32 v217, off, off offset:1132 th:TH_LOAD_LU
	;; [unrolled: 1-line block ×16, first 2 shown]
	scratch_load_b32 v221, off, off offset:160
	s_wait_loadcnt 0x1f
	v_mul_i32_i24_e32 v103, v32, v164
	s_wait_loadcnt 0x1e
	v_mul_i32_i24_e32 v106, v35, v200
	s_wait_loadcnt 0x13
	v_add_f32_e32 v67, v67, v66
	v_mul_i32_i24_e32 v66, v22, v100
	scratch_load_b32 v100, off, off offset:448 th:TH_LOAD_LU ; 4-byte Folded Reload
	scratch_store_b32 off, v67, off offset:728 ; 4-byte Folded Spill
	v_mul_i32_i24_e32 v67, v23, v227
	v_mad_i32_i24 v66, v8, v178, v66
	s_clause 0x1
	scratch_load_b32 v178, off, off offset:996 th:TH_LOAD_LU
	scratch_load_b32 v227, off, off offset:540 th:TH_LOAD_LU
	v_add3_u32 v66, v66, v67, v68
	v_mul_i32_i24_e32 v67, v9, v180
	v_mul_i32_i24_e32 v68, v10, v181
	s_clause 0x1
	scratch_load_b32 v180, off, off offset:1192 th:TH_LOAD_LU
	scratch_load_b32 v181, off, off offset:1156 th:TH_LOAD_LU
	v_add3_u32 v66, v66, v67, v68
	v_mul_i32_i24_e32 v68, v51, v189
	v_fma_mix_f32 v67, v188, v11, 0 op_sel:[0,1,0] op_sel_hi:[0,1,0]
	s_delay_alu instid0(VALU_DEP_3) | instskip(SKIP_1) | instid1(VALU_DEP_4)
	v_add3_u32 v66, v66, v78, v79
	v_mul_i32_i24_e32 v79, v53, v210
	v_mad_i32_i24 v68, v42, v165, v68
	s_wait_loadcnt 0x16
	v_fma_mix_f32 v67, v199, v12, v67 op_sel:[0,1,0] op_sel_hi:[0,1,0]
	scratch_load_b32 v210, off, off offset:652 th:TH_LOAD_LU ; 4-byte Folded Reload
	v_add3_u32 v66, v66, v80, v81
	v_mul_i32_i24_e32 v80, v44, v166
	v_mul_i32_i24_e32 v81, v5, v192
	v_mul_f32_e32 v67, v67, v170
	s_delay_alu instid0(VALU_DEP_4)
	v_add3_u32 v66, v66, v82, v83
	v_mul_i32_i24_e32 v83, v46, v222
	scratch_load_b32 v222, off, off offset:1092 th:TH_LOAD_LU ; 4-byte Folded Reload
	v_add3_u32 v66, v66, v84, v85
	v_mul_i32_i24_e32 v84, v47, v167
	v_mul_i32_i24_e32 v85, v6, v194
	s_delay_alu instid0(VALU_DEP_3)
	v_add3_u32 v66, v66, v86, v87
	v_mul_i32_i24_e32 v87, v49, v176
	scratch_load_b32 v176, off, off offset:1160 th:TH_LOAD_LU ; 4-byte Folded Reload
	v_add3_u32 v66, v66, v88, v89
	v_mul_i32_i24_e32 v88, v50, v168
	v_mul_i32_i24_e32 v89, v7, v196
	s_delay_alu instid0(VALU_DEP_3)
	;; [unrolled: 7-line block ×3, first 2 shown]
	v_add3_u32 v66, v66, v103, v104
	v_mul_i32_i24_e32 v103, v57, v182
	v_mul_i32_i24_e32 v104, v58, v235
	scratch_load_b32 v235, off, off offset:116 th:TH_LOAD_LU ; 4-byte Folded Reload
	v_add3_u32 v66, v66, v105, v106
	v_mul_i32_i24_e32 v106, v1, v190
	s_delay_alu instid0(VALU_DEP_2)
	v_add3_u32 v66, v66, v107, v108
	v_mul_i32_i24_e32 v107, v60, v183
	v_mul_i32_i24_e32 v108, v61, v239
	scratch_load_b32 v239, off, off offset:120 th:TH_LOAD_LU ; 4-byte Folded Reload
	v_add3_u32 v66, v66, v109, v130
	v_mul_i32_i24_e32 v109, v62, v163
	v_mul_i32_i24_e32 v130, v2, v191
	s_delay_alu instid0(VALU_DEP_3) | instskip(SKIP_4) | instid1(VALU_DEP_1)
	v_add3_u32 v66, v66, v131, v132
	v_mul_i32_i24_e32 v132, v64, v160
	scratch_load_b32 v160, off, off offset:456 th:TH_LOAD_LU ; 4-byte Folded Reload
	v_mul_i32_i24_e32 v131, v63, v193
	v_mul_lo_u32 v66, v66, v187
	v_cvt_f32_i32_e32 v66, v66
	s_delay_alu instid0(VALU_DEP_1) | instskip(SKIP_4) | instid1(VALU_DEP_1)
	v_fma_mix_f32 v66, v11, v66, 0 op_sel_hi:[1,0,0]
	s_wait_loadcnt 0xb
	v_mul_i32_i24_e32 v105, v59, v100
	s_wait_loadcnt 0xa
	v_mul_i32_i24_e32 v78, v52, v178
	v_add3_u32 v68, v68, v78, v79
	v_mul_i32_i24_e32 v78, v4, v179
	v_mul_i32_i24_e32 v79, v43, v218
	s_wait_loadcnt 0x8
	v_mul_i32_i24_e32 v82, v45, v180
	s_wait_loadcnt 0x7
	v_mul_i32_i24_e32 v86, v48, v181
	scratch_load_b32 v218, off, off offset:704 th:TH_LOAD_LU ; 4-byte Folded Reload
	v_add3_u32 v68, v68, v78, v79
	scratch_load_b32 v79, off, off offset:36 ; 4-byte Folded Reload
	v_mul_i32_i24_e32 v78, v13, v232
	v_mul_i32_i24_e32 v13, v13, v136
	scratch_load_b32 v136, off, off offset:1180 th:TH_LOAD_LU ; 4-byte Folded Reload
	v_add3_u32 v68, v68, v80, v81
	s_clause 0x1
	scratch_load_b32 v80, off, off offset:40
	scratch_load_b32 v81, off, off offset:44
	v_add3_u32 v68, v68, v82, v83
	s_clause 0x1
	scratch_load_b32 v82, off, off offset:48
	scratch_load_b32 v83, off, off offset:52
	v_add3_u32 v68, v68, v84, v85
	scratch_load_b32 v84, off, off offset:56 ; 4-byte Folded Reload
	v_mul_i32_i24_e32 v85, v20, v241
	v_mul_i32_i24_e32 v20, v20, v146
	v_add3_u32 v68, v68, v86, v87
	v_mul_i32_i24_e32 v86, v21, v242
	v_mul_i32_i24_e32 v87, v25, v248
	;; [unrolled: 1-line block ×3, first 2 shown]
	s_delay_alu instid0(VALU_DEP_4) | instskip(SKIP_4) | instid1(VALU_DEP_3)
	v_add3_u32 v68, v68, v88, v89
	s_wait_loadcnt 0xc
	v_mul_i32_i24_e32 v90, v54, v176
	v_mul_i32_i24_e32 v88, v26, v249
	v_mul_i32_i24_e32 v89, v27, v250
	v_add3_u32 v68, v68, v90, v91
	v_mul_i32_i24_e32 v90, v28, v251
	v_mul_i32_i24_e32 v91, v29, v252
	s_delay_alu instid0(VALU_DEP_3) | instskip(SKIP_2) | instid1(VALU_DEP_3)
	v_add3_u32 v68, v68, v93, v98
	v_mul_i32_i24_e32 v93, v30, v253
	v_mul_i32_i24_e32 v98, v31, v254
	v_add3_u32 v68, v68, v103, v104
	v_mul_i32_i24_e32 v103, v32, v202
	v_mul_i32_i24_e32 v104, v33, v217
	s_delay_alu instid0(VALU_DEP_3)
	v_add3_u32 v68, v68, v105, v106
	v_mul_i32_i24_e32 v105, v34, v173
	scratch_load_b32 v173, off, off offset:1136 th:TH_LOAD_LU ; 4-byte Folded Reload
	v_mul_i32_i24_e32 v106, v35, v174
	scratch_load_b32 v174, off, off offset:1140 th:TH_LOAD_LU ; 4-byte Folded Reload
	v_add3_u32 v68, v68, v107, v108
	v_mul_i32_i24_e32 v107, v36, v184
	scratch_load_b32 v184, off, off offset:656 th:TH_LOAD_LU ; 4-byte Folded Reload
	v_add3_u32 v68, v68, v109, v130
	;; [unrolled: 3-line block ×3, first 2 shown]
	v_mul_i32_i24_e32 v131, v40, v172
	scratch_load_b32 v172, off, off offset:1172 th:TH_LOAD_LU ; 4-byte Folded Reload
	v_mul_i32_i24_e32 v132, v41, v175
	scratch_load_b32 v175, off, off offset:124 th:TH_LOAD_LU ; 4-byte Folded Reload
	s_wait_loadcnt 0xe
	v_mul_i32_i24_e32 v133, v65, v160
	s_delay_alu instid0(VALU_DEP_1) | instskip(SKIP_4) | instid1(VALU_DEP_1)
	v_add3_u32 v68, v68, v133, v134
	s_clause 0x1
	scratch_load_b32 v133, off, off offset:12
	scratch_load_b32 v134, off, off offset:20
	v_mul_lo_u32 v68, v68, v197
	v_cvt_f32_i32_e32 v68, v68
	s_delay_alu instid0(VALU_DEP_1)
	v_fma_mix_f32 v66, v12, v68, v66 op_sel_hi:[1,0,0]
	scratch_load_b32 v68, off, off offset:32 ; 4-byte Folded Reload
	v_fma_f32 v66, v66, v226, -v67
	s_clause 0x1
	scratch_load_b32 v67, off, off offset:724
	scratch_load_b32 v226, off, off offset:620 th:TH_LOAD_LU
	s_wait_loadcnt 0x11
	v_mul_i32_i24_e32 v79, v14, v79
	v_mul_i32_i24_e32 v14, v14, v137
	scratch_load_b32 v137, off, off offset:560 th:TH_LOAD_LU ; 4-byte Folded Reload
	s_wait_loadcnt 0x10
	v_mul_i32_i24_e32 v80, v15, v80
	s_wait_loadcnt 0xf
	v_mul_i32_i24_e32 v81, v16, v81
	v_mul_i32_i24_e32 v15, v15, v138
	;; [unrolled: 1-line block ×3, first 2 shown]
	s_wait_loadcnt 0xe
	v_mul_i32_i24_e32 v82, v17, v82
	s_wait_loadcnt 0xd
	v_mul_i32_i24_e32 v83, v18, v83
	v_mul_i32_i24_e32 v17, v17, v140
	;; [unrolled: 1-line block ×3, first 2 shown]
	s_wait_loadcnt 0xc
	v_mul_i32_i24_e32 v84, v19, v84
	v_mul_i32_i24_e32 v19, v19, v144
	s_wait_loadcnt 0xb
	v_mul_i32_i24_e32 v108, v37, v173
	s_wait_loadcnt 0xa
	;; [unrolled: 2-line block ×4, first 2 shown]
	v_mul_i32_i24_e32 v134, v3, v134
	v_mul_i32_i24_e32 v3, v3, v123
	s_wait_loadcnt 0x3
	v_mul_i32_i24_e32 v68, v24, v68
	v_mul_i32_i24_e32 v24, v24, v145
	s_wait_loadcnt 0x2
	v_add_f32_e32 v67, v67, v66
	v_mul_i32_i24_e32 v66, v22, v201
	v_mul_i32_i24_e32 v22, v22, v142
	scratch_store_b32 off, v67, off offset:724 ; 4-byte Folded Spill
	v_mul_i32_i24_e32 v67, v23, v222
	s_wait_loadcnt 0x1
	v_mad_i32_i24 v66, v8, v226, v66
	v_mul_i32_i24_e32 v23, v23, v143
	v_mad_i32_i24 v8, v8, v128, v22
	v_mul_i32_i24_e32 v22, v25, v148
	v_mul_i32_i24_e32 v25, v28, v151
	v_add3_u32 v66, v66, v67, v68
	s_clause 0x1
	scratch_load_b32 v67, off, off offset:180
	scratch_load_b32 v68, off, off offset:184
	v_add3_u32 v8, v8, v23, v24
	v_mul_i32_i24_e32 v23, v26, v149
	v_mul_i32_i24_e32 v24, v27, v150
	;; [unrolled: 1-line block ×12, first 2 shown]
	s_wait_loadcnt 0x1
	v_mul_i32_i24_e32 v67, v9, v67
	v_mul_i32_i24_e32 v9, v9, v129
	scratch_load_b32 v129, off, off offset:1184 th:TH_LOAD_LU ; 4-byte Folded Reload
	s_wait_loadcnt 0x1
	v_mul_i32_i24_e32 v68, v10, v68
	v_mul_i32_i24_e32 v10, v10, v135
	scratch_load_b32 v135, off, off offset:556 th:TH_LOAD_LU ; 4-byte Folded Reload
	v_add3_u32 v66, v66, v67, v68
	v_add3_u32 v8, v8, v9, v10
	v_mul_i32_i24_e32 v68, v51, v172
	v_mul_i32_i24_e32 v10, v51, v125
	v_fma_mix_f32 v67, v184, v11, 0 op_sel:[0,1,0] op_sel_hi:[0,1,0]
	v_add3_u32 v66, v66, v78, v79
	v_mul_i32_i24_e32 v78, v52, v171
	scratch_load_b32 v171, off, off offset:660 th:TH_LOAD_LU ; 4-byte Folded Reload
	v_add3_u32 v8, v8, v13, v14
	v_mad_i32_i24 v68, v42, v203, v68
	v_add3_u32 v66, v66, v80, v81
	v_fma_mix_f32 v9, v161, v11, 0 op_sel:[0,1,0] op_sel_hi:[0,1,0]
	v_mul_i32_i24_e32 v13, v53, v127
	v_add3_u32 v8, v8, v15, v16
	v_mad_i32_i24 v10, v42, v124, v10
	v_add3_u32 v66, v66, v82, v83
	v_mul_i32_i24_e32 v81, v5, v207
	v_mul_i32_i24_e32 v5, v5, v76
	v_add3_u32 v8, v8, v17, v18
	v_mul_i32_i24_e32 v14, v45, v77
	v_add3_u32 v66, v66, v84, v85
	v_mul_i32_i24_e32 v15, v46, v94
	v_mul_i32_i24_e32 v85, v6, v211
	v_add3_u32 v8, v8, v19, v20
	v_mul_i32_i24_e32 v16, v47, v92
	;; [unrolled: 5-line block ×5, first 2 shown]
	v_add3_u32 v66, v66, v93, v98
	v_mul_i32_i24_e32 v98, v0, v101
	scratch_load_b32 v101, off, off offset:712 th:TH_LOAD_LU ; 4-byte Folded Reload
	v_add3_u32 v8, v8, v27, v28
	v_mul_i32_i24_e32 v0, v0, v111
	v_add3_u32 v66, v66, v103, v104
	scratch_load_b32 v104, off, off offset:8 ; 4-byte Folded Reload
	v_mul_i32_i24_e32 v23, v57, v112
	v_add3_u32 v8, v8, v29, v30
	v_mul_i32_i24_e32 v24, v58, v114
	v_add3_u32 v66, v66, v105, v106
	v_mul_i32_i24_e32 v106, v1, v223
	v_mul_i32_i24_e32 v25, v59, v113
	v_add3_u32 v8, v8, v31, v32
	v_mul_i32_i24_e32 v1, v1, v115
	v_add3_u32 v66, v66, v107, v108
	v_mul_i32_i24_e32 v26, v60, v116
	;; [unrolled: 5-line block ×3, first 2 shown]
	v_mul_i32_i24_e32 v2, v2, v119
	v_mul_i32_i24_e32 v80, v44, v205
	;; [unrolled: 1-line block ×3, first 2 shown]
	v_add3_u32 v66, v66, v131, v132
	scratch_load_b32 v132, off, off offset:16 ; 4-byte Folded Reload
	v_mul_i32_i24_e32 v83, v46, v210
	v_mul_i32_i24_e32 v84, v47, v209
	;; [unrolled: 1-line block ×3, first 2 shown]
	v_mul_lo_u32 v66, v66, v177
	v_mul_i32_i24_e32 v87, v49, v214
	v_mul_i32_i24_e32 v88, v50, v213
	;; [unrolled: 1-line block ×7, first 2 shown]
	v_cvt_f32_i32_e32 v66, v66
	v_mul_i32_i24_e32 v108, v61, v230
	v_mul_i32_i24_e32 v109, v62, v227
	;; [unrolled: 1-line block ×4, first 2 shown]
	v_fma_mix_f32 v66, v11, v66, 0 op_sel_hi:[1,0,0]
	v_mul_i32_i24_e32 v131, v63, v239
	v_mul_i32_i24_e32 v31, v65, v121
	v_fma_mix_f32 v67, v220, v12, v67 op_sel:[0,1,0] op_sel_hi:[0,1,0]
	s_delay_alu instid0(VALU_DEP_1)
	v_mul_f32_e32 v67, v67, v221
	s_wait_loadcnt 0x5
	v_mul_i32_i24_e32 v35, v38, v129
	v_mul_i32_i24_e32 v38, v41, v137
	s_wait_loadcnt 0x4
	v_mul_i32_i24_e32 v37, v40, v135
	s_delay_alu instid0(VALU_DEP_3) | instskip(NEXT) | instid1(VALU_DEP_1)
	v_add3_u32 v8, v8, v35, v36
	v_add3_u32 v8, v8, v37, v38
	s_wait_loadcnt 0x3
	v_mul_i32_i24_e32 v79, v53, v171
	s_delay_alu instid0(VALU_DEP_2) | instskip(NEXT) | instid1(VALU_DEP_2)
	v_mul_lo_u32 v8, v8, v159
	v_add3_u32 v68, v68, v78, v79
	v_mul_i32_i24_e32 v78, v4, v255
	v_mul_i32_i24_e32 v4, v4, v73
	;; [unrolled: 1-line block ×3, first 2 shown]
	v_cvt_f32_i32_e32 v8, v8
	s_delay_alu instid0(VALU_DEP_2) | instskip(NEXT) | instid1(VALU_DEP_2)
	v_add3_u32 v68, v68, v78, v79
	v_fma_mix_f32 v8, v11, v8, 0 op_sel_hi:[1,0,0]
	v_mul_i32_i24_e32 v11, v52, v126
	s_delay_alu instid0(VALU_DEP_3) | instskip(NEXT) | instid1(VALU_DEP_2)
	v_add3_u32 v68, v68, v80, v81
	v_add3_u32 v10, v10, v11, v13
	v_mul_i32_i24_e32 v11, v43, v75
	v_mul_i32_i24_e32 v13, v44, v74
	s_delay_alu instid0(VALU_DEP_4) | instskip(NEXT) | instid1(VALU_DEP_3)
	v_add3_u32 v68, v68, v82, v83
	v_add3_u32 v4, v10, v4, v11
	s_delay_alu instid0(VALU_DEP_2) | instskip(NEXT) | instid1(VALU_DEP_2)
	v_add3_u32 v68, v68, v84, v85
	v_add3_u32 v4, v4, v13, v5
	s_delay_alu instid0(VALU_DEP_2) | instskip(SKIP_2) | instid1(VALU_DEP_3)
	v_add3_u32 v68, v68, v86, v87
	s_wait_loadcnt 0x2
	v_mul_i32_i24_e32 v103, v57, v101
	v_add3_u32 v4, v4, v14, v15
	s_delay_alu instid0(VALU_DEP_3) | instskip(SKIP_2) | instid1(VALU_DEP_3)
	v_add3_u32 v68, v68, v88, v89
	s_wait_loadcnt 0x1
	v_mul_i32_i24_e32 v104, v58, v104
	v_add3_u32 v4, v4, v16, v6
	s_delay_alu instid0(VALU_DEP_3) | instskip(NEXT) | instid1(VALU_DEP_2)
	v_add3_u32 v68, v68, v90, v91
	v_add3_u32 v4, v4, v17, v18
	s_delay_alu instid0(VALU_DEP_2) | instskip(NEXT) | instid1(VALU_DEP_2)
	v_add3_u32 v68, v68, v93, v98
	v_add3_u32 v4, v4, v19, v7
	s_delay_alu instid0(VALU_DEP_2) | instskip(NEXT) | instid1(VALU_DEP_2)
	v_add3_u32 v68, v68, v103, v104
	v_add3_u32 v4, v4, v20, v21
	s_delay_alu instid0(VALU_DEP_2) | instskip(SKIP_2) | instid1(VALU_DEP_3)
	v_add3_u32 v68, v68, v105, v106
	s_wait_loadcnt 0x0
	v_mul_i32_i24_e32 v132, v64, v132
	v_add3_u32 v0, v4, v22, v0
	s_delay_alu instid0(VALU_DEP_3) | instskip(NEXT) | instid1(VALU_DEP_2)
	v_add3_u32 v68, v68, v107, v108
	v_add3_u32 v0, v0, v23, v24
	s_delay_alu instid0(VALU_DEP_2) | instskip(NEXT) | instid1(VALU_DEP_2)
	v_add3_u32 v68, v68, v109, v130
	v_add3_u32 v0, v0, v25, v1
	v_fma_mix_f32 v1, v71, v12, v9 op_sel:[0,1,0] op_sel_hi:[0,1,0]
	s_delay_alu instid0(VALU_DEP_3) | instskip(NEXT) | instid1(VALU_DEP_3)
	v_add3_u32 v68, v68, v131, v132
	v_add3_u32 v0, v0, v26, v27
	s_delay_alu instid0(VALU_DEP_3) | instskip(NEXT) | instid1(VALU_DEP_3)
	v_mul_f32_e32 v1, v1, v162
	v_add3_u32 v68, v68, v133, v134
	s_clause 0x1
	scratch_load_b32 v134, off, off offset:484 th:TH_LOAD_LU
	scratch_load_b32 v133, off, off offset:148
	v_add3_u32 v0, v0, v28, v2
	scratch_load_b32 v2, off, off           ; 4-byte Folded Reload
	v_add3_u32 v0, v0, v29, v30
	s_delay_alu instid0(VALU_DEP_1) | instskip(NEXT) | instid1(VALU_DEP_1)
	v_add3_u32 v0, v0, v31, v3
	v_mul_lo_u32 v0, v0, v72
	s_delay_alu instid0(VALU_DEP_1) | instskip(NEXT) | instid1(VALU_DEP_1)
	v_cvt_f32_i32_e32 v0, v0
	v_fma_mix_f32 v0, v12, v0, v8 op_sel_hi:[1,0,0]
	s_wait_loadcnt 0x2
	v_mul_lo_u32 v68, v68, v134
	s_wait_loadcnt 0x0
	s_delay_alu instid0(VALU_DEP_2) | instskip(SKIP_2) | instid1(VALU_DEP_1)
	v_fma_f32 v0, v0, v2, -v1
	scratch_load_b32 v1, off, off offset:716 ; 4-byte Folded Reload
	v_cvt_f32_i32_e32 v68, v68
	v_fma_mix_f32 v66, v12, v68, v66 op_sel_hi:[1,0,0]
	s_delay_alu instid0(VALU_DEP_1)
	v_fma_f32 v66, v66, v133, -v67
	scratch_load_b32 v67, off, off offset:720 ; 4-byte Folded Reload
	s_wait_loadcnt 0x1
	v_add_f32_e32 v1, v1, v0
	scratch_load_b32 v0, off, off offset:1276 ; 4-byte Folded Reload
	scratch_store_b32 off, v1, off offset:716 ; 4-byte Folded Spill
	s_wait_loadcnt 0x1
	v_add_f32_e32 v67, v67, v66
	scratch_store_b32 off, v67, off offset:720 ; 4-byte Folded Spill
	s_wait_loadcnt 0x0
	v_or_b32_e32 v0, s12, v0
	s_add_co_i32 s12, s5, 8
	s_cmp_lt_u32 s5, 24
	s_wait_alu 0xfffe
	s_mov_b32 s5, s12
	v_lshlrev_b32_e32 v1, 2, v0
	v_lshrrev_b32_e32 v16, 1, v0
	ds_load_b128 v[8:11], v1 offset:16896
	ds_load_b128 v[12:15], v1 offset:16912
	;; [unrolled: 1-line block ×4, first 2 shown]
	s_clause 0x4
	scratch_load_b32 v66, off, off offset:176 th:TH_LOAD_LU
	scratch_load_b32 v69, off, off offset:936 th:TH_LOAD_LU
	scratch_load_b32 v92, off, off offset:264 th:TH_LOAD_LU
	scratch_load_b32 v67, off, off offset:172 th:TH_LOAD_LU
	scratch_load_b32 v68, off, off offset:168 th:TH_LOAD_LU
	s_wait_dscnt 0x3
	v_bfe_i32 v61, v8, 0, 8
	v_bfe_i32 v65, v8, 8, 8
	v_bfe_i32 v62, v9, 16, 8
	v_ashrrev_i32_e32 v60, 24, v9
	v_bfe_i32 v58, v10, 0, 8
	v_bfe_i32 v56, v10, 8, 8
	v_bfe_i32 v55, v10, 16, 8
	v_ashrrev_i32_e32 v54, 24, v10
	;; [unrolled: 4-line block ×3, first 2 shown]
	s_wait_dscnt 0x2
	v_ashrrev_i32_e32 v38, 24, v14
	v_bfe_i32 v37, v15, 0, 8
	v_bfe_i32 v36, v15, 8, 8
	;; [unrolled: 1-line block ×3, first 2 shown]
	v_ashrrev_i32_e32 v57, 24, v8
	v_ashrrev_i32_e32 v34, 24, v15
	v_bfe_i32 v64, v9, 0, 8
	v_bfe_i32 v63, v9, 8, 8
	s_wait_dscnt 0x1
	v_bfe_i32 v19, v4, 16, 8
	v_ashrrev_i32_e32 v18, 24, v4
	v_bfe_i32 v20, v4, 0, 8
	v_bfe_i32 v21, v4, 8, 8
	;; [unrolled: 1-line block ×5, first 2 shown]
	v_ashrrev_i32_e32 v29, 24, v5
	v_bfe_i32 v30, v6, 0, 8
	v_bfe_i32 v31, v6, 8, 8
	;; [unrolled: 1-line block ×3, first 2 shown]
	v_ashrrev_i32_e32 v25, 24, v6
	v_bfe_i32 v26, v7, 0, 8
	v_bfe_i32 v24, v7, 8, 8
	v_bfe_i32 v49, v12, 0, 8
	v_bfe_i32 v48, v12, 8, 8
	v_bfe_i32 v23, v7, 16, 8
	v_ashrrev_i32_e32 v22, 24, v7
	v_bfe_i32 v47, v12, 16, 8
	v_mul_i32_i24_e32 v88, v228, v49
	v_mul_i32_i24_e32 v89, v233, v48
	v_ashrrev_i32_e32 v46, 24, v12
	s_wait_dscnt 0x0
	v_bfe_i32 v17, v0, 0, 8
	v_mul_i32_i24_e32 v90, v231, v47
	ds_load_b64 v[11:12], v16 offset:27200
	v_bfe_i32 v16, v0, 8, 8
	v_mul_i32_i24_e32 v91, v229, v46
	v_bfe_i32 v45, v13, 0, 8
	v_bfe_i32 v44, v13, 8, 8
	;; [unrolled: 1-line block ×4, first 2 shown]
	v_ashrrev_i32_e32 v15, 24, v0
	v_mul_i32_i24_e32 v93, v243, v45
	v_mul_i32_i24_e32 v98, v240, v44
	v_bfe_i32 v43, v13, 16, 8
	v_ashrrev_i32_e32 v42, 24, v13
	v_bfe_i32 v13, v1, 0, 8
	v_bfe_i32 v41, v14, 0, 8
	v_bfe_i32 v40, v14, 8, 8
	v_bfe_i32 v39, v14, 16, 8
	v_bfe_i32 v14, v1, 8, 8
	v_mul_i32_i24_e32 v103, v237, v43
	v_mul_i32_i24_e32 v104, v238, v42
	v_bfe_i32 v8, v1, 16, 8
	v_ashrrev_i32_e32 v9, 24, v1
	v_mul_i32_i24_e32 v105, v245, v41
	v_mul_i32_i24_e32 v106, v244, v40
	v_bfe_i32 v4, v2, 0, 8
	v_bfe_i32 v5, v2, 8, 8
	;; [unrolled: 1-line block ×3, first 2 shown]
	v_ashrrev_i32_e32 v2, 24, v2
	v_bfe_i32 v7, v3, 0, 8
	v_bfe_i32 v1, v3, 8, 8
	v_bfe_i32 v0, v3, 16, 8
	v_ashrrev_i32_e32 v3, 24, v3
	v_mul_i32_i24_e32 v107, v234, v39
	v_mul_i32_i24_e32 v131, v246, v35
	s_delay_alu instid0(VALU_DEP_3)
	v_mul_i32_i24_e32 v96, v3, v195
	s_wait_loadcnt 0x4
	v_mul_i32_i24_e32 v66, v66, v61
	s_wait_loadcnt 0x1
	;; [unrolled: 2-line block ×3, first 2 shown]
	v_mul_i32_i24_e32 v68, v68, v57
	v_mad_i32_i24 v66, v69, v65, v66
	scratch_load_b32 v69, off, off offset:944 th:TH_LOAD_LU ; 4-byte Folded Reload
	v_add3_u32 v66, v66, v67, v68
	s_clause 0x1
	scratch_load_b32 v67, off, off offset:952 th:TH_LOAD_LU
	scratch_load_b32 v68, off, off offset:948 th:TH_LOAD_LU
	s_wait_loadcnt 0x2
	v_mul_i32_i24_e32 v78, v69, v62
	scratch_load_b32 v69, off, off offset:940 th:TH_LOAD_LU ; 4-byte Folded Reload
	s_wait_loadcnt 0x2
	v_mul_i32_i24_e32 v67, v67, v64
	s_wait_loadcnt 0x1
	v_mul_i32_i24_e32 v68, v68, v63
	s_delay_alu instid0(VALU_DEP_1)
	v_add3_u32 v66, v66, v67, v68
	v_mul_i32_i24_e32 v68, v204, v20
	scratch_load_b32 v67, off, off offset:196 th:TH_LOAD_LU ; 4-byte Folded Reload
	s_wait_loadcnt 0x1
	v_mul_i32_i24_e32 v79, v69, v60
	scratch_load_b32 v69, off, off offset:968 th:TH_LOAD_LU ; 4-byte Folded Reload
	v_add3_u32 v66, v66, v78, v79
	s_wait_loadcnt 0x0
	v_mul_i32_i24_e32 v80, v69, v58
	scratch_load_b32 v69, off, off offset:964 th:TH_LOAD_LU ; 4-byte Folded Reload
	s_wait_loadcnt 0x0
	v_mul_i32_i24_e32 v81, v69, v56
	scratch_load_b32 v69, off, off offset:960 th:TH_LOAD_LU ; 4-byte Folded Reload
	v_add3_u32 v66, v66, v80, v81
	s_wait_loadcnt 0x0
	;; [unrolled: 7-line block ×4, first 2 shown]
	v_mul_i32_i24_e32 v86, v69, v51
	scratch_load_b32 v69, off, off offset:972 th:TH_LOAD_LU ; 4-byte Folded Reload
	s_wait_loadcnt 0x0
	v_mul_i32_i24_e32 v87, v69, v50
	scratch_load_b32 v69, off, off offset:408 th:TH_LOAD_LU ; 4-byte Folded Reload
	v_add3_u32 v66, v66, v86, v87
	s_delay_alu instid0(VALU_DEP_1) | instskip(NEXT) | instid1(VALU_DEP_1)
	v_add3_u32 v66, v66, v88, v89
	v_add3_u32 v66, v66, v90, v91
	s_delay_alu instid0(VALU_DEP_1) | instskip(NEXT) | instid1(VALU_DEP_1)
	v_add3_u32 v66, v66, v93, v98
	v_add3_u32 v66, v66, v103, v104
	s_delay_alu instid0(VALU_DEP_1)
	v_add3_u32 v66, v66, v105, v106
	s_wait_loadcnt 0x0
	v_mul_i32_i24_e32 v108, v69, v38
	scratch_load_b32 v69, off, off offset:192 th:TH_LOAD_LU ; 4-byte Folded Reload
	v_add3_u32 v66, v66, v107, v108
	s_wait_loadcnt 0x0
	v_mul_i32_i24_e32 v109, v69, v37
	scratch_load_b32 v69, off, off offset:840 th:TH_LOAD_LU ; 4-byte Folded Reload
	s_wait_loadcnt 0x0
	v_mul_i32_i24_e32 v130, v69, v36
	scratch_load_b32 v69, off, off offset:188 th:TH_LOAD_LU ; 4-byte Folded Reload
	v_add3_u32 v66, v66, v109, v130
	scratch_load_b32 v130, off, off offset:828 th:TH_LOAD_LU ; 4-byte Folded Reload
	s_wait_loadcnt 0x1
	v_mul_i32_i24_e32 v132, v69, v34
	scratch_load_b32 v69, off, off offset:928 th:TH_LOAD_LU ; 4-byte Folded Reload
	v_add3_u32 v66, v66, v131, v132
	s_delay_alu instid0(VALU_DEP_1) | instskip(SKIP_2) | instid1(VALU_DEP_2)
	v_mul_lo_u32 v66, v66, v67
	s_wait_dscnt 0x0
	v_fma_mix_f32 v67, v236, v11, 0 op_sel:[0,1,0] op_sel_hi:[0,1,0]
	v_cvt_f32_i32_e32 v66, v66
	s_delay_alu instid0(VALU_DEP_1)
	v_fma_mix_f32 v66, v11, v66, 0 op_sel_hi:[1,0,0]
	s_wait_loadcnt 0x0
	v_mul_i32_i24_e32 v78, v69, v19
	scratch_load_b32 v69, off, off offset:924 th:TH_LOAD_LU ; 4-byte Folded Reload
	s_wait_loadcnt 0x0
	v_mul_i32_i24_e32 v79, v69, v18
	scratch_load_b32 v69, off, off offset:876 th:TH_LOAD_LU ; 4-byte Folded Reload
	s_wait_loadcnt 0x0
	v_mad_i32_i24 v68, v69, v21, v68
	scratch_load_b32 v69, off, off offset:384 th:TH_LOAD_LU ; 4-byte Folded Reload
	v_add3_u32 v68, v68, v78, v79
	s_wait_loadcnt 0x0
	v_mul_i32_i24_e32 v78, v69, v33
	scratch_load_b32 v69, off, off offset:380 th:TH_LOAD_LU ; 4-byte Folded Reload
	s_wait_loadcnt 0x0
	v_mul_i32_i24_e32 v79, v69, v32
	scratch_load_b32 v69, off, off offset:376 th:TH_LOAD_LU ; 4-byte Folded Reload
	v_add3_u32 v68, v68, v78, v79
	s_clause 0x1
	scratch_load_b32 v78, off, off offset:344 th:TH_LOAD_LU
	scratch_load_b32 v79, off, off offset:348 th:TH_LOAD_LU
	s_wait_loadcnt 0x2
	v_mul_i32_i24_e32 v80, v69, v28
	scratch_load_b32 v69, off, off offset:372 th:TH_LOAD_LU ; 4-byte Folded Reload
	s_wait_loadcnt 0x2
	v_mul_i32_i24_e32 v78, v50, v78
	s_wait_loadcnt 0x1
	v_mul_i32_i24_e32 v79, v49, v79
	s_wait_loadcnt 0x0
	v_mul_i32_i24_e32 v81, v69, v29
	scratch_load_b32 v69, off, off offset:400 th:TH_LOAD_LU ; 4-byte Folded Reload
	v_add3_u32 v68, v68, v80, v81
	s_clause 0x1
	scratch_load_b32 v80, off, off offset:368 th:TH_LOAD_LU
	scratch_load_b32 v81, off, off offset:352 th:TH_LOAD_LU
	s_wait_loadcnt 0x2
	v_mul_i32_i24_e32 v82, v69, v30
	scratch_load_b32 v69, off, off offset:396 th:TH_LOAD_LU ; 4-byte Folded Reload
	s_wait_loadcnt 0x2
	v_mul_i32_i24_e32 v80, v48, v80
	s_wait_loadcnt 0x1
	v_mul_i32_i24_e32 v81, v47, v81
	;; [unrolled: 14-line block ×3, first 2 shown]
	s_wait_loadcnt 0x0
	v_mul_i32_i24_e32 v85, v69, v25
	scratch_load_b32 v69, off, off offset:888 th:TH_LOAD_LU ; 4-byte Folded Reload
	v_add3_u32 v68, v68, v84, v85
	scratch_load_b32 v84, off, off offset:364 th:TH_LOAD_LU ; 4-byte Folded Reload
	v_mul_i32_i24_e32 v85, v43, v164
	s_wait_loadcnt 0x1
	v_mul_i32_i24_e32 v86, v69, v26
	scratch_load_b32 v69, off, off offset:884 th:TH_LOAD_LU ; 4-byte Folded Reload
	s_wait_loadcnt 0x1
	v_mul_i32_i24_e32 v84, v44, v84
	s_wait_loadcnt 0x0
	v_mul_i32_i24_e32 v87, v69, v24
	scratch_load_b32 v69, off, off offset:404 th:TH_LOAD_LU ; 4-byte Folded Reload
	v_add3_u32 v68, v68, v86, v87
	v_mul_i32_i24_e32 v86, v42, v185
	v_mul_i32_i24_e32 v87, v41, v186
	s_wait_loadcnt 0x0
	v_mul_i32_i24_e32 v88, v69, v23
	scratch_load_b32 v69, off, off offset:880 th:TH_LOAD_LU ; 4-byte Folded Reload
	s_wait_loadcnt 0x0
	v_mul_i32_i24_e32 v89, v69, v22
	scratch_load_b32 v69, off, off offset:904 th:TH_LOAD_LU ; 4-byte Folded Reload
	v_add3_u32 v68, v68, v88, v89
	scratch_load_b32 v89, off, off offset:252 th:TH_LOAD_LU ; 4-byte Folded Reload
	v_mul_i32_i24_e32 v88, v40, v200
	s_wait_loadcnt 0x1
	v_mul_i32_i24_e32 v90, v69, v17
	scratch_load_b32 v69, off, off offset:900 th:TH_LOAD_LU ; 4-byte Folded Reload
	s_wait_loadcnt 0x1
	v_mul_i32_i24_e32 v89, v39, v89
	s_wait_loadcnt 0x0
	v_mul_i32_i24_e32 v91, v69, v16
	scratch_load_b32 v69, off, off offset:896 th:TH_LOAD_LU ; 4-byte Folded Reload
	v_add3_u32 v68, v68, v90, v91
	s_clause 0x1
	scratch_load_b32 v90, off, off offset:256 th:TH_LOAD_LU
	scratch_load_b32 v91, off, off offset:260 th:TH_LOAD_LU
	s_wait_loadcnt 0x2
	v_mul_i32_i24_e32 v93, v69, v10
	scratch_load_b32 v69, off, off offset:892 th:TH_LOAD_LU ; 4-byte Folded Reload
	s_wait_loadcnt 0x2
	v_mul_i32_i24_e32 v90, v38, v90
	s_wait_loadcnt 0x1
	v_mul_i32_i24_e32 v91, v37, v91
	;; [unrolled: 2-line block ×3, first 2 shown]
	scratch_load_b32 v69, off, off offset:920 th:TH_LOAD_LU ; 4-byte Folded Reload
	v_add3_u32 v68, v68, v93, v98
	v_mul_i32_i24_e32 v93, v36, v92
	scratch_load_b32 v92, off, off offset:268 th:TH_LOAD_LU ; 4-byte Folded Reload
	s_wait_loadcnt 0x1
	v_mul_i32_i24_e32 v77, v69, v13
	scratch_load_b32 v69, off, off offset:916 th:TH_LOAD_LU ; 4-byte Folded Reload
	s_wait_loadcnt 0x1
	;; [unrolled: 3-line block ×3, first 2 shown]
	v_mul_i32_i24_e32 v103, v69, v14
	scratch_load_b32 v69, off, off offset:912 th:TH_LOAD_LU ; 4-byte Folded Reload
	v_add3_u32 v68, v68, v77, v103
	scratch_load_b32 v77, off, off offset:340 th:TH_LOAD_LU ; 4-byte Folded Reload
	s_wait_loadcnt 0x2
	v_mul_i32_i24_e32 v99, v34, v92
	v_mul_i32_i24_e32 v92, v2, v191
	s_wait_loadcnt 0x1
	v_mul_i32_i24_e32 v104, v69, v8
	scratch_load_b32 v69, off, off offset:908 th:TH_LOAD_LU ; 4-byte Folded Reload
	s_wait_loadcnt 0x1
	v_mul_i32_i24_e32 v77, v51, v77
	s_wait_loadcnt 0x0
	v_mul_i32_i24_e32 v105, v69, v9
	scratch_load_b32 v69, off, off offset:420 th:TH_LOAD_LU ; 4-byte Folded Reload
	v_add3_u32 v68, v68, v104, v105
	s_wait_loadcnt 0x0
	v_mul_i32_i24_e32 v73, v69, v4
	scratch_load_b32 v69, off, off offset:416 th:TH_LOAD_LU ; 4-byte Folded Reload
	s_wait_loadcnt 0x0
	v_mul_i32_i24_e32 v75, v69, v5
	scratch_load_b32 v69, off, off offset:932 th:TH_LOAD_LU ; 4-byte Folded Reload
	v_add3_u32 v68, v68, v73, v75
	s_clause 0x1
	scratch_load_b32 v73, off, off offset:324 th:TH_LOAD_LU
	scratch_load_b32 v75, off, off offset:332 th:TH_LOAD_LU
	s_wait_loadcnt 0x2
	v_mul_i32_i24_e32 v76, v69, v6
	scratch_load_b32 v69, off, off offset:412 th:TH_LOAD_LU ; 4-byte Folded Reload
	s_wait_loadcnt 0x2
	v_mul_i32_i24_e32 v73, v55, v73
	s_wait_loadcnt 0x1
	v_mul_i32_i24_e32 v75, v53, v75
	;; [unrolled: 2-line block ×3, first 2 shown]
	scratch_load_b32 v69, off, off offset:436 th:TH_LOAD_LU ; 4-byte Folded Reload
	v_add3_u32 v68, v68, v76, v106
	scratch_load_b32 v76, off, off offset:336 th:TH_LOAD_LU ; 4-byte Folded Reload
	s_wait_loadcnt 0x1
	v_mul_i32_i24_e32 v70, v69, v7
	scratch_load_b32 v69, off, off offset:432 th:TH_LOAD_LU ; 4-byte Folded Reload
	s_wait_loadcnt 0x1
	v_mul_i32_i24_e32 v76, v52, v76
	s_wait_loadcnt 0x0
	v_mul_i32_i24_e32 v71, v69, v1
	scratch_load_b32 v69, off, off offset:428 th:TH_LOAD_LU ; 4-byte Folded Reload
	v_add3_u32 v68, v68, v70, v71
	s_clause 0x1
	scratch_load_b32 v70, off, off offset:312 th:TH_LOAD_LU
	scratch_load_b32 v71, off, off offset:316 th:TH_LOAD_LU
	s_wait_loadcnt 0x2
	v_mul_i32_i24_e32 v72, v69, v0
	scratch_load_b32 v69, off, off offset:424 th:TH_LOAD_LU ; 4-byte Folded Reload
	s_wait_loadcnt 0x2
	v_mul_i32_i24_e32 v70, v60, v70
	s_wait_loadcnt 0x1
	v_mul_i32_i24_e32 v71, v58, v71
	;; [unrolled: 2-line block ×3, first 2 shown]
	scratch_load_b32 v69, off, off offset:440 th:TH_LOAD_LU ; 4-byte Folded Reload
	v_add3_u32 v68, v68, v72, v74
	s_clause 0x1
	scratch_load_b32 v72, off, off offset:320 th:TH_LOAD_LU
	scratch_load_b32 v74, off, off offset:328 th:TH_LOAD_LU
	s_wait_loadcnt 0x2
	v_mul_lo_u32 v68, v68, v69
	scratch_load_b32 v69, off, off offset:292 th:TH_LOAD_LU ; 4-byte Folded Reload
	s_wait_loadcnt 0x2
	v_mul_i32_i24_e32 v72, v56, v72
	s_wait_loadcnt 0x1
	v_mul_i32_i24_e32 v74, v54, v74
	v_cvt_f32_i32_e32 v68, v68
	s_delay_alu instid0(VALU_DEP_1)
	v_fma_mix_f32 v66, v12, v68, v66 op_sel_hi:[1,0,0]
	scratch_load_b32 v68, off, off offset:444 th:TH_LOAD_LU ; 4-byte Folded Reload
	s_wait_loadcnt 0x0
	v_fma_mix_f32 v67, v68, v12, v67 op_sel:[0,1,0] op_sel_hi:[0,1,0]
	scratch_load_b32 v68, off, off offset:152 ; 4-byte Folded Reload
	s_wait_loadcnt 0x0
	v_mul_f32_e32 v67, v67, v68
	scratch_load_b32 v68, off, off offset:140 ; 4-byte Folded Reload
	s_wait_loadcnt 0x0
	v_fma_f32 v66, v66, v68, -v67
	s_clause 0x1
	scratch_load_b32 v67, off, off offset:872 th:TH_LOAD_LU
	scratch_load_b32 v68, off, off offset:296 th:TH_LOAD_LU
	v_add_f32_e32 v130, v130, v66
	scratch_load_b32 v66, off, off offset:868 th:TH_LOAD_LU ; 4-byte Folded Reload
	s_wait_loadcnt 0x2
	v_mul_i32_i24_e32 v67, v59, v67
	s_wait_loadcnt 0x1
	v_mul_i32_i24_e32 v68, v57, v68
	;; [unrolled: 2-line block ×3, first 2 shown]
	s_delay_alu instid0(VALU_DEP_1)
	v_mad_i32_i24 v66, v65, v69, v66
	scratch_load_b32 v69, off, off offset:308 th:TH_LOAD_LU ; 4-byte Folded Reload
	v_add3_u32 v66, v66, v67, v68
	s_clause 0x1
	scratch_load_b32 v67, off, off offset:300 th:TH_LOAD_LU
	scratch_load_b32 v68, off, off offset:304 th:TH_LOAD_LU
	s_wait_loadcnt 0x2
	v_mul_i32_i24_e32 v69, v62, v69
	s_wait_loadcnt 0x1
	v_mul_i32_i24_e32 v67, v64, v67
	;; [unrolled: 2-line block ×3, first 2 shown]
	s_delay_alu instid0(VALU_DEP_1) | instskip(SKIP_2) | instid1(VALU_DEP_3)
	v_add3_u32 v66, v66, v67, v68
	v_mul_i32_i24_e32 v68, v20, v189
	v_fma_mix_f32 v67, v188, v11, 0 op_sel:[0,1,0] op_sel_hi:[0,1,0]
	v_add3_u32 v66, v66, v69, v70
	scratch_load_b32 v70, off, off offset:100 th:TH_LOAD_LU ; 4-byte Folded Reload
	v_mul_i32_i24_e32 v69, v19, v178
	v_mad_i32_i24 v68, v21, v165, v68
	v_fma_mix_f32 v67, v199, v12, v67 op_sel:[0,1,0] op_sel_hi:[0,1,0]
	v_add3_u32 v66, v66, v71, v72
	v_mul_i32_i24_e32 v71, v28, v166
	v_mul_i32_i24_e32 v72, v29, v192
	s_delay_alu instid0(VALU_DEP_4) | instskip(NEXT) | instid1(VALU_DEP_4)
	v_mul_f32_e32 v67, v67, v170
	v_add3_u32 v66, v66, v73, v74
	v_mul_i32_i24_e32 v73, v30, v180
	s_delay_alu instid0(VALU_DEP_2) | instskip(SKIP_2) | instid1(VALU_DEP_3)
	v_add3_u32 v66, v66, v75, v76
	v_mul_i32_i24_e32 v75, v27, v167
	v_mul_i32_i24_e32 v76, v25, v194
	v_add3_u32 v66, v66, v77, v78
	v_mul_i32_i24_e32 v77, v26, v181
	s_delay_alu instid0(VALU_DEP_2) | instskip(SKIP_2) | instid1(VALU_DEP_3)
	v_add3_u32 v66, v66, v79, v80
	v_mul_i32_i24_e32 v79, v23, v168
	v_mul_i32_i24_e32 v80, v22, v196
	;; [unrolled: 6-line block ×5, first 2 shown]
	v_add3_u32 v66, v66, v98, v99
	s_delay_alu instid0(VALU_DEP_1) | instskip(NEXT) | instid1(VALU_DEP_1)
	v_mul_lo_u32 v66, v66, v187
	v_cvt_f32_i32_e32 v66, v66
	s_delay_alu instid0(VALU_DEP_1) | instskip(SKIP_2) | instid1(VALU_DEP_1)
	v_fma_mix_f32 v66, v11, v66, 0 op_sel_hi:[1,0,0]
	s_wait_loadcnt 0x0
	v_mul_i32_i24_e32 v70, v18, v70
	v_add3_u32 v68, v68, v69, v70
	s_clause 0x9
	scratch_load_b32 v187, off, off offset:1316
	scratch_load_b32 v70, off, off offset:104 th:TH_LOAD_LU
	scratch_load_b32 v74, off, off offset:276 th:TH_LOAD_LU
	;; [unrolled: 1-line block ×6, first 2 shown]
	scratch_load_b32 v127, off, off offset:832
	scratch_load_b32 v94, off, off offset:288 th:TH_LOAD_LU
	scratch_load_b32 v86, off, off offset:112 th:TH_LOAD_LU
	v_mul_i32_i24_e32 v69, v33, v179
	s_clause 0x1
	scratch_load_b32 v200, off, off offset:1288
	scratch_load_b32 v128, off, off offset:1284
	s_wait_loadcnt 0xa
	v_mul_i32_i24_e32 v70, v32, v70
	s_wait_loadcnt 0x9
	v_mul_i32_i24_e32 v74, v31, v74
	;; [unrolled: 2-line block ×4, first 2 shown]
	v_add3_u32 v68, v68, v69, v70
	s_wait_loadcnt 0x5
	v_mul_i32_i24_e32 v90, v5, v90
	s_wait_loadcnt 0x3
	v_mul_i32_i24_e32 v95, v1, v94
	;; [unrolled: 2-line block ×3, first 2 shown]
	v_mul_i32_i24_e32 v94, v0, v160
	v_add3_u32 v68, v68, v71, v72
	s_clause 0x2
	scratch_load_b32 v70, off, off offset:36 th:TH_LOAD_LU
	scratch_load_b32 v71, off, off offset:40 th:TH_LOAD_LU
	scratch_load_b32 v72, off, off offset:44 th:TH_LOAD_LU
	v_mul_i32_i24_e32 v69, v62, v232
	v_add3_u32 v68, v68, v73, v74
	s_clause 0x1
	scratch_load_b32 v73, off, off offset:48 th:TH_LOAD_LU
	scratch_load_b32 v74, off, off offset:52 th:TH_LOAD_LU
	v_add3_u32 v68, v68, v75, v76
	scratch_load_b32 v75, off, off offset:56 th:TH_LOAD_LU ; 4-byte Folded Reload
	v_mul_i32_i24_e32 v76, v52, v241
	v_mul_i32_i24_e32 v52, v52, v146
	v_add3_u32 v68, v68, v77, v78
	v_mul_i32_i24_e32 v77, v51, v242
	v_mul_i32_i24_e32 v78, v50, v248
	v_mul_i32_i24_e32 v51, v51, v147
	v_mul_i32_i24_e32 v50, v50, v148
	v_add3_u32 v68, v68, v79, v80
	v_mul_i32_i24_e32 v79, v49, v249
	v_mul_i32_i24_e32 v80, v48, v250
	;; [unrolled: 5-line block ×5, first 2 shown]
	v_mul_i32_i24_e32 v43, v43, v155
	v_mul_i32_i24_e32 v42, v42, v156
	v_add3_u32 v68, v68, v87, v88
	scratch_load_b32 v87, off, off offset:856 th:TH_LOAD_LU ; 4-byte Folded Reload
	v_add3_u32 v68, v68, v89, v90
	v_mul_i32_i24_e32 v90, v38, v173
	s_delay_alu instid0(VALU_DEP_2) | instskip(SKIP_2) | instid1(VALU_DEP_3)
	v_add3_u32 v68, v68, v91, v92
	v_mul_i32_i24_e32 v92, v36, v174
	v_mul_i32_i24_e32 v36, v36, v136
	v_add3_u32 v68, v68, v93, v95
	s_delay_alu instid0(VALU_DEP_1) | instskip(NEXT) | instid1(VALU_DEP_1)
	v_add3_u32 v68, v68, v94, v96
	v_mul_lo_u32 v68, v68, v197
	s_delay_alu instid0(VALU_DEP_1) | instskip(NEXT) | instid1(VALU_DEP_1)
	v_cvt_f32_i32_e32 v68, v68
	v_fma_mix_f32 v66, v12, v68, v66 op_sel_hi:[1,0,0]
	scratch_load_b32 v68, off, off offset:144 ; 4-byte Folded Reload
	s_wait_loadcnt 0x7
	v_mul_i32_i24_e32 v70, v60, v70
	s_wait_loadcnt 0x6
	v_mul_i32_i24_e32 v71, v58, v71
	;; [unrolled: 2-line block ×3, first 2 shown]
	v_mul_i32_i24_e32 v58, v58, v138
	v_mul_i32_i24_e32 v56, v56, v139
	s_wait_loadcnt 0x4
	v_mul_i32_i24_e32 v73, v55, v73
	s_wait_loadcnt 0x3
	v_mul_i32_i24_e32 v74, v54, v74
	v_mul_i32_i24_e32 v55, v55, v140
	;; [unrolled: 1-line block ×3, first 2 shown]
	s_wait_loadcnt 0x2
	v_mul_i32_i24_e32 v75, v53, v75
	v_mul_i32_i24_e32 v53, v53, v144
	s_wait_loadcnt 0x1
	v_mul_i32_i24_e32 v87, v41, v87
	v_mul_i32_i24_e32 v41, v41, v157
	s_wait_loadcnt 0x0
	v_fma_f32 v66, v66, v68, -v67
	scratch_load_b32 v68, off, off offset:32 th:TH_LOAD_LU ; 4-byte Folded Reload
	v_mul_i32_i24_e32 v67, v59, v222
	v_mul_i32_i24_e32 v59, v59, v143
	v_add_f32_e32 v97, v97, v66
	v_mul_i32_i24_e32 v66, v61, v201
	v_mul_i32_i24_e32 v61, v61, v142
	s_delay_alu instid0(VALU_DEP_2) | instskip(SKIP_3) | instid1(VALU_DEP_2)
	v_mad_i32_i24 v66, v65, v226, v66
	s_wait_loadcnt 0x0
	v_mul_i32_i24_e32 v68, v57, v68
	v_mul_i32_i24_e32 v57, v57, v145
	v_add3_u32 v66, v66, v67, v68
	s_clause 0xc
	scratch_load_b32 v67, off, off offset:180 th:TH_LOAD_LU
	scratch_load_b32 v68, off, off offset:184 th:TH_LOAD_LU
	scratch_load_b32 v240, off, off offset:836
	scratch_load_b32 v88, off, off offset:860 th:TH_LOAD_LU
	scratch_load_b32 v241, off, off offset:1292
	scratch_load_b32 v89, off, off offset:848 th:TH_LOAD_LU
	scratch_load_b32 v91, off, off offset:844 th:TH_LOAD_LU
	;; [unrolled: 1-line block ×4, first 2 shown]
	scratch_load_b32 v222, off, off offset:1320
	scratch_load_b32 v169, off, off offset:1296
	scratch_load_b32 v95, off, off offset:12 th:TH_LOAD_LU
	scratch_load_b32 v96, off, off offset:20 th:TH_LOAD_LU
	s_wait_loadcnt 0xc
	v_mul_i32_i24_e32 v67, v64, v67
	s_wait_loadcnt 0xb
	v_mul_i32_i24_e32 v68, v63, v68
	s_wait_loadcnt 0x9
	v_mul_i32_i24_e32 v88, v40, v88
	s_wait_loadcnt 0x7
	v_mul_i32_i24_e32 v89, v39, v89
	s_wait_loadcnt 0x6
	v_mul_i32_i24_e32 v91, v37, v91
	s_wait_loadcnt 0x5
	v_mul_i32_i24_e32 v93, v35, v93
	v_add3_u32 v66, v66, v67, v68
	s_wait_loadcnt 0x4
	v_mul_i32_i24_e32 v94, v34, v94
	v_mul_i32_i24_e32 v68, v20, v172
	s_wait_loadcnt 0x1
	v_mul_i32_i24_e32 v95, v0, v95
	s_wait_loadcnt 0x0
	v_mul_i32_i24_e32 v96, v3, v96
	v_add3_u32 v66, v66, v69, v70
	scratch_load_b32 v69, off, off offset:248 th:TH_LOAD_LU ; 4-byte Folded Reload
	v_mul_i32_i24_e32 v70, v18, v171
	v_mad_i32_i24 v68, v21, v203, v68
	v_fma_mix_f32 v67, v184, v11, 0 op_sel:[0,1,0] op_sel_hi:[0,1,0]
	v_add3_u32 v66, v66, v71, v72
	v_mul_i32_i24_e32 v71, v28, v205
	v_mul_i32_i24_e32 v72, v29, v207
	;; [unrolled: 1-line block ×3, first 2 shown]
	v_fma_mix_f32 v67, v220, v12, v67 op_sel:[0,1,0] op_sel_hi:[0,1,0]
	v_add3_u32 v66, v66, v73, v74
	v_mul_i32_i24_e32 v73, v30, v208
	v_mul_i32_i24_e32 v74, v31, v210
	;; [unrolled: 1-line block ×3, first 2 shown]
	v_mul_f32_e32 v67, v67, v221
	v_add3_u32 v66, v66, v75, v76
	v_mul_i32_i24_e32 v75, v27, v209
	v_mul_i32_i24_e32 v76, v25, v211
	;; [unrolled: 1-line block ×4, first 2 shown]
	v_add3_u32 v66, v66, v77, v78
	v_mul_i32_i24_e32 v77, v26, v212
	v_mul_i32_i24_e32 v78, v24, v214
	;; [unrolled: 1-line block ×3, first 2 shown]
	v_mad_i32_i24 v20, v21, v124, v20
	v_add3_u32 v66, v66, v79, v80
	v_mul_i32_i24_e32 v79, v23, v213
	v_mul_i32_i24_e32 v80, v22, v215
	;; [unrolled: 1-line block ×3, first 2 shown]
	s_delay_alu instid0(VALU_DEP_4) | instskip(SKIP_2) | instid1(VALU_DEP_3)
	v_add3_u32 v66, v66, v81, v82
	v_mul_i32_i24_e32 v81, v17, v216
	v_mul_i32_i24_e32 v82, v16, v219
	v_add3_u32 v66, v66, v83, v84
	scratch_load_b32 v84, off, off offset:96 th:TH_LOAD_LU ; 4-byte Folded Reload
	v_mul_i32_i24_e32 v83, v10, v218
	v_add3_u32 v66, v66, v85, v86
	scratch_load_b32 v86, off, off offset:8 th:TH_LOAD_LU ; 4-byte Folded Reload
	v_mul_i32_i24_e32 v85, v13, v101
	v_add3_u32 v66, v66, v87, v88
	v_mul_i32_i24_e32 v87, v8, v175
	v_mul_i32_i24_e32 v88, v9, v223
	s_delay_alu instid0(VALU_DEP_3) | instskip(SKIP_2) | instid1(VALU_DEP_3)
	v_add3_u32 v66, v66, v89, v90
	v_mul_i32_i24_e32 v89, v4, v224
	v_mul_i32_i24_e32 v90, v5, v230
	v_add3_u32 v66, v66, v91, v92
	v_mul_i32_i24_e32 v91, v6, v227
	v_mul_i32_i24_e32 v92, v2, v235
	s_delay_alu instid0(VALU_DEP_3) | instskip(SKIP_3) | instid1(VALU_DEP_1)
	v_add3_u32 v66, v66, v93, v94
	scratch_load_b32 v94, off, off offset:16 th:TH_LOAD_LU ; 4-byte Folded Reload
	v_mul_i32_i24_e32 v93, v7, v239
	v_mul_lo_u32 v66, v66, v177
	v_cvt_f32_i32_e32 v66, v66
	s_delay_alu instid0(VALU_DEP_1) | instskip(SKIP_3) | instid1(VALU_DEP_2)
	v_fma_mix_f32 v66, v11, v66, 0 op_sel_hi:[1,0,0]
	s_wait_loadcnt 0x3
	v_mul_i32_i24_e32 v69, v19, v69
	v_mul_i32_i24_e32 v19, v19, v126
	v_add3_u32 v68, v68, v69, v70
	v_mul_i32_i24_e32 v69, v33, v255
	v_mul_i32_i24_e32 v70, v32, v206
	s_delay_alu instid0(VALU_DEP_1) | instskip(NEXT) | instid1(VALU_DEP_1)
	v_add3_u32 v68, v68, v69, v70
	v_add3_u32 v68, v68, v71, v72
	scratch_load_b32 v71, off, off offset:1248 ; 4-byte Folded Reload
	v_add3_u32 v68, v68, v73, v74
	s_delay_alu instid0(VALU_DEP_1)
	v_add3_u32 v68, v68, v75, v76
	scratch_load_b32 v76, off, off offset:1280 ; 4-byte Folded Reload
	v_add3_u32 v68, v68, v77, v78
	s_clause 0x1
	scratch_load_b32 v78, off, off offset:1312
	scratch_load_b32 v77, off, off offset:1308
	s_wait_loadcnt 0x6
	v_mul_i32_i24_e32 v84, v15, v84
	v_add3_u32 v68, v68, v79, v80
	s_wait_loadcnt 0x5
	v_mul_i32_i24_e32 v86, v14, v86
	v_mul_i32_i24_e32 v14, v14, v114
	s_delay_alu instid0(VALU_DEP_3) | instskip(NEXT) | instid1(VALU_DEP_1)
	v_add3_u32 v68, v68, v81, v82
	v_add3_u32 v68, v68, v83, v84
	s_delay_alu instid0(VALU_DEP_1) | instskip(NEXT) | instid1(VALU_DEP_1)
	v_add3_u32 v68, v68, v85, v86
	v_add3_u32 v68, v68, v87, v88
	s_wait_loadcnt 0x4
	v_mul_i32_i24_e32 v94, v1, v94
	s_delay_alu instid0(VALU_DEP_2) | instskip(NEXT) | instid1(VALU_DEP_1)
	v_add3_u32 v68, v68, v89, v90
	v_add3_u32 v68, v68, v91, v92
	s_delay_alu instid0(VALU_DEP_1) | instskip(NEXT) | instid1(VALU_DEP_1)
	v_add3_u32 v68, v68, v93, v94
	v_add3_u32 v68, v68, v95, v96
	s_delay_alu instid0(VALU_DEP_1) | instskip(NEXT) | instid1(VALU_DEP_1)
	v_mul_lo_u32 v68, v68, v134
	v_cvt_f32_i32_e32 v68, v68
	s_delay_alu instid0(VALU_DEP_1) | instskip(NEXT) | instid1(VALU_DEP_1)
	v_fma_mix_f32 v66, v12, v68, v66 op_sel_hi:[1,0,0]
	v_fma_f32 v66, v66, v133, -v67
	scratch_load_b32 v67, off, off offset:4 ; 4-byte Folded Reload
	s_wait_loadcnt 0x0
	v_add_f32_e32 v67, v67, v66
	scratch_store_b32 off, v67, off offset:4 ; 4-byte Folded Spill
	s_clause 0x1
	scratch_load_b32 v66, off, off offset:4
	scratch_load_b32 v67, off, off offset:228 th:TH_LOAD_LU
	s_wait_loadcnt 0x0
	v_mad_i32_i24 v61, v65, v67, v61
	s_delay_alu instid0(VALU_DEP_1)
	v_add3_u32 v57, v61, v59, v57
	s_clause 0x1
	scratch_load_b32 v59, off, off offset:80 th:TH_LOAD_LU
	scratch_load_b32 v61, off, off offset:84 th:TH_LOAD_LU
	s_wait_loadcnt 0x1
	v_mul_i32_i24_e32 v59, v64, v59
	s_wait_loadcnt 0x0
	v_mul_i32_i24_e32 v61, v63, v61
	scratch_load_b32 v63, off, off offset:88 th:TH_LOAD_LU ; 4-byte Folded Reload
	v_add3_u32 v57, v57, v59, v61
	s_wait_loadcnt 0x0
	v_mul_i32_i24_e32 v62, v62, v63
	scratch_load_b32 v63, off, off offset:92 th:TH_LOAD_LU ; 4-byte Folded Reload
	s_wait_loadcnt 0x0
	v_mul_i32_i24_e32 v60, v60, v63
	scratch_load_b32 v63, off, off offset:232 th:TH_LOAD_LU ; 4-byte Folded Reload
	v_add3_u32 v57, v57, v62, v60
	s_delay_alu instid0(VALU_DEP_1) | instskip(NEXT) | instid1(VALU_DEP_1)
	v_add3_u32 v56, v57, v58, v56
	v_add3_u32 v54, v56, v55, v54
	s_delay_alu instid0(VALU_DEP_1) | instskip(NEXT) | instid1(VALU_DEP_1)
	v_add3_u32 v52, v54, v53, v52
	;; [unrolled: 3-line block ×3, first 2 shown]
	v_add3_u32 v46, v48, v47, v46
	s_delay_alu instid0(VALU_DEP_1)
	v_add3_u32 v44, v46, v45, v44
	scratch_load_b32 v45, off, off offset:820 th:TH_LOAD_LU ; 4-byte Folded Reload
	v_add3_u32 v42, v44, v43, v42
	s_wait_loadcnt 0x1
	v_mul_i32_i24_e32 v40, v40, v63
	scratch_load_b32 v63, off, off offset:240 th:TH_LOAD_LU ; 4-byte Folded Reload
	v_add3_u32 v40, v42, v41, v40
	s_wait_loadcnt 0x0
	v_mul_i32_i24_e32 v39, v39, v63
	scratch_load_b32 v63, off, off offset:244 th:TH_LOAD_LU ; 4-byte Folded Reload
	s_wait_loadcnt 0x0
	v_mul_i32_i24_e32 v38, v38, v63
	s_delay_alu instid0(VALU_DEP_1) | instskip(NEXT) | instid1(VALU_DEP_1)
	v_add3_u32 v38, v40, v39, v38
	v_add3_u32 v36, v38, v37, v36
	s_delay_alu instid0(VALU_DEP_1)
	v_add3_u32 v34, v36, v35, v34
	scratch_load_b32 v35, off, off offset:236 th:TH_LOAD_LU ; 4-byte Folded Reload
	s_wait_loadcnt 0x0
	v_mul_lo_u32 v34, v34, v35
	scratch_load_b32 v35, off, off offset:76 th:TH_LOAD_LU ; 4-byte Folded Reload
	v_cvt_f32_i32_e32 v34, v34
	s_delay_alu instid0(VALU_DEP_1) | instskip(SKIP_3) | instid1(VALU_DEP_1)
	v_fma_mix_f32 v34, v11, v34, 0 op_sel_hi:[1,0,0]
	v_fma_mix_f32 v11, v161, v11, 0 op_sel:[0,1,0] op_sel_hi:[0,1,0]
	s_wait_loadcnt 0x0
	v_mul_i32_i24_e32 v18, v18, v35
	v_add3_u32 v35, v20, v19, v18
	scratch_load_b32 v18, off, off offset:200 th:TH_LOAD_LU ; 4-byte Folded Reload
	v_mul_i32_i24_e32 v19, v16, v110
	v_mul_i32_i24_e32 v16, v10, v102
	;; [unrolled: 1-line block ×6, first 2 shown]
	s_wait_loadcnt 0x0
	v_mul_i32_i24_e32 v36, v33, v18
	scratch_load_b32 v18, off, off offset:64 th:TH_LOAD_LU ; 4-byte Folded Reload
	s_wait_loadcnt 0x0
	v_mul_i32_i24_e32 v37, v32, v18
	scratch_load_b32 v18, off, off offset:60 th:TH_LOAD_LU ; 4-byte Folded Reload
	v_add3_u32 v3, v35, v36, v37
	s_wait_loadcnt 0x0
	v_mul_i32_i24_e32 v32, v28, v18
	scratch_load_b32 v18, off, off offset:68 th:TH_LOAD_LU ; 4-byte Folded Reload
	s_wait_loadcnt 0x0
	v_mul_i32_i24_e32 v33, v29, v18
	scratch_load_b32 v18, off, off offset:72 th:TH_LOAD_LU ; 4-byte Folded Reload
	v_add3_u32 v3, v3, v32, v33
	;; [unrolled: 7-line block ×5, first 2 shown]
	s_wait_loadcnt 0x0
	v_mul_i32_i24_e32 v20, v23, v18
	v_mul_i32_i24_e32 v18, v17, v247
	;; [unrolled: 1-line block ×5, first 2 shown]
	v_add3_u32 v3, v3, v20, v21
	v_mul_i32_i24_e32 v9, v5, v118
	v_mul_i32_i24_e32 v5, v6, v117
	;; [unrolled: 1-line block ×4, first 2 shown]
	v_add3_u32 v3, v3, v18, v19
	s_delay_alu instid0(VALU_DEP_1) | instskip(NEXT) | instid1(VALU_DEP_1)
	v_add3_u32 v3, v3, v16, v17
	v_add3_u32 v3, v3, v15, v14
	s_delay_alu instid0(VALU_DEP_1) | instskip(NEXT) | instid1(VALU_DEP_1)
	v_add3_u32 v3, v3, v10, v13
	;; [unrolled: 3-line block ×3, first 2 shown]
	v_add3_u32 v2, v3, v2, v4
	s_delay_alu instid0(VALU_DEP_1)
	v_add3_u32 v0, v2, v0, v1
	s_clause 0x1
	scratch_load_b32 v1, off, off offset:164 th:TH_LOAD_LU
	scratch_load_b32 v2, off, off
	s_wait_loadcnt 0x1
	v_mul_lo_u32 v0, v0, v1
	scratch_load_b32 v1, off, off offset:28 th:TH_LOAD_LU ; 4-byte Folded Reload
	v_cvt_f32_i32_e32 v0, v0
	s_delay_alu instid0(VALU_DEP_1) | instskip(SKIP_2) | instid1(VALU_DEP_1)
	v_fma_mix_f32 v0, v12, v0, v34 op_sel_hi:[1,0,0]
	s_wait_loadcnt 0x0
	v_fma_mix_f32 v1, v1, v12, v11 op_sel:[0,1,0] op_sel_hi:[0,1,0]
	v_mul_f32_e32 v1, v1, v162
	s_delay_alu instid0(VALU_DEP_1) | instskip(NEXT) | instid1(VALU_DEP_1)
	v_fma_f32 v0, v0, v2, -v1
	v_add_f32_e32 v45, v45, v0
	s_cbranch_scc1 .LBB131_8
; %bb.9:                                ;   in Loop: Header=BB131_5 Depth=1
	s_clause 0x19
	scratch_load_b32 v73, off, off offset:816
	scratch_load_b32 v72, off, off offset:812
	;; [unrolled: 1-line block ×26, first 2 shown]
	s_add_co_i32 s10, s10, 1
	s_wait_loadcnt 0x0
	s_wait_storecnt 0x0
	s_cmp_eq_u32 s10, s15
	s_barrier_signal -1
	s_barrier_wait -1
	global_inv scope:SCOPE_SE
	s_cbranch_scc0 .LBB131_5
; %bb.10:
	s_clause 0x2
	scratch_load_b32 v1, off, off offset:1424 th:TH_LOAD_LU
	scratch_load_b32 v2, off, off offset:1556 th:TH_LOAD_LU
	scratch_load_b32 v3, off, off offset:1560
.LBB131_11:
	s_mov_b32 s0, exec_lo
	s_wait_loadcnt 0x0
	v_cmpx_gt_u32_e64 s4, v3
	s_cbranch_execz .LBB131_62
; %bb.12:
	v_add_nc_u32_e32 v0, s14, v2
	v_mul_lo_u32 v5, v3, s6
	s_delay_alu instid0(VALU_DEP_2)
	v_cmp_gt_u32_e32 vcc_lo, s6, v0
	s_and_saveexec_b32 s1, vcc_lo
	s_cbranch_execz .LBB131_14
; %bb.13:
	s_delay_alu instid0(VALU_DEP_2) | instskip(NEXT) | instid1(VALU_DEP_1)
	v_dual_mov_b32 v3, 0 :: v_dual_add_nc_u32 v2, v0, v5
	v_lshlrev_b64_e32 v[2:3], 2, v[2:3]
	s_wait_kmcnt 0x0
	s_delay_alu instid0(VALU_DEP_1) | instskip(NEXT) | instid1(VALU_DEP_1)
	v_add_co_u32 v2, s0, s8, v2
	v_add_co_ci_u32_e64 v3, null, s9, v3, s0
	global_store_b32 v[2:3], v127, off
.LBB131_14:
	s_or_b32 exec_lo, exec_lo, s1
	v_add_nc_u32_e32 v2, 32, v0
	s_delay_alu instid0(VALU_DEP_1)
	v_cmp_gt_u32_e64 s0, s6, v2
	s_and_saveexec_b32 s2, s0
	s_cbranch_execz .LBB131_16
; %bb.15:
	v_dual_mov_b32 v4, 0 :: v_dual_add_nc_u32 v3, v2, v5
	s_delay_alu instid0(VALU_DEP_1) | instskip(SKIP_1) | instid1(VALU_DEP_1)
	v_lshlrev_b64_e32 v[3:4], 2, v[3:4]
	s_wait_kmcnt 0x0
	v_add_co_u32 v3, s1, s8, v3
	s_wait_alu 0xf1ff
	s_delay_alu instid0(VALU_DEP_2)
	v_add_co_ci_u32_e64 v4, null, s9, v4, s1
	global_store_b32 v[3:4], v240, off
.LBB131_16:
	s_wait_alu 0xfffe
	s_or_b32 exec_lo, exec_lo, s2
	v_add_nc_u32_e32 v3, 64, v0
	s_delay_alu instid0(VALU_DEP_1)
	v_cmp_gt_u32_e64 s1, s6, v3
	s_and_saveexec_b32 s3, s1
	s_cbranch_execz .LBB131_18
; %bb.17:
	v_dual_mov_b32 v7, 0 :: v_dual_add_nc_u32 v6, v3, v5
	s_delay_alu instid0(VALU_DEP_1) | instskip(SKIP_1) | instid1(VALU_DEP_1)
	v_lshlrev_b64_e32 v[6:7], 2, v[6:7]
	s_wait_kmcnt 0x0
	v_add_co_u32 v6, s2, s8, v6
	s_wait_alu 0xf1ff
	s_delay_alu instid0(VALU_DEP_2)
	v_add_co_ci_u32_e64 v7, null, s9, v7, s2
	global_store_b32 v[6:7], v73, off
.LBB131_18:
	s_wait_alu 0xfffe
	;; [unrolled: 18-line block ×3, first 2 shown]
	s_or_b32 exec_lo, exec_lo, s5
	v_add3_u32 v5, v1, s7, 8
	s_delay_alu instid0(VALU_DEP_1)
	v_cmp_gt_u32_e64 s3, s4, v5
	s_and_b32 exec_lo, exec_lo, s3
	s_cbranch_execz .LBB131_62
; %bb.21:
	v_mul_lo_u32 v5, v5, s6
	s_and_saveexec_b32 s5, vcc_lo
	s_cbranch_execnz .LBB131_63
; %bb.22:
	s_wait_alu 0xfffe
	s_or_b32 exec_lo, exec_lo, s5
	s_and_saveexec_b32 s5, s0
	s_cbranch_execnz .LBB131_64
.LBB131_23:
	s_wait_alu 0xfffe
	s_or_b32 exec_lo, exec_lo, s5
	s_and_saveexec_b32 s5, s1
	s_cbranch_execnz .LBB131_65
.LBB131_24:
	s_wait_alu 0xfffe
	s_or_b32 exec_lo, exec_lo, s5
	s_and_saveexec_b32 s5, s2
	s_cbranch_execz .LBB131_26
.LBB131_25:
	v_dual_mov_b32 v6, 0 :: v_dual_add_nc_u32 v5, v5, v4
	s_delay_alu instid0(VALU_DEP_1) | instskip(SKIP_1) | instid1(VALU_DEP_1)
	v_lshlrev_b64_e32 v[5:6], 2, v[5:6]
	s_wait_kmcnt 0x0
	v_add_co_u32 v5, s3, s8, v5
	s_wait_alu 0xf1ff
	s_delay_alu instid0(VALU_DEP_2)
	v_add_co_ci_u32_e64 v6, null, s9, v6, s3
	global_store_b32 v[5:6], v67, off
.LBB131_26:
	s_wait_alu 0xfffe
	s_or_b32 exec_lo, exec_lo, s5
	v_add3_u32 v5, v1, s7, 16
	s_delay_alu instid0(VALU_DEP_1)
	v_cmp_gt_u32_e64 s3, s4, v5
	s_and_b32 exec_lo, exec_lo, s3
	s_cbranch_execz .LBB131_62
; %bb.27:
	v_mul_lo_u32 v5, v5, s6
	s_and_saveexec_b32 s5, vcc_lo
	s_cbranch_execnz .LBB131_66
; %bb.28:
	s_wait_alu 0xfffe
	s_or_b32 exec_lo, exec_lo, s5
	s_and_saveexec_b32 s5, s0
	s_cbranch_execnz .LBB131_67
.LBB131_29:
	s_wait_alu 0xfffe
	s_or_b32 exec_lo, exec_lo, s5
	s_and_saveexec_b32 s5, s1
	s_cbranch_execnz .LBB131_68
.LBB131_30:
	s_wait_alu 0xfffe
	s_or_b32 exec_lo, exec_lo, s5
	s_and_saveexec_b32 s5, s2
	s_cbranch_execz .LBB131_32
.LBB131_31:
	v_dual_mov_b32 v6, 0 :: v_dual_add_nc_u32 v5, v5, v4
	s_delay_alu instid0(VALU_DEP_1) | instskip(SKIP_1) | instid1(VALU_DEP_1)
	v_lshlrev_b64_e32 v[5:6], 2, v[5:6]
	s_wait_kmcnt 0x0
	v_add_co_u32 v5, s3, s8, v5
	s_wait_alu 0xf1ff
	s_delay_alu instid0(VALU_DEP_2)
	v_add_co_ci_u32_e64 v6, null, s9, v6, s3
	global_store_b32 v[5:6], v62, off
.LBB131_32:
	s_wait_alu 0xfffe
	s_or_b32 exec_lo, exec_lo, s5
	v_add3_u32 v5, v1, s7, 24
	s_delay_alu instid0(VALU_DEP_1)
	v_cmp_gt_u32_e64 s3, s4, v5
	s_and_b32 exec_lo, exec_lo, s3
	s_cbranch_execz .LBB131_62
; %bb.33:
	v_mul_lo_u32 v5, v5, s6
	s_and_saveexec_b32 s5, vcc_lo
	s_cbranch_execnz .LBB131_69
; %bb.34:
	s_wait_alu 0xfffe
	s_or_b32 exec_lo, exec_lo, s5
	s_and_saveexec_b32 s5, s0
	s_cbranch_execnz .LBB131_70
.LBB131_35:
	s_wait_alu 0xfffe
	s_or_b32 exec_lo, exec_lo, s5
	s_and_saveexec_b32 s5, s1
	s_cbranch_execnz .LBB131_71
.LBB131_36:
	s_wait_alu 0xfffe
	s_or_b32 exec_lo, exec_lo, s5
	s_and_saveexec_b32 s5, s2
	s_cbranch_execz .LBB131_38
.LBB131_37:
	v_dual_mov_b32 v6, 0 :: v_dual_add_nc_u32 v5, v5, v4
	s_delay_alu instid0(VALU_DEP_1) | instskip(SKIP_1) | instid1(VALU_DEP_1)
	v_lshlrev_b64_e32 v[5:6], 2, v[5:6]
	s_wait_kmcnt 0x0
	v_add_co_u32 v5, s3, s8, v5
	s_wait_alu 0xf1ff
	s_delay_alu instid0(VALU_DEP_2)
	v_add_co_ci_u32_e64 v6, null, s9, v6, s3
	global_store_b32 v[5:6], v58, off
.LBB131_38:
	s_wait_alu 0xfffe
	s_or_b32 exec_lo, exec_lo, s5
	v_add3_u32 v5, v1, s7, 32
	s_delay_alu instid0(VALU_DEP_1)
	v_cmp_gt_u32_e64 s3, s4, v5
	s_and_b32 exec_lo, exec_lo, s3
	s_cbranch_execz .LBB131_62
; %bb.39:
	v_mul_lo_u32 v5, v5, s6
	s_and_saveexec_b32 s5, vcc_lo
	s_cbranch_execnz .LBB131_72
; %bb.40:
	s_wait_alu 0xfffe
	s_or_b32 exec_lo, exec_lo, s5
	s_and_saveexec_b32 s5, s0
	s_cbranch_execnz .LBB131_73
.LBB131_41:
	s_wait_alu 0xfffe
	s_or_b32 exec_lo, exec_lo, s5
	s_and_saveexec_b32 s5, s1
	s_cbranch_execnz .LBB131_74
.LBB131_42:
	s_wait_alu 0xfffe
	s_or_b32 exec_lo, exec_lo, s5
	s_and_saveexec_b32 s5, s2
	s_cbranch_execz .LBB131_44
.LBB131_43:
	v_dual_mov_b32 v6, 0 :: v_dual_add_nc_u32 v5, v5, v4
	s_delay_alu instid0(VALU_DEP_1) | instskip(SKIP_1) | instid1(VALU_DEP_1)
	v_lshlrev_b64_e32 v[5:6], 2, v[5:6]
	s_wait_kmcnt 0x0
	v_add_co_u32 v5, s3, s8, v5
	s_wait_alu 0xf1ff
	s_delay_alu instid0(VALU_DEP_2)
	v_add_co_ci_u32_e64 v6, null, s9, v6, s3
	global_store_b32 v[5:6], v54, off
.LBB131_44:
	s_wait_alu 0xfffe
	s_or_b32 exec_lo, exec_lo, s5
	v_add3_u32 v5, v1, s7, 40
	s_delay_alu instid0(VALU_DEP_1)
	v_cmp_gt_u32_e64 s3, s4, v5
	s_and_b32 exec_lo, exec_lo, s3
	s_cbranch_execz .LBB131_62
; %bb.45:
	v_mul_lo_u32 v5, v5, s6
	s_and_saveexec_b32 s5, vcc_lo
	s_cbranch_execnz .LBB131_75
; %bb.46:
	s_wait_alu 0xfffe
	s_or_b32 exec_lo, exec_lo, s5
	s_and_saveexec_b32 s5, s0
	s_cbranch_execnz .LBB131_76
.LBB131_47:
	s_wait_alu 0xfffe
	s_or_b32 exec_lo, exec_lo, s5
	s_and_saveexec_b32 s5, s1
	s_cbranch_execnz .LBB131_77
.LBB131_48:
	s_wait_alu 0xfffe
	s_or_b32 exec_lo, exec_lo, s5
	s_and_saveexec_b32 s5, s2
	s_cbranch_execz .LBB131_50
.LBB131_49:
	v_dual_mov_b32 v6, 0 :: v_dual_add_nc_u32 v5, v5, v4
	s_delay_alu instid0(VALU_DEP_1) | instskip(SKIP_1) | instid1(VALU_DEP_1)
	v_lshlrev_b64_e32 v[5:6], 2, v[5:6]
	s_wait_kmcnt 0x0
	v_add_co_u32 v5, s3, s8, v5
	s_wait_alu 0xf1ff
	s_delay_alu instid0(VALU_DEP_2)
	v_add_co_ci_u32_e64 v6, null, s9, v6, s3
	global_store_b32 v[5:6], v12, off
.LBB131_50:
	s_wait_alu 0xfffe
	s_or_b32 exec_lo, exec_lo, s5
	v_add3_u32 v5, v1, s7, 48
	s_delay_alu instid0(VALU_DEP_1)
	v_cmp_gt_u32_e64 s3, s4, v5
	s_and_b32 exec_lo, exec_lo, s3
	s_cbranch_execz .LBB131_62
; %bb.51:
	v_mul_lo_u32 v5, v5, s6
	s_and_saveexec_b32 s5, vcc_lo
	s_cbranch_execnz .LBB131_78
; %bb.52:
	s_wait_alu 0xfffe
	s_or_b32 exec_lo, exec_lo, s5
	s_and_saveexec_b32 s5, s0
	s_cbranch_execnz .LBB131_79
.LBB131_53:
	s_wait_alu 0xfffe
	s_or_b32 exec_lo, exec_lo, s5
	s_and_saveexec_b32 s5, s1
	s_cbranch_execnz .LBB131_80
.LBB131_54:
	s_wait_alu 0xfffe
	s_or_b32 exec_lo, exec_lo, s5
	s_and_saveexec_b32 s5, s2
	s_cbranch_execz .LBB131_56
.LBB131_55:
	v_dual_mov_b32 v6, 0 :: v_dual_add_nc_u32 v5, v5, v4
	s_delay_alu instid0(VALU_DEP_1) | instskip(SKIP_1) | instid1(VALU_DEP_1)
	v_lshlrev_b64_e32 v[5:6], 2, v[5:6]
	s_wait_kmcnt 0x0
	v_add_co_u32 v5, s3, s8, v5
	s_wait_alu 0xf1ff
	s_delay_alu instid0(VALU_DEP_2)
	v_add_co_ci_u32_e64 v6, null, s9, v6, s3
	global_store_b32 v[5:6], v8, off
.LBB131_56:
	s_wait_alu 0xfffe
	s_or_b32 exec_lo, exec_lo, s5
	v_add3_u32 v1, v1, s7, 56
	s_delay_alu instid0(VALU_DEP_1)
	v_cmp_gt_u32_e64 s3, s4, v1
	s_and_b32 exec_lo, exec_lo, s3
	s_cbranch_execz .LBB131_62
; %bb.57:
	v_mul_lo_u32 v1, v1, s6
	s_and_saveexec_b32 s3, vcc_lo
	s_cbranch_execnz .LBB131_81
; %bb.58:
	s_wait_alu 0xfffe
	s_or_b32 exec_lo, exec_lo, s3
	s_and_saveexec_b32 s3, s0
	s_cbranch_execnz .LBB131_82
.LBB131_59:
	s_wait_alu 0xfffe
	s_or_b32 exec_lo, exec_lo, s3
	s_and_saveexec_b32 s0, s1
	s_cbranch_execnz .LBB131_83
.LBB131_60:
	s_wait_alu 0xfffe
	s_or_b32 exec_lo, exec_lo, s0
	s_delay_alu instid0(SALU_CYCLE_1)
	s_and_b32 exec_lo, exec_lo, s2
	s_cbranch_execz .LBB131_62
.LBB131_61:
	v_dual_mov_b32 v1, 0 :: v_dual_add_nc_u32 v0, v1, v4
	s_delay_alu instid0(VALU_DEP_1) | instskip(SKIP_1) | instid1(VALU_DEP_1)
	v_lshlrev_b64_e32 v[0:1], 2, v[0:1]
	s_wait_kmcnt 0x0
	v_add_co_u32 v0, vcc_lo, s8, v0
	s_wait_alu 0xfffd
	s_delay_alu instid0(VALU_DEP_2)
	v_add_co_ci_u32_e64 v1, null, s9, v1, vcc_lo
	global_store_b32 v[0:1], v45, off
.LBB131_62:
	s_nop 0
	s_sendmsg sendmsg(MSG_DEALLOC_VGPRS)
	s_endpgm
.LBB131_63:
	s_delay_alu instid0(VALU_DEP_1) | instskip(NEXT) | instid1(VALU_DEP_1)
	v_dual_mov_b32 v7, 0 :: v_dual_add_nc_u32 v6, v5, v0
	v_lshlrev_b64_e32 v[6:7], 2, v[6:7]
	s_wait_kmcnt 0x0
	s_delay_alu instid0(VALU_DEP_1) | instskip(SKIP_1) | instid1(VALU_DEP_2)
	v_add_co_u32 v6, s3, s8, v6
	s_wait_alu 0xf1ff
	v_add_co_ci_u32_e64 v7, null, s9, v7, s3
	global_store_b32 v[6:7], v70, off
	s_wait_alu 0xfffe
	s_or_b32 exec_lo, exec_lo, s5
	s_and_saveexec_b32 s5, s0
	s_cbranch_execz .LBB131_23
.LBB131_64:
	s_delay_alu instid0(VALU_DEP_1) | instskip(NEXT) | instid1(VALU_DEP_1)
	v_dual_mov_b32 v7, 0 :: v_dual_add_nc_u32 v6, v5, v2
	v_lshlrev_b64_e32 v[6:7], 2, v[6:7]
	s_wait_kmcnt 0x0
	s_delay_alu instid0(VALU_DEP_1) | instskip(SKIP_1) | instid1(VALU_DEP_2)
	v_add_co_u32 v6, s3, s8, v6
	s_wait_alu 0xf1ff
	v_add_co_ci_u32_e64 v7, null, s9, v7, s3
	global_store_b32 v[6:7], v69, off
	s_wait_alu 0xfffe
	s_or_b32 exec_lo, exec_lo, s5
	s_and_saveexec_b32 s5, s1
	s_cbranch_execz .LBB131_24
.LBB131_65:
	v_dual_mov_b32 v7, 0 :: v_dual_add_nc_u32 v6, v5, v3
	s_delay_alu instid0(VALU_DEP_1) | instskip(SKIP_1) | instid1(VALU_DEP_1)
	v_lshlrev_b64_e32 v[6:7], 2, v[6:7]
	s_wait_kmcnt 0x0
	v_add_co_u32 v6, s3, s8, v6
	s_wait_alu 0xf1ff
	s_delay_alu instid0(VALU_DEP_2)
	v_add_co_ci_u32_e64 v7, null, s9, v7, s3
	global_store_b32 v[6:7], v68, off
	s_wait_alu 0xfffe
	s_or_b32 exec_lo, exec_lo, s5
	s_and_saveexec_b32 s5, s2
	s_cbranch_execnz .LBB131_25
	s_branch .LBB131_26
.LBB131_66:
	s_delay_alu instid0(VALU_DEP_1) | instskip(NEXT) | instid1(VALU_DEP_1)
	v_dual_mov_b32 v7, 0 :: v_dual_add_nc_u32 v6, v5, v0
	v_lshlrev_b64_e32 v[6:7], 2, v[6:7]
	s_wait_kmcnt 0x0
	s_delay_alu instid0(VALU_DEP_1) | instskip(SKIP_1) | instid1(VALU_DEP_2)
	v_add_co_u32 v6, s3, s8, v6
	s_wait_alu 0xf1ff
	v_add_co_ci_u32_e64 v7, null, s9, v7, s3
	global_store_b32 v[6:7], v65, off
	s_wait_alu 0xfffe
	s_or_b32 exec_lo, exec_lo, s5
	s_and_saveexec_b32 s5, s0
	s_cbranch_execz .LBB131_29
.LBB131_67:
	s_delay_alu instid0(VALU_DEP_1) | instskip(NEXT) | instid1(VALU_DEP_1)
	v_dual_mov_b32 v7, 0 :: v_dual_add_nc_u32 v6, v5, v2
	v_lshlrev_b64_e32 v[6:7], 2, v[6:7]
	s_wait_kmcnt 0x0
	s_delay_alu instid0(VALU_DEP_1) | instskip(SKIP_1) | instid1(VALU_DEP_2)
	v_add_co_u32 v6, s3, s8, v6
	s_wait_alu 0xf1ff
	v_add_co_ci_u32_e64 v7, null, s9, v7, s3
	global_store_b32 v[6:7], v64, off
	s_wait_alu 0xfffe
	s_or_b32 exec_lo, exec_lo, s5
	s_and_saveexec_b32 s5, s1
	s_cbranch_execz .LBB131_30
.LBB131_68:
	v_dual_mov_b32 v7, 0 :: v_dual_add_nc_u32 v6, v5, v3
	s_delay_alu instid0(VALU_DEP_1) | instskip(SKIP_1) | instid1(VALU_DEP_1)
	v_lshlrev_b64_e32 v[6:7], 2, v[6:7]
	s_wait_kmcnt 0x0
	v_add_co_u32 v6, s3, s8, v6
	s_wait_alu 0xf1ff
	s_delay_alu instid0(VALU_DEP_2)
	v_add_co_ci_u32_e64 v7, null, s9, v7, s3
	global_store_b32 v[6:7], v63, off
	s_wait_alu 0xfffe
	s_or_b32 exec_lo, exec_lo, s5
	s_and_saveexec_b32 s5, s2
	s_cbranch_execnz .LBB131_31
	s_branch .LBB131_32
.LBB131_69:
	s_delay_alu instid0(VALU_DEP_1) | instskip(NEXT) | instid1(VALU_DEP_1)
	v_dual_mov_b32 v7, 0 :: v_dual_add_nc_u32 v6, v5, v0
	v_lshlrev_b64_e32 v[6:7], 2, v[6:7]
	s_wait_kmcnt 0x0
	s_delay_alu instid0(VALU_DEP_1) | instskip(SKIP_1) | instid1(VALU_DEP_2)
	v_add_co_u32 v6, s3, s8, v6
	s_wait_alu 0xf1ff
	v_add_co_ci_u32_e64 v7, null, s9, v7, s3
	global_store_b32 v[6:7], v61, off
	s_wait_alu 0xfffe
	s_or_b32 exec_lo, exec_lo, s5
	s_and_saveexec_b32 s5, s0
	s_cbranch_execz .LBB131_35
.LBB131_70:
	s_delay_alu instid0(VALU_DEP_1) | instskip(NEXT) | instid1(VALU_DEP_1)
	v_dual_mov_b32 v7, 0 :: v_dual_add_nc_u32 v6, v5, v2
	v_lshlrev_b64_e32 v[6:7], 2, v[6:7]
	s_wait_kmcnt 0x0
	s_delay_alu instid0(VALU_DEP_1) | instskip(SKIP_1) | instid1(VALU_DEP_2)
	v_add_co_u32 v6, s3, s8, v6
	s_wait_alu 0xf1ff
	v_add_co_ci_u32_e64 v7, null, s9, v7, s3
	global_store_b32 v[6:7], v60, off
	s_wait_alu 0xfffe
	s_or_b32 exec_lo, exec_lo, s5
	s_and_saveexec_b32 s5, s1
	s_cbranch_execz .LBB131_36
.LBB131_71:
	v_dual_mov_b32 v7, 0 :: v_dual_add_nc_u32 v6, v5, v3
	s_delay_alu instid0(VALU_DEP_1) | instskip(SKIP_1) | instid1(VALU_DEP_1)
	v_lshlrev_b64_e32 v[6:7], 2, v[6:7]
	s_wait_kmcnt 0x0
	v_add_co_u32 v6, s3, s8, v6
	s_wait_alu 0xf1ff
	s_delay_alu instid0(VALU_DEP_2)
	v_add_co_ci_u32_e64 v7, null, s9, v7, s3
	global_store_b32 v[6:7], v59, off
	s_wait_alu 0xfffe
	s_or_b32 exec_lo, exec_lo, s5
	s_and_saveexec_b32 s5, s2
	s_cbranch_execnz .LBB131_37
	s_branch .LBB131_38
.LBB131_72:
	s_delay_alu instid0(VALU_DEP_1) | instskip(NEXT) | instid1(VALU_DEP_1)
	v_dual_mov_b32 v7, 0 :: v_dual_add_nc_u32 v6, v5, v0
	v_lshlrev_b64_e32 v[6:7], 2, v[6:7]
	s_wait_kmcnt 0x0
	s_delay_alu instid0(VALU_DEP_1) | instskip(SKIP_1) | instid1(VALU_DEP_2)
	v_add_co_u32 v6, s3, s8, v6
	s_wait_alu 0xf1ff
	v_add_co_ci_u32_e64 v7, null, s9, v7, s3
	global_store_b32 v[6:7], v57, off
	s_wait_alu 0xfffe
	s_or_b32 exec_lo, exec_lo, s5
	s_and_saveexec_b32 s5, s0
	s_cbranch_execz .LBB131_41
.LBB131_73:
	s_delay_alu instid0(VALU_DEP_1) | instskip(NEXT) | instid1(VALU_DEP_1)
	v_dual_mov_b32 v7, 0 :: v_dual_add_nc_u32 v6, v5, v2
	v_lshlrev_b64_e32 v[6:7], 2, v[6:7]
	s_wait_kmcnt 0x0
	s_delay_alu instid0(VALU_DEP_1) | instskip(SKIP_1) | instid1(VALU_DEP_2)
	v_add_co_u32 v6, s3, s8, v6
	s_wait_alu 0xf1ff
	v_add_co_ci_u32_e64 v7, null, s9, v7, s3
	global_store_b32 v[6:7], v56, off
	s_wait_alu 0xfffe
	s_or_b32 exec_lo, exec_lo, s5
	s_and_saveexec_b32 s5, s1
	s_cbranch_execz .LBB131_42
.LBB131_74:
	v_dual_mov_b32 v7, 0 :: v_dual_add_nc_u32 v6, v5, v3
	s_delay_alu instid0(VALU_DEP_1) | instskip(SKIP_1) | instid1(VALU_DEP_1)
	v_lshlrev_b64_e32 v[6:7], 2, v[6:7]
	s_wait_kmcnt 0x0
	v_add_co_u32 v6, s3, s8, v6
	s_wait_alu 0xf1ff
	s_delay_alu instid0(VALU_DEP_2)
	v_add_co_ci_u32_e64 v7, null, s9, v7, s3
	global_store_b32 v[6:7], v55, off
	s_wait_alu 0xfffe
	s_or_b32 exec_lo, exec_lo, s5
	s_and_saveexec_b32 s5, s2
	s_cbranch_execnz .LBB131_43
	s_branch .LBB131_44
.LBB131_75:
	s_delay_alu instid0(VALU_DEP_1) | instskip(NEXT) | instid1(VALU_DEP_1)
	v_dual_mov_b32 v7, 0 :: v_dual_add_nc_u32 v6, v5, v0
	v_lshlrev_b64_e32 v[6:7], 2, v[6:7]
	s_wait_kmcnt 0x0
	s_delay_alu instid0(VALU_DEP_1) | instskip(SKIP_1) | instid1(VALU_DEP_2)
	v_add_co_u32 v6, s3, s8, v6
	s_wait_alu 0xf1ff
	v_add_co_ci_u32_e64 v7, null, s9, v7, s3
	global_store_b32 v[6:7], v53, off
	s_wait_alu 0xfffe
	s_or_b32 exec_lo, exec_lo, s5
	s_and_saveexec_b32 s5, s0
	s_cbranch_execz .LBB131_47
.LBB131_76:
	s_delay_alu instid0(VALU_DEP_1) | instskip(NEXT) | instid1(VALU_DEP_1)
	v_dual_mov_b32 v7, 0 :: v_dual_add_nc_u32 v6, v5, v2
	v_lshlrev_b64_e32 v[6:7], 2, v[6:7]
	s_wait_kmcnt 0x0
	s_delay_alu instid0(VALU_DEP_1) | instskip(SKIP_1) | instid1(VALU_DEP_2)
	v_add_co_u32 v6, s3, s8, v6
	s_wait_alu 0xf1ff
	v_add_co_ci_u32_e64 v7, null, s9, v7, s3
	global_store_b32 v[6:7], v52, off
	s_wait_alu 0xfffe
	s_or_b32 exec_lo, exec_lo, s5
	s_and_saveexec_b32 s5, s1
	s_cbranch_execz .LBB131_48
.LBB131_77:
	v_dual_mov_b32 v7, 0 :: v_dual_add_nc_u32 v6, v5, v3
	s_delay_alu instid0(VALU_DEP_1) | instskip(SKIP_1) | instid1(VALU_DEP_1)
	v_lshlrev_b64_e32 v[6:7], 2, v[6:7]
	s_wait_kmcnt 0x0
	v_add_co_u32 v6, s3, s8, v6
	s_wait_alu 0xf1ff
	s_delay_alu instid0(VALU_DEP_2)
	v_add_co_ci_u32_e64 v7, null, s9, v7, s3
	global_store_b32 v[6:7], v51, off
	s_wait_alu 0xfffe
	s_or_b32 exec_lo, exec_lo, s5
	s_and_saveexec_b32 s5, s2
	s_cbranch_execnz .LBB131_49
	s_branch .LBB131_50
.LBB131_78:
	s_delay_alu instid0(VALU_DEP_1) | instskip(NEXT) | instid1(VALU_DEP_1)
	v_dual_mov_b32 v7, 0 :: v_dual_add_nc_u32 v6, v5, v0
	v_lshlrev_b64_e32 v[6:7], 2, v[6:7]
	s_wait_kmcnt 0x0
	s_delay_alu instid0(VALU_DEP_1) | instskip(SKIP_1) | instid1(VALU_DEP_2)
	v_add_co_u32 v6, s3, s8, v6
	s_wait_alu 0xf1ff
	v_add_co_ci_u32_e64 v7, null, s9, v7, s3
	global_store_b32 v[6:7], v11, off
	s_wait_alu 0xfffe
	s_or_b32 exec_lo, exec_lo, s5
	s_and_saveexec_b32 s5, s0
	s_cbranch_execz .LBB131_53
.LBB131_79:
	s_delay_alu instid0(VALU_DEP_1) | instskip(NEXT) | instid1(VALU_DEP_1)
	v_dual_mov_b32 v7, 0 :: v_dual_add_nc_u32 v6, v5, v2
	v_lshlrev_b64_e32 v[6:7], 2, v[6:7]
	s_wait_kmcnt 0x0
	s_delay_alu instid0(VALU_DEP_1) | instskip(SKIP_1) | instid1(VALU_DEP_2)
	v_add_co_u32 v6, s3, s8, v6
	s_wait_alu 0xf1ff
	v_add_co_ci_u32_e64 v7, null, s9, v7, s3
	global_store_b32 v[6:7], v10, off
	s_wait_alu 0xfffe
	s_or_b32 exec_lo, exec_lo, s5
	s_and_saveexec_b32 s5, s1
	s_cbranch_execz .LBB131_54
.LBB131_80:
	v_dual_mov_b32 v7, 0 :: v_dual_add_nc_u32 v6, v5, v3
	s_delay_alu instid0(VALU_DEP_1) | instskip(SKIP_1) | instid1(VALU_DEP_1)
	v_lshlrev_b64_e32 v[6:7], 2, v[6:7]
	s_wait_kmcnt 0x0
	v_add_co_u32 v6, s3, s8, v6
	s_wait_alu 0xf1ff
	s_delay_alu instid0(VALU_DEP_2)
	v_add_co_ci_u32_e64 v7, null, s9, v7, s3
	global_store_b32 v[6:7], v9, off
	s_wait_alu 0xfffe
	s_or_b32 exec_lo, exec_lo, s5
	s_and_saveexec_b32 s5, s2
	s_cbranch_execnz .LBB131_55
	s_branch .LBB131_56
.LBB131_81:
	s_delay_alu instid0(VALU_DEP_1) | instskip(NEXT) | instid1(VALU_DEP_1)
	v_dual_mov_b32 v6, 0 :: v_dual_add_nc_u32 v5, v1, v0
	v_lshlrev_b64_e32 v[5:6], 2, v[5:6]
	s_wait_kmcnt 0x0
	s_delay_alu instid0(VALU_DEP_1) | instskip(SKIP_1) | instid1(VALU_DEP_2)
	v_add_co_u32 v5, vcc_lo, s8, v5
	s_wait_alu 0xfffd
	v_add_co_ci_u32_e64 v6, null, s9, v6, vcc_lo
	global_store_b32 v[5:6], v130, off
	s_wait_alu 0xfffe
	s_or_b32 exec_lo, exec_lo, s3
	s_and_saveexec_b32 s3, s0
	s_cbranch_execz .LBB131_59
.LBB131_82:
	s_delay_alu instid0(VALU_DEP_1) | instskip(NEXT) | instid1(VALU_DEP_1)
	v_dual_mov_b32 v6, 0 :: v_dual_add_nc_u32 v5, v1, v2
	v_lshlrev_b64_e32 v[5:6], 2, v[5:6]
	s_wait_kmcnt 0x0
	s_delay_alu instid0(VALU_DEP_1) | instskip(SKIP_1) | instid1(VALU_DEP_2)
	v_add_co_u32 v5, vcc_lo, s8, v5
	s_wait_alu 0xfffd
	v_add_co_ci_u32_e64 v6, null, s9, v6, vcc_lo
	global_store_b32 v[5:6], v97, off
	s_wait_alu 0xfffe
	s_or_b32 exec_lo, exec_lo, s3
	s_and_saveexec_b32 s0, s1
	s_cbranch_execz .LBB131_60
.LBB131_83:
	v_dual_mov_b32 v3, 0 :: v_dual_add_nc_u32 v2, v1, v3
	s_delay_alu instid0(VALU_DEP_1) | instskip(SKIP_1) | instid1(VALU_DEP_1)
	v_lshlrev_b64_e32 v[2:3], 2, v[2:3]
	s_wait_kmcnt 0x0
	v_add_co_u32 v2, vcc_lo, s8, v2
	s_wait_alu 0xfffd
	s_delay_alu instid0(VALU_DEP_2) | instskip(SKIP_3) | instid1(SALU_CYCLE_1)
	v_add_co_ci_u32_e64 v3, null, s9, v3, vcc_lo
	global_store_b32 v[2:3], v66, off
	s_wait_alu 0xfffe
	s_or_b32 exec_lo, exec_lo, s0
	s_and_b32 exec_lo, exec_lo, s2
	s_cbranch_execnz .LBB131_61
	s_branch .LBB131_62
	.section	.rodata,"a",@progbits
	.p2align	6, 0x0
	.amdhsa_kernel _ZL12mul_mat_q4_KIfLb0EEvPKvS1_PT_iiiii
		.amdhsa_group_segment_fixed_size 28752
		.amdhsa_private_segment_fixed_size 1568
		.amdhsa_kernarg_size 44
		.amdhsa_user_sgpr_count 2
		.amdhsa_user_sgpr_dispatch_ptr 0
		.amdhsa_user_sgpr_queue_ptr 0
		.amdhsa_user_sgpr_kernarg_segment_ptr 1
		.amdhsa_user_sgpr_dispatch_id 0
		.amdhsa_user_sgpr_private_segment_size 0
		.amdhsa_wavefront_size32 1
		.amdhsa_uses_dynamic_stack 0
		.amdhsa_enable_private_segment 1
		.amdhsa_system_sgpr_workgroup_id_x 1
		.amdhsa_system_sgpr_workgroup_id_y 1
		.amdhsa_system_sgpr_workgroup_id_z 0
		.amdhsa_system_sgpr_workgroup_info 0
		.amdhsa_system_vgpr_workitem_id 1
		.amdhsa_next_free_vgpr 256
		.amdhsa_next_free_sgpr 21
		.amdhsa_reserve_vcc 1
		.amdhsa_float_round_mode_32 0
		.amdhsa_float_round_mode_16_64 0
		.amdhsa_float_denorm_mode_32 3
		.amdhsa_float_denorm_mode_16_64 3
		.amdhsa_fp16_overflow 0
		.amdhsa_workgroup_processor_mode 1
		.amdhsa_memory_ordered 1
		.amdhsa_forward_progress 1
		.amdhsa_inst_pref_size 255
		.amdhsa_round_robin_scheduling 0
		.amdhsa_exception_fp_ieee_invalid_op 0
		.amdhsa_exception_fp_denorm_src 0
		.amdhsa_exception_fp_ieee_div_zero 0
		.amdhsa_exception_fp_ieee_overflow 0
		.amdhsa_exception_fp_ieee_underflow 0
		.amdhsa_exception_fp_ieee_inexact 0
		.amdhsa_exception_int_div_zero 0
	.end_amdhsa_kernel
	.section	.text._ZL12mul_mat_q4_KIfLb0EEvPKvS1_PT_iiiii,"axG",@progbits,_ZL12mul_mat_q4_KIfLb0EEvPKvS1_PT_iiiii,comdat
.Lfunc_end131:
	.size	_ZL12mul_mat_q4_KIfLb0EEvPKvS1_PT_iiiii, .Lfunc_end131-_ZL12mul_mat_q4_KIfLb0EEvPKvS1_PT_iiiii
                                        ; -- End function
	.set _ZL12mul_mat_q4_KIfLb0EEvPKvS1_PT_iiiii.num_vgpr, 256
	.set _ZL12mul_mat_q4_KIfLb0EEvPKvS1_PT_iiiii.num_agpr, 0
	.set _ZL12mul_mat_q4_KIfLb0EEvPKvS1_PT_iiiii.numbered_sgpr, 21
	.set _ZL12mul_mat_q4_KIfLb0EEvPKvS1_PT_iiiii.num_named_barrier, 0
	.set _ZL12mul_mat_q4_KIfLb0EEvPKvS1_PT_iiiii.private_seg_size, 1568
	.set _ZL12mul_mat_q4_KIfLb0EEvPKvS1_PT_iiiii.uses_vcc, 1
	.set _ZL12mul_mat_q4_KIfLb0EEvPKvS1_PT_iiiii.uses_flat_scratch, 1
	.set _ZL12mul_mat_q4_KIfLb0EEvPKvS1_PT_iiiii.has_dyn_sized_stack, 0
	.set _ZL12mul_mat_q4_KIfLb0EEvPKvS1_PT_iiiii.has_recursion, 0
	.set _ZL12mul_mat_q4_KIfLb0EEvPKvS1_PT_iiiii.has_indirect_call, 0
	.section	.AMDGPU.csdata,"",@progbits
; Kernel info:
; codeLenInByte = 104688
; TotalNumSgprs: 23
; NumVgprs: 256
; ScratchSize: 1568
; MemoryBound: 0
; FloatMode: 240
; IeeeMode: 1
; LDSByteSize: 28752 bytes/workgroup (compile time only)
; SGPRBlocks: 0
; VGPRBlocks: 31
; NumSGPRsForWavesPerEU: 23
; NumVGPRsForWavesPerEU: 256
; Occupancy: 5
; WaveLimiterHint : 0
; COMPUTE_PGM_RSRC2:SCRATCH_EN: 1
; COMPUTE_PGM_RSRC2:USER_SGPR: 2
; COMPUTE_PGM_RSRC2:TRAP_HANDLER: 0
; COMPUTE_PGM_RSRC2:TGID_X_EN: 1
; COMPUTE_PGM_RSRC2:TGID_Y_EN: 1
; COMPUTE_PGM_RSRC2:TGID_Z_EN: 0
; COMPUTE_PGM_RSRC2:TIDIG_COMP_CNT: 1
	.section	.text._ZL12mul_mat_q4_KIfLb1EEvPKvS1_PT_iiiii,"axG",@progbits,_ZL12mul_mat_q4_KIfLb1EEvPKvS1_PT_iiiii,comdat
	.globl	_ZL12mul_mat_q4_KIfLb1EEvPKvS1_PT_iiiii ; -- Begin function _ZL12mul_mat_q4_KIfLb1EEvPKvS1_PT_iiiii
	.p2align	8
	.type	_ZL12mul_mat_q4_KIfLb1EEvPKvS1_PT_iiiii,@function
_ZL12mul_mat_q4_KIfLb1EEvPKvS1_PT_iiiii: ; @_ZL12mul_mat_q4_KIfLb1EEvPKvS1_PT_iiiii
; %bb.0:
	s_clause 0x1
	s_load_b128 s[4:7], s[0:1], 0x18
	s_load_b32 s12, s[0:1], 0x28
	v_bfe_u32 v33, v0, 10, 10
	v_and_b32_e32 v34, 0x3ff, v0
	s_lshl_b32 s13, ttmp7, 6
	s_wait_kmcnt 0x0
	s_cmp_gt_i32 s4, 0xff
	s_cbranch_scc1 .LBB132_2
; %bb.1:
	v_bfe_u32 v1, v0, 10, 10
	v_and_b32_e32 v2, 0x3ff, v0
	s_mov_b32 s2, 0
	s_delay_alu instid0(VALU_DEP_2)
	v_add_nc_u32_e32 v3, s13, v1
	s_branch .LBB132_3
.LBB132_2:
	s_mov_b32 s2, -1
                                        ; implicit-def: $vgpr1
                                        ; implicit-def: $vgpr2
                                        ; implicit-def: $vgpr3
.LBB132_3:
	s_load_b64 s[8:9], s[0:1], 0x10
	v_dual_mov_b32 v40, 0 :: v_dual_mov_b32 v127, 0
	v_dual_mov_b32 v11, 0 :: v_dual_mov_b32 v48, 0
	;; [unrolled: 1-line block ×15, first 2 shown]
	v_mov_b32_e32 v63, 0
	v_mov_b32_e32 v153, 0
	s_and_not1_b32 vcc_lo, exec_lo, s2
	s_lshl_b32 s14, ttmp9, 7
	s_cbranch_vccnz .LBB132_11
; %bb.4:
	v_lshlrev_b32_e32 v1, 2, v34
	s_not_b32 s16, s14
	s_ashr_i32 s10, s4, 31
	s_add_co_i32 s5, s5, s16
	s_lshr_b32 s10, s10, 24
	v_min_i32_e32 v2, s5, v33
	v_dual_mov_b32 v122, 0 :: v_dual_and_b32 v3, 0x7c, v1
	s_add_co_i32 s4, s4, s10
	v_add_nc_u32_e32 v21, 8, v33
	s_wait_alu 0xfffe
	s_ashr_i32 s15, s4, 8
	v_mad_co_u64_u32 v[4:5], null, 0x84, v2, v[1:2]
	scratch_store_b32 off, v3, off offset:1428 ; 4-byte Folded Spill
	v_mul_lo_u32 v3, v2, s15
	v_dual_mov_b32 v50, 0 :: v_dual_add_nc_u32 v17, s13, v33
	v_dual_mov_b32 v153, 0 :: v_dual_add_nc_u32 v22, 16, v33
	;; [unrolled: 1-line block ×4, first 2 shown]
	s_clause 0x1
	scratch_store_b32 off, v3, off offset:1432
	scratch_store_b32 off, v17, off offset:1688
	v_min_i32_e32 v3, s5, v21
	v_dual_mov_b32 v62, 0 :: v_dual_add_nc_u32 v25, 40, v33
	v_dual_mov_b32 v59, 0 :: v_dual_add_nc_u32 v26, 48, v33
	s_delay_alu instid0(VALU_DEP_3)
	v_mul_lo_u32 v2, v3, s15
	scratch_store_b64 off, v[4:5], off offset:1436 ; 8-byte Folded Spill
	v_dual_mov_b32 v58, 0 :: v_dual_add_nc_u32 v27, 56, v33
	s_ashr_i32 s11, s7, 31
	v_dual_mov_b32 v67, 0 :: v_dual_add_nc_u32 v18, 0x58, v33
	s_lshr_b32 s4, s11, 27
	scratch_store_b32 off, v2, off offset:1444 ; 4-byte Folded Spill
	v_min_i32_e32 v2, s5, v22
	s_wait_alu 0xfffe
	s_add_co_i32 s4, s7, s4
	s_add_co_i32 s7, s6, -1
	v_add_nc_u32_e32 v8, 16, v17
	v_add_nc_u32_e32 v10, 24, v17
	v_mad_co_u64_u32 v[3:4], null, 0x84, v3, v[1:2]
	v_dual_mov_b32 v97, 0 :: v_dual_add_nc_u32 v12, 32, v17
	v_dual_mov_b32 v61, 0 :: v_dual_add_nc_u32 v14, 40, v17
	;; [unrolled: 1-line block ×3, first 2 shown]
	scratch_store_b64 off, v[3:4], off offset:1448 ; 8-byte Folded Spill
	v_mul_lo_u32 v3, v2, s15
	v_mad_co_u64_u32 v[4:5], null, 0x84, v2, v[1:2]
	v_min_i32_e32 v2, s5, v24
	v_add_nc_u32_e32 v19, 56, v17
	v_min_i32_e32 v28, s5, v18
	v_cvt_f64_u32_e32 v[8:9], v8
	v_cvt_f64_u32_e32 v[10:11], v10
	s_clause 0x1
	scratch_store_b32 off, v3, off offset:1456
	scratch_store_b64 off, v[4:5], off offset:1460
	v_min_i32_e32 v3, s5, v23
	v_cvt_f64_u32_e32 v[12:13], v12
	v_cvt_f64_u32_e32 v[14:15], v14
	;; [unrolled: 1-line block ×3, first 2 shown]
	v_add_nc_u32_e32 v29, 0x60, v33
	v_mul_lo_u32 v4, v3, s15
	v_dual_mov_b32 v53, 0 :: v_dual_lshlrev_b32 v64, 5, v33
	v_mov_b32_e32 v49, 0
	s_wait_alu 0xfffe
	s_ashr_i32 s4, s4, 5
	v_bfe_u32 v35, v0, 5, 5
	v_add_nc_u32_e32 v30, v64, v34
	s_load_b128 s[0:3], s[0:1], 0x0
	scratch_store_b32 off, v4, off offset:1468 ; 4-byte Folded Spill
	v_mad_co_u64_u32 v[3:4], null, 0x84, v3, v[1:2]
	v_and_b32_e32 v30, 0x7f, v30
	s_mul_i32 s10, s15, s14
	v_mul_u32_u24_e32 v69, 0x84, v34
	s_ashr_i32 s11, s10, 31
	v_mov_b32_e32 v55, 0
	v_min_i32_e32 v30, s5, v30
	scratch_store_b64 off, v[3:4], off offset:1472 ; 8-byte Folded Spill
	v_mul_lo_u32 v3, v2, s15
	v_mad_co_u64_u32 v[4:5], null, 0x84, v2, v[1:2]
	s_mul_u64 s[10:11], s[10:11], 0x90
	v_dual_mov_b32 v51, 0 :: v_dual_mov_b32 v54, 0
	v_dual_mov_b32 v47, 0 :: v_dual_mov_b32 v66, 0
	scratch_store_b32 off, v3, off offset:1480 ; 4-byte Folded Spill
	v_min_i32_e32 v3, s5, v25
	s_wait_kmcnt 0x0
	s_add_nc_u64 s[0:1], s[0:1], s[10:11]
	v_dual_mov_b32 v65, 0 :: v_dual_mov_b32 v60, 0
	v_mov_b32_e32 v127, 0
	v_mul_lo_u32 v2, v3, s15
	scratch_store_b64 off, v[4:5], off offset:1484 ; 8-byte Folded Spill
	v_mov_b32_e32 v56, 0
	v_mov_b32_e32 v52, 0
	;; [unrolled: 1-line block ×4, first 2 shown]
	scratch_store_b32 off, v2, off offset:1492 ; 4-byte Folded Spill
	v_min_i32_e32 v2, s5, v26
	s_delay_alu instid0(VALU_DEP_1)
	v_mad_co_u64_u32 v[3:4], null, 0x84, v3, v[1:2]
	v_mul_lo_u32 v5, v2, s15
	scratch_store_b64 off, v[3:4], off offset:1496 ; 8-byte Folded Spill
	v_min_i32_e32 v3, s5, v27
	scratch_store_b32 off, v5, off offset:1504 ; 4-byte Folded Spill
	v_mad_co_u64_u32 v[5:6], null, 0x84, v2, v[1:2]
	v_add_nc_u32_e32 v4, 64, v33
	v_mul_lo_u32 v2, v3, s15
	s_clause 0x1
	scratch_store_b64 off, v[5:6], off offset:1508
	scratch_store_b32 off, v2, off offset:1516
	v_min_i32_e32 v2, s5, v4
	v_add_nc_u32_e32 v4, 0x48, v33
	s_delay_alu instid0(VALU_DEP_2) | instskip(NEXT) | instid1(VALU_DEP_2)
	v_mad_co_u64_u32 v[5:6], null, 0x84, v3, v[1:2]
	v_min_i32_e32 v4, s5, v4
	v_add_nc_u32_e32 v3, 0x50, v33
	scratch_store_b64 off, v[5:6], off offset:1520 ; 8-byte Folded Spill
	v_mul_lo_u32 v5, v2, s15
	v_min_i32_e32 v20, s5, v3
	scratch_store_b32 off, v5, off offset:1528 ; 4-byte Folded Spill
	v_mad_co_u64_u32 v[5:6], null, 0x84, v2, v[1:2]
	v_mul_lo_u32 v2, v4, s15
	scratch_store_b64 off, v[5:6], off offset:1532 ; 8-byte Folded Spill
	v_add_nc_u32_e32 v6, 8, v17
	scratch_store_b32 off, v2, off offset:1540 ; 4-byte Folded Spill
	v_mad_co_u64_u32 v[2:3], null, 0x84, v4, v[1:2]
	v_cvt_f64_u32_e32 v[4:5], v17
	v_cvt_f64_u32_e32 v[6:7], v6
	;; [unrolled: 1-line block ×3, first 2 shown]
	scratch_store_b64 off, v[2:3], off offset:1544 ; 8-byte Folded Spill
	v_mul_lo_u32 v2, v20, s15
	scratch_store_b32 off, v2, off offset:1552 ; 4-byte Folded Spill
	v_cvt_f64_i32_e32 v[2:3], s7
	s_delay_alu instid0(VALU_DEP_1) | instskip(SKIP_1) | instid1(VALU_DEP_3)
	v_mad_co_u64_u32 v[31:32], null, 0x84, v20, v[1:2]
	v_mul_lo_u32 v20, v28, s15
	v_min_num_f64_e32 v[4:5], v[4:5], v[2:3]
	v_min_num_f64_e32 v[6:7], v[6:7], v[2:3]
	;; [unrolled: 1-line block ×5, first 2 shown]
	scratch_store_b64 off, v[31:32], off offset:1556 ; 8-byte Folded Spill
	v_mad_co_u64_u32 v[31:32], null, 0x84, v28, v[1:2]
	scratch_store_b32 off, v20, off offset:1564 ; 4-byte Folded Spill
	v_min_i32_e32 v20, s5, v29
	v_add_nc_u32_e32 v29, 0x68, v33
	v_min_num_f64_e32 v[14:15], v[14:15], v[2:3]
	v_min_num_f64_e32 v[16:17], v[16:17], v[2:3]
	s_delay_alu instid0(VALU_DEP_4)
	v_mul_lo_u32 v28, v20, s15
	scratch_store_b64 off, v[31:32], off offset:1568 ; 8-byte Folded Spill
	v_mad_co_u64_u32 v[31:32], null, 0x84, v20, v[1:2]
	v_min_i32_e32 v29, s5, v29
	scratch_store_b32 off, v28, off offset:1576 ; 4-byte Folded Spill
	v_add_nc_u32_e32 v28, 0x70, v33
	s_delay_alu instid0(VALU_DEP_1)
	v_min_i32_e32 v20, s5, v28
	v_mul_lo_u32 v28, v29, s15
	scratch_store_b64 off, v[31:32], off offset:1580 ; 8-byte Folded Spill
	v_mad_co_u64_u32 v[31:32], null, 0x84, v29, v[1:2]
	v_mul_lo_u32 v29, v20, s15
	scratch_store_b32 off, v28, off offset:1588 ; 4-byte Folded Spill
	v_ashrrev_i32_e32 v28, 31, v30
	scratch_store_b64 off, v[31:32], off offset:1592 ; 8-byte Folded Spill
	v_mad_co_u64_u32 v[31:32], null, 0x84, v20, v[1:2]
	v_min_num_f64_e32 v[2:3], v[18:19], v[2:3]
	scratch_store_b32 off, v29, off offset:1600 ; 4-byte Folded Spill
	v_add_nc_u32_e32 v29, 0x78, v33
	v_lshrrev_b32_e32 v28, 27, v28
	v_cvt_i32_f64_e32 v4, v[4:5]
	v_cvt_i32_f64_e32 v6, v[6:7]
	;; [unrolled: 1-line block ×3, first 2 shown]
	v_min_i32_e32 v29, s5, v29
	v_add_nc_u32_e32 v20, v30, v28
	v_bfe_u32 v28, v0, 2, 8
	v_cvt_i32_f64_e32 v10, v[10:11]
	v_cvt_i32_f64_e32 v11, v[12:13]
	;; [unrolled: 1-line block ×4, first 2 shown]
	v_lshl_add_u32 v28, v33, 3, v28
	v_and_b32_e32 v17, 31, v0
	v_mad_co_u64_u32 v[18:19], null, 0x84, v29, v[1:2]
	scratch_store_b64 off, v[31:32], off offset:1604 ; 8-byte Folded Spill
	v_mul_lo_u32 v31, v29, s15
	v_cvt_i32_f64_e32 v2, v[2:3]
	scratch_store_b32 off, v31, off offset:1612 ; 4-byte Folded Spill
	v_ashrrev_i32_e32 v31, 5, v20
	v_and_b32_e32 v20, 3, v0
	v_bfe_u32 v0, v0, 3, 7
	s_delay_alu instid0(VALU_DEP_3)
	v_lshlrev_b32_e32 v29, 2, v31
	v_lshlrev_b32_e32 v31, 2, v30
	v_mul_lo_u32 v30, v30, s15
	scratch_store_b64 off, v[18:19], off offset:1616 ; 8-byte Folded Spill
	v_and_b32_e32 v19, 0x7f, v28
	v_add_nc_u32_e32 v18, 0xfe, v20
	v_add3_u32 v29, v29, v31, 0x6e40
	v_cmp_gt_u32_e32 vcc_lo, 2, v20
	v_lshlrev_b32_e32 v3, 2, v20
	v_lshlrev_b32_e32 v70, 2, v0
	s_clause 0x1
	scratch_store_b32 off, v30, off offset:1624
	scratch_store_b32 off, v29, off offset:1628
	v_min_i32_e32 v30, s5, v19
	v_xor_b32_e32 v19, 64, v19
	v_and_b32_e32 v18, 0xff, v18
	s_delay_alu instid0(VALU_DEP_3) | instskip(NEXT) | instid1(VALU_DEP_3)
	v_ashrrev_i32_e32 v29, 31, v30
	v_min_i32_e32 v19, s5, v19
	s_delay_alu instid0(VALU_DEP_3)
	v_cndmask_b32_e32 v18, v18, v20, vcc_lo
	v_cmp_ne_u32_e32 vcc_lo, 0, v20
	v_and_b32_e32 v5, 4, v1
	v_lshrrev_b32_e32 v29, 29, v29
	v_ashrrev_i32_e32 v32, 31, v19
	v_lshlrev_b32_e32 v14, 1, v18
	s_wait_alu 0xfffd
	v_add_co_ci_u32_e64 v31, null, 0, v18, vcc_lo
	v_add_nc_u32_e32 v7, v30, v29
	v_lshrrev_b32_e32 v9, 29, v32
	scratch_store_b32 off, v14, off offset:1636 ; 4-byte Folded Spill
	v_mul_lo_u32 v14, v30, s15
	v_cmp_lt_u32_e32 vcc_lo, 1, v20
	v_ashrrev_i32_e32 v7, 3, v7
	v_add_nc_u32_e32 v9, v19, v9
	v_mul_lo_u32 v16, v19, s15
	v_mul_lo_u32 v2, s4, v2
	s_wait_alu 0xfffd
	v_cndmask_b32_e32 v5, 0, v5, vcc_lo
	v_lshlrev_b32_e32 v7, 2, v7
	v_ashrrev_i32_e32 v9, 3, v9
	scratch_store_b32 off, v14, off offset:1640 ; 4-byte Folded Spill
	v_and_b32_e32 v14, 63, v28
	v_lshlrev_b32_e32 v29, 2, v35
	v_add3_u32 v7, v7, v3, 0x6200
	v_lshlrev_b32_e32 v9, 2, v9
	scratch_store_b32 off, v16, off offset:1644 ; 4-byte Folded Spill
	v_or_b32_e32 v16, s13, v14
	v_lshlrev_b32_e32 v15, 4, v30
	v_add3_u32 v29, v29, v1, 0x6e40
	v_add3_u32 v9, v9, v3, 0x6200
	v_lshl_or_b32 v3, v14, 4, v3
	v_min_i32_e32 v16, s7, v16
	v_lshl_or_b32 v14, v17, 2, 0x4200
	v_lshlrev_b32_e32 v18, 4, v19
	v_and_b32_e32 v19, 28, v1
	v_add_nc_u32_e32 v3, 0x6a40, v3
	scratch_store_b32 off, v5, off offset:1632 ; 4-byte Folded Spill
	v_mad_co_u64_u32 v[16:17], null, v16, s4, v[20:21]
	v_cndmask_b32_e64 v5, 0, 1, vcc_lo
	scratch_store_b32 off, v3, off offset:1328 ; 4-byte Folded Spill
	v_mul_lo_u32 v3, s4, v4
	v_mul_lo_u32 v4, s4, v6
	;; [unrolled: 1-line block ×7, first 2 shown]
	s_clause 0x3
	scratch_store_b64 off, v[16:17], off offset:1648
	scratch_store_b32 off, v3, off offset:1332
	scratch_store_b32 off, v33, off offset:1680
	;; [unrolled: 1-line block ×3, first 2 shown]
	v_lshlrev_b32_e32 v4, 7, v21
	v_add_nc_u32_e32 v13, 64, v34
	v_lshlrev_b32_e32 v21, 5, v21
	s_movk_i32 s4, 0x1080
	scratch_store_b32 off, v12, off offset:1356 ; 4-byte Folded Spill
	v_add_nc_u32_e32 v12, 32, v34
	s_wait_alu 0xfffe
	v_mad_u32_u24 v155, 0x84, v34, s4
	s_movk_i32 s4, 0x2100
	v_add_nc_u32_e32 v16, 0x60, v34
	v_lshlrev_b32_e32 v3, 7, v33
	v_lshrrev_b32_e32 v36, 3, v12
	v_lshlrev_b32_e32 v154, 4, v12
	v_lshlrev_b32_e32 v12, 4, v13
	s_clause 0x2
	scratch_store_b32 off, v6, off offset:1340
	scratch_store_b32 off, v21, off offset:1260
	;; [unrolled: 1-line block ×3, first 2 shown]
	v_lshlrev_b32_e32 v21, 5, v22
	scratch_store_b32 off, v12, off offset:1248 ; 4-byte Folded Spill
	s_wait_alu 0xfffe
	v_mad_u32_u24 v12, 0x84, v34, s4
	scratch_store_b32 off, v8, off offset:1344 ; 4-byte Folded Spill
	v_and_b32_e32 v30, 60, v36
	scratch_store_b32 off, v21, off offset:1264 ; 4-byte Folded Spill
	v_lshlrev_b32_e32 v21, 5, v23
	scratch_store_b32 off, v10, off offset:1348 ; 4-byte Folded Spill
	v_lshrrev_b32_e32 v20, 3, v16
	scratch_store_b32 off, v12, off offset:1252 ; 4-byte Folded Spill
	v_lshlrev_b32_e32 v12, 4, v16
	scratch_store_b32 off, v21, off offset:1268 ; 4-byte Folded Spill
	v_lshlrev_b32_e32 v21, 5, v24
	scratch_store_b32 off, v11, off offset:1352 ; 4-byte Folded Spill
	v_and_b32_e32 v33, 60, v20
	s_movk_i32 s4, 0x3180
	v_add_nc_u32_e32 v3, v14, v3
	scratch_store_b32 off, v21, off offset:1272 ; 4-byte Folded Spill
	v_lshlrev_b32_e32 v21, 5, v25
	scratch_store_b32 off, v2, off offset:1360 ; 4-byte Folded Spill
	v_lshrrev_b32_e32 v2, 3, v13
	v_lshlrev_b32_e32 v5, 2, v5
	v_lshlrev_b32_e32 v6, 7, v22
	scratch_store_b32 off, v21, off offset:1276 ; 4-byte Folded Spill
	v_lshlrev_b32_e32 v21, 5, v26
	v_and_b32_e32 v32, 60, v2
	scratch_store_b32 off, v29, off offset:1364 ; 4-byte Folded Spill
	v_add3_u32 v29, v1, v30, 0x6e40
	v_lshlrev_b32_e32 v8, 7, v23
	scratch_store_b32 off, v21, off offset:1280 ; 4-byte Folded Spill
	v_lshlrev_b32_e32 v21, 5, v27
	v_lshlrev_b32_e32 v10, 7, v24
	scratch_store_b32 off, v29, off offset:1368 ; 4-byte Folded Spill
	v_add3_u32 v29, v1, v32, 0x6e40
	v_lshlrev_b32_e32 v11, 7, v25
	scratch_store_b32 off, v21, off offset:1284 ; 4-byte Folded Spill
	v_lshlrev_b32_e32 v17, 7, v26
	v_lshlrev_b32_e32 v28, 7, v27
	scratch_store_b32 off, v29, off offset:1372 ; 4-byte Folded Spill
	v_add3_u32 v29, v1, v33, 0x6e40
	v_lshlrev_b32_e32 v71, 2, v1
	v_lshlrev_b32_e32 v151, 2, v36
	s_mov_b32 s5, 0
	s_clause 0x2
	scratch_store_b32 off, v29, off offset:1376
	scratch_store_b32 off, v12, off offset:1300
	;; [unrolled: 1-line block ×3, first 2 shown]
	s_wait_alu 0xfffe
	v_mad_u32_u24 v12, 0x84, v34, s4
	scratch_store_b32 off, v3, off offset:1388 ; 4-byte Folded Spill
	v_add_nc_u32_e32 v3, v14, v4
	s_clause 0x1
	scratch_store_b32 off, v12, off offset:1304
	scratch_store_b32 off, v5, off offset:1668
	v_add_co_u32 v12, s4, s2, v19
	s_wait_alu 0xf1ff
	v_add_co_ci_u32_e64 v13, null, s3, 0, s4
	v_add_nc_u32_e32 v5, v7, v15
	scratch_store_b32 off, v3, off offset:1392 ; 4-byte Folded Spill
	v_add_nc_u32_e32 v3, v14, v6
	scratch_store_b64 off, v[12:13], off offset:1380 ; 8-byte Folded Spill
	v_lshlrev_b32_e32 v12, 2, v31
	scratch_store_b32 off, v5, off offset:1672 ; 4-byte Folded Spill
	v_add_nc_u32_e32 v5, v9, v18
	scratch_store_b32 off, v3, off offset:1396 ; 4-byte Folded Spill
	v_add_nc_u32_e32 v3, v14, v8
	scratch_store_b32 off, v12, off offset:1664 ; 4-byte Folded Spill
	v_mov_b32_e32 v13, 0
	scratch_store_b32 off, v5, off offset:1676 ; 4-byte Folded Spill
	v_mov_b32_e32 v9, 0
	scratch_store_b32 off, v3, off offset:1400 ; 4-byte Folded Spill
	v_dual_mov_b32 v10, 0 :: v_dual_add_nc_u32 v3, v14, v10
	v_mov_b32_e32 v12, 0
	v_mov_b32_e32 v8, 0
	s_mov_b32 s4, s5
	scratch_store_b32 off, v3, off offset:1404 ; 4-byte Folded Spill
	v_add_nc_u32_e32 v3, v14, v11
	v_mov_b32_e32 v11, 0
	scratch_store_b32 off, v3, off offset:1408 ; 4-byte Folded Spill
	v_add_nc_u32_e32 v3, v14, v17
	scratch_store_b32 off, v3, off offset:1412 ; 4-byte Folded Spill
	v_add_nc_u32_e32 v3, v14, v28
	s_clause 0x1
	scratch_store_b32 off, v3, off offset:1416
	scratch_store_b32 off, v0, off offset:1660
	v_lshlrev_b32_e32 v0, 2, v2
	s_clause 0x1
	scratch_store_b32 off, v36, off offset:1656
	scratch_store_b32 off, v0, off offset:1320
	v_lshlrev_b32_e32 v0, 2, v20
	s_clause 0x7
	scratch_store_b32 off, v0, off offset:1324
	scratch_store_b32 off, v64, off offset:1256
	;; [unrolled: 1-line block ×8, first 2 shown]
.LBB132_5:                              ; =>This Loop Header: Depth=1
                                        ;     Child Loop BB132_6 Depth 2
                                        ;     Child Loop BB132_8 Depth 2
	s_clause 0x18
	scratch_store_b32 off, v67, off offset:772
	scratch_store_b32 off, v65, off offset:768
	;; [unrolled: 1-line block ×25, first 2 shown]
	s_clause 0xa
	scratch_load_b32 v0, off, off offset:1424
	scratch_load_b32 v2, off, off offset:1432
	;; [unrolled: 1-line block ×11, first 2 shown]
	s_wait_alu 0xfffe
	s_mul_u64 s[10:11], s[4:5], 0x90
	s_lshl_b32 s7, s4, 3
	s_wait_alu 0xfffe
	s_add_nc_u64 s[10:11], s[0:1], s[10:11]
	s_mov_b32 s17, 0
	s_wait_loadcnt 0xa
	s_wait_alu 0xfffe
	v_mad_co_u64_u32 v[0:1], null, 0x90, v0, s[10:11]
	s_wait_loadcnt 0x9
	s_delay_alu instid0(VALU_DEP_1)
	v_mad_co_i64_i32 v[2:3], null, 0x90, v2, v[0:1]
	s_wait_loadcnt 0x8
	v_mad_co_i64_i32 v[4:5], null, 0x90, v4, v[0:1]
	s_wait_loadcnt 0x7
	;; [unrolled: 2-line block ×4, first 2 shown]
	v_add_co_u32 v2, vcc_lo, v2, v28
	v_mad_co_i64_i32 v[10:11], null, 0x90, v10, v[0:1]
	s_wait_alu 0xfffd
	v_add_co_ci_u32_e64 v3, null, 0, v3, vcc_lo
	v_add_co_u32 v4, vcc_lo, v4, v28
	v_mad_co_i64_i32 v[12:13], null, 0x90, v12, v[0:1]
	s_wait_alu 0xfffd
	v_add_co_ci_u32_e64 v5, null, 0, v5, vcc_lo
	v_add_co_u32 v6, vcc_lo, v6, v28
	s_wait_loadcnt 0x2
	v_mad_co_i64_i32 v[14:15], null, 0x90, v14, v[0:1]
	s_wait_alu 0xfffd
	v_add_co_ci_u32_e64 v7, null, 0, v7, vcc_lo
	v_add_co_u32 v8, vcc_lo, v8, v28
	s_wait_loadcnt 0x1
	v_mad_co_i64_i32 v[16:17], null, 0x90, v16, v[0:1]
	s_wait_alu 0xfffd
	v_add_co_ci_u32_e64 v9, null, 0, v9, vcc_lo
	v_add_co_u32 v10, vcc_lo, v10, v28
	s_wait_alu 0xfffd
	v_add_co_ci_u32_e64 v11, null, 0, v11, vcc_lo
	v_add_co_u32 v12, vcc_lo, v12, v28
	;; [unrolled: 3-line block ×4, first 2 shown]
	s_wait_alu 0xfffd
	v_add_co_ci_u32_e64 v17, null, 0, v17, vcc_lo
	s_clause 0x7
	global_load_b32 v20, v[2:3], off offset:16
	global_load_b32 v21, v[4:5], off offset:16
	;; [unrolled: 1-line block ×8, first 2 shown]
	s_clause 0x6
	scratch_load_b32 v2, off, off offset:1540
	scratch_load_b32 v6, off, off offset:1552
	scratch_load_b32 v8, off, off offset:1564
	scratch_load_b32 v10, off, off offset:1576
	scratch_load_b32 v12, off, off offset:1588
	scratch_load_b32 v14, off, off offset:1600
	scratch_load_b32 v16, off, off offset:1612
	s_wait_loadcnt 0xf
	v_mad_co_i64_i32 v[18:19], null, 0x90, v18, v[0:1]
	s_delay_alu instid0(VALU_DEP_1) | instskip(SKIP_1) | instid1(VALU_DEP_2)
	v_add_co_u32 v4, vcc_lo, v18, v28
	s_wait_alu 0xfffd
	v_add_co_ci_u32_e64 v5, null, 0, v19, vcc_lo
	s_wait_loadcnt 0x6
	v_mad_co_i64_i32 v[2:3], null, 0x90, v2, v[0:1]
	s_wait_loadcnt 0x5
	v_mad_co_i64_i32 v[6:7], null, 0x90, v6, v[0:1]
	s_wait_loadcnt 0x4
	v_mad_co_i64_i32 v[8:9], null, 0x90, v8, v[0:1]
	s_wait_loadcnt 0x3
	v_mad_co_i64_i32 v[10:11], null, 0x90, v10, v[0:1]
	s_delay_alu instid0(VALU_DEP_4)
	v_add_co_u32 v2, vcc_lo, v2, v28
	s_wait_loadcnt 0x2
	v_mad_co_i64_i32 v[12:13], null, 0x90, v12, v[0:1]
	s_wait_alu 0xfffd
	v_add_co_ci_u32_e64 v3, null, 0, v3, vcc_lo
	v_add_co_u32 v6, vcc_lo, v6, v28
	s_wait_loadcnt 0x1
	v_mad_co_i64_i32 v[14:15], null, 0x90, v14, v[0:1]
	s_wait_alu 0xfffd
	v_add_co_ci_u32_e64 v7, null, 0, v7, vcc_lo
	;; [unrolled: 5-line block ×3, first 2 shown]
	v_add_co_u32 v10, vcc_lo, v10, v28
	s_wait_alu 0xfffd
	v_add_co_ci_u32_e64 v11, null, 0, v11, vcc_lo
	v_add_co_u32 v12, vcc_lo, v12, v28
	s_wait_alu 0xfffd
	v_add_co_ci_u32_e64 v13, null, 0, v13, vcc_lo
	v_add_co_u32 v14, vcc_lo, v14, v28
	scratch_load_b32 v16, off, off offset:1640 ; 4-byte Folded Reload
	s_wait_alu 0xfffd
	v_add_co_ci_u32_e64 v15, null, 0, v15, vcc_lo
	v_add_co_u32 v0, vcc_lo, v0, v28
	s_wait_alu 0xfffd
	v_add_co_ci_u32_e64 v1, null, 0, v1, vcc_lo
	s_clause 0x7
	global_load_b32 v28, v[4:5], off offset:16
	global_load_b32 v29, v[2:3], off offset:16
	;; [unrolled: 1-line block ×8, first 2 shown]
	s_clause 0x4
	scratch_load_b32 v0, off, off offset:1624
	scratch_load_b32 v2, off, off offset:1644
	;; [unrolled: 1-line block ×5, first 2 shown]
	s_wait_loadcnt 0xd
	v_mad_co_i64_i32 v[16:17], null, 0x90, v16, s[10:11]
	s_wait_loadcnt 0x4
	v_mad_co_i64_i32 v[0:1], null, 0x90, v0, s[10:11]
	s_wait_loadcnt 0x2
	s_delay_alu instid0(VALU_DEP_2)
	v_add_co_u32 v4, vcc_lo, v16, v8
	s_wait_loadcnt 0x0
	v_add_nc_u32_e32 v12, s7, v10
	scratch_load_b32 v10, off, off offset:1332 ; 4-byte Folded Reload
	v_mad_co_i64_i32 v[2:3], null, 0x90, v2, s[10:11]
	s_wait_alu 0xfffd
	v_add_co_ci_u32_e64 v5, null, 0, v17, vcc_lo
	v_add_co_u32 v6, vcc_lo, v16, v11
	s_wait_alu 0xfffd
	v_add_co_ci_u32_e64 v7, null, 0, v17, vcc_lo
	s_delay_alu instid0(VALU_DEP_4)
	v_add_co_u32 v8, vcc_lo, v2, v8
	s_wait_alu 0xfffd
	v_add_co_ci_u32_e64 v9, null, 0, v3, vcc_lo
	v_add_co_u32 v2, vcc_lo, v2, v11
	s_wait_alu 0xfffd
	v_add_co_ci_u32_e64 v3, null, 0, v3, vcc_lo
	s_clause 0x3
	global_load_b32 v36, v[4:5], off offset:4
	global_load_b32 v37, v[6:7], off offset:4
	;; [unrolled: 1-line block ×4, first 2 shown]
	s_clause 0x7
	scratch_load_b64 v[2:3], off, off offset:1648
	scratch_load_b64 v[17:18], off, off offset:1380
	scratch_load_b32 v5, off, off offset:1340
	scratch_load_b32 v7, off, off offset:1344
	scratch_load_b32 v9, off, off offset:1348
	scratch_load_b32 v11, off, off offset:1352
	scratch_load_b32 v14, off, off offset:1356
	scratch_load_b32 v15, off, off offset:1360
	s_mov_b32 s10, -1
	s_wait_loadcnt 0xc
	v_add_nc_u32_e32 v10, v12, v10
	s_wait_loadcnt 0x7
	v_add_nc_u32_e32 v19, s7, v2
	scratch_load_b32 v2, off, off offset:1336 ; 4-byte Folded Reload
	s_wait_loadcnt 0x6
	v_add_nc_u32_e32 v6, v12, v5
	s_wait_loadcnt 0x5
	v_add_nc_u32_e32 v8, v12, v7
	;; [unrolled: 2-line block ×5, first 2 shown]
	scratch_store_b32 off, v19, off offset:1420 ; 4-byte Folded Spill
	v_mad_co_i64_i32 v[6:7], null, v6, 36, v[17:18]
	v_mad_co_i64_i32 v[14:15], null, v14, 36, v[17:18]
	s_wait_loadcnt 0x0
	v_add_nc_u32_e32 v4, v12, v2
	v_mad_co_i64_i32 v[2:3], null, v10, 36, v[17:18]
	v_add_nc_u32_e32 v10, v12, v9
	v_mad_co_i64_i32 v[8:9], null, v8, 36, v[17:18]
	s_delay_alu instid0(VALU_DEP_4) | instskip(NEXT) | instid1(VALU_DEP_3)
	v_mad_co_i64_i32 v[4:5], null, v4, 36, v[17:18]
	v_mad_co_i64_i32 v[10:11], null, v10, 36, v[17:18]
	;; [unrolled: 1-line block ×4, first 2 shown]
	v_mad_co_u64_u32 v[18:19], null, v19, 36, s[2:3]
	s_clause 0x7
	global_load_b32 v2, v[2:3], off offset:4
	global_load_b32 v3, v[4:5], off offset:4
	;; [unrolled: 1-line block ×8, first 2 shown]
	global_load_b32 v0, v[0:1], off
	global_load_b32 v1, v[18:19], off
	s_clause 0x2
	scratch_load_b32 v11, off, off offset:1632
	scratch_load_b64 v[14:15], off, off offset:1436
	scratch_load_b32 v13, off, off offset:1636
	s_wait_loadcnt 0x2
	v_ashrrev_i32_e32 v10, v11, v36
	s_wait_loadcnt 0x1
	ds_store_b32 v14, v20
	scratch_load_b64 v[14:15], off, off offset:1448 ; 8-byte Folded Reload
	v_ashrrev_i32_e32 v11, v11, v38
	v_and_b32_e32 v10, 0xf0f0f0f, v10
	s_delay_alu instid0(VALU_DEP_2)
	v_and_b32_e32 v11, 0xf0f0f0f, v11
	s_wait_loadcnt 0x0
	ds_store_b32 v14, v21
	scratch_load_b64 v[14:15], off, off offset:1460 ; 8-byte Folded Reload
	s_wait_loadcnt 0x0
	ds_store_b32 v14, v22
	scratch_load_b64 v[14:15], off, off offset:1472 ; 8-byte Folded Reload
	;; [unrolled: 3-line block ×3, first 2 shown]
	v_mov_b32_e32 v23, v68
	s_wait_loadcnt 0x0
	ds_store_b32 v14, v24
	scratch_load_b64 v[14:15], off, off offset:1496 ; 8-byte Folded Reload
	s_wait_loadcnt 0x0
	ds_store_b32 v14, v25
	scratch_load_b64 v[14:15], off, off offset:1508 ; 8-byte Folded Reload
	;; [unrolled: 3-line block ×11, first 2 shown]
	s_wait_loadcnt 0x0
	ds_store_b32 v14, v35
	scratch_load_b32 v14, off, off offset:1388 ; 4-byte Folded Reload
	v_ashrrev_i32_e32 v12, v13, v37
	v_ashrrev_i32_e32 v13, v13, v39
	s_wait_loadcnt 0x0
	ds_store_b32 v14, v2
	scratch_load_b32 v2, off, off offset:1392 ; 4-byte Folded Reload
	s_wait_loadcnt 0x0
	ds_store_b32 v2, v3
	scratch_load_b32 v2, off, off offset:1396 ; 4-byte Folded Reload
	v_and_or_b32 v3, 0x30303030, v13, v11
	s_wait_loadcnt 0x0
	ds_store_b32 v2, v4
	s_clause 0x1
	scratch_load_b32 v2, off, off offset:1400
	scratch_load_b32 v4, off, off offset:1412
	s_wait_loadcnt 0x1
	ds_store_b32 v2, v5
	s_wait_loadcnt 0x0
	ds_store_b32 v4, v8
	s_clause 0x1
	scratch_load_b32 v2, off, off offset:1404
	scratch_load_b32 v4, off, off offset:1416
	s_wait_loadcnt 0x1
	ds_store_b32 v2, v6
	;; [unrolled: 7-line block ×3, first 2 shown]
	s_wait_loadcnt 0x0
	ds_store_b32 v4, v0
	scratch_load_b32 v0, off, off offset:1672 ; 4-byte Folded Reload
	v_and_or_b32 v2, 0x30303030, v12, v10
	s_wait_loadcnt 0x0
	ds_store_b32 v0, v2
	scratch_load_b32 v0, off, off offset:1676 ; 4-byte Folded Reload
	s_wait_loadcnt 0x0
	ds_store_b32 v0, v3
	scratch_load_b32 v0, off, off offset:1328 ; 4-byte Folded Reload
	s_wait_loadcnt 0x0
	ds_store_b32 v0, v1
	s_wait_storecnt_dscnt 0x0
	s_barrier_signal -1
	s_barrier_wait -1
	global_inv scope:SCOPE_SE
	s_clause 0x3
	scratch_load_b32 v0, off, off offset:1364
	scratch_load_b32 v1, off, off offset:1368
	;; [unrolled: 1-line block ×4, first 2 shown]
	s_wait_loadcnt 0x3
	ds_load_b32 v0, v0
	s_wait_loadcnt 0x2
	ds_load_b32 v1, v1 offset:128
	s_wait_loadcnt 0x1
	ds_load_b32 v2, v2 offset:256
	;; [unrolled: 2-line block ×3, first 2 shown]
	s_wait_dscnt 0x3
	v_lshrrev_b32_e32 v4, 16, v0
	v_cvt_f32_f16_e32 v0, v0
	scratch_store_b32 off, v0, off offset:12 ; 4-byte Folded Spill
	s_wait_dscnt 0x2
	v_cvt_f32_f16_e32 v0, v1
	scratch_store_b32 off, v0, off offset:140 ; 4-byte Folded Spill
	v_lshrrev_b32_e32 v0, 16, v1
	s_wait_dscnt 0x1
	v_cvt_f32_f16_e32 v1, v2
	s_delay_alu instid0(VALU_DEP_2)
	v_cvt_f32_f16_e32 v0, v0
	scratch_store_b32 off, v1, off offset:1156 ; 4-byte Folded Spill
	v_lshrrev_b32_e32 v1, 16, v2
	s_wait_dscnt 0x0
	v_lshrrev_b32_e32 v2, 16, v3
	v_cvt_f32_f16_e32 v3, v3
	scratch_store_b32 off, v0, off offset:144 ; 4-byte Folded Spill
	v_cvt_f32_f16_e32 v0, v1
	scratch_store_b32 off, v0, off offset:664 ; 4-byte Folded Spill
	;; [unrolled: 2-line block ×3, first 2 shown]
	v_cvt_f32_f16_e32 v3, v4
	s_clause 0x1
	scratch_store_b32 off, v0, off offset:20
	scratch_store_b32 off, v3, off offset:16
	s_clause 0x1
	scratch_load_b32 v25, off, off offset:1248
	scratch_load_b32 v27, off, off offset:1252
.LBB132_6:                              ;   Parent Loop BB132_5 Depth=1
                                        ; =>  This Inner Loop Header: Depth=2
	s_wait_alu 0xfffe
	s_lshr_b32 s16, s17, 2
	s_lshl_b32 s11, s17, 1
	s_lshl_b32 s17, s17, 2
	s_clause 0x4
	scratch_store_b32 off, v127, off offset:800
	scratch_store_b32 off, v122, off offset:796
	;; [unrolled: 1-line block ×3, first 2 shown]
	scratch_store_b32 off, v66, off
	scratch_store_b32 off, v40, off offset:788
	s_wait_alu 0xfffe
	v_add_nc_u32_e32 v5, s17, v69
	v_or_b32_e32 v0, s11, v64
	s_addk_co_i32 s16, 0x6200
	s_and_b32 vcc_lo, exec_lo, s10
	s_wait_alu 0xfffe
	v_add3_u32 v4, s16, v70, v71
	ds_load_2addr_b32 v[43:44], v5 offset1:1
	v_lshlrev_b32_e32 v1, 2, v0
	v_lshrrev_b32_e32 v83, 1, v0
	s_mov_b32 s10, 0
	s_wait_dscnt 0x0
	v_and_b32_e32 v0, 0xf0f0f0f, v43
	v_bfe_u32 v7, v43, 24, 4
	v_bfe_u32 v9, v43, 16, 4
	v_lshrrev_b32_e32 v174, 28, v44
	v_bfe_u32 v255, v44, 20, 4
	v_lshrrev_b16 v8, 8, v0
	ds_load_b128 v[16:19], v1 offset:16896
	ds_load_b128 v[32:35], v1 offset:16912
	;; [unrolled: 1-line block ×4, first 2 shown]
	v_bfe_u32 v175, v44, 4, 4
	v_dual_mov_b32 v201, v7 :: v_dual_mov_b32 v202, v9
	s_wait_dscnt 0x3
	v_lshrrev_b16 v6, 8, v16
	v_lshrrev_b16 v10, 8, v17
	v_bfe_i32 v228, v16, 16, 8
	v_bfe_i32 v126, v16, 0, 8
	v_ashrrev_i32_e32 v229, 24, v16
	v_bfe_i32 v127, v6, 0, 8
	v_and_b32_e32 v6, 0xffff, v8
	v_and_b32_e32 v8, 0xf0f0f0f, v44
	v_bfe_i32 v115, v10, 0, 8
	v_lshrrev_b16 v14, 8, v18
	v_lshrrev_b16 v20, 8, v19
	v_ashrrev_i32_e32 v123, 24, v17
	v_lshrrev_b16 v12, 8, v8
	v_bfe_u32 v8, v44, 16, 4
	v_bfe_i32 v101, v14, 0, 8
	v_bfe_i32 v122, v17, 16, 8
	v_ashrrev_i32_e32 v112, 24, v18
	v_and_b32_e32 v10, 0xffff, v12
	v_mov_b32_e32 v198, v8
	ds_load_2addr_b32 v[53:54], v5 offset0:2 offset1:3
	ds_load_2addr_b32 v[60:61], v5 offset0:4 offset1:5
	;; [unrolled: 1-line block ×3, first 2 shown]
	v_mul_i32_i24_e32 v38, v10, v115
	v_mov_b32_e32 v200, v10
	v_bfe_i32 v97, v20, 0, 8
	v_mul_i32_i24_e32 v39, v8, v122
	v_bfe_i32 v100, v18, 0, 8
	v_ashrrev_i32_e32 v99, 24, v19
	v_bfe_i32 v98, v19, 16, 8
	v_bfe_i32 v114, v17, 0, 8
	;; [unrolled: 1-line block ×3, first 2 shown]
	s_wait_dscnt 0x5
	v_lshrrev_b16 v22, 8, v32
	v_ashrrev_i32_e32 v95, 24, v32
	v_bfe_i32 v109, v18, 16, 8
	v_lshrrev_b16 v26, 8, v33
	v_bfe_i32 v82, v32, 0, 8
	v_bfe_i32 v92, v22, 0, 8
	v_ashrrev_i32_e32 v81, 24, v33
	v_lshrrev_b16 v30, 8, v34
	s_wait_dscnt 0x2
	v_and_b32_e32 v12, 0xf0f0f0f, v53
	v_bfe_u32 v242, v53, 16, 4
	s_wait_dscnt 0x1
	v_and_b32_e32 v20, 0xf0f0f0f, v60
	v_bfe_u32 v8, v54, 16, 4
	v_lshrrev_b32_e32 v246, 28, v60
	v_lshrrev_b16 v16, 8, v12
	v_and_b32_e32 v12, 15, v53
	v_and_b32_e32 v11, 15, v43
	v_lshrrev_b16 v24, 8, v20
	v_mul_i32_i24_e32 v55, v8, v98
	v_bfe_u32 v251, v60, 20, 4
	v_mov_b32_e32 v196, v12
	v_dual_mov_b32 v203, v11 :: v_dual_and_b32 v10, 0xffff, v16
	v_and_b32_e32 v16, 0xf0f0f0f, v54
	v_mul_i32_i24_e32 v41, v12, v100
	s_clause 0x2
	scratch_store_b32 off, v196, off offset:416
	scratch_store_b32 off, v10, off offset:412
	;; [unrolled: 1-line block ×3, first 2 shown]
	v_lshrrev_b16 v21, 8, v16
	v_mul_i32_i24_e32 v42, v10, v101
	v_and_b32_e32 v12, 15, v54
	scratch_store_b32 off, v8, off offset:440 ; 4-byte Folded Spill
	v_bfe_u32 v8, v60, 16, 4
	v_and_b32_e32 v10, 0xffff, v21
	v_and_b32_e32 v131, 15, v44
	v_bfe_u32 v253, v60, 4, 4
	v_mul_i32_i24_e32 v47, v12, v96
	s_delay_alu instid0(VALU_DEP_4)
	v_dual_mov_b32 v248, v8 :: v_dual_mov_b32 v245, v10
	v_mul_i32_i24_e32 v36, v6, v127
	v_mov_b32_e32 v195, v6
	v_bfe_u32 v6, v44, 24, 4
	v_mul_i32_i24_e32 v48, v10, v97
	v_and_b32_e32 v10, 0xffff, v24
	v_and_b32_e32 v24, 0xf0f0f0f, v61
	v_mul_i32_i24_e32 v37, v131, v114
	v_mul_i32_i24_e32 v40, v6, v123
	v_mov_b32_e32 v199, v6
	v_bfe_u32 v6, v53, 24, 4
	scratch_store_b32 off, v12, off offset:444 ; 4-byte Folded Spill
	v_and_b32_e32 v12, 15, v60
	scratch_store_b32 off, v10, off offset:448 ; 4-byte Folded Spill
	v_lshrrev_b16 v28, 8, v24
	v_mul_i32_i24_e32 v46, v6, v112
	v_mov_b32_e32 v247, v6
	v_bfe_u32 v6, v54, 24, 4
	s_wait_dscnt 0x0
	v_and_b32_e32 v5, 0xf0f0f0f, v65
	v_mul_i32_i24_e32 v45, v242, v109
	v_bfe_i32 v94, v32, 16, 8
	s_clause 0x1
	scratch_store_b32 off, v12, off offset:452
	scratch_store_b32 off, v6, off offset:436
	v_mul_i32_i24_e32 v56, v6, v99
	v_bfe_u32 v6, v60, 24, 4
	v_mul_i32_i24_e32 v58, v12, v82
	v_mul_i32_i24_e32 v59, v10, v92
	v_bfe_i32 v79, v26, 0, 8
	v_bfe_i32 v78, v33, 0, 8
	scratch_store_b32 off, v6, off offset:456 ; 4-byte Folded Spill
	v_mul_i32_i24_e32 v63, v6, v95
	v_bfe_u32 v6, v61, 24, 4
	v_and_b32_e32 v10, 0xffff, v28
	v_and_b32_e32 v12, 15, v61
	v_lshrrev_b16 v5, 8, v5
	v_ashrrev_i32_e32 v77, 24, v34
	s_clause 0x2
	scratch_store_b32 off, v6, off offset:460
	scratch_store_b32 off, v10, off offset:464
	;; [unrolled: 1-line block ×3, first 2 shown]
	v_mul_i32_i24_e32 v69, v6, v81
	v_bfe_u32 v6, v65, 24, 4
	v_and_b32_e32 v32, 0xf0f0f0f, v66
	v_mad_i32_i24 v40, v7, v229, v40
	v_mad_i32_i24 v37, v11, v126, v37
	v_mad_i32_i24 v39, v9, v228, v39
	v_lshrrev_b16 v57, 8, v35
	v_mul_i32_i24_e32 v62, v8, v94
	v_bfe_i32 v80, v33, 16, 8
	v_bfe_u32 v244, v61, 16, 4
	v_mul_i32_i24_e32 v64, v12, v78
	v_mul_i32_i24_e32 v67, v10, v79
	scratch_store_b32 off, v6, off offset:132 ; 4-byte Folded Spill
	v_bfe_i32 v76, v34, 16, 8
	v_bfe_i32 v30, v30, 0, 8
	;; [unrolled: 1-line block ×3, first 2 shown]
	v_bfe_u32 v8, v65, 16, 4
	v_and_b32_e32 v10, 0xffff, v5
	v_mul_i32_i24_e32 v72, v6, v77
	v_bfe_u32 v6, v66, 24, 4
	v_lshrrev_b16 v73, 8, v32
	v_ashrrev_i32_e32 v32, 24, v35
	v_bfe_i32 v33, v35, 16, 8
	v_bfe_i32 v35, v35, 0, 8
	v_and_b32_e32 v12, 15, v66
	v_add3_u32 v36, v36, v38, v42
	v_add3_u32 v38, v39, v45, v55
	;; [unrolled: 1-line block ×4, first 2 shown]
	v_bfe_u32 v9, v43, 20, 4
	v_and_b32_e32 v5, 15, v65
	v_mul_i32_i24_e32 v68, v244, v80
	v_mul_i32_i24_e32 v70, v10, v30
	v_mul_i32_i24_e32 v71, v8, v76
	v_bfe_i32 v34, v57, 0, 8
	v_mul_i32_i24_e32 v57, v12, v35
	v_mul_i32_i24_e32 v75, v6, v32
	v_add3_u32 v36, v36, v48, v59
	v_add3_u32 v39, v39, v63, v69
	;; [unrolled: 1-line block ×3, first 2 shown]
	v_mov_b32_e32 v176, v9
	s_clause 0x2
	scratch_store_b32 off, v10, off offset:472
	scratch_store_b32 off, v8, off offset:480
	;; [unrolled: 1-line block ×3, first 2 shown]
	v_mul_i32_i24_e32 v5, v5, v31
	v_bfe_u32 v8, v66, 16, 4
	v_and_b32_e32 v10, 0xffff, v73
	v_add3_u32 v38, v38, v62, v68
	v_add3_u32 v36, v36, v67, v70
	;; [unrolled: 1-line block ×3, first 2 shown]
	v_mul_i32_i24_e32 v74, v8, v33
	v_mul_i32_i24_e32 v73, v10, v34
	v_add3_u32 v37, v39, v72, v75
	s_clause 0x1
	scratch_store_b32 off, v244, off offset:868
	scratch_store_b32 off, v6, off offset:136
	v_add3_u32 v38, v38, v71, v74
	s_clause 0x2
	scratch_store_b32 off, v8, off offset:8
	scratch_store_b32 off, v10, off offset:24
	;; [unrolled: 1-line block ×3, first 2 shown]
	v_add3_u32 v36, v36, v73, v37
	v_lshrrev_b32_e32 v7, 28, v43
	scratch_store_b32 off, v247, off offset:404 ; 4-byte Folded Spill
	v_lshrrev_b16 v47, 8, v52
	v_bfe_i32 v39, v49, 0, 8
	v_add3_u32 v5, v5, v38, v36
	ds_load_u16 v36, v4
	ds_load_u16 v4, v4 offset:8
	v_lshrrev_b16 v38, 8, v49
	v_ashrrev_i32_e32 v37, 24, v49
	v_lshrrev_b16 v46, 8, v51
	v_bfe_i32 v48, v51, 0, 8
	v_lshrrev_b16 v42, 8, v50
	v_bfe_i32 v38, v38, 0, 8
	v_bfe_i32 v41, v50, 16, 8
	v_lshrrev_b32_e32 v11, 28, v53
	v_bfe_i32 v46, v46, 0, 8
	v_bfe_u32 v75, v43, 4, 4
	v_bfe_i32 v42, v42, 0, 8
	v_mul_i32_i24_e32 v87, v255, v41
	scratch_store_b32 off, v11, off offset:384 ; 4-byte Folded Spill
	v_bfe_u32 v132, v53, 20, 4
	v_bfe_u32 v13, v53, 4, 4
	v_lshrrev_b16 v55, 8, v0
	v_bfe_u32 v173, v54, 4, 4
	v_lshrrev_b16 v59, 8, v1
	s_wait_dscnt 0x1
	v_lshrrev_b16 v67, 8, v36
	v_and_b32_e32 v6, 0xff, v36
	v_lshrrev_b32_e32 v36, 4, v43
	v_bfe_i32 v43, v50, 0, 8
	scratch_store_b32 off, v13, off offset:44 ; 4-byte Folded Spill
	v_mul_i32_i24_e32 v89, v13, v48
	scratch_store_b32 off, v6, off offset:32 ; 4-byte Folded Spill
	v_lshrrev_b16 v36, 8, v36
	v_mul_lo_u32 v5, v5, v6
	v_bfe_i32 v55, v55, 0, 8
	v_mul_i32_i24_e32 v85, v175, v43
	v_lshrrev_b16 v63, 8, v2
	v_and_b32_e32 v40, 15, v36
	v_bfe_i32 v36, v49, 16, 8
	v_bfe_i32 v56, v0, 0, 8
	v_lshrrev_b32_e32 v222, 28, v61
	v_ashrrev_i32_e32 v57, 24, v1
	v_and_b32_e32 v6, 0xffff, v40
	v_lshrrev_b32_e32 v40, 4, v44
	v_lshrrev_b32_e32 v44, 4, v53
	v_mad_i32_i24 v87, v9, v36, v87
	v_bfe_i32 v58, v1, 16, 8
	v_mul_i32_i24_e32 v84, v6, v38
	v_lshrrev_b16 v40, 8, v40
	v_lshrrev_b16 v44, 8, v44
	v_mad_i32_i24 v85, v75, v39, v85
	v_lshrrev_b16 v68, 8, v3
	v_bfe_i32 v59, v59, 0, 8
	v_and_b32_e32 v45, 15, v40
	v_and_b32_e32 v49, 15, v44
	v_ashrrev_i32_e32 v44, 24, v51
	v_ashrrev_i32_e32 v40, 24, v50
	v_bfe_i32 v50, v52, 16, 8
	v_and_b32_e32 v254, 0xffff, v45
	v_bfe_i32 v45, v51, 16, 8
	v_and_b32_e32 v12, 0xffff, v49
	v_lshrrev_b32_e32 v49, 4, v54
	v_bfe_i32 v51, v47, 0, 8
	v_lshrrev_b32_e32 v47, 4, v60
	s_clause 0x1
	scratch_store_b32 off, v6, off offset:36
	scratch_store_b32 off, v12, off offset:40
	v_lshrrev_b16 v49, 8, v49
	v_mul_i32_i24_e32 v88, v174, v40
	v_lshrrev_b16 v47, 8, v47
	v_mul_i32_i24_e32 v90, v12, v46
	v_mul_i32_i24_e32 v6, v11, v44
	v_lshrrev_b32_e32 v11, 28, v54
	v_and_b32_e32 v53, 15, v49
	v_ashrrev_i32_e32 v49, 24, v52
	v_bfe_u32 v12, v54, 20, 4
	v_and_b32_e32 v47, 15, v47
	v_mul_i32_i24_e32 v86, v254, v42
	v_mul_i32_i24_e32 v91, v132, v45
	v_and_b32_e32 v13, 0xffff, v53
	v_mul_i32_i24_e32 v103, v12, v50
	v_mul_i32_i24_e32 v104, v11, v49
	v_and_b32_e32 v252, 0xffff, v47
	v_mad_i32_i24 v88, v7, v37, v88
	v_mul_i32_i24_e32 v102, v13, v51
	v_add3_u32 v84, v84, v86, v90
	v_add3_u32 v86, v87, v91, v103
	v_mul_i32_i24_e32 v105, v252, v55
	v_add3_u32 v87, v88, v6, v104
	scratch_load_b32 v104, off, off offset:16 ; 4-byte Folded Reload
	v_lshrrev_b32_e32 v47, 4, v61
	s_clause 0x3
	scratch_store_b32 off, v11, off offset:388
	scratch_store_b32 off, v12, off offset:392
	;; [unrolled: 1-line block ×4, first 2 shown]
	v_add3_u32 v84, v84, v102, v105
	scratch_load_b32 v102, off, off offset:12 ; 4-byte Folded Reload
	v_lshrrev_b16 v47, 8, v47
	v_bfe_i32 v52, v52, 0, 8
	v_ashrrev_i32_e32 v53, 24, v0
	v_bfe_i32 v60, v1, 0, 8
	v_bfe_u32 v12, v61, 20, 4
	v_and_b32_e32 v47, 15, v47
	v_mul_i32_i24_e32 v93, v173, v52
	v_bfe_u32 v1, v61, 4, 4
	v_bfe_i32 v54, v0, 16, 8
	v_mul_i32_i24_e32 v0, v253, v56
	v_and_b32_e32 v13, 0xffff, v47
	v_lshrrev_b32_e32 v47, 4, v65
	v_mul_i32_i24_e32 v107, v246, v53
	scratch_store_b32 off, v12, off offset:48 ; 4-byte Folded Spill
	v_mul_i32_i24_e32 v111, v222, v57
	scratch_store_b32 off, v13, off offset:52 ; 4-byte Folded Spill
	v_lshrrev_b16 v47, 8, v47
	v_lshrrev_b32_e32 v208, 28, v65
	scratch_store_b32 off, v1, off offset:56 ; 4-byte Folded Spill
	v_mul_i32_i24_e32 v1, v1, v60
	v_ashrrev_i32_e32 v61, 24, v2
	v_and_b32_e32 v47, 15, v47
	v_bfe_i32 v63, v63, 0, 8
	v_bfe_i32 v29, v2, 0, 8
	v_bfe_u32 v140, v65, 4, 4
	v_lshrrev_b32_e32 v137, 28, v66
	v_and_b32_e32 v221, 0xffff, v47
	v_lshrrev_b32_e32 v47, 4, v66
	v_ashrrev_i32_e32 v64, 24, v3
	v_bfe_i32 v28, v3, 0, 8
	v_bfe_u32 v136, v66, 4, 4
	v_add3_u32 v85, v85, v89, v93
	v_lshrrev_b16 v47, 8, v47
	v_mul_i32_i24_e32 v106, v251, v54
	v_mul_i32_i24_e32 v108, v13, v59
	;; [unrolled: 1-line block ×3, first 2 shown]
	v_bfe_i32 v62, v2, 16, 8
	v_and_b32_e32 v69, 15, v47
	v_bfe_u32 v204, v65, 20, 4
	v_mul_i32_i24_e32 v113, v140, v29
	v_mul_i32_i24_e32 v116, v221, v63
	;; [unrolled: 1-line block ×3, first 2 shown]
	v_bfe_i32 v65, v3, 16, 8
	v_bfe_i32 v47, v68, 0, 8
	v_bfe_u32 v138, v66, 20, 4
	v_and_b32_e32 v139, 0xffff, v69
	v_mul_i32_i24_e32 v66, v136, v28
	v_mul_i32_i24_e32 v121, v137, v64
	v_add3_u32 v87, v87, v107, v111
	v_add3_u32 v0, v85, v0, v1
	v_mul_i32_i24_e32 v117, v204, v62
	v_mul_i32_i24_e32 v119, v139, v47
	;; [unrolled: 1-line block ×3, first 2 shown]
	v_add3_u32 v1, v86, v106, v110
	v_add3_u32 v84, v84, v108, v116
	;; [unrolled: 1-line block ×4, first 2 shown]
	v_and_b32_e32 v105, 0xffff, v67
	v_add3_u32 v1, v1, v117, v120
	v_cvt_f32_i32_e32 v5, v5
	s_wait_dscnt 0x0
	v_cvt_f32_ubyte0_e32 v74, v4
	v_add3_u32 v66, v84, v119, v66
	v_cvt_f32_ubyte1_e32 v103, v4
	s_clause 0x2
	scratch_store_b32 off, v174, off offset:776
	scratch_store_b32 off, v132, off offset:668
	;; [unrolled: 1-line block ×3, first 2 shown]
	v_add3_u32 v0, v0, v1, v66
	s_clause 0x3
	scratch_store_b32 off, v253, off offset:432
	scratch_store_b32 off, v252, off offset:428
	;; [unrolled: 1-line block ×4, first 2 shown]
	v_mul_lo_u32 v0, v0, v105
	s_clause 0x6
	scratch_store_b32 off, v140, off offset:184
	scratch_store_b32 off, v136, off offset:188
	;; [unrolled: 1-line block ×7, first 2 shown]
	v_cvt_f32_i32_e32 v84, v0
	ds_load_b64 v[0:1], v83 offset:27200
	s_clause 0x5
	scratch_store_b32 off, v139, off offset:80
	scratch_store_b32 off, v105, off offset:84
	;; [unrolled: 1-line block ×6, first 2 shown]
	s_wait_dscnt 0x0
	v_fma_mix_f32 v4, v5, v0, 0 op_sel_hi:[0,1,0]
	v_fma_mix_f32 v5, v74, v0, 0 op_sel:[0,1,0] op_sel_hi:[0,1,0]
	s_delay_alu instid0(VALU_DEP_2) | instskip(NEXT) | instid1(VALU_DEP_2)
	v_fma_mix_f32 v4, v84, v1, v4 op_sel_hi:[0,1,0]
	v_fma_mix_f32 v5, v103, v1, v5 op_sel:[0,1,0] op_sel_hi:[0,1,0]
	s_wait_loadcnt 0x1
	s_delay_alu instid0(VALU_DEP_1) | instskip(SKIP_1) | instid1(VALU_DEP_1)
	v_mul_f32_e32 v5, v5, v104
	s_wait_loadcnt 0x0
	v_fma_f32 v4, v4, v102, -v5
	v_add_nc_u32_e32 v5, s17, v155
	s_delay_alu instid0(VALU_DEP_2)
	v_add_f32_e32 v153, v153, v4
	ds_load_2addr_b32 v[83:84], v5 offset1:1
	ds_load_2addr_b32 v[144:145], v5 offset0:6 offset1:7
	v_add3_u32 v4, s16, v151, v154
	scratch_store_b32 off, v153, off offset:804 ; 4-byte Folded Spill
	s_wait_dscnt 0x1
	v_and_b32_e32 v93, 15, v83
	v_bfe_u32 v2, v83, 8, 4
	v_bfe_u32 v3, v83, 16, 4
	s_wait_dscnt 0x0
	v_and_b32_e32 v118, 15, v144
	v_bfe_u32 v119, v144, 8, 4
	v_mul_i32_i24_e32 v85, v126, v93
	scratch_store_b32 off, v2, off offset:352 ; 4-byte Folded Spill
	v_mul_i32_i24_e32 v86, v228, v3
	v_bfe_u32 v120, v144, 16, 4
	v_bfe_u32 v121, v145, 24, 4
	v_mad_i32_i24 v85, v127, v2, v85
	v_and_b32_e32 v2, 15, v84
	scratch_store_b32 off, v3, off offset:324 ; 4-byte Folded Spill
	v_bfe_u32 v3, v83, 24, 4
	v_bfe_u32 v209, v144, 4, 4
	;; [unrolled: 1-line block ×3, first 2 shown]
	scratch_store_b32 off, v2, off offset:328 ; 4-byte Folded Spill
	v_bfe_u32 v207, v144, 20, 4
	v_mul_i32_i24_e32 v87, v229, v3
	v_mul_i32_i24_e32 v167, v29, v209
	;; [unrolled: 1-line block ×3, first 2 shown]
	v_lshrrev_b32_e32 v205, 28, v144
	v_mul_i32_i24_e32 v169, v62, v207
	v_add3_u32 v85, v85, v86, v87
	v_mul_i32_i24_e32 v86, v114, v2
	v_bfe_u32 v2, v84, 8, 4
	scratch_store_b32 off, v3, off offset:124 ; 4-byte Folded Spill
	v_bfe_u32 v3, v83, 4, 4
	v_bfe_u32 v193, v145, 4, 4
	;; [unrolled: 1-line block ×3, first 2 shown]
	scratch_store_b32 off, v2, off offset:128 ; 4-byte Folded Spill
	v_mul_i32_i24_e32 v87, v115, v2
	v_bfe_u32 v2, v84, 16, 4
	v_bfe_u32 v191, v145, 20, 4
	v_mul_i32_i24_e32 v170, v28, v193
	v_mul_i32_i24_e32 v171, v47, v192
	v_add3_u32 v85, v85, v87, v86
	scratch_store_b32 off, v2, off offset:356 ; 4-byte Folded Spill
	v_mul_i32_i24_e32 v88, v122, v2
	v_bfe_u32 v2, v84, 24, 4
	v_lshrrev_b32_e32 v179, 28, v145
	v_mul_i32_i24_e32 v172, v65, v191
	s_delay_alu instid0(VALU_DEP_3)
	v_mul_i32_i24_e32 v89, v123, v2
	scratch_store_b32 off, v2, off offset:360 ; 4-byte Folded Spill
	v_add3_u32 v87, v85, v88, v89
	ds_load_2addr_b32 v[85:86], v5 offset0:2 offset1:3
	s_wait_dscnt 0x0
	v_and_b32_e32 v2, 15, v85
	v_and_b32_e32 v110, 15, v86
	v_bfe_u32 v108, v86, 8, 4
	v_bfe_u32 v107, v86, 16, 4
	;; [unrolled: 1-line block ×3, first 2 shown]
	scratch_store_b32 off, v2, off offset:364 ; 4-byte Folded Spill
	v_mul_i32_i24_e32 v88, v100, v2
	v_bfe_u32 v2, v85, 8, 4
	s_clause 0x5
	scratch_store_b32 off, v93, off offset:832
	scratch_store_b32 off, v110, off offset:836
	;; [unrolled: 1-line block ×6, first 2 shown]
	v_mul_i32_i24_e32 v89, v101, v2
	v_bfe_u32 v2, v85, 16, 4
	v_lshrrev_b32_e32 v250, 28, v85
	s_clause 0x4
	scratch_store_b32 off, v175, off offset:176
	scratch_store_b32 off, v254, off offset:172
	;; [unrolled: 1-line block ×5, first 2 shown]
	v_mul_i32_i24_e32 v90, v109, v2
	v_bfe_u32 v2, v85, 24, 4
	v_add3_u32 v87, v87, v89, v88
	v_mul_i32_i24_e32 v88, v96, v110
	v_mul_i32_i24_e32 v89, v97, v108
	;; [unrolled: 1-line block ×4, first 2 shown]
	scratch_store_b32 off, v2, off offset:548 ; 4-byte Folded Spill
	v_bfe_u32 v249, v86, 4, 4
	v_bfe_u32 v220, v86, 12, 4
	v_bfe_u32 v219, v86, 20, 4
	v_add3_u32 v87, v87, v90, v91
	v_mul_i32_i24_e32 v90, v98, v107
	v_mul_i32_i24_e32 v91, v99, v106
	v_mul_i32_i24_e32 v155, v52, v249
	v_mul_i32_i24_e32 v156, v51, v220
	v_add3_u32 v87, v87, v89, v88
	v_lshrrev_b32_e32 v218, 28, v86
	v_mul_i32_i24_e32 v157, v50, v219
	v_mov_b32_e32 v86, v121
	s_delay_alu instid0(VALU_DEP_4)
	v_add3_u32 v89, v87, v90, v91
	ds_load_2addr_b32 v[87:88], v5 offset0:4 offset1:5
	v_mul_i32_i24_e32 v5, v31, v118
	v_mul_i32_i24_e32 v158, v49, v218
	s_wait_dscnt 0x0
	v_and_b32_e32 v2, 15, v87
	v_bfe_u32 v116, v88, 16, 4
	v_and_b32_e32 v111, 15, v88
	v_bfe_u32 v113, v88, 8, 4
	v_bfe_u32 v117, v88, 24, 4
	scratch_store_b32 off, v2, off offset:552 ; 4-byte Folded Spill
	v_mul_i32_i24_e32 v90, v82, v2
	v_bfe_u32 v2, v87, 8, 4
	v_mul_i32_i24_e32 v128, v80, v116
	v_mul_i32_i24_e32 v129, v81, v117
	v_bfe_u32 v217, v87, 4, 4
	v_bfe_u32 v216, v87, 12, 4
	scratch_store_b32 off, v2, off offset:556 ; 4-byte Folded Spill
	v_mul_i32_i24_e32 v91, v92, v2
	v_bfe_u32 v2, v87, 16, 4
	v_bfe_u32 v215, v87, 20, 4
	v_mul_i32_i24_e32 v159, v56, v217
	v_mul_i32_i24_e32 v160, v55, v216
	v_add3_u32 v89, v89, v91, v90
	scratch_store_b32 off, v2, off offset:592 ; 4-byte Folded Spill
	v_mul_i32_i24_e32 v124, v94, v2
	v_bfe_u32 v2, v87, 24, 4
	v_mul_i32_i24_e32 v90, v78, v111
	v_mul_i32_i24_e32 v91, v79, v113
	v_lshrrev_b32_e32 v214, 28, v87
	v_mul_i32_i24_e32 v161, v54, v215
	v_mul_i32_i24_e32 v125, v95, v2
	scratch_store_b32 off, v2, off offset:656 ; 4-byte Folded Spill
	v_bfe_u32 v2, v144, 24, 4
	v_mul_i32_i24_e32 v162, v53, v214
	v_bfe_u32 v213, v88, 4, 4
	v_add3_u32 v89, v89, v124, v125
	v_bfe_u32 v125, v145, 8, 4
	scratch_store_b32 off, v2, off offset:576 ; 4-byte Folded Spill
	v_mul_i32_i24_e32 v130, v77, v2
	v_and_b32_e32 v2, 15, v145
	v_add3_u32 v89, v89, v91, v90
	v_mul_i32_i24_e32 v90, v30, v119
	v_mul_i32_i24_e32 v91, v76, v120
	v_bfe_u32 v124, v145, 16, 4
	scratch_store_b32 off, v2, off offset:1080 ; 4-byte Folded Spill
	v_add3_u32 v89, v89, v128, v129
	v_bfe_u32 v128, v83, 12, 4
	v_lshrrev_b32_e32 v129, 28, v83
	v_bfe_u32 v212, v88, 12, 4
	v_bfe_u32 v211, v88, 20, 4
	v_add3_u32 v5, v89, v90, v5
	v_mul_i32_i24_e32 v89, v35, v2
	v_mul_i32_i24_e32 v90, v34, v125
	;; [unrolled: 1-line block ×4, first 2 shown]
	v_add3_u32 v5, v5, v91, v130
	v_mul_i32_i24_e32 v91, v33, v124
	v_mul_i32_i24_e32 v130, v32, v121
	v_lshrrev_b32_e32 v210, 28, v88
	v_mul_i32_i24_e32 v165, v58, v211
	v_add3_u32 v5, v5, v90, v89
	ds_load_u16 v89, v4
	ds_load_u16 v4, v4 offset:8
	s_clause 0x1
	scratch_load_b32 v177, off, off offset:144
	scratch_load_b32 v141, off, off offset:140
	scratch_store_b32 off, v3, off offset:1028 ; 4-byte Folded Spill
	v_add3_u32 v5, v5, v91, v130
	v_mul_i32_i24_e32 v166, v57, v210
	v_mul_i32_i24_e32 v144, v61, v205
	;; [unrolled: 1-line block ×3, first 2 shown]
	s_clause 0xc
	scratch_store_b32 off, v250, off offset:160
	scratch_store_b32 off, v249, off offset:976
	;; [unrolled: 1-line block ×13, first 2 shown]
	s_wait_dscnt 0x0
	v_cvt_f32_ubyte0_e32 v2, v4
	v_lshrrev_b16 v146, 8, v89
	v_and_b32_e32 v91, 0xff, v89
	v_mul_i32_i24_e32 v89, v39, v3
	v_bfe_u32 v3, v84, 12, 4
	scratch_store_b32 off, v2, off offset:1076 ; 4-byte Folded Spill
	v_fma_mix_f32 v147, v0, v2, 0 op_sel:[1,0,0] op_sel_hi:[1,0,0]
	v_bfe_u32 v2, v83, 20, 4
	v_mul_i32_i24_e32 v83, v37, v129
	v_mad_i32_i24 v89, v38, v128, v89
	scratch_store_b32 off, v3, off offset:156 ; 4-byte Folded Spill
	v_mul_i32_i24_e32 v149, v42, v3
	scratch_store_b32 off, v2, off offset:580 ; 4-byte Folded Spill
	v_mul_i32_i24_e32 v90, v36, v2
	v_lshrrev_b32_e32 v2, 28, v84
	v_bfe_u32 v3, v85, 4, 4
	v_mul_lo_u32 v5, v5, v91
	v_and_b32_e32 v178, 0xffff, v146
	v_add3_u32 v83, v89, v90, v83
	v_bfe_u32 v90, v84, 20, 4
	v_bfe_u32 v89, v84, 4, 4
	v_mul_i32_i24_e32 v84, v40, v2
	scratch_store_b32 off, v3, off offset:660 ; 4-byte Folded Spill
	v_mul_i32_i24_e32 v151, v48, v3
	v_bfe_u32 v3, v85, 12, 4
	scratch_store_b32 off, v2, off offset:332 ; 4-byte Folded Spill
	v_bfe_u32 v2, v85, 20, 4
	v_mul_i32_i24_e32 v148, v43, v89
	v_mul_i32_i24_e32 v150, v41, v90
	;; [unrolled: 1-line block ×3, first 2 shown]
	v_cvt_f32_i32_e32 v5, v5
	scratch_store_b32 off, v2, off offset:500 ; 4-byte Folded Spill
	v_mul_i32_i24_e32 v153, v45, v2
	scratch_load_b32 v2, off, off offset:1320 ; 4-byte Folded Reload
	v_add3_u32 v83, v83, v148, v149
	v_fma_mix_f32 v5, v0, v5, 0 op_sel_hi:[1,0,0]
	s_clause 0x8
	scratch_store_b32 off, v3, off offset:336
	scratch_store_b32 off, v214, off offset:504
	scratch_store_b32 off, v212, off offset:508
	scratch_store_b32 off, v210, off offset:512
	scratch_store_b32 off, v206, off offset:516
	scratch_store_b32 off, v193, off offset:520
	scratch_store_b32 off, v192, off offset:528
	scratch_store_b32 off, v191, off offset:524
	scratch_store_b32 off, v179, off offset:532
	v_add3_u32 v83, v83, v150, v84
	v_mov_b32_e32 v87, v248
	v_dual_mov_b32 v85, v124 :: v_dual_mov_b32 v84, v125
	s_delay_alu instid0(VALU_DEP_3) | instskip(NEXT) | instid1(VALU_DEP_1)
	v_add3_u32 v83, v83, v151, v152
	v_add3_u32 v83, v83, v153, v154
	s_delay_alu instid0(VALU_DEP_1) | instskip(NEXT) | instid1(VALU_DEP_1)
	v_add3_u32 v83, v83, v155, v156
	v_add3_u32 v83, v83, v157, v158
	s_delay_alu instid0(VALU_DEP_1) | instskip(NEXT) | instid1(VALU_DEP_1)
	;; [unrolled: 3-line block ×5, first 2 shown]
	v_add3_u32 v83, v83, v170, v171
	v_add3_u32 v83, v83, v172, v145
	v_cvt_f32_ubyte1_e32 v172, v4
	scratch_store_b32 off, v178, off offset:536 ; 4-byte Folded Spill
	v_mul_lo_u32 v83, v83, v178
	v_fma_mix_f32 v4, v1, v172, v147 op_sel:[1,0,0] op_sel_hi:[1,0,0]
	scratch_store_b32 off, v172, off offset:540 ; 4-byte Folded Spill
	v_cvt_f32_i32_e32 v83, v83
	s_delay_alu instid0(VALU_DEP_1) | instskip(SKIP_3) | instid1(VALU_DEP_1)
	v_fma_mix_f32 v5, v1, v83, v5 op_sel_hi:[1,0,0]
	s_wait_loadcnt 0x2
	v_mul_f32_e32 v4, v4, v177
	s_wait_loadcnt 0x1
	v_fma_f32 v4, v5, v141, -v4
	v_add_nc_u32_e32 v5, s17, v27
	s_delay_alu instid0(VALU_DEP_2)
	v_add_f32_e32 v23, v23, v4
	ds_load_2addr_b32 v[144:145], v5 offset1:1
	ds_load_2addr_b32 v[226:227], v5 offset0:6 offset1:7
	scratch_store_b32 off, v23, off offset:808 ; 4-byte Folded Spill
	s_wait_dscnt 0x1
	v_bfe_u32 v3, v144, 16, 4
	v_bfe_u32 v171, v145, 24, 4
	s_wait_dscnt 0x0
	v_bfe_u32 v66, v227, 20, 4
	s_clause 0x1
	scratch_store_b32 off, v3, off offset:236
	scratch_store_b32 off, v171, off offset:244
	v_mul_i32_i24_e32 v147, v228, v3
	v_bfe_u32 v3, v144, 24, 4
	v_mul_i32_i24_e32 v150, v123, v171
	s_delay_alu instid0(VALU_DEP_2)
	v_mul_i32_i24_e32 v148, v229, v3
	s_wait_loadcnt 0x0
	v_add3_u32 v4, s16, v2, v25
	v_and_b32_e32 v2, 15, v144
	scratch_store_b32 off, v2, off offset:232 ; 4-byte Folded Spill
	v_mul_i32_i24_e32 v146, v126, v2
	v_bfe_u32 v2, v144, 8, 4
	scratch_store_b32 off, v2, off offset:100 ; 4-byte Folded Spill
	v_mad_i32_i24 v146, v127, v2, v146
	v_and_b32_e32 v2, 15, v145
	scratch_store_b32 off, v3, off offset:104 ; 4-byte Folded Spill
	v_bfe_u32 v3, v144, 4, 4
	v_add3_u32 v146, v146, v147, v148
	scratch_store_b32 off, v2, off offset:108 ; 4-byte Folded Spill
	v_mul_i32_i24_e32 v147, v114, v2
	v_bfe_u32 v2, v145, 8, 4
	scratch_store_b32 off, v2, off offset:240 ; 4-byte Folded Spill
	v_mul_i32_i24_e32 v148, v115, v2
	v_bfe_u32 v2, v145, 16, 4
	s_delay_alu instid0(VALU_DEP_2) | instskip(NEXT) | instid1(VALU_DEP_2)
	v_add3_u32 v146, v146, v148, v147
	v_mul_i32_i24_e32 v149, v122, v2
	scratch_store_b32 off, v2, off offset:112 ; 4-byte Folded Spill
	v_add3_u32 v148, v146, v149, v150
	ds_load_2addr_b32 v[146:147], v5 offset0:2 offset1:3
	s_wait_dscnt 0x0
	v_and_b32_e32 v170, 15, v146
	v_bfe_u32 v169, v146, 8, 4
	v_bfe_u32 v168, v146, 16, 4
	;; [unrolled: 1-line block ×3, first 2 shown]
	v_and_b32_e32 v166, 15, v147
	v_mul_i32_i24_e32 v149, v100, v170
	v_mul_i32_i24_e32 v150, v101, v169
	;; [unrolled: 1-line block ×4, first 2 shown]
	v_bfe_u32 v163, v147, 8, 4
	v_bfe_u32 v2, v147, 16, 4
	v_add3_u32 v148, v148, v150, v149
	s_clause 0x6
	scratch_store_b32 off, v170, off offset:248
	scratch_store_b32 off, v169, off offset:252
	;; [unrolled: 1-line block ×7, first 2 shown]
	v_add3_u32 v148, v148, v151, v152
	v_mul_i32_i24_e32 v149, v96, v166
	v_mul_i32_i24_e32 v150, v97, v163
	;; [unrolled: 1-line block ×3, first 2 shown]
	v_bfe_u32 v2, v147, 24, 4
	s_delay_alu instid0(VALU_DEP_3) | instskip(NEXT) | instid1(VALU_DEP_2)
	v_add3_u32 v148, v148, v150, v149
	v_mul_i32_i24_e32 v152, v99, v2
	scratch_store_b32 off, v2, off offset:276 ; 4-byte Folded Spill
	v_add3_u32 v150, v148, v151, v152
	ds_load_2addr_b32 v[148:149], v5 offset0:4 offset1:5
	s_wait_dscnt 0x0
	v_and_b32_e32 v2, 15, v148
	v_bfe_u32 v143, v148, 4, 4
	v_lshrrev_b32_e32 v88, 28, v149
	v_lshrrev_b32_e32 v142, 28, v148
	v_bfe_u32 v130, v149, 20, 4
	scratch_store_b32 off, v2, off offset:280 ; 4-byte Folded Spill
	v_mul_i32_i24_e32 v151, v82, v2
	v_bfe_u32 v2, v148, 8, 4
	v_mul_i32_i24_e32 v17, v56, v143
	v_mul_i32_i24_e32 v14, v53, v142
	;; [unrolled: 1-line block ×4, first 2 shown]
	scratch_store_b32 off, v2, off offset:284 ; 4-byte Folded Spill
	v_mul_i32_i24_e32 v152, v92, v2
	v_bfe_u32 v2, v148, 16, 4
	s_delay_alu instid0(VALU_DEP_2)
	v_add3_u32 v150, v150, v152, v151
	scratch_store_b32 off, v2, off offset:116 ; 4-byte Folded Spill
	v_mul_i32_i24_e32 v153, v94, v2
	v_bfe_u32 v2, v148, 24, 4
	scratch_store_b32 off, v2, off offset:288 ; 4-byte Folded Spill
	v_mul_i32_i24_e32 v154, v95, v2
	v_and_b32_e32 v2, 15, v149
	s_delay_alu instid0(VALU_DEP_2)
	v_add3_u32 v150, v150, v153, v154
	scratch_store_b32 off, v2, off offset:120 ; 4-byte Folded Spill
	v_mul_i32_i24_e32 v151, v78, v2
	v_bfe_u32 v2, v149, 8, 4
	scratch_store_b32 off, v2, off offset:292 ; 4-byte Folded Spill
	v_mul_i32_i24_e32 v152, v79, v2
	v_bfe_u32 v2, v149, 16, 4
	s_delay_alu instid0(VALU_DEP_2)
	v_add3_u32 v150, v150, v152, v151
	scratch_store_b32 off, v2, off offset:296 ; 4-byte Folded Spill
	v_mul_i32_i24_e32 v153, v80, v2
	v_bfe_u32 v2, v149, 24, 4
	scratch_store_b32 off, v2, off offset:300 ; 4-byte Folded Spill
	v_mul_i32_i24_e32 v154, v81, v2
	v_bfe_u32 v2, v226, 8, 4
	s_delay_alu instid0(VALU_DEP_2)
	v_add3_u32 v150, v150, v153, v154
	scratch_store_b32 off, v2, off offset:304 ; 4-byte Folded Spill
	v_mul_i32_i24_e32 v151, v30, v2
	v_bfe_u32 v2, v226, 16, 4
	v_and_b32_e32 v154, 15, v226
	scratch_store_b32 off, v2, off offset:904 ; 4-byte Folded Spill
	v_mul_i32_i24_e32 v152, v76, v2
	v_bfe_u32 v2, v226, 24, 4
	v_mul_i32_i24_e32 v5, v31, v154
	scratch_store_b32 off, v2, off offset:912 ; 4-byte Folded Spill
	v_mul_i32_i24_e32 v153, v77, v2
	v_and_b32_e32 v2, 15, v227
	v_add3_u32 v5, v150, v151, v5
	scratch_store_b32 off, v2, off offset:928 ; 4-byte Folded Spill
	v_mul_i32_i24_e32 v150, v35, v2
	v_bfe_u32 v2, v227, 8, 4
	v_add3_u32 v5, v5, v152, v153
	scratch_store_b32 off, v2, off offset:936 ; 4-byte Folded Spill
	v_mul_i32_i24_e32 v151, v34, v2
	v_bfe_u32 v2, v227, 16, 4
	s_delay_alu instid0(VALU_DEP_2)
	v_add3_u32 v5, v5, v151, v150
	scratch_store_b32 off, v2, off offset:940 ; 4-byte Folded Spill
	v_mul_i32_i24_e32 v152, v33, v2
	v_bfe_u32 v2, v227, 24, 4
	scratch_store_b32 off, v2, off offset:952 ; 4-byte Folded Spill
	ds_load_u16 v150, v4
	ds_load_u16 v4, v4 offset:8
	v_mul_i32_i24_e32 v153, v32, v2
	s_clause 0x3
	scratch_store_b32 off, v3, off offset:916
	scratch_store_b32 off, v88, off offset:876
	;; [unrolled: 1-line block ×4, first 2 shown]
	v_add3_u32 v5, v5, v152, v153
	scratch_load_b32 v152, off, off offset:1156 ; 4-byte Folded Reload
	scratch_store_b32 off, v130, off offset:872 ; 4-byte Folded Spill
	s_wait_dscnt 0x1
	v_lshrrev_b16 v230, 8, v150
	v_and_b32_e32 v2, 0xff, v150
	v_mul_i32_i24_e32 v150, v39, v3
	v_bfe_u32 v3, v144, 12, 4
	s_delay_alu instid0(VALU_DEP_3)
	v_mul_lo_u32 v5, v5, v2
	scratch_store_b32 off, v3, off offset:924 ; 4-byte Folded Spill
	v_mad_i32_i24 v150, v38, v3, v150
	v_bfe_u32 v3, v145, 12, 4
	v_cvt_f32_i32_e32 v5, v5
	scratch_store_b32 off, v3, off offset:944 ; 4-byte Folded Spill
	v_mul_i32_i24_e32 v26, v42, v3
	v_bfe_u32 v3, v146, 4, 4
	v_fma_mix_f32 v13, v0, v5, 0 op_sel_hi:[1,0,0]
	scratch_store_b32 off, v3, off offset:960 ; 4-byte Folded Spill
	v_mul_i32_i24_e32 v25, v48, v3
	v_bfe_u32 v3, v147, 4, 4
	scratch_store_b32 off, v3, off offset:1060 ; 4-byte Folded Spill
	v_mul_i32_i24_e32 v21, v52, v3
	v_bfe_u32 v3, v147, 12, 4
	;; [unrolled: 3-line block ×5, first 2 shown]
	v_bfe_u32 v149, v226, 4, 4
	scratch_store_b32 off, v3, off offset:1052 ; 4-byte Folded Spill
	v_mul_i32_i24_e32 v11, v59, v3
	v_bfe_u32 v3, v226, 12, 4
	scratch_store_b32 off, v2, off offset:900 ; 4-byte Folded Spill
	s_wait_dscnt 0x0
	v_cvt_f32_ubyte0_e32 v2, v4
	v_mul_i32_i24_e32 v8, v29, v149
	v_mul_i32_i24_e32 v7, v63, v3
	s_clause 0x1
	scratch_store_b32 off, v3, off offset:896
	scratch_store_b32 off, v2, off offset:908
	v_fma_mix_f32 v231, v0, v2, 0 op_sel:[1,0,0] op_sel_hi:[1,0,0]
	v_bfe_u32 v2, v144, 20, 4
	v_mul_i32_i24_e32 v3, v65, v66
	scratch_store_b32 off, v2, off offset:920 ; 4-byte Folded Spill
	v_mul_i32_i24_e32 v151, v36, v2
	v_lshrrev_b32_e32 v2, 28, v144
	s_delay_alu instid0(VALU_DEP_1)
	v_mul_i32_i24_e32 v144, v37, v2
	scratch_store_b32 off, v2, off offset:932 ; 4-byte Folded Spill
	v_bfe_u32 v2, v145, 20, 4
	v_add3_u32 v144, v150, v151, v144
	v_bfe_u32 v150, v145, 4, 4
	scratch_store_b32 off, v2, off offset:948 ; 4-byte Folded Spill
	v_mul_i32_i24_e32 v27, v41, v2
	v_lshrrev_b32_e32 v2, 28, v145
	v_bfe_u32 v151, v146, 12, 4
	v_mul_i32_i24_e32 v232, v43, v150
	s_delay_alu instid0(VALU_DEP_3)
	v_mul_i32_i24_e32 v145, v40, v2
	scratch_store_b32 off, v2, off offset:956 ; 4-byte Folded Spill
	v_add3_u32 v26, v144, v232, v26
	v_bfe_u32 v2, v146, 20, 4
	v_mul_i32_i24_e32 v24, v46, v151
	v_lshrrev_b32_e32 v146, 28, v146
	v_and_b32_e32 v144, 0xffff, v230
	v_add3_u32 v26, v26, v27, v145
	v_cvt_f32_ubyte1_e32 v145, v4
	scratch_load_b32 v4, off, off offset:664 ; 4-byte Folded Reload
	v_mul_i32_i24_e32 v23, v45, v2
	v_mul_i32_i24_e32 v22, v44, v146
	v_add3_u32 v24, v26, v25, v24
	scratch_store_b32 off, v2, off offset:1056 ; 4-byte Folded Spill
	v_bfe_u32 v2, v147, 20, 4
	v_lshrrev_b32_e32 v147, 28, v147
	scratch_store_b32 off, v151, off offset:1224 ; 4-byte Folded Spill
	v_add3_u32 v22, v24, v23, v22
	scratch_store_b32 off, v146, off offset:1220 ; 4-byte Folded Spill
	v_mul_i32_i24_e32 v19, v50, v2
	v_mul_i32_i24_e32 v18, v49, v147
	scratch_store_b32 off, v2, off offset:964 ; 4-byte Folded Spill
	v_add3_u32 v20, v22, v21, v20
	v_bfe_u32 v2, v148, 20, 4
	scratch_store_b32 off, v147, off offset:1228 ; 4-byte Folded Spill
	v_add3_u32 v18, v20, v19, v18
	v_mul_i32_i24_e32 v15, v54, v2
	scratch_store_b32 off, v2, off offset:968 ; 4-byte Folded Spill
	v_bfe_u32 v2, v226, 20, 4
	v_add3_u32 v16, v18, v17, v16
	scratch_store_b32 off, v2, off offset:1068 ; 4-byte Folded Spill
	v_mul_i32_i24_e32 v6, v62, v2
	v_add3_u32 v14, v16, v15, v14
	v_lshrrev_b32_e32 v2, 28, v226
	s_delay_alu instid0(VALU_DEP_2)
	v_add3_u32 v11, v14, v12, v11
	scratch_store_b32 off, v2, off offset:308 ; 4-byte Folded Spill
	v_mul_i32_i24_e32 v226, v61, v2
	v_bfe_u32 v2, v227, 4, 4
	scratch_store_b32 off, v66, off offset:316 ; 4-byte Folded Spill
	v_add3_u32 v9, v11, v10, v9
	v_lshrrev_b32_e32 v66, 28, v227
	scratch_store_b32 off, v2, off offset:312 ; 4-byte Folded Spill
	v_mul_i32_i24_e32 v5, v28, v2
	v_bfe_u32 v2, v227, 12, 4
	v_add3_u32 v7, v9, v8, v7
	v_mul_i32_i24_e32 v227, v64, v66
	s_clause 0x1
	scratch_store_b32 off, v66, off offset:972
	scratch_store_b32 off, v2, off offset:320
	v_mul_i32_i24_e32 v2, v47, v2
	v_add3_u32 v6, v7, v6, v226
	s_delay_alu instid0(VALU_DEP_1) | instskip(NEXT) | instid1(VALU_DEP_1)
	v_add3_u32 v2, v6, v5, v2
	v_add3_u32 v2, v2, v3, v227
	v_fma_mix_f32 v3, v1, v145, v231 op_sel:[1,0,0] op_sel_hi:[1,0,0]
	s_delay_alu instid0(VALU_DEP_2) | instskip(NEXT) | instid1(VALU_DEP_1)
	v_mul_lo_u32 v2, v2, v144
	v_cvt_f32_i32_e32 v2, v2
	s_delay_alu instid0(VALU_DEP_1) | instskip(SKIP_2) | instid1(VALU_DEP_1)
	v_fma_mix_f32 v2, v1, v2, v13 op_sel_hi:[1,0,0]
	s_wait_loadcnt 0x0
	v_mul_f32_e32 v3, v3, v4
	v_fma_f32 v2, v2, v152, -v3
	scratch_load_b32 v3, off, off offset:772 ; 4-byte Folded Reload
	s_wait_loadcnt 0x0
	v_add_f32_e32 v3, v3, v2
	scratch_store_b32 off, v3, off offset:772 ; 4-byte Folded Spill
	s_clause 0x1
	scratch_load_b32 v2, off, off offset:1300
	scratch_load_b32 v3, off, off offset:1324
	s_wait_loadcnt 0x0
	v_add3_u32 v2, s16, v3, v2
	scratch_load_b32 v3, off, off offset:1304 ; 4-byte Folded Reload
	s_wait_loadcnt 0x0
	v_add_nc_u32_e32 v3, s17, v3
	s_mov_b32 s17, 8
	ds_load_2addr_b32 v[4:5], v3 offset1:1
	s_wait_dscnt 0x0
	v_and_b32_e32 v243, 15, v4
	v_bfe_u32 v240, v4, 8, 4
	v_bfe_u32 v241, v4, 16, 4
	;; [unrolled: 1-line block ×3, first 2 shown]
	v_and_b32_e32 v238, 15, v5
	v_mul_i32_i24_e32 v6, v126, v243
	v_bfe_u32 v237, v5, 8, 4
	v_mul_i32_i24_e32 v7, v228, v241
	v_mul_i32_i24_e32 v8, v229, v239
	v_bfe_u32 v236, v5, 16, 4
	v_mad_i32_i24 v6, v127, v240, v6
	v_bfe_u32 v235, v5, 24, 4
	s_clause 0x1
	scratch_store_b32 off, v241, off offset:648
	scratch_store_b32 off, v239, off offset:652
	v_mul_i32_i24_e32 v9, v122, v236
	v_add3_u32 v6, v6, v7, v8
	v_mul_i32_i24_e32 v7, v114, v238
	v_mul_i32_i24_e32 v8, v115, v237
	;; [unrolled: 1-line block ×3, first 2 shown]
	s_clause 0x3
	scratch_store_b32 off, v240, off offset:596
	scratch_store_b32 off, v238, off offset:1072
	;; [unrolled: 1-line block ×4, first 2 shown]
	v_add3_u32 v6, v6, v8, v7
	v_bfe_u32 v134, v4, 4, 4
	v_bfe_u32 v16, v4, 20, 4
	;; [unrolled: 1-line block ×3, first 2 shown]
	s_delay_alu instid0(VALU_DEP_4)
	v_add3_u32 v8, v6, v9, v10
	ds_load_2addr_b32 v[6:7], v3 offset0:2 offset1:3
	s_wait_dscnt 0x0
	v_and_b32_e32 v234, 15, v6
	v_bfe_u32 v233, v6, 8, 4
	v_bfe_u32 v226, v6, 16, 4
	v_bfe_u32 v225, v6, 24, 4
	v_and_b32_e32 v224, 15, v7
	v_mul_i32_i24_e32 v9, v100, v234
	v_mul_i32_i24_e32 v10, v101, v233
	;; [unrolled: 1-line block ×4, first 2 shown]
	v_bfe_u32 v223, v7, 8, 4
	v_bfe_u32 v197, v7, 16, 4
	v_add3_u32 v8, v8, v10, v9
	v_mul_i32_i24_e32 v9, v96, v224
	v_bfe_u32 v190, v7, 24, 4
	v_mul_i32_i24_e32 v10, v97, v223
	s_clause 0x7
	scratch_store_b32 off, v235, off offset:600
	scratch_store_b32 off, v234, off offset:604
	scratch_store_b32 off, v233, off offset:608
	scratch_store_b32 off, v226, off offset:612
	scratch_store_b32 off, v225, off offset:616
	scratch_store_b32 off, v224, off offset:620
	scratch_store_b32 off, v223, off offset:624
	scratch_store_b32 off, v197, off offset:628
	v_add3_u32 v8, v8, v11, v12
	v_mul_i32_i24_e32 v11, v98, v197
	v_mul_i32_i24_e32 v12, v99, v190
	v_bfe_u32 v22, v7, 20, 4
	v_bfe_u32 v19, v6, 20, 4
	v_add3_u32 v8, v8, v10, v9
	v_bfe_u32 v17, v6, 12, 4
	v_bfe_u32 v20, v7, 12, 4
	v_mul_i32_i24_e32 v21, v50, v22
	v_mul_i32_i24_e32 v18, v45, v19
	v_add3_u32 v10, v8, v11, v12
	ds_load_2addr_b32 v[8:9], v3 offset0:4 offset1:5
	s_wait_dscnt 0x0
	v_and_b32_e32 v189, 15, v8
	v_bfe_u32 v188, v8, 8, 4
	v_bfe_u32 v187, v8, 16, 4
	;; [unrolled: 1-line block ×3, first 2 shown]
	v_and_b32_e32 v185, 15, v9
	v_mul_i32_i24_e32 v11, v82, v189
	v_mul_i32_i24_e32 v12, v92, v188
	v_mul_i32_i24_e32 v13, v94, v187
	v_mul_i32_i24_e32 v14, v95, v186
	v_bfe_u32 v184, v9, 8, 4
	v_bfe_u32 v183, v9, 16, 4
	v_add3_u32 v10, v10, v12, v11
	v_mul_i32_i24_e32 v11, v78, v185
	v_bfe_u32 v182, v9, 24, 4
	v_mul_i32_i24_e32 v12, v79, v184
	s_clause 0x3
	scratch_store_b32 off, v190, off offset:632
	scratch_store_b32 off, v189, off offset:636
	;; [unrolled: 1-line block ×4, first 2 shown]
	v_add3_u32 v10, v10, v13, v14
	v_mul_i32_i24_e32 v13, v80, v183
	v_mul_i32_i24_e32 v14, v81, v182
	s_clause 0x2
	scratch_store_b32 off, v186, off offset:1112
	scratch_store_b32 off, v185, off offset:1116
	;; [unrolled: 1-line block ×3, first 2 shown]
	v_add3_u32 v10, v10, v12, v11
	scratch_store_b32 off, v183, off offset:1124 ; 4-byte Folded Spill
	v_bfe_u32 v25, v8, 20, 4
	v_bfe_u32 v23, v8, 12, 4
	;; [unrolled: 1-line block ×3, first 2 shown]
	v_add3_u32 v12, v10, v13, v14
	ds_load_2addr_b32 v[10:11], v3 offset0:6 offset1:7
	v_mul_i32_i24_e32 v24, v54, v25
	s_wait_dscnt 0x0
	v_and_b32_e32 v181, 15, v10
	v_bfe_u32 v153, v10, 8, 4
	v_bfe_u32 v135, v10, 16, 4
	;; [unrolled: 1-line block ×3, first 2 shown]
	s_clause 0x4
	scratch_store_b32 off, v182, off offset:1128
	scratch_store_b32 off, v181, off offset:1132
	;; [unrolled: 1-line block ×5, first 2 shown]
	v_mul_i32_i24_e32 v3, v31, v181
	v_mul_i32_i24_e32 v13, v30, v153
	;; [unrolled: 1-line block ×3, first 2 shown]
	v_bfe_u32 v30, v9, 20, 4
	s_delay_alu instid0(VALU_DEP_3)
	v_add3_u32 v3, v12, v13, v3
	v_and_b32_e32 v12, 15, v11
	scratch_store_b32 off, v15, off offset:220 ; 4-byte Folded Spill
	v_mul_i32_i24_e32 v15, v77, v15
	v_bfe_u32 v13, v11, 8, 4
	v_mul_i32_i24_e32 v27, v58, v30
	scratch_store_b32 off, v12, off offset:224 ; 4-byte Folded Spill
	v_mul_i32_i24_e32 v12, v35, v12
	v_add3_u32 v3, v3, v14, v15
	v_bfe_u32 v14, v11, 16, 4
	v_bfe_u32 v15, v11, 24, 4
	scratch_store_b32 off, v13, off offset:228 ; 4-byte Folded Spill
	v_mul_i32_i24_e32 v13, v34, v13
	v_bfe_u32 v34, v11, 20, 4
	s_clause 0x1
	scratch_store_b32 off, v14, off offset:880
	scratch_store_b32 off, v15, off offset:1084
	v_mul_i32_i24_e32 v14, v33, v14
	v_add3_u32 v3, v3, v13, v12
	ds_load_u16 v12, v2
	ds_load_u16 v2, v2 offset:8
	v_mul_i32_i24_e32 v15, v32, v15
	s_clause 0x1
	scratch_store_b32 off, v17, off offset:212
	scratch_store_b32 off, v133, off offset:196
	v_mul_i32_i24_e32 v17, v46, v17
	s_clause 0x1
	scratch_store_b32 off, v20, off offset:1092
	scratch_store_b32 off, v25, off offset:1096
	v_add3_u32 v3, v3, v14, v15
	v_bfe_u32 v15, v4, 12, 4
	v_lshrrev_b32_e32 v4, 28, v4
	scratch_store_b32 off, v16, off offset:484 ; 4-byte Folded Spill
	v_mul_i32_i24_e32 v14, v36, v16
	v_bfe_u32 v16, v6, 4, 4
	s_clause 0x1
	scratch_store_b32 off, v15, off offset:488
	scratch_store_b32 off, v4, off offset:492
	v_mul_i32_i24_e32 v4, v37, v4
	v_lshrrev_b32_e32 v6, 28, v6
	scratch_store_b32 off, v16, off offset:204 ; 4-byte Folded Spill
	v_mul_i32_i24_e32 v16, v48, v16
	s_wait_dscnt 0x1
	v_lshrrev_b16 v13, 8, v12
	v_and_b32_e32 v180, 0xff, v12
	s_wait_dscnt 0x0
	v_cvt_f32_ubyte0_e32 v158, v2
	v_mul_i32_i24_e32 v12, v39, v134
	scratch_store_b32 off, v6, off offset:784 ; 4-byte Folded Spill
	v_mul_i32_i24_e32 v6, v44, v6
	v_mul_i32_i24_e32 v20, v51, v20
	scratch_store_b32 off, v158, off offset:496 ; 4-byte Folded Spill
	v_mad_i32_i24 v12, v38, v15, v12
	v_mul_i32_i24_e32 v15, v41, v133
	scratch_store_b32 off, v22, off offset:1088 ; 4-byte Folded Spill
	v_bfe_u32 v22, v8, 4, 4
	v_lshrrev_b32_e32 v8, 28, v8
	v_add3_u32 v4, v12, v14, v4
	v_bfe_u32 v12, v5, 4, 4
	v_bfe_u32 v14, v5, 12, 4
	v_lshrrev_b32_e32 v5, 28, v5
	s_clause 0x5
	scratch_store_b32 off, v23, off offset:1100
	scratch_store_b32 off, v134, off offset:1108
	;; [unrolled: 1-line block ×6, first 2 shown]
	v_mul_i32_i24_e32 v12, v43, v12
	v_mul_i32_i24_e32 v14, v42, v14
	scratch_store_b32 off, v5, off offset:780 ; 4-byte Folded Spill
	v_mul_i32_i24_e32 v5, v40, v5
	v_bfe_u32 v19, v7, 4, 4
	v_lshrrev_b32_e32 v7, 28, v7
	v_add3_u32 v4, v4, v12, v14
	v_mul_i32_i24_e32 v23, v55, v23
	v_bfe_u32 v25, v9, 4, 4
	scratch_store_b32 off, v19, off offset:216 ; 4-byte Folded Spill
	v_mul_i32_i24_e32 v19, v52, v19
	v_add3_u32 v4, v4, v15, v5
	scratch_store_b32 off, v7, off offset:1176 ; 4-byte Folded Spill
	v_mul_i32_i24_e32 v7, v49, v7
	s_clause 0x1
	scratch_store_b32 off, v22, off offset:892
	scratch_store_b32 off, v25, off offset:888
	v_add3_u32 v4, v4, v16, v17
	v_mul_i32_i24_e32 v22, v56, v22
	v_mul_i32_i24_e32 v8, v53, v8
	scratch_store_b32 off, v30, off offset:812 ; 4-byte Folded Spill
	v_mul_i32_i24_e32 v25, v60, v25
	v_add3_u32 v4, v4, v18, v6
	v_lshrrev_b32_e32 v9, 28, v9
	scratch_store_b32 off, v26, off offset:1180 ; 4-byte Folded Spill
	v_mul_i32_i24_e32 v26, v59, v26
	v_bfe_u32 v30, v10, 4, 4
	v_add3_u32 v4, v4, v19, v20
	scratch_store_b32 off, v9, off offset:1184 ; 4-byte Folded Spill
	v_mul_i32_i24_e32 v9, v57, v9
	v_bfe_u32 v32, v10, 20, 4
	scratch_store_b32 off, v30, off offset:1188 ; 4-byte Folded Spill
	v_add3_u32 v4, v4, v21, v7
	v_mul_i32_i24_e32 v29, v29, v30
	v_bfe_u32 v30, v10, 12, 4
	scratch_store_b32 off, v32, off offset:1192 ; 4-byte Folded Spill
	v_mul_i32_i24_e32 v31, v62, v32
	v_add3_u32 v4, v4, v22, v23
	v_lshrrev_b32_e32 v10, 28, v10
	scratch_store_b32 off, v30, off offset:1196 ; 4-byte Folded Spill
	v_mul_i32_i24_e32 v30, v63, v30
	v_bfe_u32 v32, v11, 4, 4
	v_add3_u32 v4, v4, v24, v8
	s_clause 0x1
	scratch_store_b32 off, v10, off offset:1200
	scratch_store_b32 off, v34, off offset:1208
	v_mul_i32_i24_e32 v10, v61, v10
	scratch_store_b32 off, v32, off offset:1204 ; 4-byte Folded Spill
	v_add3_u32 v4, v4, v25, v26
	v_mul_i32_i24_e32 v28, v28, v32
	v_bfe_u32 v32, v11, 12, 4
	v_lshrrev_b32_e32 v11, 28, v11
	v_mul_i32_i24_e32 v33, v65, v34
	v_add3_u32 v4, v4, v27, v9
	v_mul_lo_u32 v3, v3, v180
	s_clause 0x1
	scratch_store_b32 off, v32, off offset:1212
	scratch_store_b32 off, v11, off offset:1216
	v_mul_i32_i24_e32 v32, v47, v32
	v_add3_u32 v4, v4, v29, v30
	v_mul_i32_i24_e32 v11, v64, v11
	v_and_b32_e32 v5, 0xffff, v13
	v_cvt_f32_ubyte1_e32 v2, v2
	v_cvt_f32_i32_e32 v3, v3
	v_add3_u32 v4, v4, v31, v10
	scratch_load_b32 v194, off, off offset:4 ; 4-byte Folded Reload
	s_clause 0x1
	scratch_store_b32 off, v180, off offset:1140
	scratch_store_b32 off, v5, off offset:152
	v_fma_mix_f32 v3, v0, v3, 0 op_sel_hi:[1,0,0]
	v_add3_u32 v4, v4, v28, v32
	v_fma_mix_f32 v0, v0, v158, 0 op_sel:[1,0,0] op_sel_hi:[1,0,0]
	scratch_store_b32 off, v2, off offset:148 ; 4-byte Folded Spill
	v_add3_u32 v4, v4, v33, v11
	v_fma_mix_f32 v0, v1, v2, v0 op_sel:[1,0,0] op_sel_hi:[1,0,0]
	s_delay_alu instid0(VALU_DEP_2) | instskip(NEXT) | instid1(VALU_DEP_1)
	v_mul_lo_u32 v4, v4, v5
	v_cvt_f32_i32_e32 v4, v4
	s_delay_alu instid0(VALU_DEP_1)
	v_fma_mix_f32 v3, v1, v4, v3 op_sel_hi:[1,0,0]
	scratch_load_b32 v1, off, off offset:20 ; 4-byte Folded Reload
	s_wait_loadcnt 0x0
	v_mul_f32_e32 v0, v0, v1
	scratch_load_b32 v1, off, off offset:768 ; 4-byte Folded Reload
	v_fma_f32 v0, v3, v194, -v0
	s_wait_loadcnt 0x0
	s_delay_alu instid0(VALU_DEP_1) | instskip(SKIP_4) | instid1(VALU_DEP_1)
	v_add_f32_e32 v1, v1, v0
	scratch_load_b32 v0, off, off offset:1260 ; 4-byte Folded Reload
	scratch_store_b32 off, v1, off offset:768 ; 4-byte Folded Spill
	s_wait_loadcnt 0x0
	v_or_b32_e32 v0, s11, v0
	v_lshlrev_b32_e32 v1, 2, v0
	ds_load_b128 v[11:14], v1 offset:16896
	ds_load_b128 v[30:33], v1 offset:16912
	;; [unrolled: 1-line block ×4, first 2 shown]
	s_clause 0xb
	scratch_load_b32 v2, off, off offset:476
	scratch_load_b32 v83, off, off offset:1080
	;; [unrolled: 1-line block ×12, first 2 shown]
	v_lshrrev_b32_e32 v0, 1, v0
	s_clause 0x7
	scratch_load_b32 v161, off, off offset:44
	scratch_load_b32 v162, off, off offset:56
	scratch_load_b32 v227, off, off offset:236
	scratch_load_b32 v229, off, off offset:104
	scratch_load_b32 v230, off, off offset:108
	scratch_load_b32 v231, off, off offset:240
	scratch_load_b32 v232, off, off offset:112
	scratch_load_b32 v228, off, off offset:100
	s_wait_dscnt 0x2
	v_bfe_i32 v26, v32, 0, 8
	v_bfe_i32 v28, v32, 16, 8
	v_ashrrev_i32_e32 v29, 24, v32
	v_bfe_i32 v18, v30, 0, 8
	v_bfe_i32 v19, v30, 8, 8
	v_bfe_i32 v20, v30, 16, 8
	v_ashrrev_i32_e32 v21, 24, v30
	v_bfe_i32 v30, v33, 0, 8
	v_bfe_i32 v22, v31, 0, 8
	;; [unrolled: 1-line block ×4, first 2 shown]
	v_ashrrev_i32_e32 v25, 24, v31
	v_bfe_i32 v31, v33, 8, 8
	v_bfe_i32 v70, v13, 0, 8
	;; [unrolled: 1-line block ×3, first 2 shown]
	v_ashrrev_i32_e32 v10, 24, v13
	v_mul_i32_i24_e32 v115, v244, v24
	scratch_load_b32 v244, off, off offset:460 ; 4-byte Folded Reload
	v_mul_i32_i24_e32 v81, v196, v70
	scratch_load_b32 v196, off, off offset:412 ; 4-byte Folded Reload
	v_mul_i32_i24_e32 v92, v242, v9
	v_mul_i32_i24_e32 v94, v247, v10
	v_mov_b32_e32 v247, v245
	s_clause 0x1
	scratch_load_b32 v245, off, off offset:440
	scratch_load_b32 v242, off, off offset:436
	v_bfe_i32 v27, v32, 8, 8
	v_bfe_i32 v32, v33, 16, 8
	;; [unrolled: 1-line block ×5, first 2 shown]
	v_ashrrev_i32_e32 v17, 24, v11
	v_bfe_i32 v66, v12, 0, 8
	v_mul_i32_i24_e32 v76, v203, v15
	v_bfe_i32 v67, v12, 8, 8
	v_mul_i32_i24_e32 v77, v202, v16
	v_mul_i32_i24_e32 v78, v201, v17
	v_bfe_i32 v68, v12, 16, 8
	v_mad_i32_i24 v76, v195, v72, v76
	v_ashrrev_i32_e32 v69, 24, v12
	v_bfe_i32 v71, v13, 8, 8
	v_bfe_i32 v11, v14, 0, 8
	v_mul_i32_i24_e32 v79, v198, v68
	v_add3_u32 v76, v76, v77, v78
	v_mul_i32_i24_e32 v77, v131, v66
	v_mul_i32_i24_e32 v78, v200, v67
	;; [unrolled: 1-line block ×3, first 2 shown]
	v_bfe_i32 v12, v14, 8, 8
	v_bfe_i32 v13, v14, 16, 8
	v_ashrrev_i32_e32 v14, 24, v14
	v_add3_u32 v76, v76, v77, v78
	v_mul_i32_i24_e32 v101, v87, v20
	v_mul_i32_i24_e32 v96, v247, v12
	v_ashrrev_i32_e32 v33, 24, v33
	ds_load_b64 v[0:1], v0 offset:27200
	v_add3_u32 v76, v76, v79, v80
	s_wait_dscnt 0x2
	v_bfe_i32 v50, v36, 16, 8
	v_bfe_i32 v45, v35, 0, 8
	;; [unrolled: 1-line block ×4, first 2 shown]
	v_ashrrev_i32_e32 v35, 24, v35
	v_mul_i32_i24_e32 v80, v132, v50
	scratch_load_b32 v132, off, off offset:384 ; 4-byte Folded Reload
	v_bfe_i32 v51, v37, 0, 8
	v_mul_i32_i24_e32 v7, v175, v45
	scratch_load_b32 v175, off, off offset:396 ; 4-byte Folded Reload
	v_mul_i32_i24_e32 v77, v174, v35
	scratch_load_b32 v174, off, off offset:392 ; 4-byte Folded Reload
	v_bfe_i32 v44, v34, 16, 8
	v_bfe_i32 v42, v34, 0, 8
	;; [unrolled: 1-line block ×3, first 2 shown]
	v_ashrrev_i32_e32 v34, 24, v34
	v_bfe_i32 v48, v36, 0, 8
	v_bfe_i32 v49, v36, 8, 8
	s_wait_dscnt 0x0
	v_fma_mix_f32 v8, v74, v0, 0 op_sel:[0,1,0] op_sel_hi:[0,1,0]
	scratch_load_b32 v74, off, off offset:40 ; 4-byte Folded Reload
	v_ashrrev_i32_e32 v36, 24, v36
	v_bfe_i32 v52, v37, 8, 8
	v_bfe_i32 v53, v37, 16, 8
	v_ashrrev_i32_e32 v37, 24, v37
	v_bfe_i32 v54, v38, 0, 8
	v_bfe_i32 v55, v38, 8, 8
	v_bfe_i32 v56, v38, 16, 8
	v_ashrrev_i32_e32 v38, 24, v38
	v_bfe_i32 v57, v39, 0, 8
	;; [unrolled: 4-line block ×4, first 2 shown]
	v_bfe_i32 v64, v41, 8, 8
	v_bfe_i32 v65, v41, 16, 8
	v_ashrrev_i32_e32 v41, 24, v41
	s_clause 0x2
	scratch_load_b32 v124, off, off offset:1028
	scratch_load_b32 v125, off, off offset:580
	;; [unrolled: 1-line block ×3, first 2 shown]
	s_clause 0x1a
	scratch_store_b32 off, v203, off offset:380
	scratch_store_b32 off, v201, off offset:376
	;; [unrolled: 1-line block ×27, first 2 shown]
	s_wait_loadcnt 0x1e
	v_mul_i32_i24_e32 v123, v2, v26
	scratch_load_b32 v2, off, off offset:480 ; 4-byte Folded Reload
	s_wait_loadcnt 0x1d
	v_mul_i32_i24_e32 v126, v159, v27
	s_wait_loadcnt 0x1c
	v_mul_i32_i24_e32 v95, v165, v11
	s_wait_loadcnt 0x1b
	v_mul_i32_i24_e32 v99, v156, v18
	s_wait_loadcnt 0x1a
	v_mul_i32_i24_e32 v112, v157, v22
	s_wait_loadcnt 0x19
	v_mul_i32_i24_e32 v114, v73, v23
	s_wait_loadcnt 0x18
	v_mul_i32_i24_e32 v100, v155, v19
	s_wait_loadcnt 0x14
	v_mul_i32_i24_e32 v109, v248, v21
	s_wait_loadcnt 0x13
	v_mul_i32_i24_e32 v78, v161, v48
	s_wait_loadcnt 0xb
	v_mul_i32_i24_e32 v122, v244, v25
	s_wait_loadcnt 0xa
	v_mul_i32_i24_e32 v82, v196, v71
	s_wait_loadcnt 0x9
	v_mul_i32_i24_e32 v97, v245, v13
	s_delay_alu instid0(VALU_DEP_2)
	v_add3_u32 v76, v76, v81, v82
	s_wait_loadcnt 0x8
	v_mul_i32_i24_e32 v98, v242, v14
	v_mul_i32_i24_e32 v82, v173, v51
	scratch_load_b32 v173, off, off offset:388 ; 4-byte Folded Reload
	v_add3_u32 v76, v76, v92, v94
	s_delay_alu instid0(VALU_DEP_1)
	v_add3_u32 v76, v76, v95, v96
	v_mul_i32_i24_e32 v96, v253, v54
	scratch_load_b32 v253, off, off offset:1040 ; 4-byte Folded Reload
	v_add3_u32 v76, v76, v97, v98
	v_mul_i32_i24_e32 v97, v252, v55
	v_mul_i32_i24_e32 v98, v251, v56
	s_clause 0x1
	scratch_load_b32 v252, off, off offset:1036
	scratch_load_b32 v251, off, off offset:964
	v_add3_u32 v76, v76, v99, v100
	v_mul_i32_i24_e32 v99, v246, v38
	v_mul_i32_i24_e32 v100, v162, v57
	scratch_load_b32 v246, off, off offset:576 ; 4-byte Folded Reload
	v_add3_u32 v76, v76, v101, v109
	s_delay_alu instid0(VALU_DEP_1)
	v_add3_u32 v76, v76, v112, v114
	v_mul_i32_i24_e32 v112, v222, v39
	v_mul_i32_i24_e32 v114, v140, v60
	s_clause 0x1
	scratch_load_b32 v222, off, off offset:124
	scratch_load_b32 v140, off, off offset:500
	v_add3_u32 v76, v76, v115, v122
	v_mul_i32_i24_e32 v115, v221, v61
	s_wait_loadcnt 0xe
	v_mul_i32_i24_e32 v81, v132, v36
	v_mul_i32_i24_e32 v122, v204, v62
	scratch_load_b32 v204, off, off offset:324 ; 4-byte Folded Reload
	v_add3_u32 v76, v76, v123, v126
	s_wait_loadcnt 0xe
	v_mul_i32_i24_e32 v92, v175, v52
	s_wait_loadcnt 0xd
	v_mul_i32_i24_e32 v94, v174, v53
	v_mul_i32_i24_e32 v123, v208, v40
	;; [unrolled: 1-line block ×3, first 2 shown]
	s_clause 0x2
	scratch_load_b32 v221, off, off offset:328
	scratch_load_b32 v208, off, off offset:128
	;; [unrolled: 1-line block ×3, first 2 shown]
	s_wait_loadcnt 0xf
	v_mul_i32_i24_e32 v79, v74, v49
	s_wait_loadcnt 0xb
	v_mul_i32_i24_e32 v127, v2, v28
	scratch_load_b32 v2, off, off offset:132 ; 4-byte Folded Reload
	s_wait_loadcnt 0xb
	v_mul_i32_i24_e32 v95, v173, v37
	s_wait_loadcnt 0x0
	v_mul_i32_i24_e32 v6, v2, v29
	scratch_load_b32 v2, off, off offset:28 ; 4-byte Folded Reload
	v_add3_u32 v6, v76, v127, v6
	v_mul_i32_i24_e32 v76, v255, v47
	v_mul_i32_i24_e32 v127, v139, v64
	s_clause 0x1
	scratch_load_b32 v139, off, off offset:336
	scratch_load_b32 v255, off, off offset:1052
	s_wait_loadcnt 0x2
	v_mul_i32_i24_e32 v5, v2, v30
	scratch_load_b32 v2, off, off offset:24 ; 4-byte Folded Reload
	s_wait_loadcnt 0x0
	v_mul_i32_i24_e32 v4, v2, v31
	scratch_load_b32 v2, off, off offset:8  ; 4-byte Folded Reload
	v_add3_u32 v4, v6, v5, v4
	v_mul_i32_i24_e32 v5, v176, v44
	scratch_load_b32 v176, off, off offset:52 ; 4-byte Folded Reload
	v_mul_i32_i24_e32 v6, v148, v34
	s_wait_loadcnt 0x1
	v_mul_i32_i24_e32 v3, v2, v32
	scratch_load_b32 v2, off, off offset:136 ; 4-byte Folded Reload
	s_wait_loadcnt 0x1
	v_mul_i32_i24_e32 v101, v176, v58
	s_wait_loadcnt 0x0
	v_mul_i32_i24_e32 v2, v2, v33
	s_delay_alu instid0(VALU_DEP_1)
	v_add3_u32 v2, v4, v3, v2
	scratch_load_b32 v3, off, off offset:32 ; 4-byte Folded Reload
	v_mul_i32_i24_e32 v4, v75, v42
	scratch_load_b32 v75, off, off offset:48 ; 4-byte Folded Reload
	s_wait_loadcnt 0x1
	v_mul_lo_u32 v2, v2, v3
	scratch_load_b32 v3, off, off offset:36 ; 4-byte Folded Reload
	s_wait_loadcnt 0x1
	v_mul_i32_i24_e32 v109, v75, v59
	v_cvt_f32_i32_e32 v2, v2
	s_delay_alu instid0(VALU_DEP_1)
	v_fma_mix_f32 v2, v0, v2, 0 op_sel_hi:[1,0,0]
	s_wait_loadcnt 0x0
	v_mad_i32_i24 v4, v3, v43, v4
	v_mul_i32_i24_e32 v3, v137, v41
	scratch_load_b32 v137, off, off offset:332 ; 4-byte Folded Reload
	v_add3_u32 v4, v4, v5, v6
	v_mul_i32_i24_e32 v6, v254, v46
	v_mul_i32_i24_e32 v5, v138, v65
	s_clause 0x1
	scratch_load_b32 v138, off, off offset:660
	scratch_load_b32 v254, off, off offset:1064
	v_add3_u32 v4, v4, v7, v6
	v_mul_i32_i24_e32 v6, v69, v164
	s_delay_alu instid0(VALU_DEP_2) | instskip(NEXT) | instid1(VALU_DEP_1)
	v_add3_u32 v4, v4, v76, v77
	v_add3_u32 v4, v4, v78, v79
	v_mul_i32_i24_e32 v78, v11, v110
	v_mul_i32_i24_e32 v79, v12, v108
	s_clause 0x1
	scratch_load_b32 v108, off, off offset:592
	scratch_load_b32 v110, off, off offset:656
	v_add3_u32 v4, v4, v80, v81
	v_mul_i32_i24_e32 v80, v13, v107
	v_mul_i32_i24_e32 v81, v14, v106
	s_clause 0x1
	scratch_load_b32 v106, off, off offset:552
	scratch_load_b32 v107, off, off offset:556
	v_add3_u32 v4, v4, v82, v92
	s_delay_alu instid0(VALU_DEP_1) | instskip(NEXT) | instid1(VALU_DEP_1)
	v_add3_u32 v4, v4, v94, v95
	v_add3_u32 v4, v4, v96, v97
	v_mul_i32_i24_e32 v96, v22, v111
	v_mul_i32_i24_e32 v97, v23, v113
	s_delay_alu instid0(VALU_DEP_3) | instskip(SKIP_2) | instid1(VALU_DEP_3)
	v_add3_u32 v4, v4, v98, v99
	v_mul_i32_i24_e32 v98, v24, v116
	v_mul_i32_i24_e32 v99, v25, v117
	v_add3_u32 v4, v4, v100, v101
	v_mul_i32_i24_e32 v100, v26, v118
	v_mul_i32_i24_e32 v101, v27, v119
	s_delay_alu instid0(VALU_DEP_3) | instskip(SKIP_2) | instid1(VALU_DEP_3)
	v_add3_u32 v4, v4, v109, v112
	v_mul_i32_i24_e32 v109, v28, v120
	v_mul_i32_i24_e32 v112, v29, v246
	;; [unrolled: 7-line block ×3, first 2 shown]
	v_add3_u32 v4, v4, v126, v127
	v_mul_i32_i24_e32 v126, v65, v191
	v_mul_i32_i24_e32 v127, v41, v179
	s_clause 0x1
	scratch_load_b32 v191, off, off offset:904
	scratch_load_b32 v179, off, off offset:972
	v_add3_u32 v3, v4, v5, v3
	v_mul_i32_i24_e32 v4, v17, v222
	v_mul_i32_i24_e32 v5, v68, v160
	s_delay_alu instid0(VALU_DEP_3) | instskip(SKIP_2) | instid1(VALU_DEP_1)
	v_mul_lo_u32 v3, v3, v105
	scratch_load_b32 v105, off, off offset:548 ; 4-byte Folded Reload
	v_cvt_f32_i32_e32 v3, v3
	v_fma_mix_f32 v2, v1, v3, v2 op_sel_hi:[1,0,0]
	v_fma_mix_f32 v3, v103, v1, v8 op_sel:[0,1,0] op_sel_hi:[0,1,0]
	scratch_load_b32 v103, off, off offset:368 ; 4-byte Folded Reload
	v_mul_f32_e32 v3, v3, v104
	scratch_load_b32 v104, off, off offset:544 ; 4-byte Folded Reload
	v_fma_f32 v2, v2, v102, -v3
	s_clause 0x1
	scratch_load_b32 v3, off, off offset:764
	scratch_load_b32 v102, off, off offset:352
	s_wait_loadcnt 0xa
	v_mul_i32_i24_e32 v94, v20, v108
	s_wait_loadcnt 0x9
	v_mul_i32_i24_e32 v95, v21, v110
	;; [unrolled: 2-line block ×7, first 2 shown]
	s_wait_loadcnt 0x1
	v_add_f32_e32 v3, v3, v2
	v_mul_i32_i24_e32 v2, v15, v93
	scratch_load_b32 v93, off, off offset:364 ; 4-byte Folded Reload
	scratch_store_b32 off, v3, off offset:764 ; 4-byte Folded Spill
	v_mul_i32_i24_e32 v3, v16, v204
	s_wait_loadcnt 0x1
	v_mad_i32_i24 v2, v72, v102, v2
	s_delay_alu instid0(VALU_DEP_1) | instskip(SKIP_2) | instid1(VALU_DEP_1)
	v_add3_u32 v2, v2, v3, v4
	v_mul_i32_i24_e32 v3, v66, v221
	v_mul_i32_i24_e32 v4, v67, v208
	v_add3_u32 v2, v2, v3, v4
	v_mul_i32_i24_e32 v4, v42, v124
	v_fma_mix_f32 v3, v121, v0, 0 op_sel:[0,1,0] op_sel_hi:[0,1,0]
	s_delay_alu instid0(VALU_DEP_3)
	v_add3_u32 v2, v2, v5, v6
	v_mul_i32_i24_e32 v5, v44, v125
	v_mul_i32_i24_e32 v6, v34, v129
	v_mad_i32_i24 v4, v43, v128, v4
	v_fma_mix_f32 v3, v172, v1, v3 op_sel:[0,1,0] op_sel_hi:[0,1,0]
	scratch_load_b32 v172, off, off offset:288 ; 4-byte Folded Reload
	v_add3_u32 v4, v4, v5, v6
	v_mul_i32_i24_e32 v5, v45, v89
	v_mul_i32_i24_e32 v6, v46, v136
	v_mul_f32_e32 v3, v3, v177
	scratch_load_b32 v177, off, off offset:316 ; 4-byte Folded Reload
	v_add3_u32 v4, v4, v5, v6
	v_mul_i32_i24_e32 v6, v69, v171
	scratch_load_b32 v171, off, off offset:116 ; 4-byte Folded Reload
	v_mul_i32_i24_e32 v5, v68, v232
	s_wait_loadcnt 0x3
	v_mul_i32_i24_e32 v7, v70, v93
	s_delay_alu instid0(VALU_DEP_1) | instskip(SKIP_2) | instid1(VALU_DEP_3)
	v_add3_u32 v2, v2, v7, v8
	v_mul_i32_i24_e32 v7, v47, v90
	v_mul_i32_i24_e32 v8, v35, v137
	v_add3_u32 v2, v2, v76, v77
	v_mul_i32_i24_e32 v76, v48, v138
	v_mul_i32_i24_e32 v77, v49, v139
	s_delay_alu instid0(VALU_DEP_4)
	v_add3_u32 v4, v4, v7, v8
	v_mul_i32_i24_e32 v8, v71, v169
	v_add3_u32 v2, v2, v78, v79
	v_mul_i32_i24_e32 v78, v50, v140
	v_mul_i32_i24_e32 v79, v36, v250
	v_add3_u32 v4, v4, v76, v77
	v_mul_i32_i24_e32 v77, v10, v167
	v_add3_u32 v2, v2, v80, v81
	v_mul_i32_i24_e32 v80, v51, v249
	v_mul_i32_i24_e32 v81, v52, v220
	;; [unrolled: 5-line block ×3, first 2 shown]
	v_add3_u32 v4, v4, v80, v81
	scratch_load_b32 v166, off, off offset:272 ; 4-byte Folded Reload
	v_add3_u32 v2, v2, v94, v95
	v_mul_i32_i24_e32 v94, v54, v217
	v_mul_i32_i24_e32 v95, v55, v216
	v_add3_u32 v4, v4, v82, v92
	scratch_load_b32 v167, off, off offset:276 ; 4-byte Folded Reload
	v_add3_u32 v2, v2, v96, v97
	v_mul_i32_i24_e32 v96, v56, v215
	v_mul_i32_i24_e32 v97, v38, v214
	v_add3_u32 v4, v4, v94, v95
	v_mul_i32_i24_e32 v76, v9, v168
	v_add3_u32 v2, v2, v98, v99
	v_mul_i32_i24_e32 v98, v57, v213
	v_mul_i32_i24_e32 v99, v58, v212
	v_add3_u32 v4, v4, v96, v97
	scratch_load_b32 v168, off, off offset:280 ; 4-byte Folded Reload
	v_add3_u32 v2, v2, v100, v101
	v_mul_i32_i24_e32 v100, v59, v211
	v_mul_i32_i24_e32 v101, v39, v210
	v_add3_u32 v4, v4, v98, v99
	scratch_load_b32 v169, off, off offset:284 ; 4-byte Folded Reload
	;; [unrolled: 5-line block ×5, first 2 shown]
	v_mul_lo_u32 v2, v2, v91
	scratch_load_b32 v209, off, off offset:300 ; 4-byte Folded Reload
	v_mul_i32_i24_e32 v79, v12, v163
	v_add3_u32 v4, v4, v122, v123
	s_clause 0x3
	scratch_load_b32 v163, off, off offset:304
	scratch_load_b32 v210, off, off offset:916
	;; [unrolled: 1-line block ×4, first 2 shown]
	v_add3_u32 v4, v4, v126, v127
	v_cvt_f32_i32_e32 v2, v2
	s_clause 0x1
	scratch_load_b32 v212, off, off offset:924
	scratch_load_b32 v217, off, off offset:944
	v_mul_i32_i24_e32 v7, v70, v170
	v_mul_lo_u32 v4, v4, v178
	v_fma_mix_f32 v2, v0, v2, 0 op_sel_hi:[1,0,0]
	s_clause 0x3
	scratch_load_b32 v218, off, off offset:948
	scratch_load_b32 v220, off, off offset:956
	;; [unrolled: 1-line block ×4, first 2 shown]
	s_wait_loadcnt 0x12
	v_mul_i32_i24_e32 v94, v20, v171
	v_mul_i32_i24_e32 v95, v21, v172
	v_cvt_f32_i32_e32 v4, v4
	scratch_load_b32 v193, off, off offset:912 ; 4-byte Folded Reload
	v_mul_i32_i24_e32 v100, v26, v154
	s_clause 0x1
	scratch_load_b32 v213, off, off offset:928
	scratch_load_b32 v215, off, off offset:936
	v_fma_mix_f32 v2, v1, v4, v2 op_sel_hi:[1,0,0]
	v_mul_i32_i24_e32 v4, v17, v229
	s_clause 0x2
	scratch_load_b32 v216, off, off offset:940
	scratch_load_b32 v219, off, off offset:952
	;; [unrolled: 1-line block ×3, first 2 shown]
	v_fma_f32 v2, v2, v141, -v3
	s_clause 0x3
	scratch_load_b32 v3, off, off offset:760
	scratch_load_b32 v141, off, off offset:232
	;; [unrolled: 1-line block ×4, first 2 shown]
	v_mul_i32_i24_e32 v109, v28, v191
	v_mul_i32_i24_e32 v126, v65, v177
	;; [unrolled: 1-line block ×4, first 2 shown]
	scratch_load_b32 v226, off, off offset:224 ; 4-byte Folded Reload
	v_mul_i32_i24_e32 v10, v10, v225
	v_mul_i32_i24_e32 v11, v11, v224
	;; [unrolled: 1-line block ×3, first 2 shown]
	s_clause 0x2
	scratch_load_b32 v223, off, off offset:888
	scratch_load_b32 v225, off, off offset:1180
	;; [unrolled: 1-line block ×3, first 2 shown]
	s_wait_loadcnt 0x1f
	v_mul_i32_i24_e32 v80, v13, v166
	v_mul_i32_i24_e32 v13, v13, v197
	scratch_load_b32 v197, off, off offset:1104 ; 4-byte Folded Reload
	s_wait_loadcnt 0x1f
	v_mul_i32_i24_e32 v81, v14, v167
	v_mul_i32_i24_e32 v14, v14, v190
	scratch_load_b32 v190, off, off offset:1176 ; 4-byte Folded Reload
	s_wait_loadcnt 0x1f
	v_mul_i32_i24_e32 v82, v18, v168
	s_wait_loadcnt 0x1e
	v_mul_i32_i24_e32 v92, v19, v169
	s_wait_loadcnt 0x1d
	v_mul_i32_i24_e32 v97, v23, v206
	s_wait_loadcnt 0x1c
	v_mul_i32_i24_e32 v96, v22, v205
	s_wait_loadcnt 0x1b
	v_mul_i32_i24_e32 v98, v24, v207
	s_wait_loadcnt 0x1a
	v_mul_i32_i24_e32 v99, v25, v209
	s_wait_loadcnt 0x19
	v_mul_i32_i24_e32 v101, v27, v163
	s_wait_loadcnt 0xf
	v_mul_i32_i24_e32 v112, v29, v193
	s_wait_loadcnt 0xe
	v_mul_i32_i24_e32 v114, v30, v213
	s_wait_loadcnt 0xd
	v_mul_i32_i24_e32 v115, v31, v215
	s_wait_loadcnt 0xc
	v_mul_i32_i24_e32 v122, v32, v216
	s_wait_loadcnt 0xb
	v_mul_i32_i24_e32 v123, v33, v219
	s_wait_loadcnt 0x9
	v_add_f32_e32 v3, v3, v2
	s_wait_loadcnt 0x8
	v_mul_i32_i24_e32 v2, v15, v141
	scratch_store_b32 off, v3, off offset:760 ; 4-byte Folded Spill
	v_mul_i32_i24_e32 v3, v16, v227
	v_mad_i32_i24 v2, v72, v228, v2
	s_delay_alu instid0(VALU_DEP_1) | instskip(SKIP_2) | instid1(VALU_DEP_1)
	v_add3_u32 v2, v2, v3, v4
	v_mul_i32_i24_e32 v3, v66, v230
	v_mul_i32_i24_e32 v4, v67, v231
	v_add3_u32 v2, v2, v3, v4
	v_mul_i32_i24_e32 v4, v42, v210
	s_wait_loadcnt 0x6
	v_fma_mix_f32 v3, v192, v0, 0 op_sel:[0,1,0] op_sel_hi:[0,1,0]
	s_delay_alu instid0(VALU_DEP_3)
	v_add3_u32 v2, v2, v5, v6
	v_mul_i32_i24_e32 v5, v44, v211
	v_mul_i32_i24_e32 v6, v34, v214
	v_mad_i32_i24 v4, v43, v212, v4
	v_fma_mix_f32 v3, v145, v1, v3 op_sel:[0,1,0] op_sel_hi:[0,1,0]
	v_add3_u32 v2, v2, v7, v8
	v_mul_i32_i24_e32 v7, v47, v218
	v_mul_i32_i24_e32 v8, v35, v220
	v_add3_u32 v4, v4, v5, v6
	v_mul_i32_i24_e32 v5, v45, v150
	v_add3_u32 v2, v2, v76, v77
	v_mul_i32_i24_e32 v77, v49, v151
	scratch_load_b32 v151, off, off offset:664 ; 4-byte Folded Reload
	v_mul_i32_i24_e32 v6, v46, v217
	v_mul_i32_i24_e32 v76, v48, v249
	v_add3_u32 v2, v2, v78, v79
	v_mul_i32_i24_e32 v79, v36, v146
	scratch_load_b32 v146, off, off offset:1060 ; 4-byte Folded Reload
	v_add3_u32 v4, v4, v5, v6
	v_mul_i32_i24_e32 v78, v50, v250
	v_add3_u32 v2, v2, v80, v81
	v_mul_i32_i24_e32 v81, v52, v252
	v_mul_i32_i24_e32 v5, v68, v236
	v_add3_u32 v4, v4, v7, v8
	v_mul_i32_i24_e32 v6, v69, v235
	v_add3_u32 v2, v2, v82, v92
	v_mul_i32_i24_e32 v92, v37, v147
	scratch_load_b32 v147, off, off offset:968 ; 4-byte Folded Reload
	v_add3_u32 v4, v4, v76, v77
	v_mul_i32_i24_e32 v82, v53, v251
	v_add3_u32 v2, v2, v94, v95
	v_mul_i32_i24_e32 v94, v54, v143
	scratch_load_b32 v143, off, off offset:308 ; 4-byte Folded Reload
	;; [unrolled: 5-line block ×3, first 2 shown]
	v_mul_i32_i24_e32 v7, v70, v234
	v_mul_i32_i24_e32 v8, v71, v233
	v_add3_u32 v2, v2, v98, v99
	v_mul_i32_i24_e32 v98, v57, v254
	v_mul_i32_i24_e32 v99, v58, v255
	s_clause 0x1
	scratch_load_b32 v233, off, off offset:1184
	scratch_load_b32 v234, off, off offset:1188
	v_add3_u32 v2, v2, v100, v101
	v_mul_i32_i24_e32 v101, v39, v88
	scratch_load_b32 v88, off, off offset:1068 ; 4-byte Folded Reload
	v_mul_i32_i24_e32 v100, v59, v130
	scratch_load_b32 v130, off, off offset:312 ; 4-byte Folded Reload
	v_add3_u32 v2, v2, v109, v112
	v_mul_i32_i24_e32 v109, v60, v149
	s_clause 0x1
	scratch_load_b32 v236, off, off offset:1196
	scratch_load_b32 v235, off, off offset:1192
	v_add3_u32 v2, v2, v114, v115
	s_delay_alu instid0(VALU_DEP_1) | instskip(SKIP_1) | instid1(VALU_DEP_2)
	v_add3_u32 v2, v2, v122, v123
	v_mul_i32_i24_e32 v123, v64, v178
	v_mul_lo_u32 v2, v2, v170
	s_delay_alu instid0(VALU_DEP_1) | instskip(NEXT) | instid1(VALU_DEP_1)
	v_cvt_f32_i32_e32 v2, v2
	v_fma_mix_f32 v2, v0, v2, 0 op_sel_hi:[1,0,0]
	s_wait_loadcnt 0xa
	v_mul_f32_e32 v3, v3, v151
	s_wait_loadcnt 0x9
	v_mul_i32_i24_e32 v80, v51, v146
	s_delay_alu instid0(VALU_DEP_1) | instskip(NEXT) | instid1(VALU_DEP_1)
	v_add3_u32 v4, v4, v80, v81
	v_add3_u32 v4, v4, v82, v92
	s_wait_loadcnt 0x8
	v_mul_i32_i24_e32 v96, v56, v147
	s_delay_alu instid0(VALU_DEP_2) | instskip(SKIP_2) | instid1(VALU_DEP_2)
	v_add3_u32 v4, v4, v94, v95
	s_wait_loadcnt 0x7
	v_mul_i32_i24_e32 v115, v40, v143
	v_add3_u32 v4, v4, v96, v97
	s_wait_loadcnt 0x6
	v_mul_i32_i24_e32 v112, v61, v142
	s_delay_alu instid0(VALU_DEP_2) | instskip(NEXT) | instid1(VALU_DEP_1)
	v_add3_u32 v4, v4, v98, v99
	v_add3_u32 v4, v4, v100, v101
	s_wait_loadcnt 0x3
	v_mul_i32_i24_e32 v114, v62, v88
	s_wait_loadcnt 0x2
	v_mul_i32_i24_e32 v122, v63, v130
	v_add3_u32 v4, v4, v109, v112
	s_delay_alu instid0(VALU_DEP_1) | instskip(NEXT) | instid1(VALU_DEP_1)
	v_add3_u32 v4, v4, v114, v115
	v_add3_u32 v4, v4, v122, v123
	s_delay_alu instid0(VALU_DEP_1) | instskip(NEXT) | instid1(VALU_DEP_1)
	v_add3_u32 v4, v4, v126, v127
	v_mul_lo_u32 v4, v4, v144
	s_delay_alu instid0(VALU_DEP_1) | instskip(NEXT) | instid1(VALU_DEP_1)
	v_cvt_f32_i32_e32 v4, v4
	v_fma_mix_f32 v2, v1, v4, v2 op_sel_hi:[1,0,0]
	v_mul_i32_i24_e32 v4, v17, v239
	v_mul_i32_i24_e32 v17, v20, v187
	;; [unrolled: 1-line block ×4, first 2 shown]
	v_fma_f32 v2, v2, v152, -v3
	s_clause 0x4
	scratch_load_b32 v3, off, off offset:756
	scratch_load_b32 v181, off, off offset:1084
	;; [unrolled: 1-line block ×5, first 2 shown]
	s_wait_loadcnt 0x4
	v_add_f32_e32 v3, v3, v2
	v_mul_i32_i24_e32 v2, v15, v243
	v_mul_i32_i24_e32 v15, v18, v189
	;; [unrolled: 1-line block ×5, first 2 shown]
	scratch_load_b32 v153, off, off offset:220 ; 4-byte Folded Reload
	scratch_store_b32 off, v3, off offset:756 ; 4-byte Folded Spill
	v_mul_i32_i24_e32 v3, v16, v241
	v_mad_i32_i24 v2, v72, v240, v2
	v_mul_i32_i24_e32 v16, v19, v188
	v_mul_i32_i24_e32 v19, v22, v185
	;; [unrolled: 1-line block ×4, first 2 shown]
	v_add3_u32 v2, v2, v3, v4
	v_mul_i32_i24_e32 v3, v66, v238
	v_mul_i32_i24_e32 v4, v67, v237
	s_clause 0x1
	scratch_load_b32 v28, off, off offset:228
	scratch_load_b32 v135, off, off offset:152
	v_mul_i32_i24_e32 v27, v30, v226
	s_wait_loadcnt 0x6
	v_mul_i32_i24_e32 v30, v33, v181
	v_add3_u32 v2, v2, v3, v4
	scratch_load_b32 v4, off, off offset:484 ; 4-byte Folded Reload
	v_mul_i32_i24_e32 v3, v42, v134
	s_clause 0x1
	scratch_load_b32 v182, off, off offset:780
	scratch_load_b32 v183, off, off offset:204
	v_add3_u32 v2, v2, v5, v6
	s_clause 0x3
	scratch_load_b32 v5, off, off offset:492
	scratch_load_b32 v6, off, off offset:488
	scratch_load_b32 v185, off, off offset:212
	scratch_load_b32 v186, off, off offset:784
	v_add3_u32 v2, v2, v7, v8
	s_clause 0x3
	scratch_load_b32 v189, off, off offset:1092
	scratch_load_b32 v188, off, off offset:1088
	;; [unrolled: 6-line block ×3, first 2 shown]
	scratch_load_b32 v241, off, off offset:1216
	scratch_load_b32 v243, off, off offset:148
	v_add3_u32 v2, v2, v11, v12
	s_wait_loadcnt 0x14
	v_mul_i32_i24_e32 v10, v50, v184
	s_wait_loadcnt 0x13
	v_mul_i32_i24_e32 v12, v51, v187
	v_add3_u32 v2, v2, v13, v14
	s_delay_alu instid0(VALU_DEP_1) | instskip(SKIP_1) | instid1(VALU_DEP_2)
	v_add3_u32 v2, v2, v15, v16
	v_mul_i32_i24_e32 v15, v37, v190
	v_add3_u32 v2, v2, v17, v18
	s_delay_alu instid0(VALU_DEP_1) | instskip(SKIP_2) | instid1(VALU_DEP_3)
	v_add3_u32 v2, v2, v19, v20
	v_mul_i32_i24_e32 v19, v38, v197
	v_mul_i32_i24_e32 v20, v57, v223
	v_add3_u32 v2, v2, v21, v22
	v_mul_i32_i24_e32 v21, v58, v225
	v_mul_i32_i24_e32 v22, v59, v224
	s_delay_alu instid0(VALU_DEP_3)
	v_add3_u32 v2, v2, v23, v24
	v_mul_i32_i24_e32 v23, v39, v233
	v_mul_i32_i24_e32 v24, v60, v234
	s_wait_loadcnt 0x11
	v_mul_i32_i24_e32 v26, v29, v153
	scratch_load_b32 v29, off, off offset:880 ; 4-byte Folded Reload
	v_add3_u32 v2, v2, v25, v26
	v_mul_i32_i24_e32 v25, v61, v236
	v_mul_i32_i24_e32 v26, v62, v235
	s_wait_loadcnt 0x11
	v_mul_i32_i24_e32 v28, v31, v28
	s_delay_alu instid0(VALU_DEP_1)
	v_add3_u32 v2, v2, v27, v28
	s_wait_loadcnt 0xf
	v_mul_i32_i24_e32 v4, v44, v4
	s_wait_loadcnt 0xe
	v_mul_i32_i24_e32 v7, v35, v182
	;; [unrolled: 2-line block ×4, first 2 shown]
	s_wait_loadcnt 0xb
	v_mad_i32_i24 v3, v43, v6, v3
	v_mul_i32_i24_e32 v6, v47, v133
	scratch_load_b32 v133, off, off offset:892 ; 4-byte Folded Reload
	s_wait_loadcnt 0xb
	v_mul_i32_i24_e32 v9, v49, v185
	s_wait_loadcnt 0xa
	v_mul_i32_i24_e32 v11, v36, v186
	v_add3_u32 v3, v3, v4, v5
	scratch_load_b32 v4, off, off offset:192 ; 4-byte Folded Reload
	s_wait_loadcnt 0xa
	v_mul_i32_i24_e32 v13, v52, v189
	s_wait_loadcnt 0x9
	v_mul_i32_i24_e32 v14, v53, v188
	;; [unrolled: 2-line block ×7, first 2 shown]
	s_delay_alu instid0(VALU_DEP_1) | instskip(SKIP_2) | instid1(VALU_DEP_3)
	v_add3_u32 v2, v2, v29, v30
	v_mul_i32_i24_e32 v29, v64, v240
	v_mul_i32_i24_e32 v30, v65, v239
	v_mul_lo_u32 v2, v2, v180
	scratch_load_b32 v180, off, off offset:200 ; 4-byte Folded Reload
	v_cvt_f32_i32_e32 v2, v2
	s_delay_alu instid0(VALU_DEP_1)
	v_fma_mix_f32 v2, v0, v2, 0 op_sel_hi:[1,0,0]
	v_fma_mix_f32 v0, v158, v0, 0 op_sel:[0,1,0] op_sel_hi:[0,1,0]
	scratch_load_b32 v158, off, off offset:1100 ; 4-byte Folded Reload
	s_wait_loadcnt 0x3
	v_mul_i32_i24_e32 v16, v54, v133
	s_wait_loadcnt 0x2
	v_mul_i32_i24_e32 v4, v45, v4
	v_fma_mix_f32 v0, v243, v1, v0 op_sel:[0,1,0] op_sel_hi:[0,1,0]
	s_wait_loadcnt 0x1
	v_mul_i32_i24_e32 v5, v46, v180
	s_delay_alu instid0(VALU_DEP_1) | instskip(NEXT) | instid1(VALU_DEP_1)
	v_add3_u32 v3, v3, v4, v5
	v_add3_u32 v3, v3, v6, v7
	s_wait_loadcnt 0x0
	v_mul_i32_i24_e32 v17, v55, v158
	s_delay_alu instid0(VALU_DEP_2) | instskip(NEXT) | instid1(VALU_DEP_1)
	v_add3_u32 v3, v3, v8, v9
	v_add3_u32 v3, v3, v10, v11
	s_delay_alu instid0(VALU_DEP_1) | instskip(NEXT) | instid1(VALU_DEP_1)
	v_add3_u32 v3, v3, v12, v13
	v_add3_u32 v3, v3, v14, v15
	s_delay_alu instid0(VALU_DEP_1) | instskip(NEXT) | instid1(VALU_DEP_1)
	;; [unrolled: 3-line block ×6, first 2 shown]
	v_mul_lo_u32 v3, v3, v135
	v_cvt_f32_i32_e32 v3, v3
	s_delay_alu instid0(VALU_DEP_1)
	v_fma_mix_f32 v2, v1, v3, v2 op_sel_hi:[1,0,0]
	scratch_load_b32 v1, off, off offset:20 ; 4-byte Folded Reload
	s_wait_loadcnt 0x0
	v_mul_f32_e32 v0, v0, v1
	scratch_load_b32 v1, off, off offset:752 ; 4-byte Folded Reload
	v_fma_f32 v0, v2, v194, -v0
	s_wait_loadcnt 0x0
	s_delay_alu instid0(VALU_DEP_1) | instskip(SKIP_4) | instid1(VALU_DEP_1)
	v_add_f32_e32 v1, v1, v0
	scratch_load_b32 v0, off, off offset:1264 ; 4-byte Folded Reload
	scratch_store_b32 off, v1, off offset:752 ; 4-byte Folded Spill
	s_wait_loadcnt 0x0
	v_or_b32_e32 v0, s11, v0
	v_lshlrev_b32_e32 v12, 2, v0
	v_lshrrev_b32_e32 v16, 1, v0
	ds_load_b128 v[0:3], v12 offset:16896
	ds_load_b128 v[4:7], v12 offset:16912
	ds_load_b128 v[8:11], v12 offset:16928
	ds_load_b128 v[12:15], v12 offset:16944
	scratch_load_b32 v194, off, off offset:404 ; 4-byte Folded Reload
	s_wait_dscnt 0x3
	v_bfe_i32 v17, v0, 0, 8
	s_wait_dscnt 0x2
	v_bfe_i32 v35, v5, 8, 8
	v_bfe_i32 v37, v6, 0, 8
	;; [unrolled: 1-line block ×4, first 2 shown]
	v_ashrrev_i32_e32 v6, 24, v6
	v_mul_i32_i24_e32 v97, v73, v35
	scratch_load_b32 v73, off, off offset:132 ; 4-byte Folded Reload
	v_bfe_i32 v42, v7, 16, 8
	v_bfe_i32 v23, v1, 16, 8
	;; [unrolled: 1-line block ×3, first 2 shown]
	v_mul_i32_i24_e32 v66, v203, v17
	v_bfe_i32 v19, v0, 16, 8
	v_bfe_i32 v28, v3, 0, 8
	v_mul_i32_i24_e32 v69, v198, v23
	scratch_load_b32 v198, off, off offset:416 ; 4-byte Folded Reload
	v_mad_i32_i24 v66, v195, v18, v66
	scratch_load_b32 v195, off, off offset:408 ; 4-byte Folded Reload
	v_mul_i32_i24_e32 v67, v202, v19
	scratch_load_b32 v202, off, off offset:868 ; 4-byte Folded Reload
	v_bfe_i32 v32, v4, 8, 8
	v_mul_i32_i24_e32 v78, v165, v28
	scratch_load_b32 v165, off, off offset:476 ; 4-byte Folded Reload
	v_bfe_i32 v40, v7, 0, 8
	v_bfe_i32 v41, v7, 8, 8
	v_ashrrev_i32_e32 v7, 24, v7
	v_mul_i32_i24_e32 v92, v155, v32
	scratch_load_b32 v155, off, off offset:480 ; 4-byte Folded Reload
	v_ashrrev_i32_e32 v20, 24, v0
	v_bfe_i32 v21, v1, 0, 8
	v_bfe_i32 v22, v1, 8, 8
	v_ashrrev_i32_e32 v24, 24, v1
	v_bfe_i32 v25, v2, 0, 8
	v_mul_i32_i24_e32 v68, v201, v20
	v_bfe_i32 v26, v2, 8, 8
	v_bfe_i32 v27, v2, 16, 8
	v_mul_i32_i24_e32 v70, v199, v24
	v_ashrrev_i32_e32 v2, 24, v2
	v_add3_u32 v66, v66, v67, v68
	v_mul_i32_i24_e32 v67, v131, v21
	v_mul_i32_i24_e32 v68, v200, v22
	;; [unrolled: 1-line block ×3, first 2 shown]
	v_bfe_i32 v29, v3, 8, 8
	v_bfe_i32 v30, v3, 16, 8
	v_ashrrev_i32_e32 v3, 24, v3
	v_add3_u32 v66, v66, v67, v68
	v_bfe_i32 v31, v4, 0, 8
	v_mul_i32_i24_e32 v79, v247, v29
	v_mul_i32_i24_e32 v80, v245, v30
	;; [unrolled: 1-line block ×3, first 2 shown]
	v_add3_u32 v66, v66, v69, v70
	v_bfe_i32 v33, v4, 16, 8
	v_ashrrev_i32_e32 v4, 24, v4
	v_mul_i32_i24_e32 v82, v156, v31
	v_bfe_i32 v34, v5, 0, 8
	v_bfe_i32 v36, v5, 16, 8
	v_mul_i32_i24_e32 v94, v87, v33
	v_mul_i32_i24_e32 v95, v248, v4
	v_ashrrev_i32_e32 v5, 24, v5
	v_mul_i32_i24_e32 v96, v157, v34
	v_mul_i32_i24_e32 v101, v159, v38
	s_wait_dscnt 0x0
	v_bfe_i32 v60, v14, 0, 8
	v_bfe_i32 v61, v14, 8, 8
	v_mul_i32_i24_e32 v99, v244, v5
	s_clause 0x1
	scratch_load_b32 v200, off, off offset:28
	scratch_load_b32 v199, off, off offset:24
	v_bfe_i32 v62, v14, 16, 8
	v_ashrrev_i32_e32 v14, 24, v14
	v_bfe_i32 v63, v15, 0, 8
	v_bfe_i32 v64, v15, 8, 8
	s_clause 0x7
	scratch_load_b32 v67, off, off offset:96
	scratch_load_b32 v68, off, off offset:92
	;; [unrolled: 1-line block ×8, first 2 shown]
	v_bfe_i32 v48, v10, 0, 8
	scratch_load_b32 v87, off, off offset:668 ; 4-byte Folded Reload
	ds_load_b64 v[0:1], v16 offset:27200
	v_bfe_i32 v16, v8, 0, 8
	v_bfe_i32 v43, v8, 8, 8
	;; [unrolled: 1-line block ×3, first 2 shown]
	v_ashrrev_i32_e32 v8, 24, v8
	v_bfe_i32 v52, v11, 8, 8
	s_clause 0x1
	scratch_load_b32 v244, off, off offset:424
	scratch_load_b32 v242, off, off offset:420
	v_bfe_i32 v57, v13, 0, 8
	v_mul_i32_i24_e32 v70, v148, v8
	scratch_load_b32 v148, off, off offset:432 ; 4-byte Folded Reload
	v_bfe_i32 v65, v15, 16, 8
	v_bfe_i32 v45, v9, 0, 8
	;; [unrolled: 1-line block ×3, first 2 shown]
	scratch_load_b32 v201, off, off offset:32 ; 4-byte Folded Reload
	v_bfe_i32 v47, v9, 16, 8
	v_ashrrev_i32_e32 v9, 24, v9
	v_bfe_i32 v49, v10, 8, 8
	v_bfe_i32 v50, v10, 16, 8
	v_ashrrev_i32_e32 v10, 24, v10
	v_bfe_i32 v51, v11, 0, 8
	;; [unrolled: 3-line block ×3, first 2 shown]
	v_bfe_i32 v55, v12, 8, 8
	v_bfe_i32 v56, v12, 16, 8
	v_ashrrev_i32_e32 v12, 24, v12
	v_bfe_i32 v58, v13, 8, 8
	v_bfe_i32 v59, v13, 16, 8
	v_ashrrev_i32_e32 v13, 24, v13
	v_ashrrev_i32_e32 v15, 24, v15
	s_clause 0x2
	scratch_load_b32 v131, off, off offset:1144
	scratch_load_b32 v159, off, off offset:488
	scratch_load_b32 v157, off, off offset:192
	s_wait_loadcnt 0x18
	v_mul_i32_i24_e32 v77, v194, v2
	s_wait_loadcnt 0x17
	v_mul_i32_i24_e32 v112, v73, v6
	scratch_load_b32 v73, off, off offset:8 ; 4-byte Folded Reload
	s_wait_loadcnt 0x17
	v_mul_i32_i24_e32 v71, v198, v25
	s_wait_loadcnt 0x16
	v_mul_i32_i24_e32 v76, v195, v27
	;; [unrolled: 2-line block ×3, first 2 shown]
	v_add3_u32 v66, v66, v71, v72
	s_wait_loadcnt 0x14
	v_mul_i32_i24_e32 v100, v165, v37
	s_delay_alu instid0(VALU_DEP_2)
	v_add3_u32 v66, v66, v76, v77
	v_mul_i32_i24_e32 v76, v161, v48
	s_wait_loadcnt 0x13
	v_mul_i32_i24_e32 v109, v155, v39
	scratch_load_b32 v161, off, off offset:672 ; 4-byte Folded Reload
	v_mul_i32_i24_e32 v77, v74, v49
	v_add3_u32 v66, v66, v78, v79
	v_mul_i32_i24_e32 v79, v132, v10
	s_delay_alu instid0(VALU_DEP_2)
	v_add3_u32 v66, v66, v80, v81
	v_mul_i32_i24_e32 v81, v175, v52
	scratch_load_b32 v175, off, off offset:428 ; 4-byte Folded Reload
	v_add3_u32 v66, v66, v82, v92
	v_mul_i32_i24_e32 v82, v174, v53
	v_mul_i32_i24_e32 v92, v173, v11
	v_mov_b32_e32 v174, v202
	s_delay_alu instid0(VALU_DEP_4) | instskip(NEXT) | instid1(VALU_DEP_1)
	v_add3_u32 v66, v66, v94, v95
	v_add3_u32 v66, v66, v96, v97
	s_delay_alu instid0(VALU_DEP_1)
	v_add3_u32 v66, v66, v98, v99
	v_mul_i32_i24_e32 v98, v162, v57
	scratch_load_b32 v162, off, off offset:180 ; 4-byte Folded Reload
	v_mul_i32_i24_e32 v99, v176, v58
	scratch_load_b32 v176, off, off offset:160 ; 4-byte Folded Reload
	v_add3_u32 v66, v66, v100, v101
	v_mul_i32_i24_e32 v100, v75, v59
	s_wait_loadcnt 0x16
	v_mul_i32_i24_e32 v114, v200, v40
	s_delay_alu instid0(VALU_DEP_3) | instskip(SKIP_4) | instid1(VALU_DEP_2)
	v_add3_u32 v66, v66, v109, v112
	s_wait_loadcnt 0x15
	v_mul_i32_i24_e32 v115, v199, v41
	s_wait_loadcnt_dscnt 0x1400
	v_fma_mix_f32 v67, v67, v0, 0 op_sel:[0,1,0] op_sel_hi:[0,1,0]
	v_add3_u32 v66, v66, v114, v115
	s_wait_loadcnt 0x13
	v_mul_i32_i24_e32 v68, v68, v16
	s_wait_loadcnt 0x12
	v_mul_i32_i24_e32 v69, v69, v44
	;; [unrolled: 2-line block ×3, first 2 shown]
	v_mad_i32_i24 v68, v156, v43, v68
	s_wait_loadcnt 0xd
	v_mul_i32_i24_e32 v72, v203, v9
	s_wait_loadcnt 0xc
	v_mul_i32_i24_e32 v78, v87, v50
	v_add3_u32 v68, v68, v69, v70
	v_mul_i32_i24_e32 v69, v248, v45
	v_mul_i32_i24_e32 v70, v247, v46
	s_wait_loadcnt 0xb
	v_mul_i32_i24_e32 v96, v244, v56
	s_wait_loadcnt 0xa
	v_mul_i32_i24_e32 v97, v242, v12
	v_add3_u32 v68, v68, v69, v70
	scratch_load_b32 v69, off, off offset:84 ; 4-byte Folded Reload
	s_wait_loadcnt 0xa
	v_mul_i32_i24_e32 v94, v148, v54
	v_mul_i32_i24_e32 v70, v24, v164
	scratch_load_b32 v164, off, off offset:484 ; 4-byte Folded Reload
	v_add3_u32 v68, v68, v71, v72
	v_mul_i32_i24_e32 v71, v25, v93
	v_mul_i32_i24_e32 v72, v26, v103
	s_clause 0x1
	scratch_load_b32 v93, off, off offset:604
	scratch_load_b32 v103, off, off offset:608
	v_add3_u32 v68, v68, v76, v77
	v_mul_i32_i24_e32 v76, v27, v104
	v_mul_i32_i24_e32 v77, v2, v105
	s_clause 0x1
	scratch_load_b32 v104, off, off offset:652
	scratch_load_b32 v105, off, off offset:612
	v_add3_u32 v68, v68, v78, v79
	s_wait_loadcnt 0xa
	v_mul_i32_i24_e32 v122, v73, v42
	scratch_load_b32 v73, off, off offset:136 ; 4-byte Folded Reload
	s_wait_loadcnt 0xa
	v_mul_i32_i24_e32 v80, v161, v51
	s_delay_alu instid0(VALU_DEP_1) | instskip(SKIP_2) | instid1(VALU_DEP_2)
	v_add3_u32 v68, v68, v80, v81
	s_wait_loadcnt 0x9
	v_mul_i32_i24_e32 v95, v175, v55
	v_add3_u32 v68, v68, v82, v92
	v_mul_i32_i24_e32 v82, v31, v106
	v_mul_i32_i24_e32 v92, v32, v107
	s_clause 0x1
	scratch_load_b32 v106, off, off offset:616
	scratch_load_b32 v107, off, off offset:620
	v_add3_u32 v68, v68, v94, v95
	v_mul_i32_i24_e32 v94, v33, v108
	v_mul_i32_i24_e32 v95, v4, v110
	s_clause 0x1
	scratch_load_b32 v108, off, off offset:624
	scratch_load_b32 v110, off, off offset:628
	;; [unrolled: 6-line block ×3, first 2 shown]
	v_add3_u32 v68, v68, v98, v99
	v_mul_i32_i24_e32 v98, v36, v116
	v_mul_i32_i24_e32 v99, v5, v117
	scratch_load_b32 v116, off, off offset:640 ; 4-byte Folded Reload
	s_wait_loadcnt 0xf
	v_mul_i32_i24_e32 v101, v162, v13
	scratch_load_b32 v117, off, off offset:1148 ; 4-byte Folded Reload
	v_add3_u32 v68, v68, v100, v101
	v_mul_i32_i24_e32 v100, v37, v118
	v_mul_i32_i24_e32 v101, v38, v119
	s_clause 0x1
	scratch_load_b32 v119, off, off offset:1116
	scratch_load_b32 v118, off, off offset:1112
	s_wait_loadcnt 0xa
	v_mul_i32_i24_e32 v123, v73, v7
	scratch_load_b32 v73, off, off offset:184 ; 4-byte Folded Reload
	v_add3_u32 v66, v66, v122, v123
	s_delay_alu instid0(VALU_DEP_1) | instskip(NEXT) | instid1(VALU_DEP_1)
	v_mul_lo_u32 v66, v66, v201
	v_cvt_f32_i32_e32 v66, v66
	s_delay_alu instid0(VALU_DEP_1)
	v_fma_mix_f32 v66, v0, v66, 0 op_sel_hi:[1,0,0]
	s_wait_loadcnt 0x0
	v_mul_i32_i24_e32 v109, v73, v60
	scratch_load_b32 v73, off, off offset:68 ; 4-byte Folded Reload
	s_wait_loadcnt 0x0
	v_mul_i32_i24_e32 v112, v73, v61
	scratch_load_b32 v73, off, off offset:64 ; 4-byte Folded Reload
	v_add3_u32 v68, v68, v109, v112
	v_mul_i32_i24_e32 v109, v39, v120
	v_mul_i32_i24_e32 v112, v6, v246
	scratch_load_b32 v120, off, off offset:1120 ; 4-byte Folded Reload
	v_mov_b32_e32 v246, v124
	s_wait_loadcnt 0x1
	v_mul_i32_i24_e32 v114, v73, v62
	scratch_load_b32 v73, off, off offset:60 ; 4-byte Folded Reload
	s_wait_loadcnt 0x0
	v_mul_i32_i24_e32 v115, v73, v14
	scratch_load_b32 v73, off, off offset:188 ; 4-byte Folded Reload
	v_add3_u32 v68, v68, v114, v115
	v_mul_i32_i24_e32 v114, v40, v83
	v_mul_i32_i24_e32 v115, v41, v84
	s_wait_loadcnt 0x0
	v_mul_i32_i24_e32 v122, v73, v63
	scratch_load_b32 v73, off, off offset:80 ; 4-byte Folded Reload
	s_wait_loadcnt 0x0
	v_mul_i32_i24_e32 v123, v73, v64
	scratch_load_b32 v73, off, off offset:76 ; 4-byte Folded Reload
	v_add3_u32 v68, v68, v122, v123
	v_mul_i32_i24_e32 v122, v42, v85
	v_mul_i32_i24_e32 v123, v7, v86
	s_wait_loadcnt 0x0
	v_mul_i32_i24_e32 v126, v73, v65
	scratch_load_b32 v73, off, off offset:72 ; 4-byte Folded Reload
	s_wait_loadcnt 0x0
	v_mul_i32_i24_e32 v127, v73, v15
	scratch_load_b32 v73, off, off offset:340 ; 4-byte Folded Reload
	v_add3_u32 v68, v68, v126, v127
	s_delay_alu instid0(VALU_DEP_1) | instskip(SKIP_3) | instid1(VALU_DEP_1)
	v_mul_lo_u32 v68, v68, v69
	v_mul_i32_i24_e32 v69, v23, v160
	scratch_load_b32 v160, off, off offset:836 ; 4-byte Folded Reload
	v_cvt_f32_i32_e32 v68, v68
	v_fma_mix_f32 v66, v1, v68, v66 op_sel_hi:[1,0,0]
	scratch_load_b32 v68, off, off offset:88 ; 4-byte Folded Reload
	s_wait_loadcnt 0x2
	v_mul_i32_i24_e32 v79, v29, v73
	scratch_load_b32 v73, off, off offset:344 ; 4-byte Folded Reload
	s_wait_loadcnt 0x2
	v_mul_i32_i24_e32 v78, v28, v160
	s_wait_loadcnt 0x1
	v_fma_mix_f32 v67, v68, v1, v67 op_sel:[0,1,0] op_sel_hi:[0,1,0]
	scratch_load_b32 v68, off, off offset:16 ; 4-byte Folded Reload
	s_wait_loadcnt 0x1
	v_mul_i32_i24_e32 v80, v30, v73
	scratch_load_b32 v73, off, off offset:348 ; 4-byte Folded Reload
	s_wait_loadcnt 0x1
	v_mul_f32_e32 v67, v67, v68
	scratch_load_b32 v68, off, off offset:12 ; 4-byte Folded Reload
	s_wait_loadcnt 0x1
	v_mul_i32_i24_e32 v81, v3, v73
	scratch_load_b32 v73, off, off offset:976 ; 4-byte Folded Reload
	s_wait_loadcnt 0x1
	v_fma_f32 v66, v66, v68, -v67
	scratch_load_b32 v67, off, off offset:748 ; 4-byte Folded Reload
	v_mul_i32_i24_e32 v68, v20, v222
	v_mov_b32_e32 v222, v86
	scratch_store_b32 off, v222, off offset:828 ; 4-byte Folded Spill
	s_wait_loadcnt 0x0
	v_add_f32_e32 v67, v67, v66
	scratch_load_b32 v66, off, off offset:832 ; 4-byte Folded Reload
	scratch_store_b32 off, v67, off offset:748 ; 4-byte Folded Spill
	v_mul_i32_i24_e32 v67, v19, v204
	v_mov_b32_e32 v204, v84
	s_wait_loadcnt 0x0
	v_mul_i32_i24_e32 v66, v17, v66
	s_delay_alu instid0(VALU_DEP_1)
	v_mad_i32_i24 v66, v18, v102, v66
	scratch_load_b32 v102, off, off offset:648 ; 4-byte Folded Reload
	v_add3_u32 v66, v66, v67, v68
	v_mul_i32_i24_e32 v67, v21, v221
	v_mul_i32_i24_e32 v68, v22, v208
	scratch_load_b32 v221, off, off offset:244 ; 4-byte Folded Reload
	v_mov_b32_e32 v208, v85
	scratch_store_b32 off, v204, off offset:820 ; 4-byte Folded Spill
	v_add3_u32 v66, v66, v67, v68
	v_mul_i32_i24_e32 v68, v16, v124
	v_fma_mix_f32 v67, v121, v0, 0 op_sel:[0,1,0] op_sel_hi:[0,1,0]
	s_clause 0x1
	scratch_load_b32 v121, off, off offset:1124
	scratch_load_b32 v124, off, off offset:1128
	v_add3_u32 v66, v66, v69, v70
	v_mul_i32_i24_e32 v69, v44, v125
	v_mul_i32_i24_e32 v70, v8, v129
	v_mad_i32_i24 v68, v43, v128, v68
	scratch_load_b32 v125, off, off offset:1132 ; 4-byte Folded Reload
	v_add3_u32 v66, v66, v71, v72
	v_mul_i32_i24_e32 v71, v47, v90
	v_mul_i32_i24_e32 v72, v9, v137
	v_add3_u32 v68, v68, v69, v70
	v_mul_i32_i24_e32 v69, v45, v89
	v_add3_u32 v66, v66, v76, v77
	v_mul_i32_i24_e32 v70, v46, v136
	v_mul_i32_i24_e32 v76, v48, v138
	;; [unrolled: 1-line block ×3, first 2 shown]
	scratch_load_b32 v89, off, off offset:1048 ; 4-byte Folded Reload
	v_add3_u32 v66, v66, v78, v79
	v_add3_u32 v68, v68, v69, v70
	scratch_load_b32 v69, off, off offset:536 ; 4-byte Folded Reload
	v_mul_i32_i24_e32 v78, v50, v140
	v_mul_i32_i24_e32 v79, v10, v176
	v_add3_u32 v66, v66, v80, v81
	v_mul_i32_i24_e32 v80, v51, v73
	scratch_load_b32 v73, off, off offset:984 ; 4-byte Folded Reload
	v_add3_u32 v68, v68, v71, v72
	scratch_load_b32 v90, off, off offset:600 ; 4-byte Folded Reload
	v_add3_u32 v66, v66, v82, v92
	s_clause 0x1
	scratch_load_b32 v128, off, off offset:1136
	scratch_load_b32 v129, off, off offset:1140
	v_add3_u32 v68, v68, v76, v77
	scratch_store_b32 off, v208, off offset:824 ; 4-byte Folded Spill
	v_add3_u32 v66, v66, v94, v95
	v_add3_u32 v68, v68, v78, v79
	s_delay_alu instid0(VALU_DEP_2) | instskip(NEXT) | instid1(VALU_DEP_1)
	v_add3_u32 v66, v66, v96, v97
	v_add3_u32 v66, v66, v98, v99
	s_delay_alu instid0(VALU_DEP_1) | instskip(NEXT) | instid1(VALU_DEP_1)
	v_add3_u32 v66, v66, v100, v101
	v_add3_u32 v66, v66, v109, v112
	s_delay_alu instid0(VALU_DEP_1) | instskip(NEXT) | instid1(VALU_DEP_1)
	v_add3_u32 v66, v66, v114, v115
	v_add3_u32 v66, v66, v122, v123
	s_delay_alu instid0(VALU_DEP_1) | instskip(SKIP_2) | instid1(VALU_DEP_1)
	v_mul_lo_u32 v66, v66, v91
	scratch_load_b32 v91, off, off offset:644 ; 4-byte Folded Reload
	v_cvt_f32_i32_e32 v66, v66
	v_fma_mix_f32 v66, v0, v66, 0 op_sel_hi:[1,0,0]
	s_wait_loadcnt 0xa
	v_mul_i32_i24_e32 v70, v24, v221
	s_wait_loadcnt 0x4
	v_mul_i32_i24_e32 v81, v52, v73
	scratch_load_b32 v73, off, off offset:980 ; 4-byte Folded Reload
	v_add3_u32 v68, v68, v80, v81
	v_mul_i32_i24_e32 v80, v30, v166
	v_mul_i32_i24_e32 v81, v3, v167
	scratch_load_b32 v167, off, off offset:596 ; 4-byte Folded Reload
	v_mul_i32_i24_e32 v3, v3, v111
	scratch_load_b32 v166, off, off offset:492 ; 4-byte Folded Reload
	s_wait_loadcnt 0x2
	v_mul_i32_i24_e32 v82, v53, v73
	scratch_load_b32 v73, off, off offset:988 ; 4-byte Folded Reload
	s_wait_loadcnt 0x0
	v_mul_i32_i24_e32 v92, v11, v73
	scratch_load_b32 v73, off, off offset:992 ; 4-byte Folded Reload
	v_add3_u32 v68, v68, v82, v92
	v_mul_i32_i24_e32 v82, v31, v168
	v_mul_i32_i24_e32 v92, v32, v169
	s_clause 0x1
	scratch_load_b32 v168, off, off offset:1072
	scratch_load_b32 v169, off, off offset:1044
	s_wait_loadcnt 0x2
	v_mul_i32_i24_e32 v94, v54, v73
	scratch_load_b32 v73, off, off offset:1000 ; 4-byte Folded Reload
	s_wait_loadcnt 0x0
	v_mul_i32_i24_e32 v95, v55, v73
	scratch_load_b32 v73, off, off offset:996 ; 4-byte Folded Reload
	v_add3_u32 v68, v68, v94, v95
	v_mul_i32_i24_e32 v94, v33, v171
	v_mul_i32_i24_e32 v95, v4, v172
	;; [unrolled: 1-line block ×3, first 2 shown]
	s_wait_loadcnt 0x0
	v_mul_i32_i24_e32 v96, v56, v73
	scratch_load_b32 v73, off, off offset:504 ; 4-byte Folded Reload
	s_wait_loadcnt 0x0
	v_mul_i32_i24_e32 v97, v12, v73
	scratch_load_b32 v73, off, off offset:1004 ; 4-byte Folded Reload
	v_add3_u32 v68, v68, v96, v97
	v_mul_i32_i24_e32 v96, v34, v205
	v_mul_i32_i24_e32 v97, v35, v206
	s_wait_loadcnt 0x0
	v_mul_i32_i24_e32 v98, v57, v73
	scratch_load_b32 v73, off, off offset:508 ; 4-byte Folded Reload
	s_wait_loadcnt 0x0
	v_mul_i32_i24_e32 v99, v58, v73
	scratch_load_b32 v73, off, off offset:1008 ; 4-byte Folded Reload
	v_add3_u32 v68, v68, v98, v99
	v_mul_i32_i24_e32 v98, v36, v207
	v_mul_i32_i24_e32 v99, v5, v209
	;; [unrolled: 1-line block ×3, first 2 shown]
	s_wait_loadcnt 0x0
	v_mul_i32_i24_e32 v100, v59, v73
	scratch_load_b32 v73, off, off offset:512 ; 4-byte Folded Reload
	s_wait_loadcnt 0x0
	v_mul_i32_i24_e32 v101, v13, v73
	scratch_load_b32 v73, off, off offset:1012 ; 4-byte Folded Reload
	v_add3_u32 v68, v68, v100, v101
	v_mul_i32_i24_e32 v100, v37, v154
	v_mul_i32_i24_e32 v101, v38, v163
	scratch_load_b32 v163, off, off offset:1108 ; 4-byte Folded Reload
	s_wait_loadcnt 0x1
	v_mul_i32_i24_e32 v109, v60, v73
	scratch_load_b32 v73, off, off offset:516 ; 4-byte Folded Reload
	s_wait_loadcnt 0x0
	v_mul_i32_i24_e32 v112, v61, v73
	scratch_load_b32 v73, off, off offset:1016 ; 4-byte Folded Reload
	v_add3_u32 v68, v68, v109, v112
	v_mul_i32_i24_e32 v109, v39, v191
	v_mul_i32_i24_e32 v112, v6, v193
	;; [unrolled: 1-line block ×3, first 2 shown]
	v_mov_b32_e32 v191, v160
	s_wait_loadcnt 0x0
	v_mul_i32_i24_e32 v114, v62, v73
	scratch_load_b32 v73, off, off offset:1020 ; 4-byte Folded Reload
	s_wait_loadcnt 0x0
	v_mul_i32_i24_e32 v115, v14, v73
	scratch_load_b32 v73, off, off offset:520 ; 4-byte Folded Reload
	v_add3_u32 v68, v68, v114, v115
	v_mul_i32_i24_e32 v114, v40, v213
	v_mul_i32_i24_e32 v115, v41, v215
	s_wait_loadcnt 0x0
	v_mul_i32_i24_e32 v122, v63, v73
	scratch_load_b32 v73, off, off offset:528 ; 4-byte Folded Reload
	s_wait_loadcnt 0x0
	v_mul_i32_i24_e32 v123, v64, v73
	scratch_load_b32 v73, off, off offset:524 ; 4-byte Folded Reload
	v_add3_u32 v68, v68, v122, v123
	v_mul_i32_i24_e32 v122, v42, v216
	v_mul_i32_i24_e32 v123, v7, v219
	;; [unrolled: 1-line block ×3, first 2 shown]
	s_wait_loadcnt 0x0
	v_mul_i32_i24_e32 v126, v65, v73
	scratch_load_b32 v73, off, off offset:532 ; 4-byte Folded Reload
	s_wait_loadcnt 0x0
	v_mul_i32_i24_e32 v127, v15, v73
	s_delay_alu instid0(VALU_DEP_1) | instskip(SKIP_3) | instid1(VALU_DEP_4)
	v_add3_u32 v68, v68, v126, v127
	v_mul_i32_i24_e32 v126, v65, v177
	v_mul_i32_i24_e32 v127, v15, v179
	;; [unrolled: 1-line block ×3, first 2 shown]
	v_mul_lo_u32 v68, v68, v69
	v_mul_i32_i24_e32 v69, v23, v232
	scratch_load_b32 v232, off, off offset:268 ; 4-byte Folded Reload
	v_cvt_f32_i32_e32 v68, v68
	s_delay_alu instid0(VALU_DEP_1)
	v_fma_mix_f32 v66, v1, v68, v66 op_sel_hi:[1,0,0]
	scratch_load_b32 v68, off, off offset:540 ; 4-byte Folded Reload
	s_wait_loadcnt 0x1
	v_mul_i32_i24_e32 v79, v29, v232
	s_wait_loadcnt 0x0
	v_fma_mix_f32 v67, v68, v1, v67 op_sel:[0,1,0] op_sel_hi:[0,1,0]
	scratch_load_b32 v68, off, off offset:144 ; 4-byte Folded Reload
	s_wait_loadcnt 0x0
	v_mul_f32_e32 v67, v67, v68
	scratch_load_b32 v68, off, off offset:140 ; 4-byte Folded Reload
	s_wait_loadcnt 0x0
	v_fma_f32 v66, v66, v68, -v67
	scratch_load_b32 v67, off, off offset:744 ; 4-byte Folded Reload
	v_mul_i32_i24_e32 v68, v20, v229
	scratch_load_b32 v229, off, off offset:256 ; 4-byte Folded Reload
	v_mul_i32_i24_e32 v20, v20, v104
	s_wait_loadcnt 0x1
	v_add_f32_e32 v67, v67, v66
	v_mul_i32_i24_e32 v66, v17, v141
	s_wait_loadcnt 0x0
	v_mul_i32_i24_e32 v76, v27, v229
	v_mul_i32_i24_e32 v17, v17, v91
	scratch_store_b32 off, v67, off offset:744 ; 4-byte Folded Spill
	v_mul_i32_i24_e32 v67, v19, v227
	v_mad_i32_i24 v66, v18, v228, v66
	s_clause 0x1
	scratch_load_b32 v227, off, off offset:248
	scratch_load_b32 v228, off, off offset:252
	v_mul_i32_i24_e32 v19, v19, v102
	v_mad_i32_i24 v17, v18, v167, v17
	v_add3_u32 v66, v66, v67, v68
	v_mul_i32_i24_e32 v67, v21, v230
	scratch_load_b32 v230, off, off offset:260 ; 4-byte Folded Reload
	v_mul_i32_i24_e32 v68, v22, v231
	scratch_load_b32 v231, off, off offset:264 ; 4-byte Folded Reload
	v_add3_u32 v17, v17, v19, v20
	v_mul_i32_i24_e32 v18, v21, v168
	v_mul_i32_i24_e32 v19, v22, v169
	v_add3_u32 v66, v66, v67, v68
	v_mul_i32_i24_e32 v68, v16, v210
	v_mul_i32_i24_e32 v20, v23, v89
	v_mul_i32_i24_e32 v21, v24, v90
	v_add3_u32 v17, v17, v18, v19
	v_add3_u32 v66, v66, v69, v70
	v_mul_i32_i24_e32 v69, v44, v211
	v_mul_i32_i24_e32 v70, v8, v214
	v_mad_i32_i24 v68, v43, v212, v68
	v_mul_i32_i24_e32 v22, v25, v93
	v_mul_i32_i24_e32 v23, v26, v103
	v_add3_u32 v17, v17, v20, v21
	v_mul_i32_i24_e32 v24, v27, v105
	v_add3_u32 v68, v68, v69, v70
	v_mul_i32_i24_e32 v69, v45, v150
	v_mul_i32_i24_e32 v70, v46, v217
	v_add3_u32 v17, v17, v22, v23
	v_mul_i32_i24_e32 v27, v30, v110
	v_mul_i32_i24_e32 v30, v33, v117
	;; [unrolled: 1-line block ×3, first 2 shown]
	v_add3_u32 v68, v68, v69, v70
	v_mul_i32_i24_e32 v36, v39, v131
	v_fma_mix_f32 v67, v192, v0, 0 op_sel:[0,1,0] op_sel_hi:[0,1,0]
	v_mul_i32_i24_e32 v18, v52, v189
	v_mul_i32_i24_e32 v19, v53, v188
	;; [unrolled: 1-line block ×6, first 2 shown]
	v_fma_mix_f32 v67, v145, v1, v67 op_sel:[0,1,0] op_sel_hi:[0,1,0]
	v_mov_b32_e32 v134, v247
	v_dual_mov_b32 v188, v248 :: v_dual_mov_b32 v223, v162
	s_delay_alu instid0(VALU_DEP_3)
	v_mul_f32_e32 v67, v67, v151
	s_wait_loadcnt 0x3
	v_mul_i32_i24_e32 v71, v25, v227
	s_wait_loadcnt 0x2
	v_mul_i32_i24_e32 v72, v26, v228
	v_mul_i32_i24_e32 v25, v28, v107
	;; [unrolled: 1-line block ×5, first 2 shown]
	s_wait_loadcnt 0x1
	v_mul_i32_i24_e32 v77, v2, v230
	v_add3_u32 v66, v66, v71, v72
	s_wait_loadcnt 0x0
	v_mul_i32_i24_e32 v78, v28, v231
	v_mul_i32_i24_e32 v71, v47, v218
	v_mul_i32_i24_e32 v72, v9, v220
	v_mul_i32_i24_e32 v2, v2, v106
	v_add3_u32 v66, v66, v76, v77
	v_mul_i32_i24_e32 v76, v48, v249
	scratch_load_b32 v249, off, off offset:1224 ; 4-byte Folded Reload
	v_add3_u32 v68, v68, v71, v72
	v_mul_i32_i24_e32 v28, v31, v113
	v_add3_u32 v66, v66, v78, v79
	v_mul_i32_i24_e32 v78, v50, v250
	scratch_load_b32 v250, off, off offset:1220 ; 4-byte Folded Reload
	v_mul_i32_i24_e32 v31, v34, v119
	v_mul_i32_i24_e32 v34, v37, v125
	v_add3_u32 v66, v66, v80, v81
	v_mul_i32_i24_e32 v81, v52, v252
	scratch_load_b32 v252, off, off offset:884 ; 4-byte Folded Reload
	v_mul_i32_i24_e32 v80, v51, v146
	v_mul_i32_i24_e32 v37, v40, v226
	v_add3_u32 v66, v66, v82, v92
	v_mul_i32_i24_e32 v82, v53, v251
	s_clause 0x1
	scratch_load_b32 v251, off, off offset:1228
	scratch_load_b32 v226, off, off offset:228
	v_add3_u32 v2, v17, v24, v2
	v_add3_u32 v66, v66, v94, v95
	v_mul_i32_i24_e32 v95, v55, v253
	scratch_load_b32 v253, off, off offset:1232 ; 4-byte Folded Reload
	v_mul_i32_i24_e32 v35, v38, v128
	v_add3_u32 v2, v2, v25, v26
	v_add3_u32 v66, v66, v96, v97
	v_mul_i32_i24_e32 v96, v56, v147
	v_mul_i32_i24_e32 v17, v51, v187
	;; [unrolled: 1-line block ×3, first 2 shown]
	v_add3_u32 v2, v2, v27, v3
	v_add3_u32 v66, v66, v98, v99
	v_mul_i32_i24_e32 v98, v57, v254
	v_mul_i32_i24_e32 v99, v58, v255
	s_clause 0x1
	scratch_load_b32 v254, off, off offset:872
	scratch_load_b32 v255, off, off offset:876
	v_add3_u32 v66, v66, v100, v101
	v_add3_u32 v2, v2, v28, v29
	scratch_load_b32 v3, off, off offset:496 ; 4-byte Folded Reload
	v_mul_i32_i24_e32 v25, v59, v224
	v_mul_i32_i24_e32 v26, v60, v234
	v_add3_u32 v66, v66, v109, v112
	v_mul_i32_i24_e32 v109, v60, v149
	v_mul_i32_i24_e32 v112, v61, v142
	v_add3_u32 v2, v2, v30, v4
	v_mul_i32_i24_e32 v4, v44, v164
	v_add3_u32 v66, v66, v114, v115
	v_mul_i32_i24_e32 v114, v62, v88
	v_mul_i32_i24_e32 v115, v14, v143
	v_add3_u32 v2, v2, v31, v32
	;; [unrolled: 5-line block ×3, first 2 shown]
	v_mul_i32_i24_e32 v5, v8, v166
	v_mul_lo_u32 v66, v66, v170
	v_mul_i32_i24_e32 v8, v48, v183
	v_mul_i32_i24_e32 v28, v62, v235
	v_add3_u32 v2, v2, v34, v35
	v_mul_i32_i24_e32 v14, v14, v237
	v_mul_i32_i24_e32 v29, v63, v238
	;; [unrolled: 1-line block ×4, first 2 shown]
	v_add3_u32 v2, v2, v36, v6
	scratch_load_b32 v6, off, off offset:196 ; 4-byte Folded Reload
	v_cvt_f32_i32_e32 v66, v66
	v_dual_mov_b32 v130, v245 :: v_dual_mov_b32 v187, v203
	v_dual_mov_b32 v178, v165 :: v_dual_mov_b32 v165, v87
	s_delay_alu instid0(VALU_DEP_3)
	v_fma_mix_f32 v66, v0, v66, 0 op_sel_hi:[1,0,0]
	v_mov_b32_e32 v183, v199
	s_wait_loadcnt 0x9
	v_mul_i32_i24_e32 v77, v49, v249
	s_wait_loadcnt 0x8
	v_mul_i32_i24_e32 v79, v10, v250
	s_delay_alu instid0(VALU_DEP_2)
	v_add3_u32 v68, v68, v76, v77
	v_mul_i32_i24_e32 v10, v10, v186
	v_mov_b32_e32 v186, v156
	s_wait_loadcnt 0x7
	v_mul_i32_i24_e32 v94, v54, v252
	v_add3_u32 v68, v68, v78, v79
	s_wait_loadcnt 0x6
	v_mul_i32_i24_e32 v92, v11, v251
	s_delay_alu instid0(VALU_DEP_2)
	v_add3_u32 v68, v68, v80, v81
	s_wait_loadcnt 0x5
	v_mul_i32_i24_e32 v38, v41, v226
	v_mul_i32_i24_e32 v11, v11, v190
	s_wait_loadcnt 0x4
	v_mul_i32_i24_e32 v97, v12, v253
	v_add3_u32 v68, v68, v82, v92
	v_add3_u32 v2, v2, v37, v38
	v_mul_i32_i24_e32 v12, v12, v197
	v_mov_b32_e32 v197, v161
	s_delay_alu instid0(VALU_DEP_4) | instskip(NEXT) | instid1(VALU_DEP_1)
	v_add3_u32 v68, v68, v94, v95
	v_add3_u32 v68, v68, v96, v97
	s_wait_loadcnt 0x3
	v_mul_i32_i24_e32 v100, v59, v254
	s_wait_loadcnt 0x2
	v_mul_i32_i24_e32 v101, v13, v255
	v_mul_i32_i24_e32 v13, v13, v233
	v_add3_u32 v68, v68, v98, v99
	s_delay_alu instid0(VALU_DEP_1) | instskip(NEXT) | instid1(VALU_DEP_1)
	v_add3_u32 v68, v68, v100, v101
	v_add3_u32 v68, v68, v109, v112
	s_delay_alu instid0(VALU_DEP_1) | instskip(NEXT) | instid1(VALU_DEP_1)
	v_add3_u32 v68, v68, v114, v115
	v_add3_u32 v68, v68, v122, v123
	s_delay_alu instid0(VALU_DEP_1) | instskip(SKIP_2) | instid1(VALU_DEP_2)
	v_add3_u32 v68, v68, v126, v127
	s_wait_loadcnt 0x0
	v_mul_i32_i24_e32 v6, v47, v6
	v_mul_lo_u32 v68, v68, v144
	scratch_load_b32 v144, off, off offset:880 ; 4-byte Folded Reload
	v_cvt_f32_i32_e32 v68, v68
	s_delay_alu instid0(VALU_DEP_1) | instskip(NEXT) | instid1(VALU_DEP_1)
	v_fma_mix_f32 v66, v1, v68, v66 op_sel_hi:[1,0,0]
	v_fma_f32 v66, v66, v152, -v67
	scratch_load_b32 v67, off, off offset:740 ; 4-byte Folded Reload
	s_wait_loadcnt 0x1
	v_mul_i32_i24_e32 v39, v42, v144
	s_delay_alu instid0(VALU_DEP_1) | instskip(SKIP_3) | instid1(VALU_DEP_4)
	v_add3_u32 v2, v2, v39, v7
	v_mul_i32_i24_e32 v7, v9, v182
	v_mul_i32_i24_e32 v9, v49, v185
	v_mov_b32_e32 v185, v201
	v_mul_lo_u32 v2, v2, v129
	s_delay_alu instid0(VALU_DEP_1) | instskip(SKIP_2) | instid1(VALU_DEP_2)
	v_cvt_f32_i32_e32 v2, v2
	s_wait_loadcnt 0x0
	v_add_f32_e32 v67, v67, v66
	v_fma_mix_f32 v2, v0, v2, 0 op_sel_hi:[1,0,0]
	v_fma_mix_f32 v0, v3, v0, 0 op_sel:[0,1,0] op_sel_hi:[0,1,0]
	v_mul_i32_i24_e32 v3, v16, v163
	v_mul_i32_i24_e32 v16, v50, v184
	v_mov_b32_e32 v184, v200
	s_delay_alu instid0(VALU_DEP_4) | instskip(NEXT) | instid1(VALU_DEP_4)
	v_fma_mix_f32 v0, v243, v1, v0 op_sel:[0,1,0] op_sel_hi:[0,1,0]
	v_mad_i32_i24 v3, v43, v159, v3
	s_delay_alu instid0(VALU_DEP_1) | instskip(SKIP_3) | instid1(VALU_DEP_2)
	v_add3_u32 v3, v3, v4, v5
	v_mul_i32_i24_e32 v4, v45, v157
	v_mul_i32_i24_e32 v5, v46, v180
	v_mov_b32_e32 v180, v155
	v_add3_u32 v3, v3, v4, v5
	s_delay_alu instid0(VALU_DEP_1) | instskip(NEXT) | instid1(VALU_DEP_1)
	v_add3_u32 v3, v3, v6, v7
	v_add3_u32 v3, v3, v8, v9
	s_delay_alu instid0(VALU_DEP_1) | instskip(NEXT) | instid1(VALU_DEP_1)
	v_add3_u32 v3, v3, v16, v10
	;; [unrolled: 3-line block ×7, first 2 shown]
	v_mul_lo_u32 v3, v3, v135
	s_delay_alu instid0(VALU_DEP_1) | instskip(NEXT) | instid1(VALU_DEP_1)
	v_cvt_f32_i32_e32 v3, v3
	v_fma_mix_f32 v2, v1, v3, v2 op_sel_hi:[1,0,0]
	scratch_load_b32 v1, off, off offset:20 ; 4-byte Folded Reload
	s_wait_loadcnt 0x0
	v_mul_f32_e32 v0, v0, v1
	scratch_load_b32 v1, off, off offset:4  ; 4-byte Folded Reload
	s_wait_loadcnt 0x0
	v_fma_f32 v0, v2, v1, -v0
	scratch_load_b32 v1, off, off offset:736 ; 4-byte Folded Reload
	s_wait_loadcnt 0x0
	v_add_f32_e32 v1, v1, v0
	scratch_load_b32 v0, off, off offset:1268 ; 4-byte Folded Reload
	s_clause 0x1
	scratch_store_b32 off, v67, off offset:740
	scratch_store_b32 off, v1, off offset:736
	s_wait_loadcnt 0x0
	v_or_b32_e32 v0, s11, v0
	s_delay_alu instid0(VALU_DEP_1)
	v_lshlrev_b32_e32 v12, 2, v0
	v_lshrrev_b32_e32 v16, 1, v0
	ds_load_b128 v[0:3], v12 offset:16896
	ds_load_b128 v[4:7], v12 offset:16912
	;; [unrolled: 1-line block ×4, first 2 shown]
	s_clause 0x17
	scratch_load_b32 v66, off, off offset:380
	scratch_load_b32 v139, off, off offset:444
	;; [unrolled: 1-line block ×24, first 2 shown]
	s_wait_dscnt 0x3
	v_bfe_i32 v17, v0, 0, 8
	v_bfe_i32 v18, v0, 8, 8
	;; [unrolled: 1-line block ×3, first 2 shown]
	v_ashrrev_i32_e32 v20, 24, v0
	v_bfe_i32 v21, v1, 0, 8
	v_bfe_i32 v22, v1, 8, 8
	;; [unrolled: 1-line block ×3, first 2 shown]
	v_ashrrev_i32_e32 v24, 24, v1
	s_clause 0x7
	scratch_load_b32 v179, off, off offset:132
	scratch_load_b32 v153, off, off offset:96
	scratch_load_b32 v152, off, off offset:92
	scratch_load_b32 v236, off, off offset:68
	scratch_load_b32 v240, off, off offset:80
	scratch_load_b32 v238, off, off offset:72
	scratch_load_b32 v243, off, off offset:84
	scratch_load_b32 v239, off, off offset:76
	v_bfe_i32 v25, v2, 0, 8
	v_bfe_i32 v26, v2, 8, 8
	s_clause 0x7
	scratch_load_b32 v151, off, off offset:164
	scratch_load_b32 v237, off, off offset:184
	;; [unrolled: 1-line block ×8, first 2 shown]
	v_bfe_i32 v27, v2, 16, 8
	v_ashrrev_i32_e32 v2, 24, v2
	v_mul_i32_i24_e32 v71, v198, v25
	v_mul_i32_i24_e32 v72, v196, v26
	v_bfe_i32 v28, v3, 0, 8
	v_bfe_i32 v29, v3, 8, 8
	v_mul_i32_i24_e32 v76, v195, v27
	v_mul_i32_i24_e32 v77, v194, v2
	v_bfe_i32 v30, v3, 16, 8
	v_ashrrev_i32_e32 v3, 24, v3
	s_clause 0x12
	scratch_load_b32 v182, off, off offset:8
	scratch_load_b32 v190, off, off offset:44
	;; [unrolled: 1-line block ×19, first 2 shown]
	ds_load_b64 v[0:1], v16 offset:27200
	s_wait_dscnt 0x2
	v_bfe_i32 v16, v8, 0, 8
	v_bfe_i32 v43, v8, 8, 8
	v_bfe_i32 v44, v8, 16, 8
	v_ashrrev_i32_e32 v8, 24, v8
	v_bfe_i32 v45, v9, 0, 8
	v_bfe_i32 v46, v9, 8, 8
	v_bfe_i32 v47, v9, 16, 8
	v_ashrrev_i32_e32 v9, 24, v9
	;; [unrolled: 4-line block ×3, first 2 shown]
	v_bfe_i32 v31, v4, 0, 8
	v_bfe_i32 v32, v4, 8, 8
	;; [unrolled: 1-line block ×5, first 2 shown]
	v_ashrrev_i32_e32 v4, 24, v4
	v_bfe_i32 v53, v11, 16, 8
	v_ashrrev_i32_e32 v11, 24, v11
	v_bfe_i32 v34, v5, 0, 8
	v_bfe_i32 v35, v5, 8, 8
	s_wait_dscnt 0x1
	v_bfe_i32 v54, v12, 0, 8
	v_bfe_i32 v55, v12, 8, 8
	;; [unrolled: 1-line block ×3, first 2 shown]
	v_ashrrev_i32_e32 v5, 24, v5
	v_bfe_i32 v56, v12, 16, 8
	v_ashrrev_i32_e32 v12, 24, v12
	v_bfe_i32 v37, v6, 0, 8
	v_bfe_i32 v38, v6, 8, 8
	;; [unrolled: 1-line block ×4, first 2 shown]
	v_mul_i32_i24_e32 v98, v174, v36
	v_bfe_i32 v39, v6, 16, 8
	v_ashrrev_i32_e32 v6, 24, v6
	v_bfe_i32 v59, v13, 16, 8
	v_ashrrev_i32_e32 v13, 24, v13
	v_mul_i32_i24_e32 v100, v178, v37
	v_bfe_i32 v40, v7, 0, 8
	v_bfe_i32 v41, v7, 8, 8
	;; [unrolled: 1-line block ×4, first 2 shown]
	v_mul_i32_i24_e32 v109, v180, v39
	v_bfe_i32 v42, v7, 16, 8
	v_ashrrev_i32_e32 v7, 24, v7
	v_bfe_i32 v62, v14, 16, 8
	v_ashrrev_i32_e32 v14, 24, v14
	v_mul_i32_i24_e32 v114, v184, v40
	v_mul_i32_i24_e32 v115, v183, v41
	v_bfe_i32 v63, v15, 0, 8
	v_bfe_i32 v64, v15, 8, 8
	;; [unrolled: 1-line block ×3, first 2 shown]
	v_ashrrev_i32_e32 v15, 24, v15
	s_clause 0x1d
	scratch_load_b32 v87, off, off offset:328
	scratch_load_b32 v195, off, off offset:580
	;; [unrolled: 1-line block ×30, first 2 shown]
	s_wait_loadcnt 0x3e
	v_mul_i32_i24_e32 v66, v66, v17
	v_mul_i32_i24_e32 v78, v139, v28
	;; [unrolled: 1-line block ×9, first 2 shown]
	v_mad_i32_i24 v66, v69, v18, v66
	v_mul_i32_i24_e32 v69, v75, v23
	s_delay_alu instid0(VALU_DEP_2)
	v_add3_u32 v66, v66, v67, v68
	scratch_load_b32 v68, off, off offset:848 ; 4-byte Folded Reload
	v_mul_i32_i24_e32 v67, v74, v21
	v_mul_i32_i24_e32 v112, v179, v6
	s_wait_loadcnt 0x3c
	v_mul_i32_i24_e32 v127, v238, v15
	s_wait_loadcnt 0x3a
	;; [unrolled: 2-line block ×12, first 2 shown]
	v_mul_i32_i24_e32 v68, v68, v22
	s_delay_alu instid0(VALU_DEP_1) | instskip(SKIP_3) | instid1(VALU_DEP_3)
	v_add3_u32 v66, v66, v67, v68
	v_mul_i32_i24_e32 v68, v152, v16
	s_wait_dscnt 0x0
	v_fma_mix_f32 v67, v153, v0, 0 op_sel:[0,1,0] op_sel_hi:[0,1,0]
	v_add3_u32 v66, v66, v69, v70
	v_mul_i32_i24_e32 v69, v151, v44
	v_mul_i32_i24_e32 v70, v84, v8
	v_mad_i32_i24 v68, v186, v43, v68
	v_fma_mix_f32 v67, v245, v1, v67 op_sel:[0,1,0] op_sel_hi:[0,1,0]
	v_add3_u32 v66, v66, v71, v72
	v_mul_i32_i24_e32 v71, v130, v47
	v_mul_i32_i24_e32 v72, v187, v9
	v_add3_u32 v68, v68, v69, v70
	v_mul_i32_i24_e32 v69, v188, v45
	v_add3_u32 v66, v66, v76, v77
	v_mul_i32_i24_e32 v70, v134, v46
	v_mul_i32_i24_e32 v76, v190, v48
	;; [unrolled: 1-line block ×3, first 2 shown]
	v_mul_f32_e32 v67, v67, v247
	v_add3_u32 v66, v66, v78, v79
	scratch_load_b32 v79, off, off offset:384 ; 4-byte Folded Reload
	v_add3_u32 v68, v68, v69, v70
	v_mul_i32_i24_e32 v78, v165, v50
	v_mul_i32_i24_e32 v69, v23, v146
	v_add3_u32 v66, v66, v80, v81
	scratch_load_b32 v81, off, off offset:396 ; 4-byte Folded Reload
	v_add3_u32 v68, v68, v71, v72
	v_mul_i32_i24_e32 v80, v197, v51
	v_mul_i32_i24_e32 v70, v24, v147
	v_add3_u32 v66, v66, v82, v92
	v_mul_i32_i24_e32 v82, v86, v53
	v_add3_u32 v68, v68, v76, v77
	v_mul_i32_i24_e32 v92, v85, v11
	v_mul_i32_i24_e32 v71, v25, v149
	v_add3_u32 v66, v66, v94, v95
	v_mul_i32_i24_e32 v94, v148, v54
	v_mul_i32_i24_e32 v95, v175, v55
	v_mov_b32_e32 v175, v246
	scratch_load_b32 v246, off, off offset:1244 ; 4-byte Folded Reload
	v_add3_u32 v66, v66, v96, v97
	v_mul_i32_i24_e32 v96, v244, v56
	v_mul_i32_i24_e32 v97, v242, v12
	scratch_load_b32 v242, off, off offset:1032 ; 4-byte Folded Reload
	v_mul_i32_i24_e32 v72, v26, v150
	v_add3_u32 v66, v66, v98, v99
	v_mul_i32_i24_e32 v98, v233, v57
	v_mul_i32_i24_e32 v99, v225, v58
	;; [unrolled: 1-line block ×4, first 2 shown]
	v_add3_u32 v66, v66, v100, v101
	v_mul_i32_i24_e32 v100, v224, v59
	v_mul_i32_i24_e32 v101, v223, v13
	s_clause 0x1
	scratch_load_b32 v244, off, off offset:1080
	scratch_load_b32 v148, off, off offset:232
	v_add3_u32 v66, v66, v109, v112
	v_mul_i32_i24_e32 v109, v237, v60
	v_mul_i32_i24_e32 v112, v236, v61
	s_delay_alu instid0(VALU_DEP_3) | instskip(SKIP_2) | instid1(VALU_DEP_3)
	v_add3_u32 v66, v66, v114, v115
	v_mul_i32_i24_e32 v114, v235, v62
	v_mul_i32_i24_e32 v115, v234, v14
	v_add3_u32 v66, v66, v122, v123
	v_mul_i32_i24_e32 v122, v241, v63
	v_mul_i32_i24_e32 v123, v240, v64
	s_delay_alu instid0(VALU_DEP_3) | instskip(NEXT) | instid1(VALU_DEP_1)
	v_mul_lo_u32 v66, v66, v185
	v_cvt_f32_i32_e32 v66, v66
	s_delay_alu instid0(VALU_DEP_1) | instskip(SKIP_4) | instid1(VALU_DEP_2)
	v_fma_mix_f32 v66, v0, v66, 0 op_sel_hi:[1,0,0]
	s_wait_loadcnt 0x5
	v_mul_i32_i24_e32 v79, v79, v10
	s_wait_loadcnt 0x4
	v_mul_i32_i24_e32 v81, v81, v52
	v_add3_u32 v68, v68, v78, v79
	v_mul_i32_i24_e32 v78, v28, v191
	v_mul_i32_i24_e32 v79, v29, v192
	s_delay_alu instid0(VALU_DEP_3) | instskip(SKIP_2) | instid1(VALU_DEP_3)
	v_add3_u32 v68, v68, v80, v81
	v_mul_i32_i24_e32 v80, v30, v193
	v_mul_i32_i24_e32 v81, v3, v194
	v_add3_u32 v68, v68, v82, v92
	v_mul_i32_i24_e32 v82, v31, v156
	v_mul_i32_i24_e32 v92, v32, v162
	s_delay_alu instid0(VALU_DEP_3)
	v_add3_u32 v68, v68, v94, v95
	s_clause 0x1
	scratch_load_b32 v94, off, off offset:592
	scratch_load_b32 v95, off, off offset:656
	v_add3_u32 v68, v68, v96, v97
	v_mul_i32_i24_e32 v96, v34, v160
	v_mul_i32_i24_e32 v97, v35, v161
	s_delay_alu instid0(VALU_DEP_3)
	v_add3_u32 v68, v68, v98, v99
	s_clause 0x1
	scratch_load_b32 v98, off, off offset:560
	scratch_load_b32 v99, off, off offset:564
	v_add3_u32 v68, v68, v100, v101
	scratch_load_b32 v101, off, off offset:568 ; 4-byte Folded Reload
	v_mul_i32_i24_e32 v100, v37, v170
	v_add3_u32 v68, v68, v109, v112
	scratch_load_b32 v109, off, off offset:572 ; 4-byte Folded Reload
	v_mul_i32_i24_e32 v112, v6, v172
	v_add3_u32 v68, v68, v114, v115
	v_mul_i32_i24_e32 v115, v41, v204
	scratch_load_b32 v204, off, off offset:504 ; 4-byte Folded Reload
	s_wait_loadcnt 0x8
	v_mul_i32_i24_e32 v114, v40, v244
	v_add3_u32 v68, v68, v122, v123
	v_mul_i32_i24_e32 v123, v7, v222
	scratch_load_b32 v222, off, off offset:156 ; 4-byte Folded Reload
	v_mul_i32_i24_e32 v122, v42, v208
	scratch_load_b32 v208, off, off offset:512 ; 4-byte Folded Reload
	v_add3_u32 v68, v68, v126, v127
	v_mul_i32_i24_e32 v126, v65, v214
	v_mul_i32_i24_e32 v127, v15, v216
	s_delay_alu instid0(VALU_DEP_3) | instskip(NEXT) | instid1(VALU_DEP_1)
	v_mul_lo_u32 v68, v68, v243
	v_cvt_f32_i32_e32 v68, v68
	s_delay_alu instid0(VALU_DEP_1)
	v_fma_mix_f32 v66, v1, v68, v66 op_sel_hi:[1,0,0]
	scratch_load_b32 v68, off, off offset:124 ; 4-byte Folded Reload
	v_fma_f32 v66, v66, v248, -v67
	scratch_load_b32 v67, off, off offset:732 ; 4-byte Folded Reload
	s_wait_loadcnt 0xa
	v_mul_i32_i24_e32 v94, v33, v94
	s_wait_loadcnt 0x9
	v_mul_i32_i24_e32 v95, v4, v95
	;; [unrolled: 2-line block ×7, first 2 shown]
	s_wait_loadcnt 0x0
	v_add_f32_e32 v67, v67, v66
	v_mul_i32_i24_e32 v66, v17, v135
	scratch_store_b32 off, v67, off offset:732 ; 4-byte Folded Spill
	v_mul_i32_i24_e32 v67, v19, v88
	v_mad_i32_i24 v66, v18, v145, v66
	s_delay_alu instid0(VALU_DEP_1) | instskip(SKIP_4) | instid1(VALU_DEP_1)
	v_add3_u32 v66, v66, v67, v68
	scratch_load_b32 v68, off, off offset:128 ; 4-byte Folded Reload
	v_mul_i32_i24_e32 v67, v21, v87
	s_wait_loadcnt 0x0
	v_mul_i32_i24_e32 v68, v22, v68
	v_add3_u32 v66, v66, v67, v68
	v_mul_i32_i24_e32 v68, v16, v175
	scratch_load_b32 v67, off, off offset:584 ; 4-byte Folded Reload
	v_add3_u32 v66, v66, v69, v70
	v_mul_i32_i24_e32 v69, v44, v195
	v_mul_i32_i24_e32 v70, v8, v246
	v_mad_i32_i24 v68, v43, v242, v68
	s_delay_alu instid0(VALU_DEP_4)
	v_add3_u32 v66, v66, v71, v72
	s_clause 0x1
	scratch_load_b32 v71, off, off offset:1152
	scratch_load_b32 v72, off, off offset:332
	v_add3_u32 v68, v68, v69, v70
	scratch_load_b32 v69, off, off offset:588 ; 4-byte Folded Reload
	v_add3_u32 v66, v66, v76, v77
	s_clause 0x1
	scratch_load_b32 v76, off, off offset:660
	scratch_load_b32 v77, off, off offset:336
	v_mul_i32_i24_e32 v70, v46, v222
	v_add3_u32 v66, v66, v78, v79
	scratch_load_b32 v78, off, off offset:500 ; 4-byte Folded Reload
	v_mul_i32_i24_e32 v79, v10, v176
	scratch_load_b32 v176, off, off offset:236 ; 4-byte Folded Reload
	v_add3_u32 v66, v66, v80, v81
	v_mul_i32_i24_e32 v80, v51, v196
	v_mul_i32_i24_e32 v81, v52, v199
	s_delay_alu instid0(VALU_DEP_3) | instskip(SKIP_2) | instid1(VALU_DEP_3)
	v_add3_u32 v66, v66, v82, v92
	v_mul_i32_i24_e32 v82, v53, v198
	v_mul_i32_i24_e32 v92, v11, v200
	v_add3_u32 v66, v66, v94, v95
	v_mul_i32_i24_e32 v94, v54, v201
	v_mul_i32_i24_e32 v95, v55, v203
	s_delay_alu instid0(VALU_DEP_3) | instskip(SKIP_2) | instid1(VALU_DEP_3)
	v_add3_u32 v66, v66, v96, v97
	v_mul_i32_i24_e32 v96, v56, v202
	v_mul_i32_i24_e32 v97, v12, v204
	;; [unrolled: 7-line block ×4, first 2 shown]
	v_add3_u32 v66, v66, v122, v123
	v_mul_i32_i24_e32 v122, v63, v213
	v_mul_i32_i24_e32 v123, v64, v215
	s_wait_loadcnt 0x7
	s_delay_alu instid0(VALU_DEP_3) | instskip(SKIP_1) | instid1(VALU_DEP_1)
	v_mul_lo_u32 v66, v66, v67
	v_fma_mix_f32 v67, v171, v0, 0 op_sel:[0,1,0] op_sel_hi:[0,1,0]
	v_fma_mix_f32 v67, v218, v1, v67 op_sel:[0,1,0] op_sel_hi:[0,1,0]
	s_delay_alu instid0(VALU_DEP_3)
	v_cvt_f32_i32_e32 v66, v66
	s_wait_loadcnt 0x6
	v_mul_i32_i24_e32 v71, v47, v71
	s_wait_loadcnt 0x5
	v_mul_i32_i24_e32 v72, v9, v72
	v_mul_f32_e32 v67, v67, v219
	s_wait_loadcnt 0x4
	v_mul_i32_i24_e32 v69, v45, v69
	v_fma_mix_f32 v66, v0, v66, 0 op_sel_hi:[1,0,0]
	s_wait_loadcnt 0x3
	v_mul_i32_i24_e32 v76, v48, v76
	s_wait_loadcnt 0x2
	v_mul_i32_i24_e32 v77, v49, v77
	v_add3_u32 v68, v68, v69, v70
	scratch_load_b32 v69, off, off offset:100 ; 4-byte Folded Reload
	s_wait_loadcnt 0x2
	v_mul_i32_i24_e32 v78, v50, v78
	v_mul_i32_i24_e32 v70, v24, v221
	scratch_load_b32 v221, off, off offset:276 ; 4-byte Folded Reload
	v_add3_u32 v68, v68, v71, v72
	v_mul_i32_i24_e32 v71, v25, v227
	v_mul_i32_i24_e32 v72, v26, v228
	s_clause 0x1
	scratch_load_b32 v227, off, off offset:280
	scratch_load_b32 v228, off, off offset:284
	v_add3_u32 v68, v68, v76, v77
	v_mul_i32_i24_e32 v77, v2, v230
	v_mul_i32_i24_e32 v2, v2, v106
	;; [unrolled: 1-line block ×3, first 2 shown]
	scratch_load_b32 v230, off, off offset:1056 ; 4-byte Folded Reload
	v_add3_u32 v68, v68, v78, v79
	v_mul_i32_i24_e32 v78, v28, v231
	v_mul_i32_i24_e32 v79, v29, v232
	s_clause 0x1
	scratch_load_b32 v231, off, off offset:1060
	scratch_load_b32 v232, off, off offset:1036
	v_add3_u32 v68, v68, v80, v81
	v_mul_i32_i24_e32 v80, v30, v158
	s_clause 0x1
	scratch_load_b32 v229, off, off offset:1040
	scratch_load_b32 v106, off, off offset:1100
	v_add3_u32 v68, v68, v82, v92
	s_delay_alu instid0(VALU_DEP_1)
	v_add3_u32 v68, v68, v94, v95
	s_clause 0x1
	scratch_load_b32 v94, off, off offset:116
	scratch_load_b32 v95, off, off offset:288
	v_add3_u32 v68, v68, v96, v97
	s_clause 0x1
	scratch_load_b32 v96, off, off offset:120
	scratch_load_b32 v97, off, off offset:292
	v_add3_u32 v68, v68, v98, v99
	s_clause 0x1
	scratch_load_b32 v98, off, off offset:296
	scratch_load_b32 v99, off, off offset:300
	v_add3_u32 v68, v68, v100, v101
	s_clause 0x1
	scratch_load_b32 v100, off, off offset:816
	scratch_load_b32 v101, off, off offset:304
	v_add3_u32 v68, v68, v109, v112
	s_clause 0x1
	scratch_load_b32 v109, off, off offset:904
	scratch_load_b32 v112, off, off offset:912
	v_add3_u32 v68, v68, v114, v115
	s_clause 0x1
	scratch_load_b32 v114, off, off offset:928
	scratch_load_b32 v115, off, off offset:936
	v_add3_u32 v68, v68, v122, v123
	s_clause 0x1
	scratch_load_b32 v122, off, off offset:940
	scratch_load_b32 v123, off, off offset:952
	v_add3_u32 v68, v68, v126, v127
	s_clause 0x1
	scratch_load_b32 v126, off, off offset:316
	scratch_load_b32 v127, off, off offset:972
	v_mul_lo_u32 v68, v68, v217
	s_delay_alu instid0(VALU_DEP_1) | instskip(NEXT) | instid1(VALU_DEP_1)
	v_cvt_f32_i32_e32 v68, v68
	v_fma_mix_f32 v66, v1, v68, v66 op_sel_hi:[1,0,0]
	scratch_load_b32 v68, off, off offset:104 ; 4-byte Folded Reload
	v_fma_f32 v66, v66, v220, -v67
	scratch_load_b32 v67, off, off offset:728 ; 4-byte Folded Reload
	s_wait_loadcnt 0x19
	v_mul_i32_i24_e32 v81, v3, v221
	v_mul_i32_i24_e32 v3, v3, v111
	scratch_load_b32 v111, off, off offset:812 ; 4-byte Folded Reload
	s_wait_loadcnt 0x19
	v_mul_i32_i24_e32 v82, v31, v227
	s_wait_loadcnt 0x18
	v_mul_i32_i24_e32 v92, v32, v228
	;; [unrolled: 2-line block ×4, first 2 shown]
	v_mul_i32_i24_e32 v4, v4, v118
	scratch_load_b32 v118, off, off offset:1192 th:TH_LOAD_LU ; 4-byte Folded Reload
	s_wait_loadcnt 0x11
	v_mul_i32_i24_e32 v96, v34, v96
	s_wait_loadcnt 0x10
	v_mul_i32_i24_e32 v97, v35, v97
	;; [unrolled: 2-line block ×4, first 2 shown]
	v_mul_i32_i24_e32 v5, v5, v124
	scratch_load_b32 v124, off, off offset:1208 th:TH_LOAD_LU ; 4-byte Folded Reload
	s_wait_loadcnt 0xe
	v_mul_i32_i24_e32 v100, v37, v100
	s_wait_loadcnt 0xd
	v_mul_i32_i24_e32 v101, v38, v101
	;; [unrolled: 2-line block ×11, first 2 shown]
	v_mul_i32_i24_e32 v20, v20, v104
	scratch_load_b32 v104, off, off offset:1088 ; 4-byte Folded Reload
	s_wait_loadcnt 0x4
	v_add_f32_e32 v67, v67, v66
	v_mul_i32_i24_e32 v66, v17, v148
	v_mul_i32_i24_e32 v17, v17, v91
	scratch_load_b32 v91, off, off offset:196 ; 4-byte Folded Reload
	scratch_store_b32 off, v67, off offset:728 ; 4-byte Folded Spill
	v_mul_i32_i24_e32 v67, v19, v176
	v_mad_i32_i24 v66, v18, v69, v66
	scratch_load_b32 v69, off, off offset:112 ; 4-byte Folded Reload
	v_mul_i32_i24_e32 v19, v19, v102
	v_mad_i32_i24 v17, v18, v167, v17
	v_mov_b32_e32 v167, v169
	v_add3_u32 v66, v66, v67, v68
	s_clause 0x1
	scratch_load_b32 v67, off, off offset:108
	scratch_load_b32 v68, off, off offset:240
	v_add3_u32 v17, v17, v19, v20
	v_mul_i32_i24_e32 v19, v22, v169
	v_mul_i32_i24_e32 v20, v23, v89
	v_mov_b32_e32 v169, v89
	scratch_load_b32 v89, off, off offset:220 ; 4-byte Folded Reload
	v_mul_i32_i24_e32 v18, v21, v168
	scratch_load_b32 v102, off, off offset:208 ; 4-byte Folded Reload
	v_add3_u32 v17, v17, v18, v19
	s_wait_loadcnt 0x6
	v_mul_i32_i24_e32 v19, v53, v104
	s_wait_loadcnt 0x4
	v_mul_i32_i24_e32 v69, v23, v69
	v_mul_i32_i24_e32 v23, v26, v103
	;; [unrolled: 1-line block ×5, first 2 shown]
	s_wait_loadcnt 0x3
	v_mul_i32_i24_e32 v67, v21, v67
	s_wait_loadcnt 0x2
	v_mul_i32_i24_e32 v68, v22, v68
	v_mul_i32_i24_e32 v22, v25, v93
	v_mul_i32_i24_e32 v25, v28, v107
	v_mul_i32_i24_e32 v28, v31, v113
	v_mul_i32_i24_e32 v31, v34, v119
	v_add3_u32 v66, v66, v67, v68
	s_clause 0x1
	scratch_load_b32 v67, off, off offset:900
	scratch_load_b32 v68, off, off offset:916
	v_mul_i32_i24_e32 v34, v37, v125
	s_clause 0x1
	scratch_load_b32 v37, off, off offset:224
	scratch_load_b32 v125, off, off offset:1212 th:TH_LOAD_LU
	v_add3_u32 v66, v66, v69, v70
	s_clause 0x1
	scratch_load_b32 v69, off, off offset:920
	scratch_load_b32 v70, off, off offset:932
	v_mul_i32_i24_e32 v21, v24, v90
	scratch_load_b32 v90, off, off offset:1084 ; 4-byte Folded Reload
	v_add3_u32 v66, v66, v71, v72
	s_clause 0x1
	scratch_load_b32 v71, off, off offset:924
	scratch_load_b32 v72, off, off offset:956
	v_add3_u32 v17, v17, v20, v21
	v_mul_i32_i24_e32 v24, v27, v105
	v_mul_i32_i24_e32 v27, v30, v110
	;; [unrolled: 1-line block ×4, first 2 shown]
	v_add3_u32 v17, v17, v22, v23
	v_add3_u32 v66, v66, v76, v77
	s_clause 0x2
	scratch_load_b32 v76, off, off offset:960
	scratch_load_b32 v103, off, off offset:212
	;; [unrolled: 1-line block ×3, first 2 shown]
	v_add3_u32 v2, v17, v24, v2
	v_add3_u32 v66, v66, v78, v79
	scratch_load_b32 v17, off, off offset:216 ; 4-byte Folded Reload
	v_mul_i32_i24_e32 v36, v39, v131
	v_mov_b32_e32 v131, v166
	v_add3_u32 v2, v2, v25, v26
	v_add3_u32 v66, v66, v80, v81
	s_clause 0x2
	scratch_load_b32 v20, off, off offset:892
	scratch_load_b32 v107, off, off offset:1096
	;; [unrolled: 1-line block ×3, first 2 shown]
	v_add3_u32 v2, v2, v27, v3
	v_mul_i32_i24_e32 v3, v16, v163
	scratch_load_b32 v163, off, off offset:780 ; 4-byte Folded Reload
	v_add3_u32 v66, v66, v82, v92
	scratch_load_b32 v82, off, off offset:964 ; 4-byte Folded Reload
	v_add3_u32 v2, v2, v28, v29
	v_mad_i32_i24 v3, v43, v159, v3
	v_mul_i32_i24_e32 v79, v10, v250
	v_add3_u32 v66, v66, v94, v95
	v_mul_i32_i24_e32 v94, v54, v252
	v_add3_u32 v2, v2, v30, v4
	v_mul_i32_i24_e32 v4, v44, v164
	scratch_load_b32 v164, off, off offset:784 ; 4-byte Folded Reload
	v_add3_u32 v66, v66, v96, v97
	scratch_load_b32 v96, off, off offset:968 ; 4-byte Folded Reload
	v_add3_u32 v2, v2, v31, v32
	s_clause 0x1
	scratch_load_b32 v250, off, off offset:1064
	scratch_load_b32 v252, off, off offset:1052
	v_add3_u32 v66, v66, v98, v99
	scratch_load_b32 v23, off, off offset:888 ; 4-byte Folded Reload
	v_add3_u32 v2, v2, v33, v5
	v_mul_i32_i24_e32 v5, v8, v166
	s_clause 0x1
	scratch_load_b32 v166, off, off offset:1176 th:TH_LOAD_LU
	scratch_load_b32 v113, off, off offset:1180 th:TH_LOAD_LU
	v_add3_u32 v66, v66, v100, v101
	scratch_load_b32 v116, off, off offset:1184 th:TH_LOAD_LU ; 4-byte Folded Reload
	v_add3_u32 v3, v3, v4, v5
	scratch_load_b32 v5, off, off offset:200 ; 4-byte Folded Reload
	v_mul_i32_i24_e32 v92, v11, v251
	v_add3_u32 v66, v66, v109, v112
	s_clause 0x1
	scratch_load_b32 v251, off, off offset:1168
	scratch_load_b32 v112, off, off offset:896
	v_mul_i32_i24_e32 v35, v38, v128
	s_clause 0x1
	scratch_load_b32 v117, off, off offset:1188 th:TH_LOAD_LU
	scratch_load_b32 v119, off, off offset:1196 th:TH_LOAD_LU
	v_add3_u32 v66, v66, v114, v115
	v_mul_i32_i24_e32 v97, v12, v253
	s_clause 0x1
	scratch_load_b32 v253, off, off offset:1068
	scratch_load_b32 v115, off, off offset:308
	s_wait_loadcnt 0x22
	v_mul_i32_i24_e32 v6, v6, v89
	v_add3_u32 v2, v2, v34, v35
	scratch_load_b32 v120, off, off offset:1200 th:TH_LOAD_LU ; 4-byte Folded Reload
	v_add3_u32 v66, v66, v122, v123
	s_clause 0x1
	scratch_load_b32 v122, off, off offset:312
	scratch_load_b32 v123, off, off offset:320
	v_mul_i32_i24_e32 v38, v41, v226
	v_add3_u32 v2, v2, v36, v6
	scratch_load_b32 v121, off, off offset:1204 th:TH_LOAD_LU ; 4-byte Folded Reload
	v_mul_i32_i24_e32 v39, v42, v144
	s_clause 0x1
	scratch_load_b32 v128, off, off offset:1216 th:TH_LOAD_LU
	scratch_load_b32 v93, off, off offset:496
	v_mul_i32_i24_e32 v100, v59, v254
	s_clause 0x1
	scratch_load_b32 v254, off, off offset:1172
	scratch_load_b32 v108, off, off offset:148
	v_mul_i32_i24_e32 v4, v45, v157
	v_mul_i32_i24_e32 v6, v47, v91
	v_mul_i32_i24_e32 v77, v49, v249
	v_mul_i32_i24_e32 v78, v50, v230
	v_mul_i32_i24_e32 v80, v51, v231
	v_mul_i32_i24_e32 v81, v52, v232
	v_mul_i32_i24_e32 v95, v55, v229
	v_mul_i32_i24_e32 v21, v55, v106
	v_mul_i32_i24_e32 v101, v13, v255
	v_mul_i32_i24_e32 v25, v59, v111
	v_mul_i32_i24_e32 v28, v62, v118
	v_mul_i32_i24_e32 v31, v65, v124
	s_clause 0x1
	scratch_load_b32 v255, off, off offset:664
	scratch_load_b32 v249, off, off offset:1156
	s_wait_loadcnt 0x2a
	v_mul_lo_u32 v66, v66, v67
	s_wait_loadcnt 0x29
	v_mul_i32_i24_e32 v68, v16, v68
	scratch_load_b32 v67, off, off offset:908 ; 4-byte Folded Reload
	s_wait_loadcnt 0x29
	v_mul_i32_i24_e32 v37, v40, v37
	v_mul_i32_i24_e32 v16, v50, v102
	s_wait_loadcnt 0x28
	v_mul_i32_i24_e32 v30, v64, v125
	s_wait_loadcnt 0x27
	;; [unrolled: 2-line block ×3, first 2 shown]
	v_mul_i32_i24_e32 v70, v8, v70
	scratch_load_b32 v8, off, off offset:204 ; 4-byte Folded Reload
	s_wait_loadcnt 0x26
	v_mul_i32_i24_e32 v7, v7, v90
	v_add3_u32 v2, v2, v37, v38
	s_wait_loadcnt 0x25
	v_mad_i32_i24 v68, v43, v71, v68
	scratch_load_b32 v71, off, off offset:948 ; 4-byte Folded Reload
	s_wait_loadcnt 0x25
	v_mul_i32_i24_e32 v72, v9, v72
	v_cvt_f32_i32_e32 v66, v66
	v_add3_u32 v2, v2, v39, v7
	v_add3_u32 v68, v68, v69, v70
	s_clause 0x1
	scratch_load_b32 v69, off, off offset:1160
	scratch_load_b32 v70, off, off offset:944
	v_fma_mix_f32 v66, v0, v66, 0 op_sel_hi:[1,0,0]
	v_mul_lo_u32 v2, v2, v129
	scratch_load_b32 v129, off, off offset:152 ; 4-byte Folded Reload
	s_wait_loadcnt 0x27
	v_mul_i32_i24_e32 v76, v48, v76
	s_wait_loadcnt 0x25
	v_mul_i32_i24_e32 v18, v52, v105
	;; [unrolled: 2-line block ×3, first 2 shown]
	v_cvt_f32_i32_e32 v2, v2
	s_wait_loadcnt 0x23
	v_mul_i32_i24_e32 v20, v54, v20
	s_wait_loadcnt 0x22
	v_mul_i32_i24_e32 v22, v56, v107
	;; [unrolled: 2-line block ×3, first 2 shown]
	v_fma_mix_f32 v2, v0, v2, 0 op_sel_hi:[1,0,0]
	s_wait_loadcnt 0x20
	v_mul_i32_i24_e32 v7, v9, v163
	v_mul_i32_i24_e32 v9, v49, v103
	s_wait_loadcnt 0x1f
	v_mul_i32_i24_e32 v82, v53, v82
	s_wait_loadcnt 0x1e
	;; [unrolled: 2-line block ×12, first 2 shown]
	v_mul_i32_i24_e32 v112, v61, v112
	v_add3_u32 v3, v3, v4, v5
	s_wait_loadcnt 0x13
	v_mul_i32_i24_e32 v26, v60, v117
	s_wait_loadcnt 0x12
	v_mul_i32_i24_e32 v27, v61, v119
	v_add3_u32 v3, v3, v6, v7
	s_wait_loadcnt 0x11
	v_mul_i32_i24_e32 v114, v62, v253
	s_wait_loadcnt 0x10
	v_mul_i32_i24_e32 v115, v14, v115
	;; [unrolled: 2-line block ×7, first 2 shown]
	s_wait_loadcnt 0x5
	v_fma_mix_f32 v67, v67, v0, 0 op_sel:[0,1,0] op_sel_hi:[0,1,0]
	v_fma_mix_f32 v0, v93, v0, 0 op_sel:[0,1,0] op_sel_hi:[0,1,0]
	s_delay_alu instid0(VALU_DEP_2) | instskip(SKIP_2) | instid1(VALU_DEP_3)
	v_fma_mix_f32 v67, v254, v1, v67 op_sel:[0,1,0] op_sel_hi:[0,1,0]
	s_wait_loadcnt 0x4
	v_mul_i32_i24_e32 v8, v48, v8
	v_fma_mix_f32 v0, v108, v1, v0 op_sel:[0,1,0] op_sel_hi:[0,1,0]
	s_wait_loadcnt 0x3
	v_mul_i32_i24_e32 v71, v47, v71
	s_delay_alu instid0(VALU_DEP_3)
	v_add3_u32 v3, v3, v8, v9
	v_mul_f32_e32 v67, v67, v255
	s_wait_loadcnt 0x2
	v_mul_i32_i24_e32 v69, v45, v69
	s_wait_loadcnt 0x1
	v_mul_i32_i24_e32 v70, v46, v70
	v_add3_u32 v3, v3, v16, v10
	s_delay_alu instid0(VALU_DEP_2) | instskip(SKIP_3) | instid1(VALU_DEP_2)
	v_add3_u32 v68, v68, v69, v70
	scratch_load_b32 v69, off, off offset:1164 ; 4-byte Folded Reload
	v_add3_u32 v3, v3, v17, v18
	v_add3_u32 v68, v68, v71, v72
	;; [unrolled: 1-line block ×3, first 2 shown]
	s_delay_alu instid0(VALU_DEP_2) | instskip(NEXT) | instid1(VALU_DEP_2)
	v_add3_u32 v68, v68, v76, v77
	v_add3_u32 v3, v3, v20, v21
	s_delay_alu instid0(VALU_DEP_2) | instskip(NEXT) | instid1(VALU_DEP_2)
	v_add3_u32 v68, v68, v78, v79
	v_add3_u32 v3, v3, v22, v12
	;; [unrolled: 3-line block ×8, first 2 shown]
	s_delay_alu instid0(VALU_DEP_2) | instskip(SKIP_1) | instid1(VALU_DEP_2)
	v_add3_u32 v68, v68, v109, v112
	s_wait_loadcnt 0x1
	v_mul_lo_u32 v3, v3, v129
	s_delay_alu instid0(VALU_DEP_2) | instskip(NEXT) | instid1(VALU_DEP_1)
	v_add3_u32 v68, v68, v114, v115
	v_add3_u32 v68, v68, v122, v123
	s_delay_alu instid0(VALU_DEP_3) | instskip(NEXT) | instid1(VALU_DEP_2)
	v_cvt_f32_i32_e32 v3, v3
	v_add3_u32 v68, v68, v126, v127
	s_delay_alu instid0(VALU_DEP_2) | instskip(SKIP_1) | instid1(VALU_DEP_2)
	v_fma_mix_f32 v2, v1, v3, v2 op_sel_hi:[1,0,0]
	s_wait_loadcnt 0x0
	v_mul_lo_u32 v68, v68, v69
	s_delay_alu instid0(VALU_DEP_1) | instskip(NEXT) | instid1(VALU_DEP_1)
	v_cvt_f32_i32_e32 v68, v68
	v_fma_mix_f32 v66, v1, v68, v66 op_sel_hi:[1,0,0]
	scratch_load_b32 v1, off, off offset:20 ; 4-byte Folded Reload
	v_fma_f32 v66, v66, v249, -v67
	scratch_load_b32 v67, off, off offset:724 ; 4-byte Folded Reload
	s_wait_loadcnt 0x1
	v_mul_f32_e32 v0, v0, v1
	scratch_load_b32 v1, off, off offset:4  ; 4-byte Folded Reload
	s_wait_loadcnt 0x1
	v_add_f32_e32 v67, v67, v66
	s_wait_loadcnt 0x0
	v_fma_f32 v0, v2, v1, -v0
	scratch_load_b32 v1, off, off offset:720 ; 4-byte Folded Reload
	s_wait_loadcnt 0x0
	v_add_f32_e32 v1, v1, v0
	scratch_load_b32 v0, off, off offset:1272 ; 4-byte Folded Reload
	s_clause 0x1
	scratch_store_b32 off, v67, off offset:724
	scratch_store_b32 off, v1, off offset:720
	s_wait_loadcnt 0x0
	v_or_b32_e32 v0, s11, v0
	s_delay_alu instid0(VALU_DEP_1)
	v_lshlrev_b32_e32 v12, 2, v0
	v_lshrrev_b32_e32 v16, 1, v0
	ds_load_b128 v[0:3], v12 offset:16896
	ds_load_b128 v[4:7], v12 offset:16912
	;; [unrolled: 1-line block ×4, first 2 shown]
	s_clause 0x5
	scratch_load_b32 v66, off, off offset:380
	scratch_load_b32 v69, off, off offset:372
	;; [unrolled: 1-line block ×6, first 2 shown]
	s_wait_dscnt 0x3
	v_bfe_i32 v64, v0, 16, 8
	v_bfe_i32 v55, v2, 16, 8
	;; [unrolled: 1-line block ×4, first 2 shown]
	v_ashrrev_i32_e32 v65, 24, v0
	v_mul_i32_i24_e32 v67, v73, v64
	scratch_load_b32 v73, off, off offset:408 ; 4-byte Folded Reload
	v_bfe_i32 v49, v1, 0, 8
	v_ashrrev_i32_e32 v56, 24, v2
	v_bfe_i32 v50, v1, 8, 8
	v_bfe_i32 v51, v1, 16, 8
	v_ashrrev_i32_e32 v52, 24, v1
	v_bfe_i32 v53, v2, 0, 8
	v_bfe_i32 v54, v2, 8, 8
	;; [unrolled: 1-line block ×4, first 2 shown]
	v_mul_i32_i24_e32 v70, v83, v52
	v_bfe_i32 v59, v3, 16, 8
	v_ashrrev_i32_e32 v60, 24, v3
	v_mul_i32_i24_e32 v78, v139, v57
	v_mul_i32_i24_e32 v79, v138, v58
	s_wait_dscnt 0x2
	v_bfe_i32 v61, v4, 0, 8
	v_bfe_i32 v62, v4, 8, 8
	v_mul_i32_i24_e32 v80, v137, v59
	v_mul_i32_i24_e32 v81, v136, v60
	v_bfe_i32 v47, v4, 16, 8
	v_ashrrev_i32_e32 v34, 24, v4
	v_mul_i32_i24_e32 v82, v143, v61
	v_mul_i32_i24_e32 v92, v142, v62
	s_wait_dscnt 0x0
	v_bfe_i32 v29, v12, 0, 8
	v_mul_i32_i24_e32 v94, v141, v47
	v_mul_i32_i24_e32 v95, v140, v34
	v_bfe_i32 v30, v12, 8, 8
	v_bfe_i32 v35, v5, 0, 8
	;; [unrolled: 1-line block ×4, first 2 shown]
	ds_load_b64 v[0:1], v16 offset:27200
	scratch_load_b32 v142, off, off offset:384 ; 4-byte Folded Reload
	v_mul_i32_i24_e32 v96, v133, v35
	v_mul_i32_i24_e32 v97, v132, v36
	v_ashrrev_i32_e32 v3, 24, v12
	v_bfe_i32 v31, v8, 0, 8
	v_bfe_i32 v16, v8, 8, 8
	v_bfe_i32 v32, v8, 16, 8
	v_ashrrev_i32_e32 v33, 24, v8
	v_bfe_i32 v17, v9, 0, 8
	v_bfe_i32 v18, v9, 8, 8
	v_bfe_i32 v19, v9, 16, 8
	;; [unrolled: 4-line block ×4, first 2 shown]
	v_ashrrev_i32_e32 v28, 24, v11
	v_bfe_i32 v37, v5, 16, 8
	v_ashrrev_i32_e32 v38, 24, v5
	v_bfe_i32 v4, v13, 0, 8
	v_bfe_i32 v5, v13, 8, 8
	;; [unrolled: 1-line block ×3, first 2 shown]
	v_mul_i32_i24_e32 v98, v174, v37
	v_mul_i32_i24_e32 v99, v173, v38
	v_bfe_i32 v40, v6, 8, 8
	v_bfe_i32 v41, v6, 16, 8
	v_ashrrev_i32_e32 v42, 24, v6
	v_bfe_i32 v43, v7, 0, 8
	v_bfe_i32 v44, v7, 8, 8
	;; [unrolled: 1-line block ×3, first 2 shown]
	v_ashrrev_i32_e32 v46, 24, v7
	v_bfe_i32 v6, v13, 16, 8
	v_ashrrev_i32_e32 v7, 24, v13
	v_mul_i32_i24_e32 v100, v178, v39
	v_mul_i32_i24_e32 v101, v177, v40
	v_bfe_i32 v8, v14, 0, 8
	v_bfe_i32 v9, v14, 8, 8
	v_mul_i32_i24_e32 v109, v180, v41
	v_mul_i32_i24_e32 v112, v179, v42
	v_bfe_i32 v10, v14, 16, 8
	v_ashrrev_i32_e32 v11, 24, v14
	v_mul_i32_i24_e32 v114, v184, v43
	v_mul_i32_i24_e32 v115, v183, v44
	v_bfe_i32 v12, v15, 0, 8
	v_bfe_i32 v13, v15, 8, 8
	v_mul_i32_i24_e32 v122, v182, v45
	v_mul_i32_i24_e32 v123, v181, v46
	v_bfe_i32 v14, v15, 16, 8
	v_ashrrev_i32_e32 v15, 24, v15
	scratch_load_b32 v141, off, off offset:932 th:TH_LOAD_LU ; 4-byte Folded Reload
	v_dual_mov_b32 v173, v237 :: v_dual_mov_b32 v174, v241
	v_mul_i32_i24_e32 v126, v239, v14
	v_mul_i32_i24_e32 v127, v238, v15
	s_clause 0x7
	scratch_load_b32 v238, off, off offset:948 th:TH_LOAD_LU
	scratch_load_b32 v239, off, off offset:956 th:TH_LOAD_LU
	scratch_load_b32 v136, off, off offset:308
	scratch_load_b32 v137, off, off offset:312
	;; [unrolled: 1-line block ×4, first 2 shown]
	scratch_load_b32 v140, off, off offset:972 th:TH_LOAD_LU
	scratch_load_b32 v83, off, off offset:1108
	v_mov_b32_e32 v143, v197
	s_wait_loadcnt 0x10
	v_mul_i32_i24_e32 v66, v66, v63
	s_wait_loadcnt 0xe
	v_mul_i32_i24_e32 v71, v71, v53
	;; [unrolled: 2-line block ×4, first 2 shown]
	v_mad_i32_i24 v66, v69, v48, v66
	v_mul_i32_i24_e32 v69, v75, v51
	scratch_load_b32 v75, off, off offset:1112 ; 4-byte Folded Reload
	v_add3_u32 v66, v66, v67, v68
	v_mul_i32_i24_e32 v67, v74, v49
	scratch_load_b32 v74, off, off offset:848 ; 4-byte Folded Reload
	s_wait_loadcnt 0xc
	v_mul_i32_i24_e32 v76, v73, v55
	scratch_load_b32 v73, off, off offset:404 ; 4-byte Folded Reload
	s_wait_loadcnt 0x1
	v_mul_i32_i24_e32 v68, v74, v50
	s_delay_alu instid0(VALU_DEP_1)
	v_add3_u32 v66, v66, v67, v68
	s_wait_dscnt 0x0
	v_fma_mix_f32 v67, v153, v0, 0 op_sel:[0,1,0] op_sel_hi:[0,1,0]
	scratch_load_b32 v153, off, off offset:396 ; 4-byte Folded Reload
	v_mul_i32_i24_e32 v68, v152, v31
	v_mov_b32_e32 v152, v187
	s_wait_loadcnt 0x1
	v_mul_i32_i24_e32 v77, v73, v56
	scratch_load_b32 v73, off, off offset:432 ; 4-byte Folded Reload
	v_add3_u32 v66, v66, v69, v70
	v_mul_i32_i24_e32 v69, v151, v32
	v_mul_i32_i24_e32 v70, v84, v33
	v_mad_i32_i24 v68, v186, v16, v68
	v_fma_mix_f32 v67, v245, v1, v67 op_sel:[0,1,0] op_sel_hi:[0,1,0]
	v_add3_u32 v66, v66, v71, v72
	v_mul_i32_i24_e32 v71, v130, v19
	v_mul_i32_i24_e32 v72, v187, v20
	v_add3_u32 v68, v68, v69, v70
	v_mul_i32_i24_e32 v69, v188, v17
	v_add3_u32 v66, v66, v76, v77
	v_mul_i32_i24_e32 v70, v134, v18
	v_mul_i32_i24_e32 v76, v190, v21
	;; [unrolled: 1-line block ×3, first 2 shown]
	v_mul_f32_e32 v67, v67, v247
	v_add3_u32 v66, v66, v78, v79
	v_add3_u32 v68, v68, v69, v70
	v_mul_i32_i24_e32 v78, v165, v23
	v_mul_i32_i24_e32 v79, v142, v24
	;; [unrolled: 1-line block ×3, first 2 shown]
	v_add3_u32 v66, v66, v80, v81
	v_add3_u32 v68, v68, v71, v72
	v_mul_i32_i24_e32 v80, v197, v25
	v_mul_i32_i24_e32 v70, v52, v147
	scratch_load_b32 v188, off, off offset:332 ; 4-byte Folded Reload
	v_add3_u32 v66, v66, v82, v92
	v_add3_u32 v68, v68, v76, v77
	v_mul_i32_i24_e32 v82, v86, v27
	v_mul_i32_i24_e32 v92, v85, v28
	scratch_load_b32 v190, off, off offset:660 ; 4-byte Folded Reload
	v_add3_u32 v66, v66, v94, v95
	v_add3_u32 v68, v68, v78, v79
	v_mul_i32_i24_e32 v78, v57, v191
	s_clause 0x1
	scratch_load_b32 v191, off, off offset:1152
	scratch_load_b32 v189, off, off offset:336
	v_add3_u32 v66, v66, v96, v97
	v_mul_i32_i24_e32 v71, v53, v149
	v_mul_i32_i24_e32 v72, v54, v150
	;; [unrolled: 1-line block ×4, first 2 shown]
	v_add3_u32 v66, v66, v98, v99
	v_mul_i32_i24_e32 v98, v233, v4
	v_mul_i32_i24_e32 v99, v225, v5
	;; [unrolled: 1-line block ×3, first 2 shown]
	scratch_load_b32 v192, off, off offset:160 ; 4-byte Folded Reload
	v_add3_u32 v66, v66, v100, v101
	v_mul_i32_i24_e32 v100, v224, v6
	v_mul_i32_i24_e32 v101, v223, v7
	s_clause 0x1
	scratch_load_b32 v130, off, off offset:912 th:TH_LOAD_LU
	scratch_load_b32 v147, off, off offset:592
	v_add3_u32 v66, v66, v109, v112
	v_mul_i32_i24_e32 v109, v237, v8
	v_mul_i32_i24_e32 v112, v236, v9
	s_clause 0x1
	scratch_load_b32 v225, off, off offset:1232 th:TH_LOAD_LU
	scratch_load_b32 v247, off, off offset:240
	v_add3_u32 v66, v66, v114, v115
	v_mul_i32_i24_e32 v114, v235, v10
	v_mul_i32_i24_e32 v115, v234, v11
	s_clause 0x1
	scratch_load_b32 v223, off, off offset:920 th:TH_LOAD_LU
	scratch_load_b32 v224, off, off offset:924 th:TH_LOAD_LU
	v_add3_u32 v66, v66, v122, v123
	v_mul_i32_i24_e32 v122, v241, v12
	v_mul_i32_i24_e32 v123, v240, v13
	s_clause 0x1
	scratch_load_b32 v234, off, off offset:1160 th:TH_LOAD_LU
	scratch_load_b32 v237, off, off offset:944 th:TH_LOAD_LU
	v_mul_lo_u32 v66, v66, v185
	s_clause 0x6
	scratch_load_b32 v241, off, off offset:960 th:TH_LOAD_LU
	scratch_load_b32 v233, off, off offset:928 th:TH_LOAD_LU
	;; [unrolled: 1-line block ×6, first 2 shown]
	scratch_load_b32 v85, off, off offset:1116
	v_cvt_f32_i32_e32 v66, v66
	s_clause 0x2
	scratch_load_b32 v86, off, off offset:1120
	scratch_load_b32 v146, off, off offset:1128
	;; [unrolled: 1-line block ×3, first 2 shown]
	v_mov_b32_e32 v197, v171
	v_fma_mix_f32 v66, v0, v66, 0 op_sel_hi:[1,0,0]
	v_mov_b32_e32 v150, v142
	s_wait_loadcnt 0x18
	v_mul_i32_i24_e32 v81, v153, v26
	s_wait_loadcnt 0x17
	v_mul_i32_i24_e32 v94, v73, v29
	scratch_load_b32 v73, off, off offset:428 ; 4-byte Folded Reload
	v_add3_u32 v68, v68, v80, v81
	v_mul_i32_i24_e32 v80, v59, v193
	scratch_load_b32 v193, off, off offset:656 ; 4-byte Folded Reload
	v_mul_i32_i24_e32 v81, v60, v194
	v_mov_b32_e32 v194, v160
	v_add3_u32 v68, v68, v82, v92
	v_mul_i32_i24_e32 v82, v61, v156
	v_mul_i32_i24_e32 v92, v62, v162
	s_wait_loadcnt 0x1
	v_mul_i32_i24_e32 v95, v73, v30
	scratch_load_b32 v73, off, off offset:424 ; 4-byte Folded Reload
	v_add3_u32 v68, v68, v94, v95
	v_mul_i32_i24_e32 v94, v47, v147
	s_wait_loadcnt 0x1
	v_mul_i32_i24_e32 v95, v34, v193
	s_wait_loadcnt 0x0
	v_mul_i32_i24_e32 v96, v73, v2
	scratch_load_b32 v73, off, off offset:420 ; 4-byte Folded Reload
	s_wait_loadcnt 0x0
	v_mul_i32_i24_e32 v97, v73, v3
	scratch_load_b32 v73, off, off offset:560 ; 4-byte Folded Reload
	v_add3_u32 v68, v68, v96, v97
	v_mul_i32_i24_e32 v96, v35, v160
	v_mul_i32_i24_e32 v97, v36, v161
	s_delay_alu instid0(VALU_DEP_3) | instskip(NEXT) | instid1(VALU_DEP_1)
	v_add3_u32 v68, v68, v98, v99
	v_add3_u32 v68, v68, v100, v101
	v_mul_i32_i24_e32 v100, v39, v170
	s_delay_alu instid0(VALU_DEP_2) | instskip(SKIP_1) | instid1(VALU_DEP_2)
	v_add3_u32 v68, v68, v109, v112
	v_mul_i32_i24_e32 v112, v42, v172
	v_add3_u32 v68, v68, v114, v115
	v_mul_i32_i24_e32 v114, v43, v244
	s_delay_alu instid0(VALU_DEP_2) | instskip(NEXT) | instid1(VALU_DEP_1)
	v_add3_u32 v68, v68, v122, v123
	v_add3_u32 v68, v68, v126, v127
	v_mul_i32_i24_e32 v126, v14, v214
	v_mul_i32_i24_e32 v127, v15, v216
	s_clause 0x1
	scratch_load_b32 v214, off, off offset:296
	scratch_load_b32 v216, off, off offset:816
	v_mul_lo_u32 v68, v68, v243
	v_mov_b32_e32 v243, v222
	s_delay_alu instid0(VALU_DEP_2) | instskip(NEXT) | instid1(VALU_DEP_1)
	v_cvt_f32_i32_e32 v68, v68
	v_fma_mix_f32 v66, v1, v68, v66 op_sel_hi:[1,0,0]
	scratch_load_b32 v68, off, off offset:124 ; 4-byte Folded Reload
	v_fma_f32 v66, v66, v248, -v67
	s_clause 0x1
	scratch_load_b32 v67, off, off offset:716
	scratch_load_b32 v248, off, off offset:1228 th:TH_LOAD_LU
	s_wait_loadcnt 0x5
	v_mul_i32_i24_e32 v98, v37, v73
	scratch_load_b32 v73, off, off offset:564 ; 4-byte Folded Reload
	s_wait_loadcnt 0x3
	v_mul_i32_i24_e32 v68, v65, v68
	s_wait_loadcnt 0x2
	v_add_f32_e32 v67, v67, v66
	v_mul_i32_i24_e32 v66, v63, v135
	scratch_store_b32 off, v67, off offset:716 ; 4-byte Folded Spill
	v_mul_i32_i24_e32 v67, v64, v88
	v_mad_i32_i24 v66, v48, v145, v66
	v_mov_b32_e32 v145, v244
	s_clause 0x1
	scratch_load_b32 v244, off, off offset:1220 th:TH_LOAD_LU
	scratch_load_b32 v88, off, off offset:1140
	v_add3_u32 v66, v66, v67, v68
	scratch_load_b32 v68, off, off offset:128 ; 4-byte Folded Reload
	v_mul_i32_i24_e32 v67, v49, v87
	scratch_load_b32 v87, off, off offset:1124 ; 4-byte Folded Reload
	s_wait_loadcnt 0x4
	v_mul_i32_i24_e32 v99, v38, v73
	scratch_load_b32 v73, off, off offset:568 ; 4-byte Folded Reload
	s_wait_loadcnt 0x2
	v_mul_i32_i24_e32 v68, v50, v68
	s_delay_alu instid0(VALU_DEP_1)
	v_add3_u32 v66, v66, v67, v68
	v_mul_i32_i24_e32 v68, v31, v175
	scratch_load_b32 v67, off, off offset:584 ; 4-byte Folded Reload
	v_add3_u32 v66, v66, v69, v70
	v_mul_i32_i24_e32 v69, v32, v195
	v_mul_i32_i24_e32 v70, v33, v246
	v_mad_i32_i24 v68, v16, v242, v68
	scratch_load_b32 v242, off, off offset:1224 th:TH_LOAD_LU ; 4-byte Folded Reload
	v_add3_u32 v66, v66, v71, v72
	v_mul_i32_i24_e32 v71, v19, v191
	v_mul_i32_i24_e32 v72, v20, v188
	v_add3_u32 v68, v68, v69, v70
	scratch_load_b32 v69, off, off offset:588 ; 4-byte Folded Reload
	v_mul_i32_i24_e32 v70, v18, v222
	v_add3_u32 v66, v66, v76, v77
	v_mul_i32_i24_e32 v76, v21, v190
	v_mul_i32_i24_e32 v77, v22, v189
	scratch_load_b32 v222, off, off offset:500 ; 4-byte Folded Reload
	v_add3_u32 v66, v66, v78, v79
	v_mul_i32_i24_e32 v79, v24, v192
	s_delay_alu instid0(VALU_DEP_2) | instskip(SKIP_2) | instid1(VALU_DEP_3)
	v_add3_u32 v66, v66, v80, v81
	v_mul_i32_i24_e32 v80, v25, v196
	v_mul_i32_i24_e32 v81, v26, v199
	v_add3_u32 v66, v66, v82, v92
	v_mul_i32_i24_e32 v82, v27, v198
	v_mul_i32_i24_e32 v92, v28, v200
	s_delay_alu instid0(VALU_DEP_3) | instskip(SKIP_2) | instid1(VALU_DEP_3)
	v_add3_u32 v66, v66, v94, v95
	v_mul_i32_i24_e32 v94, v29, v201
	v_mul_i32_i24_e32 v95, v30, v203
	v_add3_u32 v66, v66, v96, v97
	v_mul_i32_i24_e32 v96, v2, v202
	v_mul_i32_i24_e32 v97, v3, v204
	s_delay_alu instid0(VALU_DEP_3)
	v_add3_u32 v66, v66, v98, v99
	v_mul_i32_i24_e32 v98, v4, v205
	v_mul_i32_i24_e32 v99, v5, v207
	scratch_load_b32 v207, off, off offset:1132 ; 4-byte Folded Reload
	s_wait_loadcnt 0x5
	v_mul_i32_i24_e32 v101, v40, v73
	scratch_load_b32 v73, off, off offset:572 ; 4-byte Folded Reload
	v_add3_u32 v66, v66, v100, v101
	v_mul_i32_i24_e32 v100, v6, v206
	v_mul_i32_i24_e32 v101, v7, v208
	scratch_load_b32 v208, off, off offset:1136 ; 4-byte Folded Reload
	s_wait_loadcnt 0x4
	v_mul_i32_i24_e32 v69, v17, v69
	s_delay_alu instid0(VALU_DEP_1)
	v_add3_u32 v68, v68, v69, v70
	s_wait_loadcnt 0x3
	v_mul_i32_i24_e32 v78, v23, v222
	s_clause 0x1
	scratch_load_b32 v69, off, off offset:100
	scratch_load_b32 v70, off, off offset:244
	v_add3_u32 v68, v68, v71, v72
	s_clause 0x1
	scratch_load_b32 v71, off, off offset:248
	scratch_load_b32 v72, off, off offset:252
	v_add3_u32 v68, v68, v76, v77
	s_delay_alu instid0(VALU_DEP_1) | instskip(NEXT) | instid1(VALU_DEP_1)
	v_add3_u32 v68, v68, v78, v79
	v_add3_u32 v68, v68, v80, v81
	v_mul_i32_i24_e32 v80, v59, v158
	v_mul_i32_i24_e32 v81, v60, v221
	scratch_load_b32 v221, off, off offset:916 th:TH_LOAD_LU ; 4-byte Folded Reload
	v_mov_b32_e32 v158, v189
	v_add3_u32 v68, v68, v82, v92
	v_mul_i32_i24_e32 v82, v61, v227
	v_mul_i32_i24_e32 v92, v62, v228
	s_clause 0x1
	scratch_load_b32 v227, off, off offset:1164 th:TH_LOAD_LU
	scratch_load_b32 v228, off, off offset:1144
	v_add3_u32 v68, v68, v94, v95
	s_delay_alu instid0(VALU_DEP_1) | instskip(NEXT) | instid1(VALU_DEP_1)
	v_add3_u32 v68, v68, v96, v97
	v_add3_u32 v68, v68, v98, v99
	v_mul_i32_i24_e32 v98, v37, v214
	v_mul_i32_i24_e32 v37, v37, v87
	s_delay_alu instid0(VALU_DEP_3)
	v_add3_u32 v68, v68, v100, v101
	v_mul_i32_i24_e32 v100, v39, v216
	s_wait_loadcnt 0x9
	v_mul_i32_i24_e32 v39, v39, v207
	s_wait_loadcnt 0x8
	v_mul_i32_i24_e32 v109, v41, v73
	scratch_load_b32 v73, off, off offset:820 ; 4-byte Folded Reload
	v_add3_u32 v66, v66, v109, v112
	v_mul_i32_i24_e32 v109, v8, v209
	v_mul_i32_i24_e32 v112, v9, v211
	scratch_load_b32 v211, off, off offset:288 ; 4-byte Folded Reload
	v_add3_u32 v68, v68, v109, v112
	v_mul_i32_i24_e32 v112, v42, v130
	v_mul_i32_i24_e32 v42, v42, v89
	scratch_load_b32 v89, off, off offset:224 ; 4-byte Folded Reload
	s_wait_loadcnt 0x8
	v_mul_i32_i24_e32 v70, v52, v70
	s_wait_loadcnt 0x7
	v_mul_i32_i24_e32 v71, v53, v71
	;; [unrolled: 2-line block ×4, first 2 shown]
	scratch_load_b32 v73, off, off offset:824 ; 4-byte Folded Reload
	v_add3_u32 v66, v66, v114, v115
	v_mul_i32_i24_e32 v114, v10, v210
	v_mul_i32_i24_e32 v115, v11, v212
	s_wait_loadcnt 0x2
	v_mul_i32_i24_e32 v95, v34, v211
	v_mul_i32_i24_e32 v34, v34, v75
	s_delay_alu instid0(VALU_DEP_3)
	v_add3_u32 v68, v68, v114, v115
	v_mul_i32_i24_e32 v114, v43, v233
	v_mul_i32_i24_e32 v115, v44, v235
	s_wait_loadcnt 0x1
	v_mul_i32_i24_e32 v43, v43, v89
	s_wait_loadcnt 0x0
	v_mul_i32_i24_e32 v122, v45, v73
	scratch_load_b32 v73, off, off offset:828 ; 4-byte Folded Reload
	s_wait_loadcnt 0x0
	v_mul_i32_i24_e32 v123, v46, v73
	scratch_load_b32 v73, off, off offset:256 ; 4-byte Folded Reload
	v_add3_u32 v66, v66, v122, v123
	v_mul_i32_i24_e32 v122, v12, v213
	v_mul_i32_i24_e32 v123, v13, v215
	s_clause 0x1
	scratch_load_b32 v213, off, off offset:292
	scratch_load_b32 v215, off, off offset:300
	v_mul_lo_u32 v66, v66, v67
	v_fma_mix_f32 v67, v171, v0, 0 op_sel:[0,1,0] op_sel_hi:[0,1,0]
	v_add3_u32 v68, v68, v122, v123
	v_mul_i32_i24_e32 v122, v45, v236
	v_mul_i32_i24_e32 v123, v46, v240
	;; [unrolled: 1-line block ×3, first 2 shown]
	v_fma_mix_f32 v67, v218, v1, v67 op_sel:[0,1,0] op_sel_hi:[0,1,0]
	v_add3_u32 v68, v68, v126, v127
	v_cvt_f32_i32_e32 v66, v66
	scratch_load_b32 v218, off, off offset:900 th:TH_LOAD_LU ; 4-byte Folded Reload
	v_mul_i32_i24_e32 v126, v14, v138
	v_mul_f32_e32 v67, v67, v219
	v_mul_lo_u32 v68, v68, v217
	v_fma_mix_f32 v66, v0, v66, 0 op_sel_hi:[1,0,0]
	s_clause 0x1
	scratch_load_b32 v217, off, off offset:304
	scratch_load_b32 v219, off, off offset:908 th:TH_LOAD_LU
	v_mul_i32_i24_e32 v127, v15, v140
	v_mul_i32_i24_e32 v46, v46, v90
	scratch_load_b32 v90, off, off offset:200 ; 4-byte Folded Reload
	v_mul_i32_i24_e32 v14, v14, v124
	v_cvt_f32_i32_e32 v68, v68
	v_mul_i32_i24_e32 v15, v15, v128
	s_delay_alu instid0(VALU_DEP_2)
	v_fma_mix_f32 v66, v1, v68, v66 op_sel_hi:[1,0,0]
	scratch_load_b32 v68, off, off offset:104 ; 4-byte Folded Reload
	v_fma_f32 v66, v66, v220, -v67
	s_clause 0x1
	scratch_load_b32 v67, off, off offset:712
	scratch_load_b32 v220, off, off offset:904 th:TH_LOAD_LU
	s_wait_loadcnt 0x9
	v_mul_i32_i24_e32 v76, v55, v73
	scratch_load_b32 v73, off, off offset:260 ; 4-byte Folded Reload
	s_wait_loadcnt 0x9
	v_mul_i32_i24_e32 v97, v36, v213
	s_wait_loadcnt 0x8
	v_mul_i32_i24_e32 v99, v38, v215
	v_mul_i32_i24_e32 v36, v36, v86
	;; [unrolled: 1-line block ×3, first 2 shown]
	s_wait_loadcnt 0x6
	v_mul_i32_i24_e32 v101, v40, v217
	v_mul_i32_i24_e32 v40, v40, v208
	s_wait_loadcnt 0x3
	v_mul_i32_i24_e32 v68, v65, v68
	s_wait_loadcnt 0x2
	v_add_f32_e32 v67, v67, v66
	v_mul_i32_i24_e32 v66, v63, v148
	s_wait_loadcnt 0x1
	v_mul_i32_i24_e32 v109, v41, v220
	v_mul_i32_i24_e32 v41, v41, v228
	scratch_store_b32 off, v67, off offset:712 ; 4-byte Folded Spill
	v_mul_i32_i24_e32 v67, v64, v176
	v_mad_i32_i24 v66, v48, v69, v66
	scratch_load_b32 v69, off, off offset:112 ; 4-byte Folded Reload
	v_add3_u32 v66, v66, v67, v68
	scratch_load_b32 v67, off, off offset:108 ; 4-byte Folded Reload
	v_mul_i32_i24_e32 v68, v50, v247
	v_mul_i32_i24_e32 v50, v50, v167
	s_wait_loadcnt 0x2
	v_mul_i32_i24_e32 v77, v56, v73
	scratch_load_b32 v73, off, off offset:264 ; 4-byte Folded Reload
	s_wait_loadcnt 0x2
	v_mul_i32_i24_e32 v69, v51, v69
	v_mul_i32_i24_e32 v51, v51, v169
	s_wait_loadcnt 0x1
	v_mul_i32_i24_e32 v67, v49, v67
	v_mul_i32_i24_e32 v49, v49, v168
	s_delay_alu instid0(VALU_DEP_2) | instskip(SKIP_3) | instid1(VALU_DEP_4)
	v_add3_u32 v66, v66, v67, v68
	v_mul_i32_i24_e32 v68, v31, v221
	v_fma_mix_f32 v67, v219, v0, 0 op_sel:[0,1,0] op_sel_hi:[0,1,0]
	v_mul_i32_i24_e32 v31, v31, v83
	v_add3_u32 v66, v66, v69, v70
	v_mul_i32_i24_e32 v69, v32, v223
	v_mul_i32_i24_e32 v70, v33, v141
	v_mad_i32_i24 v68, v16, v224, v68
	v_fma_mix_f32 v67, v254, v1, v67 op_sel:[0,1,0] op_sel_hi:[0,1,0]
	v_add3_u32 v66, v66, v71, v72
	v_mul_i32_i24_e32 v71, v19, v238
	v_mul_i32_i24_e32 v72, v20, v239
	v_add3_u32 v68, v68, v69, v70
	v_mul_i32_i24_e32 v69, v17, v234
	v_add3_u32 v66, v66, v76, v77
	v_mul_i32_i24_e32 v70, v18, v237
	v_mul_i32_i24_e32 v76, v21, v241
	;; [unrolled: 1-line block ×3, first 2 shown]
	v_mul_f32_e32 v67, v67, v255
	v_mul_i32_i24_e32 v22, v22, v103
	v_add3_u32 v68, v68, v69, v70
	scratch_load_b32 v103, off, off offset:216 ; 4-byte Folded Reload
	v_mul_i32_i24_e32 v32, v32, v84
	v_mul_i32_i24_e32 v33, v33, v131
	v_mad_i32_i24 v16, v16, v159, v31
	v_add3_u32 v68, v68, v71, v72
	v_mul_i32_i24_e32 v17, v17, v157
	v_mul_i32_i24_e32 v18, v18, v90
	;; [unrolled: 1-line block ×3, first 2 shown]
	v_add3_u32 v16, v16, v32, v33
	v_add3_u32 v68, v68, v76, v77
	v_mov_b32_e32 v157, v188
	s_delay_alu instid0(VALU_DEP_3)
	v_add3_u32 v16, v16, v17, v18
	s_wait_loadcnt 0x1
	v_mul_i32_i24_e32 v78, v57, v73
	scratch_load_b32 v73, off, off offset:268 ; 4-byte Folded Reload
	s_wait_loadcnt 0x0
	v_mul_i32_i24_e32 v79, v58, v73
	scratch_load_b32 v73, off, off offset:116 ; 4-byte Folded Reload
	v_add3_u32 v66, v66, v78, v79
	v_mul_i32_i24_e32 v78, v23, v230
	v_mul_i32_i24_e32 v79, v24, v244
	;; [unrolled: 1-line block ×3, first 2 shown]
	v_mov_b32_e32 v102, v164
	v_add3_u32 v66, v66, v80, v81
	v_mul_i32_i24_e32 v80, v25, v231
	scratch_load_b32 v231, off, off offset:964 th:TH_LOAD_LU ; 4-byte Folded Reload
	v_mul_i32_i24_e32 v81, v26, v232
	scratch_load_b32 v232, off, off offset:968 th:TH_LOAD_LU ; 4-byte Folded Reload
	v_add3_u32 v66, v66, v82, v92
	v_add3_u32 v68, v68, v78, v79
	v_mul_i32_i24_e32 v92, v28, v248
	v_mov_b32_e32 v164, v134
	v_mul_i32_i24_e32 v26, v26, v105
	scratch_load_b32 v105, off, off offset:892 th:TH_LOAD_LU ; 4-byte Folded Reload
	v_add3_u32 v68, v68, v80, v81
	v_mul_i32_i24_e32 v24, v24, v102
	v_mul_i32_i24_e32 v25, v25, v103
	v_mov_b32_e32 v195, v206
	s_wait_loadcnt 0x3
	v_mul_i32_i24_e32 v94, v47, v73
	scratch_load_b32 v73, off, off offset:120 ; 4-byte Folded Reload
	v_mul_i32_i24_e32 v47, v47, v226
	v_add3_u32 v66, v66, v94, v95
	v_mul_i32_i24_e32 v95, v30, v229
	scratch_load_b32 v229, off, off offset:228 ; 4-byte Folded Reload
	v_mov_b32_e32 v91, v163
	v_mul_i32_i24_e32 v30, v30, v106
	s_wait_loadcnt 0x4
	v_mul_i32_i24_e32 v82, v27, v231
	v_mul_i32_i24_e32 v27, v27, v104
	;; [unrolled: 1-line block ×3, first 2 shown]
	v_mov_b32_e32 v104, v166
	s_delay_alu instid0(VALU_DEP_4) | instskip(NEXT) | instid1(VALU_DEP_3)
	v_add3_u32 v68, v68, v82, v92
	v_add3_u32 v16, v16, v19, v20
	s_delay_alu instid0(VALU_DEP_3)
	v_mul_i32_i24_e32 v28, v28, v104
	s_wait_loadcnt 0x1
	v_mul_i32_i24_e32 v96, v35, v73
	scratch_load_b32 v73, off, off offset:884 ; 4-byte Folded Reload
	v_mul_i32_i24_e32 v35, v35, v85
	v_add3_u32 v66, v66, v96, v97
	v_mul_i32_i24_e32 v96, v2, v232
	v_mul_i32_i24_e32 v97, v3, v225
	s_wait_loadcnt 0x1
	v_mul_i32_i24_e32 v44, v44, v229
	v_mul_i32_i24_e32 v3, v3, v110
	v_add3_u32 v66, v66, v98, v99
	v_mul_i32_i24_e32 v98, v4, v250
	v_mul_i32_i24_e32 v99, v5, v252
	scratch_load_b32 v110, off, off offset:888 th:TH_LOAD_LU ; 4-byte Folded Reload
	v_mul_i32_i24_e32 v2, v2, v107
	v_add3_u32 v66, v66, v100, v101
	v_mul_i32_i24_e32 v5, v5, v113
	v_mov_b32_e32 v250, v232
	v_mov_b32_e32 v252, v225
	s_delay_alu instid0(VALU_DEP_4)
	v_add3_u32 v66, v66, v109, v112
	v_mul_i32_i24_e32 v109, v8, v251
	v_mul_i32_i24_e32 v112, v9, v134
	v_mul_i32_i24_e32 v8, v8, v117
	v_mul_i32_i24_e32 v9, v9, v119
	v_add3_u32 v66, v66, v114, v115
	v_mul_i32_i24_e32 v114, v10, v253
	v_mul_i32_i24_e32 v115, v11, v136
	v_mul_i32_i24_e32 v10, v10, v118
	v_mul_i32_i24_e32 v11, v11, v120
	;; [unrolled: 5-line block ×3, first 2 shown]
	v_mul_lo_u32 v66, v66, v218
	s_delay_alu instid0(VALU_DEP_1) | instskip(NEXT) | instid1(VALU_DEP_1)
	v_cvt_f32_i32_e32 v66, v66
	v_fma_mix_f32 v66, v0, v66, 0 op_sel_hi:[1,0,0]
	s_wait_loadcnt 0x1
	v_mul_i32_i24_e32 v94, v29, v73
	scratch_load_b32 v73, off, off offset:872 ; 4-byte Folded Reload
	v_mul_i32_i24_e32 v29, v29, v105
	v_add3_u32 v68, v68, v94, v95
	s_delay_alu instid0(VALU_DEP_1) | instskip(SKIP_2) | instid1(VALU_DEP_2)
	v_add3_u32 v68, v68, v96, v97
	s_wait_loadcnt 0x1
	v_mul_i32_i24_e32 v4, v4, v110
	v_add3_u32 v68, v68, v98, v99
	s_wait_loadcnt 0x0
	v_mul_i32_i24_e32 v100, v6, v73
	scratch_load_b32 v73, off, off offset:876 ; 4-byte Folded Reload
	v_mul_i32_i24_e32 v6, v6, v111
	s_wait_loadcnt 0x0
	v_mul_i32_i24_e32 v101, v7, v73
	v_mul_i32_i24_e32 v7, v7, v116
	s_delay_alu instid0(VALU_DEP_2) | instskip(NEXT) | instid1(VALU_DEP_1)
	v_add3_u32 v68, v68, v100, v101
	v_add3_u32 v68, v68, v109, v112
	s_delay_alu instid0(VALU_DEP_1) | instskip(NEXT) | instid1(VALU_DEP_1)
	v_add3_u32 v68, v68, v114, v115
	v_add3_u32 v68, v68, v122, v123
	s_delay_alu instid0(VALU_DEP_1) | instskip(NEXT) | instid1(VALU_DEP_1)
	v_add3_u32 v68, v68, v126, v127
	v_mul_lo_u32 v68, v68, v227
	s_delay_alu instid0(VALU_DEP_1) | instskip(NEXT) | instid1(VALU_DEP_1)
	v_cvt_f32_i32_e32 v68, v68
	v_fma_mix_f32 v66, v1, v68, v66 op_sel_hi:[1,0,0]
	s_delay_alu instid0(VALU_DEP_1)
	v_fma_f32 v66, v66, v249, -v67
	scratch_load_b32 v67, off, off offset:708 ; 4-byte Folded Reload
	s_wait_loadcnt 0x0
	v_add_f32_e32 v67, v67, v66
	scratch_load_b32 v66, off, off offset:644 ; 4-byte Folded Reload
	s_wait_loadcnt 0x0
	v_mul_i32_i24_e32 v63, v63, v66
	scratch_load_b32 v66, off, off offset:648 ; 4-byte Folded Reload
	s_wait_loadcnt 0x0
	v_mul_i32_i24_e32 v64, v64, v66
	;; [unrolled: 3-line block ×3, first 2 shown]
	scratch_load_b32 v66, off, off offset:596 ; 4-byte Folded Reload
	s_wait_loadcnt 0x0
	v_mad_i32_i24 v48, v48, v66, v63
	scratch_load_b32 v63, off, off offset:600 ; 4-byte Folded Reload
	v_add3_u32 v48, v48, v64, v65
	s_delay_alu instid0(VALU_DEP_1)
	v_add3_u32 v48, v48, v49, v50
	s_wait_loadcnt 0x0
	v_mul_i32_i24_e32 v52, v52, v63
	scratch_load_b32 v63, off, off offset:604 ; 4-byte Folded Reload
	v_add3_u32 v48, v48, v51, v52
	s_wait_loadcnt 0x0
	v_mul_i32_i24_e32 v53, v53, v63
	scratch_load_b32 v63, off, off offset:608 ; 4-byte Folded Reload
	s_wait_loadcnt 0x0
	v_mul_i32_i24_e32 v54, v54, v63
	scratch_load_b32 v63, off, off offset:612 ; 4-byte Folded Reload
	v_add3_u32 v48, v48, v53, v54
	s_wait_loadcnt 0x0
	v_mul_i32_i24_e32 v55, v55, v63
	scratch_load_b32 v63, off, off offset:616 ; 4-byte Folded Reload
	;; [unrolled: 7-line block ×5, first 2 shown]
	s_wait_loadcnt 0x0
	v_mul_i32_i24_e32 v62, v62, v63
	s_delay_alu instid0(VALU_DEP_1) | instskip(NEXT) | instid1(VALU_DEP_1)
	v_add3_u32 v48, v48, v61, v62
	v_add3_u32 v34, v48, v47, v34
	s_delay_alu instid0(VALU_DEP_1) | instskip(NEXT) | instid1(VALU_DEP_1)
	v_add3_u32 v34, v34, v35, v36
	v_add3_u32 v34, v34, v37, v38
	;; [unrolled: 3-line block ×4, first 2 shown]
	s_delay_alu instid0(VALU_DEP_1) | instskip(NEXT) | instid1(VALU_DEP_1)
	v_mul_lo_u32 v34, v34, v88
	v_cvt_f32_i32_e32 v34, v34
	s_delay_alu instid0(VALU_DEP_1)
	v_fma_mix_f32 v34, v0, v34, 0 op_sel_hi:[1,0,0]
	v_fma_mix_f32 v0, v93, v0, 0 op_sel:[0,1,0] op_sel_hi:[0,1,0]
	scratch_load_b32 v93, off, off offset:204 ; 4-byte Folded Reload
	v_fma_mix_f32 v0, v108, v1, v0 op_sel:[0,1,0] op_sel_hi:[0,1,0]
	s_wait_loadcnt 0x0
	v_mul_i32_i24_e32 v21, v21, v93
	s_delay_alu instid0(VALU_DEP_1) | instskip(NEXT) | instid1(VALU_DEP_1)
	v_add3_u32 v16, v16, v21, v22
	v_add3_u32 v16, v16, v23, v24
	s_delay_alu instid0(VALU_DEP_1) | instskip(NEXT) | instid1(VALU_DEP_1)
	v_add3_u32 v16, v16, v25, v26
	v_add3_u32 v16, v16, v27, v28
	;; [unrolled: 3-line block ×6, first 2 shown]
	s_delay_alu instid0(VALU_DEP_1) | instskip(NEXT) | instid1(VALU_DEP_1)
	v_mul_lo_u32 v2, v2, v129
	v_cvt_f32_i32_e32 v2, v2
	s_delay_alu instid0(VALU_DEP_1)
	v_fma_mix_f32 v2, v1, v2, v34 op_sel_hi:[1,0,0]
	scratch_load_b32 v1, off, off offset:20 ; 4-byte Folded Reload
	s_wait_loadcnt 0x0
	v_dual_mov_b32 v245, v161 :: v_dual_mul_f32 v0, v0, v1
	scratch_load_b32 v1, off, off offset:4  ; 4-byte Folded Reload
	s_wait_loadcnt 0x0
	v_fma_f32 v0, v2, v1, -v0
	scratch_load_b32 v1, off, off offset:704 ; 4-byte Folded Reload
	s_wait_loadcnt 0x0
	v_add_f32_e32 v1, v1, v0
	scratch_load_b32 v0, off, off offset:1276 ; 4-byte Folded Reload
	s_clause 0x1
	scratch_store_b32 off, v67, off offset:708
	scratch_store_b32 off, v1, off offset:704
	s_wait_loadcnt 0x0
	v_or_b32_e32 v0, s11, v0
	s_delay_alu instid0(VALU_DEP_1)
	v_lshlrev_b32_e32 v1, 2, v0
	ds_load_b128 v[13:16], v1 offset:16896
	ds_load_b128 v[17:20], v1 offset:16912
	;; [unrolled: 1-line block ×4, first 2 shown]
	s_clause 0x17
	scratch_load_b32 v100, off, off offset:476
	scratch_load_b32 v106, off, off offset:480
	;; [unrolled: 1-line block ×24, first 2 shown]
	s_wait_dscnt 0x2
	v_bfe_i32 v38, v19, 16, 8
	v_bfe_i32 v36, v19, 0, 8
	;; [unrolled: 1-line block ×3, first 2 shown]
	v_ashrrev_i32_e32 v19, 24, v19
	v_bfe_i32 v39, v20, 0, 8
	v_bfe_i32 v40, v20, 8, 8
	;; [unrolled: 1-line block ×3, first 2 shown]
	s_clause 0xf
	scratch_load_b32 v131, off, off offset:372
	scratch_load_b32 v170, off, off offset:352
	;; [unrolled: 1-line block ×16, first 2 shown]
	v_ashrrev_i32_e32 v20, 24, v20
	v_bfe_i32 v2, v13, 0, 8
	v_bfe_i32 v3, v13, 8, 8
	v_bfe_i32 v5, v13, 16, 8
	v_ashrrev_i32_e32 v6, 24, v13
	v_bfe_i32 v4, v14, 0, 8
	v_bfe_i32 v7, v14, 8, 8
	v_bfe_i32 v8, v14, 16, 8
	v_ashrrev_i32_e32 v9, 24, v14
	v_bfe_i32 v10, v15, 0, 8
	v_bfe_i32 v11, v15, 8, 8
	v_bfe_i32 v12, v15, 16, 8
	v_ashrrev_i32_e32 v13, 24, v15
	v_bfe_i32 v14, v16, 0, 8
	v_bfe_i32 v15, v16, 8, 8
	v_bfe_i32 v29, v16, 16, 8
	v_ashrrev_i32_e32 v16, 24, v16
	v_bfe_i32 v30, v17, 0, 8
	v_bfe_i32 v31, v17, 8, 8
	v_bfe_i32 v32, v17, 16, 8
	v_ashrrev_i32_e32 v17, 24, v17
	v_bfe_i32 v33, v18, 0, 8
	v_bfe_i32 v34, v18, 8, 8
	v_bfe_i32 v35, v18, 16, 8
	v_ashrrev_i32_e32 v18, 24, v18
	s_wait_dscnt 0x0
	v_bfe_i32 v61, v27, 8, 8
	v_bfe_i32 v62, v27, 16, 8
	;; [unrolled: 1-line block ×3, first 2 shown]
	v_ashrrev_i32_e32 v27, 24, v27
	v_bfe_i32 v42, v21, 0, 8
	v_bfe_i32 v43, v21, 8, 8
	v_bfe_i32 v44, v21, 16, 8
	v_ashrrev_i32_e32 v21, 24, v21
	v_bfe_i32 v64, v28, 8, 8
	v_bfe_i32 v45, v22, 0, 8
	v_bfe_i32 v46, v22, 8, 8
	v_bfe_i32 v47, v22, 16, 8
	v_ashrrev_i32_e32 v22, 24, v22
	v_bfe_i32 v65, v28, 16, 8
	;; [unrolled: 5-line block ×3, first 2 shown]
	v_bfe_i32 v52, v24, 8, 8
	v_bfe_i32 v53, v24, 16, 8
	v_ashrrev_i32_e32 v24, 24, v24
	v_bfe_i32 v54, v25, 0, 8
	v_bfe_i32 v55, v25, 8, 8
	v_bfe_i32 v56, v25, 16, 8
	v_ashrrev_i32_e32 v25, 24, v25
	v_bfe_i32 v57, v26, 0, 8
	;; [unrolled: 4-line block ×3, first 2 shown]
	v_lshrrev_b32_e32 v0, 1, v0
	v_ashrrev_i32_e32 v28, 24, v28
	s_clause 0x2
	scratch_load_b32 v142, off, off offset:124
	scratch_load_b32 v188, off, off offset:232
	;; [unrolled: 1-line block ×3, first 2 shown]
	ds_load_b64 v[0:1], v0 offset:27200
	s_clause 0xa
	scratch_load_b32 v249, off, off offset:884 th:TH_LOAD_LU
	scratch_load_b32 v251, off, off offset:1040 th:TH_LOAD_LU
	scratch_load_b32 v253, off, off offset:1064 th:TH_LOAD_LU
	scratch_load_b32 v107, off, off offset:1100 th:TH_LOAD_LU
	scratch_load_b32 v108, off, off offset:1104 th:TH_LOAD_LU
	scratch_load_b32 v255, off, off offset:1052 th:TH_LOAD_LU
	scratch_load_b32 v254, off, off offset:872 th:TH_LOAD_LU
	scratch_load_b32 v129, off, off offset:876 th:TH_LOAD_LU
	scratch_load_b32 v134, off, off offset:1068 th:TH_LOAD_LU
	scratch_load_b32 v232, off, off offset:664
	scratch_load_b32 v225, off, off offset:1156
	s_wait_loadcnt 0x35
	v_mul_i32_i24_e32 v100, v100, v36
	s_wait_loadcnt 0x34
	v_mul_i32_i24_e32 v109, v106, v38
	scratch_load_b32 v106, off, off offset:132 ; 4-byte Folded Reload
	s_wait_loadcnt 0x33
	v_mul_i32_i24_e32 v95, v181, v17
	s_wait_loadcnt 0x32
	v_mul_i32_i24_e32 v96, v186, v33
	;; [unrolled: 2-line block ×17, first 2 shown]
	s_wait_loadcnt 0x1e
	v_mad_i32_i24 v66, v131, v3, v66
	s_delay_alu instid0(VALU_DEP_1)
	v_add3_u32 v66, v66, v67, v68
	v_mul_i32_i24_e32 v67, v149, v4
	v_mul_i32_i24_e32 v68, v74, v7
	s_wait_loadcnt 0x16
	v_mul_i32_i24_e32 v78, v178, v14
	s_wait_loadcnt 0x15
	v_mul_i32_i24_e32 v81, v175, v16
	s_wait_loadcnt 0x14
	v_mul_i32_i24_e32 v82, v180, v30
	s_wait_loadcnt 0x13
	v_mul_i32_i24_e32 v92, v179, v31
	v_add3_u32 v66, v66, v67, v68
	s_wait_loadcnt 0x12
	v_mul_i32_i24_e32 v80, v176, v29
	s_clause 0x1
	scratch_load_b32 v67, off, off offset:32
	scratch_load_b32 v68, off, off offset:92
	v_add3_u32 v66, v66, v69, v70
	v_mul_i32_i24_e32 v69, v151, v44
	v_mul_i32_i24_e32 v70, v154, v21
	scratch_load_b32 v151, off, off offset:388 ; 4-byte Folded Reload
	v_add3_u32 v66, v66, v71, v72
	scratch_load_b32 v71, off, off offset:36 ; 4-byte Folded Reload
	v_mul_i32_i24_e32 v72, v152, v22
	scratch_load_b32 v152, off, off offset:392 ; 4-byte Folded Reload
	v_add3_u32 v66, v66, v76, v77
	s_clause 0x1
	scratch_load_b32 v76, off, off offset:44
	scratch_load_b32 v77, off, off offset:40
	v_add3_u32 v66, v66, v78, v79
	v_mul_i32_i24_e32 v78, v165, v50
	v_mul_i32_i24_e32 v79, v150, v23
	scratch_load_b32 v165, off, off offset:324 ; 4-byte Folded Reload
	v_add3_u32 v66, v66, v80, v81
	v_mul_i32_i24_e32 v80, v143, v51
	v_mul_i32_i24_e32 v81, v153, v52
	scratch_load_b32 v143, off, off offset:328 ; 4-byte Folded Reload
	v_add3_u32 v66, v66, v82, v92
	s_delay_alu instid0(VALU_DEP_1)
	v_add3_u32 v66, v66, v94, v95
	s_wait_loadcnt 0x1a
	v_mul_i32_i24_e32 v94, v163, v54
	s_wait_loadcnt 0x19
	v_mul_i32_i24_e32 v95, v162, v55
	v_add3_u32 v66, v66, v96, v97
	s_wait_loadcnt 0x18
	v_mul_i32_i24_e32 v96, v161, v56
	v_mul_i32_i24_e32 v97, v230, v25
	s_delay_alu instid0(VALU_DEP_3)
	v_add3_u32 v66, v66, v98, v99
	s_clause 0x1
	scratch_load_b32 v98, off, off offset:56
	scratch_load_b32 v99, off, off offset:52
	v_add3_u32 v66, v66, v100, v101
	s_clause 0x1
	scratch_load_b32 v100, off, off offset:48
	scratch_load_b32 v101, off, off offset:180
	s_wait_loadcnt 0xd
	v_mul_i32_i24_e32 v112, v106, v19
	scratch_load_b32 v106, off, off offset:28 ; 4-byte Folded Reload
	v_add3_u32 v66, v66, v109, v112
	v_mul_i32_i24_e32 v109, v173, v60
	scratch_load_b32 v173, off, off offset:364 ; 4-byte Folded Reload
	s_wait_loadcnt 0xd
	v_mul_i32_i24_e32 v68, v68, v42
	s_wait_loadcnt 0xc
	v_mul_i32_i24_e32 v92, v151, v24
	s_wait_loadcnt 0xb
	s_delay_alu instid0(VALU_DEP_2)
	v_mad_i32_i24 v68, v71, v43, v68
	scratch_load_b32 v71, off, off offset:168 ; 4-byte Folded Reload
	s_wait_loadcnt 0xb
	v_mul_i32_i24_e32 v82, v152, v53
	v_add3_u32 v68, v68, v69, v70
	s_clause 0x1
	scratch_load_b32 v69, off, off offset:176
	scratch_load_b32 v70, off, off offset:172
	s_wait_loadcnt 0xc
	v_mul_i32_i24_e32 v76, v76, v48
	s_wait_loadcnt 0xb
	v_mul_i32_i24_e32 v77, v77, v49
	s_wait_loadcnt 0x8
	v_mul_i32_i24_e32 v98, v98, v57
	s_wait_loadcnt 0x7
	v_mul_i32_i24_e32 v99, v99, v58
	s_wait_loadcnt 0x6
	v_mul_i32_i24_e32 v100, v100, v59
	s_wait_loadcnt 0x5
	v_mul_i32_i24_e32 v101, v101, v26
	s_wait_loadcnt 0x4
	v_mul_i32_i24_e32 v114, v106, v39
	scratch_load_b32 v106, off, off offset:24 ; 4-byte Folded Reload
	s_wait_loadcnt 0x3
	v_mul_i32_i24_e32 v71, v71, v47
	s_wait_loadcnt 0x2
	v_mul_i32_i24_e32 v69, v69, v45
	;; [unrolled: 2-line block ×3, first 2 shown]
	s_delay_alu instid0(VALU_DEP_1) | instskip(SKIP_4) | instid1(VALU_DEP_2)
	v_add3_u32 v68, v68, v69, v70
	scratch_load_b32 v69, off, off offset:84 ; 4-byte Folded Reload
	v_mul_i32_i24_e32 v70, v9, v172
	v_add3_u32 v68, v68, v71, v72
	v_mul_i32_i24_e32 v71, v10, v173
	v_add3_u32 v68, v68, v76, v77
	s_clause 0x1
	scratch_load_b32 v76, off, off offset:544
	scratch_load_b32 v77, off, off offset:548
	v_add3_u32 v68, v68, v78, v79
	v_mul_i32_i24_e32 v78, v14, v166
	v_mul_i32_i24_e32 v79, v15, v167
	s_delay_alu instid0(VALU_DEP_3) | instskip(SKIP_2) | instid1(VALU_DEP_3)
	v_add3_u32 v68, v68, v80, v81
	v_mul_i32_i24_e32 v80, v29, v168
	v_mul_i32_i24_e32 v81, v16, v169
	v_add3_u32 v68, v68, v82, v92
	s_clause 0x1
	scratch_load_b32 v82, off, off offset:552
	scratch_load_b32 v92, off, off offset:556
	v_add3_u32 v68, v68, v94, v95
	v_mul_i32_i24_e32 v94, v32, v147
	v_mul_i32_i24_e32 v95, v17, v193
	scratch_load_b32 v147, off, off offset:824 ; 4-byte Folded Reload
	v_mov_b32_e32 v193, v247
	v_add3_u32 v68, v68, v96, v97
	v_mul_i32_i24_e32 v96, v33, v194
	v_mul_i32_i24_e32 v97, v34, v245
	s_clause 0x1
	scratch_load_b32 v194, off, off offset:112
	scratch_load_b32 v245, off, off offset:1060 th:TH_LOAD_LU
	v_add3_u32 v68, v68, v98, v99
	s_clause 0x2
	scratch_load_b32 v98, off, off offset:560
	scratch_load_b32 v99, off, off offset:564
	scratch_load_b32 v247, off, off offset:1036 th:TH_LOAD_LU
	v_add3_u32 v68, v68, v100, v101
	s_clause 0x1
	scratch_load_b32 v100, off, off offset:1024
	scratch_load_b32 v101, off, off offset:568
	s_wait_loadcnt 0xd
	v_mul_i32_i24_e32 v115, v106, v40
	scratch_load_b32 v106, off, off offset:8 ; 4-byte Folded Reload
	v_add3_u32 v66, v66, v114, v115
	s_wait_loadcnt 0xc
	v_mul_i32_i24_e32 v76, v12, v76
	s_wait_loadcnt 0xb
	v_mul_i32_i24_e32 v77, v13, v77
	;; [unrolled: 2-line block ×9, first 2 shown]
	scratch_load_b32 v106, off, off offset:136 ; 4-byte Folded Reload
	s_wait_loadcnt 0x0
	v_mul_i32_i24_e32 v123, v106, v20
	scratch_load_b32 v106, off, off offset:68 ; 4-byte Folded Reload
	v_add3_u32 v66, v66, v122, v123
	v_mul_i32_i24_e32 v122, v174, v63
	scratch_load_b32 v174, off, off offset:368 ; 4-byte Folded Reload
	v_mul_lo_u32 v66, v66, v67
	scratch_load_b32 v67, off, off offset:96 ; 4-byte Folded Reload
	v_cvt_f32_i32_e32 v66, v66
	s_wait_dscnt 0x0
	s_delay_alu instid0(VALU_DEP_1)
	v_fma_mix_f32 v66, v0, v66, 0 op_sel_hi:[1,0,0]
	s_wait_loadcnt 0x2
	v_mul_i32_i24_e32 v112, v106, v61
	scratch_load_b32 v106, off, off offset:64 ; 4-byte Folded Reload
	v_add3_u32 v68, v68, v109, v112
	s_wait_loadcnt 0x2
	v_mul_i32_i24_e32 v72, v11, v174
	s_wait_loadcnt 0x1
	v_fma_mix_f32 v67, v67, v0, 0 op_sel:[0,1,0] op_sel_hi:[0,1,0]
	s_wait_loadcnt 0x0
	v_mul_i32_i24_e32 v114, v106, v62
	scratch_load_b32 v106, off, off offset:60 ; 4-byte Folded Reload
	s_wait_loadcnt 0x0
	v_mul_i32_i24_e32 v115, v106, v27
	scratch_load_b32 v106, off, off offset:80 ; 4-byte Folded Reload
	v_add3_u32 v68, v68, v114, v115
	v_mul_i32_i24_e32 v114, v39, v145
	scratch_load_b32 v145, off, off offset:820 ; 4-byte Folded Reload
	s_wait_loadcnt 0x1
	v_mul_i32_i24_e32 v123, v106, v64
	scratch_load_b32 v106, off, off offset:76 ; 4-byte Folded Reload
	v_add3_u32 v68, v68, v122, v123
	s_wait_loadcnt 0x1
	v_mul_i32_i24_e32 v115, v40, v145
	v_mul_i32_i24_e32 v122, v41, v147
	;; [unrolled: 1-line block ×3, first 2 shown]
	s_wait_loadcnt 0x0
	v_mul_i32_i24_e32 v126, v106, v65
	scratch_load_b32 v106, off, off offset:72 ; 4-byte Folded Reload
	s_wait_loadcnt 0x0
	v_mul_i32_i24_e32 v127, v106, v28
	scratch_load_b32 v106, off, off offset:572 ; 4-byte Folded Reload
	v_add3_u32 v68, v68, v126, v127
	s_delay_alu instid0(VALU_DEP_1) | instskip(SKIP_1) | instid1(VALU_DEP_2)
	v_mul_lo_u32 v68, v68, v69
	v_mul_i32_i24_e32 v69, v8, v171
	v_cvt_f32_i32_e32 v68, v68
	s_delay_alu instid0(VALU_DEP_1)
	v_fma_mix_f32 v66, v1, v68, v66 op_sel_hi:[1,0,0]
	scratch_load_b32 v68, off, off offset:88 ; 4-byte Folded Reload
	s_wait_loadcnt 0x1
	v_mul_i32_i24_e32 v109, v38, v106
	scratch_load_b32 v106, off, off offset:576 ; 4-byte Folded Reload
	s_wait_loadcnt 0x1
	v_fma_mix_f32 v67, v68, v1, v67 op_sel:[0,1,0] op_sel_hi:[0,1,0]
	scratch_load_b32 v68, off, off offset:16 ; 4-byte Folded Reload
	s_wait_loadcnt 0x1
	v_mul_i32_i24_e32 v112, v19, v106
	scratch_load_b32 v106, off, off offset:516 ; 4-byte Folded Reload
	s_wait_loadcnt 0x1
	v_mul_f32_e32 v67, v67, v68
	scratch_load_b32 v68, off, off offset:12 ; 4-byte Folded Reload
	s_wait_loadcnt 0x0
	v_fma_f32 v66, v66, v68, -v67
	scratch_load_b32 v67, off, off offset:700 ; 4-byte Folded Reload
	v_mul_i32_i24_e32 v68, v6, v142
	s_wait_loadcnt 0x0
	v_add_f32_e32 v67, v67, v66
	v_mul_i32_i24_e32 v66, v2, v135
	scratch_store_b32 off, v67, off offset:700 ; 4-byte Folded Spill
	v_mul_i32_i24_e32 v67, v5, v165
	v_mad_i32_i24 v66, v3, v170, v66
	s_delay_alu instid0(VALU_DEP_1) | instskip(SKIP_2) | instid1(VALU_DEP_1)
	v_add3_u32 v66, v66, v67, v68
	v_mul_i32_i24_e32 v67, v4, v143
	v_mul_i32_i24_e32 v68, v7, v144
	v_add3_u32 v66, v66, v67, v68
	s_clause 0x1
	scratch_load_b32 v67, off, off offset:584
	scratch_load_b32 v68, off, off offset:1028
	v_add3_u32 v66, v66, v69, v70
	scratch_load_b32 v69, off, off offset:580 ; 4-byte Folded Reload
	v_mul_i32_i24_e32 v70, v21, v246
	v_mov_b32_e32 v246, v231
	scratch_load_b32 v231, off, off offset:1172 th:TH_LOAD_LU ; 4-byte Folded Reload
	v_add3_u32 v66, v66, v71, v72
	scratch_load_b32 v71, off, off offset:1032 ; 4-byte Folded Reload
	v_mul_i32_i24_e32 v72, v22, v157
	v_add3_u32 v66, v66, v76, v77
	v_mul_i32_i24_e32 v76, v48, v190
	v_mul_i32_i24_e32 v77, v49, v158
	scratch_load_b32 v190, off, off offset:100 ; 4-byte Folded Reload
	v_add3_u32 v66, v66, v78, v79
	v_mul_i32_i24_e32 v78, v50, v222
	v_mov_b32_e32 v222, v130
	v_mul_i32_i24_e32 v79, v23, v192
	scratch_load_b32 v192, off, off offset:108 ; 4-byte Folded Reload
	v_add3_u32 v66, v66, v80, v81
	v_mul_i32_i24_e32 v80, v51, v196
	v_mul_i32_i24_e32 v81, v52, v199
	s_clause 0x1
	scratch_load_b32 v196, off, off offset:248
	scratch_load_b32 v199, off, off offset:260
	v_add3_u32 v66, v66, v82, v92
	v_mul_i32_i24_e32 v82, v53, v198
	v_mul_i32_i24_e32 v92, v24, v200
	s_clause 0x1
	scratch_load_b32 v198, off, off offset:256
	scratch_load_b32 v200, off, off offset:264
	;; [unrolled: 6-line block ×3, first 2 shown]
	v_add3_u32 v66, v66, v96, v97
	scratch_load_b32 v97, off, off offset:504 ; 4-byte Folded Reload
	v_mul_i32_i24_e32 v96, v56, v202
	s_clause 0x1
	scratch_load_b32 v202, off, off offset:272
	scratch_load_b32 v130, off, off offset:1168 th:TH_LOAD_LU
	v_add3_u32 v66, v66, v98, v99
	scratch_load_b32 v99, off, off offset:508 ; 4-byte Folded Reload
	v_mul_i32_i24_e32 v98, v57, v205
	scratch_load_b32 v205, off, off offset:280 ; 4-byte Folded Reload
	v_add3_u32 v66, v66, v100, v101
	scratch_load_b32 v101, off, off offset:512 ; 4-byte Folded Reload
	v_mul_i32_i24_e32 v100, v59, v195
	scratch_load_b32 v195, off, off offset:244 ; 4-byte Folded Reload
	v_add3_u32 v66, v66, v109, v112
	v_mul_i32_i24_e32 v112, v61, v106
	scratch_load_b32 v106, off, off offset:520 ; 4-byte Folded Reload
	v_mul_i32_i24_e32 v109, v60, v209
	scratch_load_b32 v209, off, off offset:284 ; 4-byte Folded Reload
	v_add3_u32 v66, v66, v114, v115
	v_mul_i32_i24_e32 v114, v62, v210
	v_mul_i32_i24_e32 v115, v27, v212
	s_clause 0x1
	scratch_load_b32 v210, off, off offset:116
	scratch_load_b32 v212, off, off offset:120
	v_add3_u32 v66, v66, v122, v123
	s_wait_loadcnt 0x17
	s_delay_alu instid0(VALU_DEP_1)
	v_mul_lo_u32 v66, v66, v67
	s_wait_loadcnt 0x16
	v_mul_i32_i24_e32 v68, v42, v68
	v_fma_mix_f32 v67, v197, v0, 0 op_sel:[0,1,0] op_sel_hi:[0,1,0]
	scratch_load_b32 v197, off, off offset:252 ; 4-byte Folded Reload
	s_wait_loadcnt 0x16
	v_mul_i32_i24_e32 v69, v44, v69
	v_cvt_f32_i32_e32 v66, v66
	s_wait_loadcnt 0x14
	v_mad_i32_i24 v68, v43, v71, v68
	v_mul_i32_i24_e32 v71, v47, v191
	scratch_load_b32 v191, off, off offset:104 ; 4-byte Folded Reload
	v_fma_mix_f32 v66, v0, v66, 0 op_sel_hi:[1,0,0]
	v_add3_u32 v68, v68, v69, v70
	scratch_load_b32 v69, off, off offset:588 ; 4-byte Folded Reload
	v_mul_i32_i24_e32 v70, v46, v243
	scratch_load_b32 v243, off, off offset:1056 th:TH_LOAD_LU ; 4-byte Folded Reload
	s_wait_loadcnt 0xe
	v_mul_i32_i24_e32 v97, v25, v97
	s_wait_loadcnt 0xb
	v_mul_i32_i24_e32 v99, v58, v99
	;; [unrolled: 2-line block ×4, first 2 shown]
	scratch_load_b32 v106, off, off offset:528 ; 4-byte Folded Reload
	s_wait_loadcnt 0x2
	v_mul_i32_i24_e32 v69, v45, v69
	s_delay_alu instid0(VALU_DEP_1)
	v_add3_u32 v68, v68, v69, v70
	scratch_load_b32 v69, off, off offset:536 ; 4-byte Folded Reload
	v_mul_i32_i24_e32 v70, v9, v195
	v_add3_u32 v68, v68, v71, v72
	v_mul_i32_i24_e32 v71, v10, v196
	v_mul_i32_i24_e32 v72, v11, v197
	s_delay_alu instid0(VALU_DEP_3) | instskip(SKIP_2) | instid1(VALU_DEP_3)
	v_add3_u32 v68, v68, v76, v77
	v_mul_i32_i24_e32 v76, v12, v198
	v_mul_i32_i24_e32 v77, v13, v199
	v_add3_u32 v68, v68, v78, v79
	v_mul_i32_i24_e32 v78, v14, v200
	v_mul_i32_i24_e32 v79, v15, v201
	s_delay_alu instid0(VALU_DEP_3) | instskip(SKIP_2) | instid1(VALU_DEP_3)
	v_add3_u32 v68, v68, v80, v81
	v_mul_i32_i24_e32 v80, v29, v202
	v_mul_i32_i24_e32 v81, v16, v203
	v_add3_u32 v68, v68, v82, v92
	v_mul_i32_i24_e32 v82, v30, v205
	v_mul_i32_i24_e32 v92, v31, v209
	s_delay_alu instid0(VALU_DEP_3)
	v_add3_u32 v68, v68, v94, v95
	v_mul_i32_i24_e32 v94, v32, v210
	v_mul_i32_i24_e32 v95, v17, v211
	;; [unrolled: 1-line block ×3, first 2 shown]
	scratch_load_b32 v75, off, off offset:148 ; 4-byte Folded Reload
	v_add3_u32 v68, v68, v96, v97
	s_wait_loadcnt 0x2
	v_mul_i32_i24_e32 v123, v64, v106
	scratch_load_b32 v106, off, off offset:524 ; 4-byte Folded Reload
	v_mul_i32_i24_e32 v96, v33, v212
	v_mul_i32_i24_e32 v97, v34, v213
	v_add3_u32 v68, v68, v98, v99
	v_mul_i32_i24_e32 v98, v35, v214
	v_mul_i32_i24_e32 v99, v18, v215
	;; [unrolled: 1-line block ×3, first 2 shown]
	scratch_load_b32 v146, off, off offset:20 ; 4-byte Folded Reload
	v_add3_u32 v68, v68, v100, v101
	v_mul_i32_i24_e32 v100, v36, v216
	v_mul_i32_i24_e32 v101, v37, v217
	s_delay_alu instid0(VALU_DEP_3) | instskip(SKIP_2) | instid1(VALU_DEP_3)
	v_add3_u32 v68, v68, v109, v112
	v_mul_i32_i24_e32 v109, v38, v220
	v_mul_i32_i24_e32 v112, v19, v222
	v_add3_u32 v68, v68, v114, v115
	v_mul_i32_i24_e32 v114, v39, v233
	v_mul_i32_i24_e32 v115, v40, v235
	s_delay_alu instid0(VALU_DEP_3)
	v_add3_u32 v68, v68, v122, v123
	v_mul_i32_i24_e32 v122, v41, v236
	v_mul_i32_i24_e32 v123, v20, v240
	s_wait_loadcnt 0x1
	v_mul_i32_i24_e32 v126, v65, v106
	scratch_load_b32 v106, off, off offset:532 ; 4-byte Folded Reload
	s_wait_loadcnt 0x0
	v_mul_i32_i24_e32 v127, v28, v106
	scratch_load_b32 v106, off, off offset:1096 th:TH_LOAD_LU ; 4-byte Folded Reload
	v_add3_u32 v68, v68, v126, v127
	v_mul_i32_i24_e32 v126, v65, v138
	v_mul_i32_i24_e32 v127, v28, v140
	;; [unrolled: 1-line block ×3, first 2 shown]
	s_delay_alu instid0(VALU_DEP_4) | instskip(SKIP_1) | instid1(VALU_DEP_2)
	v_mul_lo_u32 v68, v68, v69
	v_mul_i32_i24_e32 v69, v8, v194
	v_cvt_f32_i32_e32 v68, v68
	s_delay_alu instid0(VALU_DEP_1)
	v_fma_mix_f32 v66, v1, v68, v66 op_sel_hi:[1,0,0]
	scratch_load_b32 v68, off, off offset:540 ; 4-byte Folded Reload
	s_wait_loadcnt 0x0
	v_fma_mix_f32 v67, v68, v1, v67 op_sel:[0,1,0] op_sel_hi:[0,1,0]
	scratch_load_b32 v68, off, off offset:144 ; 4-byte Folded Reload
	s_wait_loadcnt 0x0
	v_mul_f32_e32 v67, v67, v68
	scratch_load_b32 v68, off, off offset:140 ; 4-byte Folded Reload
	s_wait_loadcnt 0x0
	v_fma_f32 v66, v66, v68, -v67
	scratch_load_b32 v67, off, off offset:696 ; 4-byte Folded Reload
	v_mul_i32_i24_e32 v68, v6, v191
	s_wait_loadcnt 0x0
	v_add_f32_e32 v67, v67, v66
	v_mul_i32_i24_e32 v66, v2, v188
	scratch_store_b32 off, v67, off offset:696 ; 4-byte Folded Spill
	v_mul_i32_i24_e32 v67, v5, v189
	v_mad_i32_i24 v66, v3, v190, v66
	s_delay_alu instid0(VALU_DEP_1) | instskip(SKIP_2) | instid1(VALU_DEP_1)
	v_add3_u32 v66, v66, v67, v68
	v_mul_i32_i24_e32 v67, v4, v192
	v_mul_i32_i24_e32 v68, v7, v193
	v_add3_u32 v66, v66, v67, v68
	v_mul_i32_i24_e32 v68, v42, v221
	v_fma_mix_f32 v67, v219, v0, 0 op_sel:[0,1,0] op_sel_hi:[0,1,0]
	s_delay_alu instid0(VALU_DEP_3)
	v_add3_u32 v66, v66, v69, v70
	v_mul_i32_i24_e32 v69, v44, v223
	v_mul_i32_i24_e32 v70, v21, v141
	v_mad_i32_i24 v68, v43, v224, v68
	v_fma_mix_f32 v67, v231, v1, v67 op_sel:[0,1,0] op_sel_hi:[0,1,0]
	v_add3_u32 v66, v66, v71, v72
	v_mul_i32_i24_e32 v71, v47, v238
	v_mul_i32_i24_e32 v72, v22, v239
	v_add3_u32 v68, v68, v69, v70
	v_mul_i32_i24_e32 v69, v45, v234
	v_mul_i32_i24_e32 v70, v46, v237
	;; [unrolled: 3-line block ×3, first 2 shown]
	v_mul_f32_e32 v67, v67, v232
	v_add3_u32 v68, v68, v69, v70
	v_add3_u32 v66, v66, v78, v79
	v_mul_i32_i24_e32 v78, v50, v243
	v_mul_i32_i24_e32 v79, v23, v244
	s_delay_alu instid0(VALU_DEP_4) | instskip(NEXT) | instid1(VALU_DEP_4)
	v_add3_u32 v68, v68, v71, v72
	v_add3_u32 v66, v66, v80, v81
	v_mul_i32_i24_e32 v80, v51, v245
	v_mul_i32_i24_e32 v81, v52, v247
	s_delay_alu instid0(VALU_DEP_4) | instskip(NEXT) | instid1(VALU_DEP_4)
	;; [unrolled: 5-line block ×8, first 2 shown]
	v_add3_u32 v68, v68, v98, v99
	v_add3_u32 v66, v66, v114, v115
	v_mul_i32_i24_e32 v114, v62, v134
	v_mul_i32_i24_e32 v115, v27, v136
	;; [unrolled: 1-line block ×3, first 2 shown]
	v_add3_u32 v68, v68, v100, v101
	v_add3_u32 v66, v66, v122, v123
	v_mul_i32_i24_e32 v122, v63, v137
	v_mul_i32_i24_e32 v123, v64, v139
	s_delay_alu instid0(VALU_DEP_4) | instskip(NEXT) | instid1(VALU_DEP_4)
	v_add3_u32 v68, v68, v109, v112
	v_mul_lo_u32 v66, v66, v218
	s_delay_alu instid0(VALU_DEP_2) | instskip(NEXT) | instid1(VALU_DEP_2)
	v_add3_u32 v68, v68, v114, v115
	v_cvt_f32_i32_e32 v66, v66
	s_delay_alu instid0(VALU_DEP_2) | instskip(NEXT) | instid1(VALU_DEP_2)
	v_add3_u32 v68, v68, v122, v123
	v_fma_mix_f32 v66, v0, v66, 0 op_sel_hi:[1,0,0]
	s_delay_alu instid0(VALU_DEP_2) | instskip(NEXT) | instid1(VALU_DEP_1)
	v_add3_u32 v68, v68, v126, v127
	v_mul_lo_u32 v68, v68, v227
	s_delay_alu instid0(VALU_DEP_1) | instskip(NEXT) | instid1(VALU_DEP_1)
	v_cvt_f32_i32_e32 v68, v68
	v_fma_mix_f32 v66, v1, v68, v66 op_sel_hi:[1,0,0]
	s_delay_alu instid0(VALU_DEP_1)
	v_fma_f32 v66, v66, v225, -v67
	scratch_load_b32 v67, off, off offset:692 ; 4-byte Folded Reload
	s_wait_loadcnt 0x0
	v_add_f32_e32 v67, v67, v66
	scratch_load_b32 v66, off, off offset:644 ; 4-byte Folded Reload
	s_wait_loadcnt 0x0
	v_mul_i32_i24_e32 v2, v2, v66
	scratch_load_b32 v66, off, off offset:648 ; 4-byte Folded Reload
	s_wait_loadcnt 0x0
	v_mul_i32_i24_e32 v5, v5, v66
	;; [unrolled: 3-line block ×3, first 2 shown]
	scratch_load_b32 v66, off, off offset:596 ; 4-byte Folded Reload
	s_wait_loadcnt 0x0
	v_mad_i32_i24 v2, v3, v66, v2
	scratch_load_b32 v3, off, off offset:1072 ; 4-byte Folded Reload
	v_add3_u32 v2, v2, v5, v6
	s_clause 0x1
	scratch_load_b32 v5, off, off offset:1048
	scratch_load_b32 v6, off, off offset:600
	s_wait_loadcnt 0x2
	v_mul_i32_i24_e32 v3, v4, v3
	scratch_load_b32 v4, off, off offset:1044 ; 4-byte Folded Reload
	s_wait_loadcnt 0x2
	v_mul_i32_i24_e32 v5, v8, v5
	scratch_load_b32 v8, off, off offset:608 ; 4-byte Folded Reload
	;; [unrolled: 3-line block ×6, first 2 shown]
	v_add3_u32 v2, v2, v3, v4
	scratch_load_b32 v3, off, off offset:496 ; 4-byte Folded Reload
	v_mul_i32_i24_e32 v4, v44, v84
	scratch_load_b32 v84, off, off offset:192 ; 4-byte Folded Reload
	v_add3_u32 v2, v2, v5, v6
	s_clause 0x1
	scratch_load_b32 v5, off, off offset:492
	scratch_load_b32 v6, off, off offset:488
	s_wait_loadcnt 0x6
	v_mul_i32_i24_e32 v7, v10, v7
	scratch_load_b32 v10, off, off offset:616 ; 4-byte Folded Reload
	s_wait_loadcnt 0x6
	v_mul_i32_i24_e32 v11, v14, v11
	scratch_load_b32 v14, off, off offset:632 ; 4-byte Folded Reload
	;; [unrolled: 3-line block ×3, first 2 shown]
	v_add3_u32 v2, v2, v7, v8
	s_wait_loadcnt 0x4
	v_mul_i32_i24_e32 v5, v21, v5
	v_mul_i32_i24_e32 v21, v58, v113
	s_wait_loadcnt 0x2
	v_mul_i32_i24_e32 v10, v13, v10
	scratch_load_b32 v13, off, off offset:628 ; 4-byte Folded Reload
	s_wait_loadcnt 0x2
	v_mul_i32_i24_e32 v14, v16, v14
	scratch_load_b32 v16, off, off offset:640 ; 4-byte Folded Reload
	s_wait_loadcnt 0x2
	v_mul_i32_i24_e32 v15, v30, v15
	v_mul_i32_i24_e32 v30, v33, v85
	;; [unrolled: 1-line block ×3, first 2 shown]
	scratch_load_b32 v207, off, off offset:220 ; 4-byte Folded Reload
	v_add3_u32 v2, v2, v9, v10
	scratch_load_b32 v85, off, off offset:196 ; 4-byte Folded Reload
	v_add3_u32 v2, v2, v11, v12
	s_wait_loadcnt 0x3
	v_mul_i32_i24_e32 v13, v29, v13
	v_mul_i32_i24_e32 v29, v32, v226
	;; [unrolled: 1-line block ×4, first 2 shown]
	v_mov_b32_e32 v228, v229
	s_clause 0x1
	scratch_load_b32 v229, off, off offset:880 th:TH_LOAD_LU
	scratch_load_b32 v226, off, off offset:1084 th:TH_LOAD_LU
	s_wait_loadcnt 0x4
	v_mul_i32_i24_e32 v16, v31, v16
	v_add3_u32 v2, v2, v13, v14
	v_mul_i32_i24_e32 v31, v34, v86
	v_mul_i32_i24_e32 v34, v37, v208
	s_wait_loadcnt 0x3
	v_mul_i32_i24_e32 v19, v19, v207
	v_mov_b32_e32 v208, v89
	v_add3_u32 v2, v2, v15, v16
	v_mul_i32_i24_e32 v37, v40, v228
	v_mov_b32_e32 v86, v90
	scratch_load_b32 v90, off, off offset:212 ; 4-byte Folded Reload
	v_mul_i32_i24_e32 v36, v39, v208
	v_add3_u32 v2, v2, v29, v17
	scratch_load_b32 v89, off, off offset:208 ; 4-byte Folded Reload
	v_mov_b32_e32 v87, v91
	v_mov_b32_e32 v91, v102
	scratch_load_b32 v102, off, off offset:1088 th:TH_LOAD_LU ; 4-byte Folded Reload
	v_add3_u32 v2, v2, v30, v31
	v_mul_i32_i24_e32 v15, v24, v104
	v_mul_i32_i24_e32 v7, v22, v87
	v_mul_i32_i24_e32 v11, v23, v91
	v_mul_i32_i24_e32 v16, v54, v105
	v_add3_u32 v2, v2, v32, v18
	v_mul_i32_i24_e32 v17, v55, v107
	v_mul_i32_i24_e32 v18, v56, v106
	v_mul_i32_i24_e32 v22, v59, v111
	v_mul_i32_i24_e32 v23, v26, v116
	;; [unrolled: 5-line block ×3, first 2 shown]
	v_add3_u32 v2, v2, v35, v19
	v_mul_i32_i24_e32 v19, v25, v108
	v_mul_i32_i24_e32 v25, v61, v119
	;; [unrolled: 1-line block ×3, first 2 shown]
	s_delay_alu instid0(VALU_DEP_4) | instskip(SKIP_4) | instid1(VALU_DEP_1)
	v_add3_u32 v2, v2, v36, v37
	s_wait_loadcnt 0x4
	v_mul_i32_i24_e32 v38, v41, v229
	s_wait_loadcnt 0x3
	v_mul_i32_i24_e32 v20, v20, v226
	v_add3_u32 v2, v2, v38, v20
	v_mul_i32_i24_e32 v20, v57, v110
	s_delay_alu instid0(VALU_DEP_2)
	v_mul_lo_u32 v2, v2, v88
	v_dual_mov_b32 v88, v93 :: v_dual_mov_b32 v93, v103
	scratch_load_b32 v103, off, off offset:1092 th:TH_LOAD_LU ; 4-byte Folded Reload
	s_wait_loadcnt 0x3
	v_mul_i32_i24_e32 v9, v49, v90
	s_wait_loadcnt 0x2
	v_mul_i32_i24_e32 v10, v50, v89
	v_mul_i32_i24_e32 v8, v48, v88
	;; [unrolled: 1-line block ×3, first 2 shown]
	v_cvt_f32_i32_e32 v2, v2
	s_wait_loadcnt 0x1
	v_mul_i32_i24_e32 v14, v53, v102
	s_delay_alu instid0(VALU_DEP_2)
	v_fma_mix_f32 v2, v0, v2, 0 op_sel_hi:[1,0,0]
	v_fma_mix_f32 v0, v3, v0, 0 op_sel:[0,1,0] op_sel_hi:[0,1,0]
	v_mul_i32_i24_e32 v3, v42, v83
	scratch_load_b32 v83, off, off offset:152 ; 4-byte Folded Reload
	v_fma_mix_f32 v0, v75, v1, v0 op_sel:[0,1,0] op_sel_hi:[0,1,0]
	v_mad_i32_i24 v3, v43, v6, v3
	v_mul_i32_i24_e32 v6, v47, v85
	s_delay_alu instid0(VALU_DEP_3) | instskip(NEXT) | instid1(VALU_DEP_3)
	v_mul_f32_e32 v0, v0, v146
	v_add3_u32 v3, v3, v4, v5
	v_mul_i32_i24_e32 v4, v45, v84
	v_mul_i32_i24_e32 v5, v46, v86
	s_delay_alu instid0(VALU_DEP_1) | instskip(NEXT) | instid1(VALU_DEP_1)
	v_add3_u32 v3, v3, v4, v5
	v_add3_u32 v3, v3, v6, v7
	s_delay_alu instid0(VALU_DEP_1) | instskip(NEXT) | instid1(VALU_DEP_1)
	v_add3_u32 v3, v3, v8, v9
	v_add3_u32 v3, v3, v10, v11
	s_wait_loadcnt 0x1
	v_mul_i32_i24_e32 v13, v52, v103
	s_delay_alu instid0(VALU_DEP_1) | instskip(NEXT) | instid1(VALU_DEP_1)
	v_add3_u32 v3, v3, v12, v13
	v_add3_u32 v3, v3, v14, v15
	s_delay_alu instid0(VALU_DEP_1) | instskip(NEXT) | instid1(VALU_DEP_1)
	v_add3_u32 v3, v3, v16, v17
	v_add3_u32 v3, v3, v18, v19
	;; [unrolled: 3-line block ×5, first 2 shown]
	s_wait_loadcnt 0x0
	s_delay_alu instid0(VALU_DEP_1) | instskip(NEXT) | instid1(VALU_DEP_1)
	v_mul_lo_u32 v3, v3, v83
	v_cvt_f32_i32_e32 v3, v3
	s_delay_alu instid0(VALU_DEP_1)
	v_fma_mix_f32 v2, v1, v3, v2 op_sel_hi:[1,0,0]
	scratch_load_b32 v1, off, off offset:4  ; 4-byte Folded Reload
	s_wait_loadcnt 0x0
	v_fma_f32 v0, v2, v1, -v0
	scratch_load_b32 v1, off, off offset:688 ; 4-byte Folded Reload
	s_wait_loadcnt 0x0
	v_add_f32_e32 v1, v1, v0
	scratch_load_b32 v0, off, off offset:1280 ; 4-byte Folded Reload
	s_clause 0x1
	scratch_store_b32 off, v67, off offset:692
	scratch_store_b32 off, v1, off offset:688
	s_wait_loadcnt 0x0
	v_or_b32_e32 v0, s11, v0
	s_delay_alu instid0(VALU_DEP_1)
	v_lshlrev_b32_e32 v1, 2, v0
	ds_load_b128 v[14:17], v1 offset:16896
	ds_load_b128 v[30:33], v1 offset:16912
	;; [unrolled: 1-line block ×4, first 2 shown]
	v_lshrrev_b32_e32 v0, 1, v0
	ds_load_b64 v[0:1], v0 offset:27200
	s_wait_dscnt 0x4
	v_bfe_i32 v4, v14, 16, 8
	s_wait_dscnt 0x3
	v_bfe_i32 v18, v30, 0, 8
	v_bfe_i32 v19, v30, 8, 8
	;; [unrolled: 1-line block ×3, first 2 shown]
	v_ashrrev_i32_e32 v21, 24, v30
	v_mul_i32_i24_e32 v67, v73, v4
	scratch_load_b32 v73, off, off offset:28 ; 4-byte Folded Reload
	v_bfe_i32 v30, v33, 0, 8
	v_bfe_i32 v22, v31, 0, 8
	;; [unrolled: 1-line block ×4, first 2 shown]
	v_ashrrev_i32_e32 v25, 24, v31
	v_bfe_i32 v31, v33, 8, 8
	v_bfe_i32 v26, v32, 0, 8
	;; [unrolled: 1-line block ×4, first 2 shown]
	v_ashrrev_i32_e32 v29, 24, v32
	v_bfe_i32 v32, v33, 16, 8
	v_bfe_i32 v2, v14, 0, 8
	v_bfe_i32 v3, v14, 8, 8
	v_ashrrev_i32_e32 v5, 24, v14
	v_bfe_i32 v6, v15, 0, 8
	v_bfe_i32 v7, v15, 8, 8
	v_mul_i32_i24_e32 v66, v206, v2
	v_bfe_i32 v8, v15, 16, 8
	v_mul_i32_i24_e32 v68, v204, v5
	v_ashrrev_i32_e32 v9, 24, v15
	v_bfe_i32 v10, v16, 0, 8
	v_mad_i32_i24 v66, v131, v3, v66
	v_bfe_i32 v11, v16, 8, 8
	v_mul_i32_i24_e32 v69, v132, v8
	v_mul_i32_i24_e32 v70, v133, v9
	v_bfe_i32 v12, v16, 16, 8
	v_add3_u32 v66, v66, v67, v68
	v_mul_i32_i24_e32 v67, v149, v6
	v_mul_i32_i24_e32 v68, v74, v7
	v_ashrrev_i32_e32 v13, 24, v16
	v_mul_i32_i24_e32 v71, v160, v10
	v_mul_i32_i24_e32 v72, v159, v11
	s_wait_dscnt 0x2
	v_bfe_i32 v48, v36, 0, 8
	v_add3_u32 v66, v66, v67, v68
	v_mul_i32_i24_e32 v76, v156, v12
	v_mul_i32_i24_e32 v77, v155, v13
	v_bfe_i32 v49, v36, 8, 8
	v_bfe_i32 v14, v17, 0, 8
	v_add3_u32 v66, v66, v69, v70
	v_bfe_i32 v15, v17, 8, 8
	v_bfe_i32 v50, v36, 16, 8
	;; [unrolled: 1-line block ×3, first 2 shown]
	v_mul_i32_i24_e32 v78, v178, v14
	v_add3_u32 v66, v66, v71, v72
	v_mul_i32_i24_e32 v79, v177, v15
	v_ashrrev_i32_e32 v17, 24, v17
	v_bfe_i32 v51, v37, 0, 8
	v_mul_i32_i24_e32 v80, v176, v16
	v_add3_u32 v66, v66, v76, v77
	v_mul_i32_i24_e32 v82, v180, v18
	v_mul_i32_i24_e32 v81, v175, v17
	v_mul_i32_i24_e32 v92, v179, v19
	v_mul_i32_i24_e32 v94, v182, v20
	v_add3_u32 v66, v66, v78, v79
	v_mul_i32_i24_e32 v95, v181, v21
	v_mul_i32_i24_e32 v96, v186, v22
	;; [unrolled: 1-line block ×3, first 2 shown]
	s_wait_dscnt 0x1
	v_bfe_i32 v57, v39, 0, 8
	v_add3_u32 v66, v66, v80, v81
	v_mul_i32_i24_e32 v98, v184, v24
	v_mul_i32_i24_e32 v99, v183, v25
	v_bfe_i32 v58, v39, 8, 8
	scratch_load_b32 v184, off, off offset:476 th:TH_LOAD_LU ; 4-byte Folded Reload
	v_add3_u32 v66, v66, v82, v92
	v_bfe_i32 v59, v39, 16, 8
	v_mul_i32_i24_e32 v101, v187, v27
	v_ashrrev_i32_e32 v39, 24, v39
	scratch_load_b32 v186, off, off offset:480 th:TH_LOAD_LU ; 4-byte Folded Reload
	v_add3_u32 v66, v66, v94, v95
	scratch_load_b32 v185, off, off offset:132 th:TH_LOAD_LU ; 4-byte Folded Reload
	v_bfe_i32 v60, v40, 0, 8
	v_bfe_i32 v61, v40, 8, 8
	;; [unrolled: 1-line block ×3, first 2 shown]
	v_add3_u32 v66, v66, v96, v97
	v_ashrrev_i32_e32 v40, 24, v40
	scratch_load_b32 v187, off, off offset:136 th:TH_LOAD_LU ; 4-byte Folded Reload
	v_ashrrev_i32_e32 v33, 24, v33
	v_bfe_i32 v63, v41, 0, 8
	v_add3_u32 v66, v66, v98, v99
	s_clause 0x4
	scratch_load_b32 v67, off, off offset:32
	scratch_load_b32 v68, off, off offset:92
	;; [unrolled: 1-line block ×5, first 2 shown]
	v_bfe_i32 v42, v34, 0, 8
	v_bfe_i32 v43, v34, 8, 8
	;; [unrolled: 1-line block ×3, first 2 shown]
	v_ashrrev_i32_e32 v34, 24, v34
	v_bfe_i32 v64, v41, 8, 8
	v_bfe_i32 v65, v41, 16, 8
	v_bfe_i32 v45, v35, 0, 8
	v_bfe_i32 v46, v35, 8, 8
	v_mul_i32_i24_e32 v70, v154, v34
	v_bfe_i32 v47, v35, 16, 8
	v_ashrrev_i32_e32 v35, 24, v35
	v_ashrrev_i32_e32 v36, 24, v36
	v_bfe_i32 v52, v37, 8, 8
	v_bfe_i32 v53, v37, 16, 8
	v_ashrrev_i32_e32 v37, 24, v37
	v_bfe_i32 v54, v38, 0, 8
	v_mul_i32_i24_e32 v79, v150, v36
	v_mul_i32_i24_e32 v81, v153, v52
	v_bfe_i32 v55, v38, 8, 8
	v_mul_i32_i24_e32 v82, v152, v53
	v_mul_i32_i24_e32 v92, v151, v37
	v_bfe_i32 v56, v38, 16, 8
	v_ashrrev_i32_e32 v38, 24, v38
	v_mul_i32_i24_e32 v94, v163, v54
	v_mul_i32_i24_e32 v95, v162, v55
	v_ashrrev_i32_e32 v41, 24, v41
	v_mul_i32_i24_e32 v96, v161, v56
	v_mul_i32_i24_e32 v97, v230, v38
	s_clause 0x1c
	scratch_load_b32 v182, off, off offset:1028 th:TH_LOAD_LU
	scratch_load_b32 v183, off, off offset:580 th:TH_LOAD_LU
	;; [unrolled: 1-line block ×29, first 2 shown]
	s_wait_loadcnt 0x26
	v_mul_i32_i24_e32 v114, v73, v30
	scratch_load_b32 v73, off, off offset:24 ; 4-byte Folded Reload
	s_wait_loadcnt 0x26
	v_mul_i32_i24_e32 v100, v184, v26
	s_delay_alu instid0(VALU_DEP_1) | instskip(SKIP_4) | instid1(VALU_DEP_1)
	v_add3_u32 v66, v66, v100, v101
	s_wait_loadcnt 0x25
	v_mul_i32_i24_e32 v109, v186, v28
	s_wait_loadcnt 0x24
	v_mul_i32_i24_e32 v112, v185, v29
	v_add3_u32 v66, v66, v109, v112
	s_wait_loadcnt 0x23
	v_mul_i32_i24_e32 v123, v187, v33
	s_wait_loadcnt 0x21
	v_mul_i32_i24_e32 v68, v68, v42
	;; [unrolled: 2-line block ×4, first 2 shown]
	v_mad_i32_i24 v68, v71, v43, v68
	scratch_load_b32 v71, off, off offset:168 ; 4-byte Folded Reload
	v_add3_u32 v68, v68, v69, v70
	s_clause 0x1
	scratch_load_b32 v69, off, off offset:176
	scratch_load_b32 v70, off, off offset:172
	s_wait_loadcnt 0x3
	v_mul_i32_i24_e32 v115, v73, v31
	scratch_load_b32 v73, off, off offset:8 ; 4-byte Folded Reload
	v_add3_u32 v66, v66, v114, v115
	s_wait_loadcnt 0x3
	v_mul_i32_i24_e32 v71, v71, v47
	s_wait_loadcnt 0x2
	v_mul_i32_i24_e32 v69, v69, v45
	;; [unrolled: 2-line block ×3, first 2 shown]
	s_delay_alu instid0(VALU_DEP_1)
	v_add3_u32 v68, v68, v69, v70
	scratch_load_b32 v69, off, off offset:84 ; 4-byte Folded Reload
	v_mul_i32_i24_e32 v70, v9, v172
	scratch_load_b32 v172, off, off offset:1236 th:TH_LOAD_LU ; 4-byte Folded Reload
	v_add3_u32 v68, v68, v71, v72
	v_mul_i32_i24_e32 v71, v10, v173
	v_mul_i32_i24_e32 v72, v11, v174
	s_clause 0x1
	scratch_load_b32 v173, off, off offset:1240 th:TH_LOAD_LU
	scratch_load_b32 v174, off, off offset:560 th:TH_LOAD_LU
	s_wait_loadcnt 0x4
	v_mul_i32_i24_e32 v122, v73, v32
	scratch_load_b32 v73, off, off offset:44 ; 4-byte Folded Reload
	v_add3_u32 v66, v66, v122, v123
	s_delay_alu instid0(VALU_DEP_1) | instskip(SKIP_3) | instid1(VALU_DEP_1)
	v_mul_lo_u32 v66, v66, v67
	scratch_load_b32 v67, off, off offset:96 ; 4-byte Folded Reload
	v_cvt_f32_i32_e32 v66, v66
	s_wait_dscnt 0x0
	v_fma_mix_f32 v66, v0, v66, 0 op_sel_hi:[1,0,0]
	s_wait_loadcnt 0x1
	v_mul_i32_i24_e32 v76, v73, v48
	scratch_load_b32 v73, off, off offset:40 ; 4-byte Folded Reload
	s_wait_loadcnt 0x1
	v_fma_mix_f32 v67, v67, v0, 0 op_sel:[0,1,0] op_sel_hi:[0,1,0]
	s_wait_loadcnt 0x0
	v_mul_i32_i24_e32 v77, v73, v49
	scratch_load_b32 v73, off, off offset:668 ; 4-byte Folded Reload
	v_add3_u32 v68, v68, v76, v77
	v_mul_i32_i24_e32 v77, v13, v74
	s_wait_loadcnt 0x0
	v_mul_i32_i24_e32 v78, v73, v50
	scratch_load_b32 v73, off, off offset:672 ; 4-byte Folded Reload
	v_add3_u32 v68, v68, v78, v79
	v_mul_i32_i24_e32 v78, v14, v166
	v_mul_i32_i24_e32 v79, v15, v167
	s_clause 0x1
	scratch_load_b32 v166, off, off offset:532 th:TH_LOAD_LU
	scratch_load_b32 v167, off, off offset:536 th:TH_LOAD_LU
	s_wait_loadcnt 0x2
	v_mul_i32_i24_e32 v80, v73, v51
	scratch_load_b32 v73, off, off offset:56 ; 4-byte Folded Reload
	v_add3_u32 v68, v68, v80, v81
	v_mul_i32_i24_e32 v80, v16, v168
	scratch_load_b32 v168, off, off offset:540 th:TH_LOAD_LU ; 4-byte Folded Reload
	v_mul_i32_i24_e32 v81, v17, v169
	scratch_load_b32 v169, off, off offset:144 ; 4-byte Folded Reload
	v_add3_u32 v68, v68, v82, v92
	v_mul_i32_i24_e32 v82, v18, v133
	s_delay_alu instid0(VALU_DEP_2) | instskip(NEXT) | instid1(VALU_DEP_1)
	v_add3_u32 v68, v68, v94, v95
	v_add3_u32 v68, v68, v96, v97
	v_mul_i32_i24_e32 v96, v22, v172
	v_mul_i32_i24_e32 v97, v23, v173
	s_wait_loadcnt 0x2
	v_mul_i32_i24_e32 v98, v73, v57
	scratch_load_b32 v73, off, off offset:52 ; 4-byte Folded Reload
	s_wait_loadcnt 0x0
	v_mul_i32_i24_e32 v99, v73, v58
	scratch_load_b32 v73, off, off offset:48 ; 4-byte Folded Reload
	v_add3_u32 v68, v68, v98, v99
	v_mul_i32_i24_e32 v98, v24, v174
	v_mul_i32_i24_e32 v99, v25, v175
	s_wait_loadcnt 0x0
	v_mul_i32_i24_e32 v100, v73, v59
	scratch_load_b32 v73, off, off offset:180 ; 4-byte Folded Reload
	s_wait_loadcnt 0x0
	v_mul_i32_i24_e32 v101, v73, v39
	scratch_load_b32 v73, off, off offset:184 ; 4-byte Folded Reload
	;; [unrolled: 9-line block ×4, first 2 shown]
	v_add3_u32 v68, v68, v114, v115
	v_mul_i32_i24_e32 v115, v31, v145
	scratch_load_b32 v145, off, off offset:976 th:TH_LOAD_LU ; 4-byte Folded Reload
	s_wait_loadcnt 0x1
	v_mul_i32_i24_e32 v122, v73, v63
	scratch_load_b32 v73, off, off offset:80 ; 4-byte Folded Reload
	s_wait_loadcnt 0x0
	v_mul_i32_i24_e32 v123, v73, v64
	scratch_load_b32 v73, off, off offset:76 ; 4-byte Folded Reload
	v_add3_u32 v68, v68, v122, v123
	v_mul_i32_i24_e32 v123, v33, v148
	scratch_load_b32 v148, off, off offset:984 th:TH_LOAD_LU ; 4-byte Folded Reload
	v_mul_i32_i24_e32 v122, v32, v147
	scratch_load_b32 v147, off, off offset:980 th:TH_LOAD_LU ; 4-byte Folded Reload
	s_wait_loadcnt 0x2
	v_mul_i32_i24_e32 v126, v73, v65
	scratch_load_b32 v73, off, off offset:72 ; 4-byte Folded Reload
	s_wait_loadcnt 0x0
	v_mul_i32_i24_e32 v127, v73, v41
	scratch_load_b32 v73, off, off offset:544 th:TH_LOAD_LU ; 4-byte Folded Reload
	v_add3_u32 v68, v68, v126, v127
	v_mul_i32_i24_e32 v126, v65, v163
	v_mul_i32_i24_e32 v127, v41, v166
	s_delay_alu instid0(VALU_DEP_3) | instskip(SKIP_3) | instid1(VALU_DEP_1)
	v_mul_lo_u32 v68, v68, v69
	v_mul_i32_i24_e32 v69, v8, v171
	scratch_load_b32 v171, off, off offset:656 th:TH_LOAD_LU ; 4-byte Folded Reload
	v_cvt_f32_i32_e32 v68, v68
	v_fma_mix_f32 v66, v1, v68, v66 op_sel_hi:[1,0,0]
	scratch_load_b32 v68, off, off offset:88 ; 4-byte Folded Reload
	s_wait_loadcnt 0x2
	v_mul_i32_i24_e32 v76, v12, v73
	s_wait_loadcnt 0x1
	v_mul_i32_i24_e32 v95, v21, v171
	s_wait_loadcnt 0x0
	v_fma_mix_f32 v67, v68, v1, v67 op_sel:[0,1,0] op_sel_hi:[0,1,0]
	scratch_load_b32 v68, off, off offset:16 ; 4-byte Folded Reload
	s_wait_loadcnt 0x0
	v_mul_f32_e32 v67, v67, v68
	scratch_load_b32 v68, off, off offset:12 ; 4-byte Folded Reload
	s_wait_loadcnt 0x0
	v_fma_f32 v66, v66, v68, -v67
	scratch_load_b32 v67, off, off offset:684 ; 4-byte Folded Reload
	v_mul_i32_i24_e32 v68, v5, v142
	scratch_load_b32 v142, off, off offset:1080 th:TH_LOAD_LU ; 4-byte Folded Reload
	s_wait_loadcnt 0x1
	v_add_f32_e32 v67, v67, v66
	v_mul_i32_i24_e32 v66, v2, v135
	scratch_load_b32 v135, off, off offset:140 ; 4-byte Folded Reload
	s_wait_loadcnt 0x1
	v_mul_i32_i24_e32 v114, v30, v142
	scratch_store_b32 off, v67, off offset:684 ; 4-byte Folded Spill
	v_mul_i32_i24_e32 v67, v4, v165
	v_mad_i32_i24 v66, v3, v170, v66
	s_clause 0x1
	scratch_load_b32 v170, off, off offset:592 th:TH_LOAD_LU
	scratch_load_b32 v165, off, off offset:528 th:TH_LOAD_LU
	v_add3_u32 v66, v66, v67, v68
	v_mul_i32_i24_e32 v67, v6, v143
	v_mul_i32_i24_e32 v68, v7, v144
	s_clause 0x1
	scratch_load_b32 v143, off, off offset:1152 th:TH_LOAD_LU
	scratch_load_b32 v144, off, off offset:556 th:TH_LOAD_LU
	v_add3_u32 v66, v66, v67, v68
	v_mul_i32_i24_e32 v68, v42, v182
	v_fma_mix_f32 v67, v180, v0, 0 op_sel:[0,1,0] op_sel_hi:[0,1,0]
	s_delay_alu instid0(VALU_DEP_3)
	v_add3_u32 v66, v66, v69, v70
	v_mul_i32_i24_e32 v69, v44, v183
	v_mul_i32_i24_e32 v70, v34, v206
	v_mad_i32_i24 v68, v43, v204, v68
	v_fma_mix_f32 v67, v168, v1, v67 op_sel:[0,1,0] op_sel_hi:[0,1,0]
	v_add3_u32 v66, v66, v71, v72
	v_mul_i32_i24_e32 v72, v35, v157
	scratch_load_b32 v157, off, off offset:512 th:TH_LOAD_LU ; 4-byte Folded Reload
	v_add3_u32 v68, v68, v69, v70
	scratch_load_b32 v70, off, off offset:156 ; 4-byte Folded Reload
	v_add3_u32 v66, v66, v76, v77
	v_mul_i32_i24_e32 v77, v49, v158
	scratch_load_b32 v158, off, off offset:1012 th:TH_LOAD_LU ; 4-byte Folded Reload
	v_mul_i32_i24_e32 v69, v45, v230
	v_mul_i32_i24_e32 v76, v48, v131
	v_add3_u32 v66, v66, v78, v79
	scratch_load_b32 v79, off, off offset:160 ; 4-byte Folded Reload
	v_mul_i32_i24_e32 v78, v50, v132
	v_mul_f32_e32 v67, v67, v169
	v_add3_u32 v66, v66, v80, v81
	v_mul_i32_i24_e32 v80, v51, v145
	v_mul_i32_i24_e32 v81, v52, v148
	s_wait_loadcnt 0x7
	v_mul_i32_i24_e32 v94, v20, v170
	s_wait_loadcnt 0x5
	v_mul_i32_i24_e32 v71, v47, v143
	s_wait_loadcnt 0x4
	v_mul_i32_i24_e32 v92, v19, v144
	s_delay_alu instid0(VALU_DEP_1) | instskip(SKIP_2) | instid1(VALU_DEP_3)
	v_add3_u32 v66, v66, v82, v92
	v_mul_i32_i24_e32 v82, v53, v147
	v_mul_i32_i24_e32 v92, v37, v149
	v_add3_u32 v66, v66, v94, v95
	v_mul_i32_i24_e32 v94, v54, v150
	v_mul_i32_i24_e32 v95, v55, v152
	s_delay_alu instid0(VALU_DEP_3)
	v_add3_u32 v66, v66, v96, v97
	v_mul_i32_i24_e32 v96, v56, v151
	s_wait_loadcnt 0x2
	v_mul_i32_i24_e32 v70, v46, v70
	v_mul_i32_i24_e32 v97, v38, v153
	v_add3_u32 v66, v66, v98, v99
	v_mul_i32_i24_e32 v98, v57, v154
	s_delay_alu instid0(VALU_DEP_4)
	v_add3_u32 v68, v68, v69, v70
	v_mul_i32_i24_e32 v99, v58, v156
	s_wait_loadcnt 0x0
	v_mul_i32_i24_e32 v79, v36, v79
	v_add3_u32 v66, v66, v100, v101
	v_mul_i32_i24_e32 v100, v59, v155
	v_add3_u32 v68, v68, v71, v72
	v_mul_i32_i24_e32 v101, v39, v157
	v_mul_i32_i24_e32 v69, v8, v194
	v_add3_u32 v66, v66, v109, v112
	v_mul_i32_i24_e32 v109, v60, v158
	v_add3_u32 v68, v68, v76, v77
	v_mul_i32_i24_e32 v112, v61, v160
	;; [unrolled: 5-line block ×4, first 2 shown]
	v_mul_i32_i24_e32 v72, v11, v197
	v_mul_lo_u32 v66, v66, v178
	v_mul_i32_i24_e32 v76, v12, v198
	v_add3_u32 v68, v68, v82, v92
	v_mul_i32_i24_e32 v77, v13, v199
	v_mul_i32_i24_e32 v78, v14, v200
	;; [unrolled: 1-line block ×4, first 2 shown]
	v_add3_u32 v68, v68, v94, v95
	v_cvt_f32_i32_e32 v66, v66
	v_mul_i32_i24_e32 v81, v17, v203
	v_mul_i32_i24_e32 v82, v18, v205
	;; [unrolled: 1-line block ×3, first 2 shown]
	v_add3_u32 v68, v68, v96, v97
	v_fma_mix_f32 v66, v0, v66, 0 op_sel_hi:[1,0,0]
	v_mul_i32_i24_e32 v94, v20, v210
	v_mul_i32_i24_e32 v95, v21, v211
	;; [unrolled: 1-line block ×3, first 2 shown]
	v_add3_u32 v68, v68, v98, v99
	v_mul_i32_i24_e32 v97, v23, v213
	v_mul_i32_i24_e32 v98, v24, v214
	;; [unrolled: 1-line block ×3, first 2 shown]
	v_mov_b32_e32 v196, v141
	v_add3_u32 v68, v68, v100, v101
	v_mul_i32_i24_e32 v100, v26, v216
	v_mul_i32_i24_e32 v101, v27, v217
	v_mov_b32_e32 v210, v245
	v_mov_b32_e32 v202, v240
	v_add3_u32 v68, v68, v109, v112
	v_mul_i32_i24_e32 v109, v28, v220
	v_mul_i32_i24_e32 v112, v29, v222
	v_dual_mov_b32 v199, v234 :: v_dual_mov_b32 v200, v237
	s_delay_alu instid0(VALU_DEP_4) | instskip(SKIP_3) | instid1(VALU_DEP_4)
	v_add3_u32 v68, v68, v114, v115
	v_mul_i32_i24_e32 v114, v30, v233
	v_mul_i32_i24_e32 v115, v31, v235
	v_dual_mov_b32 v213, v248 :: v_dual_mov_b32 v216, v251
	v_add3_u32 v68, v68, v122, v123
	v_mul_i32_i24_e32 v122, v32, v236
	v_mul_i32_i24_e32 v123, v33, v240
	scratch_load_b32 v240, off, off offset:1132 th:TH_LOAD_LU ; 4-byte Folded Reload
	v_mov_b32_e32 v195, v233
	v_add3_u32 v68, v68, v126, v127
	v_mul_i32_i24_e32 v126, v65, v138
	scratch_load_b32 v138, off, off offset:632 th:TH_LOAD_LU ; 4-byte Folded Reload
	v_dual_mov_b32 v198, v236 :: v_dual_mov_b32 v203, v239
	v_mul_lo_u32 v68, v68, v167
	v_dual_mov_b32 v212, v247 :: v_dual_mov_b32 v215, v250
	s_clause 0x1
	scratch_load_b32 v236, off, off offset:1116 th:TH_LOAD_LU
	scratch_load_b32 v233, off, off offset:1144 th:TH_LOAD_LU
	v_mov_b32_e32 v197, v235
	v_mov_b32_e32 v201, v238
	;; [unrolled: 1-line block ×3, first 2 shown]
	v_cvt_f32_i32_e32 v68, v68
	v_dual_mov_b32 v211, v246 :: v_dual_mov_b32 v214, v249
	v_mov_b32_e32 v217, v252
	scratch_load_b32 v235, off, off offset:1112 th:TH_LOAD_LU ; 4-byte Folded Reload
	v_fma_mix_f32 v66, v1, v68, v66 op_sel_hi:[1,0,0]
	v_mul_i32_i24_e32 v68, v5, v191
	v_dual_mov_b32 v191, v222 :: v_dual_mov_b32 v222, v164
	v_mov_b32_e32 v194, v224
	s_delay_alu instid0(VALU_DEP_4)
	v_fma_f32 v66, v66, v135, -v67
	scratch_load_b32 v67, off, off offset:680 ; 4-byte Folded Reload
	v_mov_b32_e32 v209, v244
	v_mul_i32_i24_e32 v127, v41, v140
	s_wait_loadcnt 0x0
	v_add_f32_e32 v67, v67, v66
	v_mul_i32_i24_e32 v66, v2, v188
	v_mov_b32_e32 v188, v218
	scratch_store_b32 off, v67, off offset:680 ; 4-byte Folded Spill
	v_mul_i32_i24_e32 v67, v4, v189
	v_mad_i32_i24 v66, v3, v190, v66
	v_dual_mov_b32 v190, v219 :: v_dual_mov_b32 v189, v220
	v_mov_b32_e32 v220, v255
	s_delay_alu instid0(VALU_DEP_3) | instskip(SKIP_3) | instid1(VALU_DEP_2)
	v_add3_u32 v66, v66, v67, v68
	v_mul_i32_i24_e32 v67, v6, v192
	v_mul_i32_i24_e32 v68, v7, v193
	v_dual_mov_b32 v192, v221 :: v_dual_mov_b32 v193, v223
	v_add3_u32 v66, v66, v67, v68
	v_mul_i32_i24_e32 v68, v42, v221
	v_mov_b32_e32 v221, v129
	v_fma_mix_f32 v67, v219, v0, 0 op_sel:[0,1,0] op_sel_hi:[0,1,0]
	v_mov_b32_e32 v219, v254
	v_add3_u32 v66, v66, v69, v70
	v_mul_i32_i24_e32 v69, v44, v223
	v_mul_i32_i24_e32 v70, v34, v141
	v_mad_i32_i24 v68, v43, v224, v68
	v_mov_b32_e32 v141, v130
	v_add3_u32 v66, v66, v71, v72
	v_mul_i32_i24_e32 v72, v35, v239
	scratch_load_b32 v239, off, off offset:1128 th:TH_LOAD_LU ; 4-byte Folded Reload
	v_add3_u32 v68, v68, v69, v70
	v_mul_i32_i24_e32 v69, v45, v234
	v_add3_u32 v66, v66, v76, v77
	v_mul_i32_i24_e32 v70, v46, v237
	s_clause 0x1
	scratch_load_b32 v234, off, off offset:1148 th:TH_LOAD_LU
	scratch_load_b32 v237, off, off offset:1120 th:TH_LOAD_LU
	v_mul_i32_i24_e32 v71, v47, v238
	v_add3_u32 v66, v66, v78, v79
	v_mul_i32_i24_e32 v77, v49, v242
	s_clause 0x1
	scratch_load_b32 v238, off, off offset:1124 th:TH_LOAD_LU
	scratch_load_b32 v242, off, off offset:1136 th:TH_LOAD_LU
	v_fma_mix_f32 v67, v231, v1, v67 op_sel:[0,1,0] op_sel_hi:[0,1,0]
	v_add3_u32 v66, v66, v80, v81
	v_mul_i32_i24_e32 v80, v51, v245
	scratch_load_b32 v245, off, off offset:596 th:TH_LOAD_LU ; 4-byte Folded Reload
	v_mul_i32_i24_e32 v81, v52, v247
	scratch_load_b32 v247, off, off offset:1044 th:TH_LOAD_LU ; 4-byte Folded Reload
	v_add3_u32 v66, v66, v82, v92
	v_mul_i32_i24_e32 v92, v37, v248
	scratch_load_b32 v248, off, off offset:1048 th:TH_LOAD_LU ; 4-byte Folded Reload
	v_mul_i32_i24_e32 v82, v53, v246
	scratch_load_b32 v246, off, off offset:1072 th:TH_LOAD_LU ; 4-byte Folded Reload
	;; [unrolled: 5-line block ×4, first 2 shown]
	v_add3_u32 v66, v66, v98, v99
	v_mul_i32_i24_e32 v98, v57, v253
	v_mul_i32_i24_e32 v99, v58, v255
	scratch_load_b32 v255, off, off offset:624 th:TH_LOAD_LU ; 4-byte Folded Reload
	v_mov_b32_e32 v223, v231
	v_add3_u32 v66, v66, v100, v101
	v_mul_i32_i24_e32 v101, v39, v129
	scratch_load_b32 v129, off, off offset:644 th:TH_LOAD_LU ; 4-byte Folded Reload
	v_mul_i32_i24_e32 v100, v59, v254
	scratch_load_b32 v254, off, off offset:620 th:TH_LOAD_LU ; 4-byte Folded Reload
	v_add3_u32 v66, v66, v109, v112
	v_mul_i32_i24_e32 v109, v60, v130
	v_mul_i32_i24_e32 v112, v61, v164
	v_mov_b32_e32 v164, v134
	scratch_load_b32 v130, off, off offset:648 th:TH_LOAD_LU ; 4-byte Folded Reload
	v_add3_u32 v66, v66, v114, v115
	v_mul_i32_i24_e32 v114, v62, v134
	scratch_load_b32 v134, off, off offset:652 th:TH_LOAD_LU ; 4-byte Folded Reload
	v_mul_i32_i24_e32 v115, v40, v136
	scratch_load_b32 v136, off, off offset:640 th:TH_LOAD_LU ; 4-byte Folded Reload
	v_add3_u32 v66, v66, v122, v123
	v_mul_i32_i24_e32 v122, v63, v137
	scratch_load_b32 v137, off, off offset:628 th:TH_LOAD_LU ; 4-byte Folded Reload
	v_mul_i32_i24_e32 v123, v64, v139
	scratch_load_b32 v139, off, off offset:636 th:TH_LOAD_LU ; 4-byte Folded Reload
	v_mul_lo_u32 v66, v66, v218
	v_mov_b32_e32 v218, v253
	scratch_load_b32 v253, off, off offset:616 th:TH_LOAD_LU ; 4-byte Folded Reload
	v_dual_mul_f32 v67, v67, v232 :: v_dual_mov_b32 v224, v232
	s_clause 0x1
	scratch_load_b32 v231, off, off offset:484 th:TH_LOAD_LU
	scratch_load_b32 v232, off, off offset:492 th:TH_LOAD_LU
	v_mul_i32_i24_e32 v79, v36, v244
	scratch_load_b32 v244, off, off offset:1140 th:TH_LOAD_LU ; 4-byte Folded Reload
	v_add3_u32 v68, v68, v69, v70
	v_mul_i32_i24_e32 v76, v48, v241
	v_mul_i32_i24_e32 v78, v50, v243
	v_cvt_f32_i32_e32 v66, v66
	s_delay_alu instid0(VALU_DEP_4) | instskip(NEXT) | instid1(VALU_DEP_2)
	v_add3_u32 v68, v68, v71, v72
	v_fma_mix_f32 v66, v0, v66, 0 op_sel_hi:[1,0,0]
	s_delay_alu instid0(VALU_DEP_2) | instskip(NEXT) | instid1(VALU_DEP_1)
	v_add3_u32 v68, v68, v76, v77
	v_add3_u32 v68, v68, v78, v79
	s_delay_alu instid0(VALU_DEP_1) | instskip(NEXT) | instid1(VALU_DEP_1)
	v_add3_u32 v68, v68, v80, v81
	v_add3_u32 v68, v68, v82, v92
	s_delay_alu instid0(VALU_DEP_1) | instskip(NEXT) | instid1(VALU_DEP_1)
	;; [unrolled: 3-line block ×5, first 2 shown]
	v_add3_u32 v68, v68, v122, v123
	v_add3_u32 v68, v68, v126, v127
	scratch_load_b32 v127, off, off offset:800 th:TH_LOAD_LU ; 4-byte Folded Reload
	v_mul_lo_u32 v68, v68, v227
	s_delay_alu instid0(VALU_DEP_1) | instskip(NEXT) | instid1(VALU_DEP_1)
	v_cvt_f32_i32_e32 v68, v68
	v_fma_mix_f32 v66, v1, v68, v66 op_sel_hi:[1,0,0]
	s_delay_alu instid0(VALU_DEP_1) | instskip(SKIP_3) | instid1(VALU_DEP_1)
	v_fma_f32 v66, v66, v225, -v67
	scratch_load_b32 v67, off, off offset:676 ; 4-byte Folded Reload
	s_wait_loadcnt 0xc
	v_mul_i32_i24_e32 v2, v2, v129
	v_mad_i32_i24 v2, v3, v245, v2
	v_mul_i32_i24_e32 v3, v6, v246
	s_wait_loadcnt 0xa
	v_mul_i32_i24_e32 v4, v4, v130
	v_mul_i32_i24_e32 v6, v9, v249
	;; [unrolled: 1-line block ×3, first 2 shown]
	s_wait_loadcnt 0x9
	v_mul_i32_i24_e32 v5, v5, v134
	v_mul_i32_i24_e32 v12, v15, v255
	s_delay_alu instid0(VALU_DEP_2)
	v_add3_u32 v2, v2, v4, v5
	v_mul_i32_i24_e32 v5, v8, v248
	v_mul_i32_i24_e32 v8, v11, v251
	;; [unrolled: 1-line block ×9, first 2 shown]
	v_mov_b32_e32 v207, v229
	scratch_load_b32 v229, off, off offset:1108 th:TH_LOAD_LU ; 4-byte Folded Reload
	v_mul_i32_i24_e32 v4, v7, v247
	v_mul_i32_i24_e32 v7, v10, v250
	s_wait_loadcnt 0x6
	v_mul_i32_i24_e32 v10, v13, v253
	v_mul_i32_i24_e32 v13, v16, v137
	;; [unrolled: 1-line block ×7, first 2 shown]
	scratch_load_b32 v228, off, off offset:488 th:TH_LOAD_LU ; 4-byte Folded Reload
	v_mul_i32_i24_e32 v15, v18, v139
	v_mul_i32_i24_e32 v18, v21, v235
	;; [unrolled: 1-line block ×6, first 2 shown]
	v_mov_b32_e32 v208, v226
	scratch_load_b32 v226, off, off offset:496 th:TH_LOAD_LU ; 4-byte Folded Reload
	v_add3_u32 v2, v2, v3, v4
	s_wait_loadcnt 0x7
	v_mul_i32_i24_e32 v4, v44, v231
	v_mul_i32_i24_e32 v31, v41, v128
	s_delay_alu instid0(VALU_DEP_3) | instskip(SKIP_3) | instid1(VALU_DEP_3)
	v_add3_u32 v2, v2, v5, v6
	s_wait_loadcnt 0x6
	v_mul_i32_i24_e32 v5, v34, v232
	v_mul_i32_i24_e32 v6, v47, v85
	v_add3_u32 v2, v2, v7, v8
	v_mul_i32_i24_e32 v7, v35, v87
	v_mul_i32_i24_e32 v8, v48, v88
	s_delay_alu instid0(VALU_DEP_3) | instskip(SKIP_2) | instid1(VALU_DEP_3)
	v_add3_u32 v2, v2, v9, v10
	v_mul_i32_i24_e32 v9, v49, v90
	v_mul_i32_i24_e32 v10, v50, v89
	v_add3_u32 v2, v2, v11, v12
	v_mul_i32_i24_e32 v11, v36, v91
	v_mul_i32_i24_e32 v12, v51, v93
	s_delay_alu instid0(VALU_DEP_3) | instskip(SKIP_2) | instid1(VALU_DEP_3)
	v_add3_u32 v2, v2, v13, v14
	;; [unrolled: 7-line block ×5, first 2 shown]
	v_mul_i32_i24_e32 v25, v61, v119
	v_mul_i32_i24_e32 v26, v62, v118
	v_add3_u32 v2, v2, v27, v28
	v_mul_i32_i24_e32 v27, v40, v120
	v_mul_i32_i24_e32 v28, v63, v121
	s_delay_alu instid0(VALU_DEP_3) | instskip(SKIP_3) | instid1(VALU_DEP_3)
	v_add3_u32 v2, v2, v29, v30
	v_mul_i32_i24_e32 v29, v64, v125
	v_mul_i32_i24_e32 v30, v65, v124
	s_wait_loadcnt 0x5
	v_mul_lo_u32 v2, v2, v244
	s_wait_loadcnt 0x3
	v_add_f32_e32 v67, v67, v66
	scratch_store_b32 off, v67, off offset:676 ; 4-byte Folded Spill
	v_cvt_f32_i32_e32 v2, v2
	s_delay_alu instid0(VALU_DEP_1) | instskip(SKIP_3) | instid1(VALU_DEP_1)
	v_fma_mix_f32 v2, v0, v2, 0 op_sel_hi:[1,0,0]
	s_wait_loadcnt 0x2
	v_mul_i32_i24_e32 v3, v42, v229
	s_wait_loadcnt 0x1
	v_mad_i32_i24 v3, v43, v228, v3
	s_delay_alu instid0(VALU_DEP_1) | instskip(SKIP_4) | instid1(VALU_DEP_2)
	v_add3_u32 v3, v3, v4, v5
	v_mul_i32_i24_e32 v4, v45, v84
	v_mul_i32_i24_e32 v5, v46, v86
	s_wait_loadcnt 0x0
	v_fma_mix_f32 v0, v226, v0, 0 op_sel:[0,1,0] op_sel_hi:[0,1,0]
	v_add3_u32 v3, v3, v4, v5
	s_delay_alu instid0(VALU_DEP_2) | instskip(NEXT) | instid1(VALU_DEP_2)
	v_fma_mix_f32 v0, v75, v1, v0 op_sel:[0,1,0] op_sel_hi:[0,1,0]
	v_add3_u32 v3, v3, v6, v7
	s_delay_alu instid0(VALU_DEP_2) | instskip(NEXT) | instid1(VALU_DEP_2)
	v_mul_f32_e32 v0, v0, v146
	v_add3_u32 v3, v3, v8, v9
	s_delay_alu instid0(VALU_DEP_1) | instskip(NEXT) | instid1(VALU_DEP_1)
	v_add3_u32 v3, v3, v10, v11
	v_add3_u32 v3, v3, v12, v13
	s_delay_alu instid0(VALU_DEP_1) | instskip(NEXT) | instid1(VALU_DEP_1)
	v_add3_u32 v3, v3, v14, v15
	;; [unrolled: 3-line block ×6, first 2 shown]
	v_mul_lo_u32 v3, v3, v83
	s_delay_alu instid0(VALU_DEP_1) | instskip(NEXT) | instid1(VALU_DEP_1)
	v_cvt_f32_i32_e32 v3, v3
	v_fma_mix_f32 v2, v1, v3, v2 op_sel_hi:[1,0,0]
	scratch_load_b32 v1, off, off offset:4  ; 4-byte Folded Reload
	s_wait_loadcnt 0x0
	v_fma_f32 v0, v2, v1, -v0
	s_delay_alu instid0(VALU_DEP_1) | instskip(SKIP_3) | instid1(VALU_DEP_1)
	v_add_f32_e32 v127, v127, v0
	scratch_load_b32 v0, off, off offset:1284 ; 4-byte Folded Reload
	s_wait_loadcnt 0x0
	v_or_b32_e32 v0, s11, v0
	v_lshlrev_b32_e32 v1, 2, v0
	v_lshrrev_b32_e32 v16, 1, v0
	ds_load_b128 v[8:11], v1 offset:16896
	ds_load_b128 v[12:15], v1 offset:16912
	;; [unrolled: 1-line block ×4, first 2 shown]
	s_clause 0x9
	scratch_load_b32 v66, off, off offset:380 th:TH_LOAD_LU
	scratch_load_b32 v71, off, off offset:416 th:TH_LOAD_LU
	;; [unrolled: 1-line block ×10, first 2 shown]
	ds_load_b64 v[27:28], v16 offset:27200
	s_wait_dscnt 0x4
	v_bfe_i32 v55, v10, 16, 8
	v_ashrrev_i32_e32 v54, 24, v10
	v_bfe_i32 v53, v11, 0, 8
	v_bfe_i32 v52, v11, 8, 8
	;; [unrolled: 1-line block ×3, first 2 shown]
	v_ashrrev_i32_e32 v50, 24, v11
	s_wait_dscnt 0x3
	v_bfe_i32 v49, v12, 0, 8
	v_bfe_i32 v48, v12, 8, 8
	;; [unrolled: 1-line block ×3, first 2 shown]
	v_ashrrev_i32_e32 v46, 24, v12
	v_bfe_i32 v45, v13, 0, 8
	v_bfe_i32 v44, v13, 8, 8
	;; [unrolled: 1-line block ×3, first 2 shown]
	v_ashrrev_i32_e32 v42, 24, v13
	v_bfe_i32 v40, v14, 8, 8
	v_bfe_i32 v37, v15, 0, 8
	;; [unrolled: 1-line block ×6, first 2 shown]
	v_ashrrev_i32_e32 v56, 24, v8
	v_bfe_i32 v35, v15, 16, 8
	v_bfe_i32 v64, v9, 0, 8
	;; [unrolled: 1-line block ×4, first 2 shown]
	v_ashrrev_i32_e32 v60, 24, v9
	v_bfe_i32 v59, v10, 0, 8
	v_bfe_i32 v57, v10, 8, 8
	s_wait_dscnt 0x2
	v_bfe_i32 v30, v6, 0, 8
	v_bfe_i32 v31, v6, 8, 8
	;; [unrolled: 1-line block ×3, first 2 shown]
	v_ashrrev_i32_e32 v23, 24, v6
	v_bfe_i32 v24, v7, 0, 8
	v_bfe_i32 v22, v7, 8, 8
	;; [unrolled: 1-line block ×3, first 2 shown]
	v_ashrrev_i32_e32 v20, 24, v7
	v_ashrrev_i32_e32 v34, 24, v15
	s_wait_dscnt 0x1
	v_bfe_i32 v15, v0, 0, 8
	v_bfe_i32 v41, v14, 0, 8
	v_bfe_i32 v39, v14, 16, 8
	v_ashrrev_i32_e32 v38, 24, v14
	v_bfe_i32 v14, v0, 8, 8
	v_bfe_i32 v10, v0, 16, 8
	v_ashrrev_i32_e32 v13, 24, v0
	v_bfe_i32 v11, v1, 0, 8
	v_bfe_i32 v12, v1, 8, 8
	;; [unrolled: 1-line block ×3, first 2 shown]
	v_mul_i32_i24_e32 v100, v184, v41
	v_ashrrev_i32_e32 v9, 24, v1
	v_bfe_i32 v18, v4, 0, 8
	v_bfe_i32 v19, v4, 8, 8
	;; [unrolled: 1-line block ×3, first 2 shown]
	v_ashrrev_i32_e32 v16, 24, v4
	v_bfe_i32 v4, v2, 0, 8
	v_mul_i32_i24_e32 v109, v186, v39
	v_mul_i32_i24_e32 v112, v185, v38
	v_bfe_i32 v33, v5, 0, 8
	v_bfe_i32 v32, v5, 8, 8
	;; [unrolled: 1-line block ×3, first 2 shown]
	v_ashrrev_i32_e32 v29, 24, v5
	v_bfe_i32 v5, v2, 8, 8
	v_bfe_i32 v6, v2, 16, 8
	;; [unrolled: 1-line block ×3, first 2 shown]
	v_mul_i32_i24_e32 v123, v187, v34
	v_ashrrev_i32_e32 v2, 24, v2
	v_bfe_i32 v0, v3, 16, 8
	v_bfe_i32 v7, v3, 0, 8
	v_ashrrev_i32_e32 v3, 24, v3
	v_mul_i32_i24_e32 v73, v55, v73
	v_mul_i32_i24_e32 v74, v54, v74
	;; [unrolled: 1-line block ×10, first 2 shown]
	s_wait_loadcnt 0x9
	v_mul_i32_i24_e32 v66, v66, v62
	s_wait_loadcnt 0x8
	v_mul_i32_i24_e32 v71, v71, v59
	;; [unrolled: 2-line block ×4, first 2 shown]
	scratch_load_b32 v75, off, off offset:404 th:TH_LOAD_LU ; 4-byte Folded Reload
	s_wait_loadcnt 0x6
	v_mul_i32_i24_e32 v68, v68, v56
	s_wait_loadcnt 0x5
	v_mad_i32_i24 v66, v69, v65, v66
	scratch_load_b32 v69, off, off offset:840 th:TH_LOAD_LU ; 4-byte Folded Reload
	s_wait_loadcnt 0x3
	v_mul_i32_i24_e32 v67, v67, v58
	s_wait_loadcnt 0x2
	v_mul_i32_i24_e32 v70, v70, v60
	v_mul_i32_i24_e32 v84, v44, v84
	s_delay_alu instid0(VALU_DEP_3)
	v_add3_u32 v66, v66, v67, v68
	s_clause 0x1
	scratch_load_b32 v67, off, off offset:856 th:TH_LOAD_LU
	scratch_load_b32 v68, off, off offset:848 th:TH_LOAD_LU
	s_wait_loadcnt 0x3
	v_mul_i32_i24_e32 v77, v75, v54
	scratch_load_b32 v75, off, off offset:444 th:TH_LOAD_LU ; 4-byte Folded Reload
	s_wait_loadcnt 0x3
	v_mul_i32_i24_e32 v69, v69, v61
	s_wait_loadcnt 0x2
	v_mul_i32_i24_e32 v67, v67, v64
	;; [unrolled: 2-line block ×3, first 2 shown]
	s_delay_alu instid0(VALU_DEP_1)
	v_add3_u32 v66, v66, v67, v68
	s_clause 0x1
	scratch_load_b32 v67, off, off offset:32 th:TH_LOAD_LU
	scratch_load_b32 v68, off, off offset:92 th:TH_LOAD_LU
	v_add3_u32 v66, v66, v69, v70
	s_clause 0x1
	scratch_load_b32 v69, off, off offset:164 th:TH_LOAD_LU
	scratch_load_b32 v70, off, off offset:400 th:TH_LOAD_LU
	;; [unrolled: 4-line block ×3, first 2 shown]
	v_add3_u32 v66, v66, v76, v77
	s_wait_loadcnt 0x6
	v_mul_i32_i24_e32 v78, v75, v53
	scratch_load_b32 v75, off, off offset:860 th:TH_LOAD_LU ; 4-byte Folded Reload
	s_wait_loadcnt 0x5
	v_mul_i32_i24_e32 v68, v68, v18
	s_wait_loadcnt 0x4
	v_mul_i32_i24_e32 v69, v69, v17
	;; [unrolled: 2-line block ×3, first 2 shown]
	s_wait_loadcnt 0x2
	v_mad_i32_i24 v68, v71, v19, v68
	scratch_load_b32 v71, off, off offset:168 th:TH_LOAD_LU ; 4-byte Folded Reload
	s_wait_loadcnt 0x2
	v_mul_i32_i24_e32 v72, v72, v29
	v_add3_u32 v68, v68, v69, v70
	s_clause 0x1
	scratch_load_b32 v69, off, off offset:176 th:TH_LOAD_LU
	scratch_load_b32 v70, off, off offset:172 th:TH_LOAD_LU
	s_wait_loadcnt 0x3
	v_mul_i32_i24_e32 v79, v75, v52
	scratch_load_b32 v75, off, off offset:440 th:TH_LOAD_LU ; 4-byte Folded Reload
	v_add3_u32 v66, v66, v78, v79
	s_wait_loadcnt 0x3
	v_mul_i32_i24_e32 v71, v71, v26
	s_wait_loadcnt 0x2
	v_mul_i32_i24_e32 v69, v69, v33
	;; [unrolled: 2-line block ×3, first 2 shown]
	s_delay_alu instid0(VALU_DEP_1)
	v_add3_u32 v68, v68, v69, v70
	s_clause 0x1
	scratch_load_b32 v69, off, off offset:84 th:TH_LOAD_LU
	scratch_load_b32 v70, off, off offset:360 th:TH_LOAD_LU
	v_add3_u32 v68, v68, v71, v72
	s_clause 0x1
	scratch_load_b32 v71, off, off offset:364 th:TH_LOAD_LU
	scratch_load_b32 v72, off, off offset:368 th:TH_LOAD_LU
	s_wait_loadcnt 0x4
	v_mul_i32_i24_e32 v80, v75, v51
	scratch_load_b32 v75, off, off offset:436 th:TH_LOAD_LU ; 4-byte Folded Reload
	s_wait_loadcnt 0x3
	v_mul_i32_i24_e32 v70, v60, v70
	s_wait_loadcnt 0x2
	v_mul_i32_i24_e32 v71, v59, v71
	;; [unrolled: 2-line block ×4, first 2 shown]
	scratch_load_b32 v75, off, off offset:452 th:TH_LOAD_LU ; 4-byte Folded Reload
	v_add3_u32 v66, v66, v80, v81
	s_wait_loadcnt 0x0
	v_mul_i32_i24_e32 v82, v75, v49
	scratch_load_b32 v75, off, off offset:448 th:TH_LOAD_LU ; 4-byte Folded Reload
	s_wait_loadcnt 0x0
	v_mul_i32_i24_e32 v92, v75, v48
	scratch_load_b32 v75, off, off offset:864 th:TH_LOAD_LU ; 4-byte Folded Reload
	v_add3_u32 v66, v66, v82, v92
	s_wait_loadcnt 0x0
	v_mul_i32_i24_e32 v94, v75, v47
	scratch_load_b32 v75, off, off offset:456 th:TH_LOAD_LU ; 4-byte Folded Reload
	s_wait_loadcnt 0x0
	v_mul_i32_i24_e32 v95, v75, v46
	;; [unrolled: 7-line block ×4, first 2 shown]
	scratch_load_b32 v75, off, off offset:472 th:TH_LOAD_LU ; 4-byte Folded Reload
	v_add3_u32 v66, v66, v98, v99
	s_wait_loadcnt 0x0
	v_mul_i32_i24_e32 v101, v75, v40
	scratch_load_b32 v75, off, off offset:28 th:TH_LOAD_LU ; 4-byte Folded Reload
	v_add3_u32 v66, v66, v100, v101
	s_delay_alu instid0(VALU_DEP_1)
	v_add3_u32 v66, v66, v109, v112
	s_wait_loadcnt 0x0
	v_mul_i32_i24_e32 v114, v75, v37
	scratch_load_b32 v75, off, off offset:24 th:TH_LOAD_LU ; 4-byte Folded Reload
	s_wait_loadcnt 0x0
	v_mul_i32_i24_e32 v115, v75, v36
	scratch_load_b32 v75, off, off offset:8 th:TH_LOAD_LU ; 4-byte Folded Reload
	v_add3_u32 v66, v66, v114, v115
	s_wait_loadcnt 0x0
	v_mul_i32_i24_e32 v122, v75, v35
	scratch_load_b32 v75, off, off offset:44 th:TH_LOAD_LU ; 4-byte Folded Reload
	v_add3_u32 v66, v66, v122, v123
	v_mul_i32_i24_e32 v122, v83, v1
	scratch_load_b32 v83, off, off offset:76 th:TH_LOAD_LU ; 4-byte Folded Reload
	v_mul_lo_u32 v66, v66, v67
	scratch_load_b32 v67, off, off offset:96 th:TH_LOAD_LU ; 4-byte Folded Reload
	v_cvt_f32_i32_e32 v66, v66
	s_wait_dscnt 0x0
	s_delay_alu instid0(VALU_DEP_1)
	v_fma_mix_f32 v66, v27, v66, 0 op_sel_hi:[1,0,0]
	s_wait_loadcnt 0x2
	v_mul_i32_i24_e32 v76, v75, v30
	scratch_load_b32 v75, off, off offset:40 th:TH_LOAD_LU ; 4-byte Folded Reload
	s_wait_loadcnt 0x2
	v_mul_i32_i24_e32 v123, v83, v0
	scratch_load_b32 v83, off, off offset:72 th:TH_LOAD_LU ; 4-byte Folded Reload
	s_wait_loadcnt 0x2
	v_fma_mix_f32 v67, v67, v27, 0 op_sel:[0,1,0] op_sel_hi:[0,1,0]
	s_wait_loadcnt 0x1
	v_mul_i32_i24_e32 v77, v75, v31
	scratch_load_b32 v75, off, off offset:668 th:TH_LOAD_LU ; 4-byte Folded Reload
	v_add3_u32 v68, v68, v76, v77
	s_wait_loadcnt 0x1
	v_mul_i32_i24_e32 v126, v83, v3
	s_clause 0x2
	scratch_load_b32 v76, off, off offset:340 th:TH_LOAD_LU
	scratch_load_b32 v77, off, off offset:344 th:TH_LOAD_LU
	;; [unrolled: 1-line block ×3, first 2 shown]
	s_wait_loadcnt 0x3
	v_mul_i32_i24_e32 v78, v75, v25
	scratch_load_b32 v75, off, off offset:384 th:TH_LOAD_LU ; 4-byte Folded Reload
	s_wait_loadcnt 0x3
	v_mul_i32_i24_e32 v76, v52, v76
	s_wait_loadcnt 0x2
	v_mul_i32_i24_e32 v77, v51, v77
	;; [unrolled: 2-line block ×3, first 2 shown]
	scratch_load_b32 v75, off, off offset:672 th:TH_LOAD_LU ; 4-byte Folded Reload
	v_add3_u32 v68, v68, v78, v79
	scratch_load_b32 v78, off, off offset:348 th:TH_LOAD_LU ; 4-byte Folded Reload
	v_mul_i32_i24_e32 v79, v49, v133
	s_wait_loadcnt 0x1
	v_mul_i32_i24_e32 v80, v75, v24
	scratch_load_b32 v75, off, off offset:396 th:TH_LOAD_LU ; 4-byte Folded Reload
	s_wait_loadcnt 0x1
	v_mul_i32_i24_e32 v78, v50, v78
	s_wait_loadcnt 0x0
	v_mul_i32_i24_e32 v81, v75, v22
	scratch_load_b32 v75, off, off offset:392 th:TH_LOAD_LU ; 4-byte Folded Reload
	v_add3_u32 v68, v68, v80, v81
	v_mul_i32_i24_e32 v80, v48, v144
	v_mul_i32_i24_e32 v81, v47, v170
	s_wait_loadcnt 0x0
	v_mul_i32_i24_e32 v82, v75, v21
	scratch_load_b32 v75, off, off offset:388 th:TH_LOAD_LU ; 4-byte Folded Reload
	s_wait_loadcnt 0x0
	v_mul_i32_i24_e32 v92, v75, v20
	scratch_load_b32 v75, off, off offset:432 th:TH_LOAD_LU ; 4-byte Folded Reload
	v_add3_u32 v68, v68, v82, v92
	v_mul_i32_i24_e32 v82, v46, v171
	v_mul_i32_i24_e32 v92, v45, v172
	s_wait_loadcnt 0x0
	v_mul_i32_i24_e32 v94, v75, v15
	scratch_load_b32 v75, off, off offset:428 th:TH_LOAD_LU ; 4-byte Folded Reload
	s_wait_loadcnt 0x0
	v_mul_i32_i24_e32 v95, v75, v14
	scratch_load_b32 v75, off, off offset:424 th:TH_LOAD_LU ; 4-byte Folded Reload
	v_add3_u32 v68, v68, v94, v95
	v_mul_i32_i24_e32 v94, v44, v173
	v_mul_i32_i24_e32 v95, v43, v174
	;; [unrolled: 1-line block ×3, first 2 shown]
	s_wait_loadcnt 0x0
	v_mul_i32_i24_e32 v96, v75, v10
	scratch_load_b32 v75, off, off offset:420 th:TH_LOAD_LU ; 4-byte Folded Reload
	s_wait_loadcnt 0x0
	v_mul_i32_i24_e32 v97, v75, v13
	scratch_load_b32 v75, off, off offset:56 th:TH_LOAD_LU ; 4-byte Folded Reload
	v_add3_u32 v68, v68, v96, v97
	v_mul_i32_i24_e32 v96, v42, v175
	v_mul_i32_i24_e32 v97, v41, v176
	s_wait_loadcnt 0x0
	v_mul_i32_i24_e32 v98, v75, v11
	scratch_load_b32 v75, off, off offset:52 th:TH_LOAD_LU ; 4-byte Folded Reload
	s_wait_loadcnt 0x0
	v_mul_i32_i24_e32 v99, v75, v12
	scratch_load_b32 v75, off, off offset:48 th:TH_LOAD_LU ; 4-byte Folded Reload
	v_add3_u32 v68, v68, v98, v99
	v_mul_i32_i24_e32 v98, v40, v177
	v_mul_i32_i24_e32 v99, v39, v179
	;; [unrolled: 9-line block ×3, first 2 shown]
	s_wait_loadcnt 0x0
	v_mul_i32_i24_e32 v109, v75, v4
	scratch_load_b32 v75, off, off offset:68 th:TH_LOAD_LU ; 4-byte Folded Reload
	s_wait_loadcnt 0x0
	v_mul_i32_i24_e32 v112, v75, v5
	scratch_load_b32 v75, off, off offset:64 th:TH_LOAD_LU ; 4-byte Folded Reload
	v_add3_u32 v68, v68, v109, v112
	v_mul_i32_i24_e32 v109, v36, v83
	scratch_load_b32 v83, off, off offset:824 th:TH_LOAD_LU ; 4-byte Folded Reload
	s_wait_loadcnt 0x1
	v_mul_i32_i24_e32 v114, v75, v6
	scratch_load_b32 v75, off, off offset:60 th:TH_LOAD_LU ; 4-byte Folded Reload
	s_wait_loadcnt 0x1
	;; [unrolled: 3-line block ×3, first 2 shown]
	v_mul_i32_i24_e32 v115, v75, v2
	scratch_load_b32 v75, off, off offset:188 th:TH_LOAD_LU ; 4-byte Folded Reload
	v_add3_u32 v68, v68, v114, v115
	s_wait_loadcnt 0x1
	v_mul_i32_i24_e32 v112, v34, v83
	scratch_load_b32 v83, off, off offset:120 th:TH_LOAD_LU ; 4-byte Folded Reload
	s_wait_loadcnt 0x1
	v_mul_i32_i24_e32 v75, v75, v7
	s_delay_alu instid0(VALU_DEP_1)
	v_add3_u32 v68, v68, v75, v122
	s_clause 0x1
	scratch_load_b32 v122, off, off offset:796 th:TH_LOAD_LU
	scratch_load_b32 v75, off, off offset:836 th:TH_LOAD_LU
	s_wait_loadcnt 0x2
	v_mul_i32_i24_e32 v83, v45, v83
	v_mul_i32_i24_e32 v45, v45, v236
	v_add3_u32 v68, v68, v123, v126
	s_delay_alu instid0(VALU_DEP_1) | instskip(SKIP_2) | instid1(VALU_DEP_1)
	v_mul_lo_u32 v68, v68, v69
	scratch_load_b32 v69, off, off offset:352 th:TH_LOAD_LU ; 4-byte Folded Reload
	v_cvt_f32_i32_e32 v68, v68
	v_fma_mix_f32 v66, v28, v68, v66 op_sel_hi:[1,0,0]
	scratch_load_b32 v68, off, off offset:88 th:TH_LOAD_LU ; 4-byte Folded Reload
	s_wait_loadcnt 0x2
	v_mul_i32_i24_e32 v75, v53, v75
	s_wait_loadcnt 0x0
	v_fma_mix_f32 v67, v68, v28, v67 op_sel:[0,1,0] op_sel_hi:[0,1,0]
	scratch_load_b32 v68, off, off offset:16 ; 4-byte Folded Reload
	s_wait_loadcnt 0x0
	v_mul_f32_e32 v67, v67, v68
	scratch_load_b32 v68, off, off offset:12 ; 4-byte Folded Reload
	s_wait_loadcnt 0x0
	v_fma_f32 v66, v66, v68, -v67
	s_clause 0x1
	scratch_load_b32 v67, off, off offset:324 th:TH_LOAD_LU
	scratch_load_b32 v68, off, off offset:124 th:TH_LOAD_LU
	v_add_f32_e32 v122, v122, v66
	scratch_load_b32 v66, off, off offset:832 th:TH_LOAD_LU ; 4-byte Folded Reload
	s_wait_loadcnt 0x2
	v_mul_i32_i24_e32 v67, v58, v67
	s_wait_loadcnt 0x1
	v_mul_i32_i24_e32 v68, v56, v68
	;; [unrolled: 2-line block ×3, first 2 shown]
	s_delay_alu instid0(VALU_DEP_1)
	v_mad_i32_i24 v66, v65, v69, v66
	scratch_load_b32 v69, off, off offset:356 th:TH_LOAD_LU ; 4-byte Folded Reload
	v_add3_u32 v66, v66, v67, v68
	s_clause 0x1
	scratch_load_b32 v67, off, off offset:328 th:TH_LOAD_LU
	scratch_load_b32 v68, off, off offset:128 th:TH_LOAD_LU
	s_wait_loadcnt 0x2
	v_mul_i32_i24_e32 v69, v61, v69
	s_wait_loadcnt 0x1
	v_mul_i32_i24_e32 v67, v64, v67
	s_wait_loadcnt 0x0
	v_mul_i32_i24_e32 v68, v63, v68
	s_delay_alu instid0(VALU_DEP_1) | instskip(SKIP_2) | instid1(VALU_DEP_3)
	v_add3_u32 v66, v66, v67, v68
	v_mul_i32_i24_e32 v68, v18, v182
	v_fma_mix_f32 v67, v180, v27, 0 op_sel:[0,1,0] op_sel_hi:[0,1,0]
	v_add3_u32 v66, v66, v69, v70
	v_mul_i32_i24_e32 v69, v17, v183
	v_mul_i32_i24_e32 v70, v16, v206
	v_mad_i32_i24 v68, v19, v204, v68
	v_fma_mix_f32 v67, v168, v28, v67 op_sel:[0,1,0] op_sel_hi:[0,1,0]
	v_add3_u32 v66, v66, v71, v72
	scratch_load_b32 v72, off, off offset:332 th:TH_LOAD_LU ; 4-byte Folded Reload
	v_mul_i32_i24_e32 v71, v26, v143
	v_add3_u32 v68, v68, v69, v70
	scratch_load_b32 v70, off, off offset:156 th:TH_LOAD_LU ; 4-byte Folded Reload
	v_add3_u32 v66, v66, v73, v74
	scratch_load_b32 v74, off, off offset:336 th:TH_LOAD_LU ; 4-byte Folded Reload
	v_mul_i32_i24_e32 v69, v33, v230
	v_mul_i32_i24_e32 v73, v30, v131
	v_mul_f32_e32 v67, v67, v169
	v_add3_u32 v66, v66, v75, v76
	scratch_load_b32 v76, off, off offset:160 th:TH_LOAD_LU ; 4-byte Folded Reload
	v_mul_i32_i24_e32 v75, v25, v132
	v_add3_u32 v66, v66, v77, v78
	v_mul_i32_i24_e32 v77, v24, v145
	v_mul_i32_i24_e32 v78, v22, v148
	s_delay_alu instid0(VALU_DEP_3) | instskip(SKIP_2) | instid1(VALU_DEP_3)
	v_add3_u32 v66, v66, v79, v80
	v_mul_i32_i24_e32 v79, v21, v147
	v_mul_i32_i24_e32 v80, v20, v149
	v_add3_u32 v66, v66, v81, v82
	v_mul_i32_i24_e32 v81, v15, v150
	v_mul_i32_i24_e32 v82, v14, v152
	s_delay_alu instid0(VALU_DEP_3)
	v_add3_u32 v66, v66, v92, v94
	v_mul_i32_i24_e32 v92, v10, v151
	v_mul_i32_i24_e32 v94, v13, v153
	s_clause 0x1
	scratch_load_b32 v151, off, off offset:1316
	scratch_load_b32 v153, off, off offset:804
	v_add3_u32 v66, v66, v95, v96
	v_mul_i32_i24_e32 v95, v11, v154
	v_mul_i32_i24_e32 v96, v12, v156
	s_delay_alu instid0(VALU_DEP_3) | instskip(SKIP_4) | instid1(VALU_DEP_1)
	v_add3_u32 v66, v66, v97, v98
	v_mul_i32_i24_e32 v97, v8, v155
	v_mul_i32_i24_e32 v98, v6, v159
	scratch_load_b32 v155, off, off offset:1296 ; 4-byte Folded Reload
	v_add3_u32 v66, v66, v99, v100
	v_add3_u32 v66, v66, v101, v109
	s_delay_alu instid0(VALU_DEP_1) | instskip(NEXT) | instid1(VALU_DEP_1)
	v_add3_u32 v66, v66, v111, v112
	v_mul_lo_u32 v66, v66, v178
	s_delay_alu instid0(VALU_DEP_1) | instskip(NEXT) | instid1(VALU_DEP_1)
	v_cvt_f32_i32_e32 v66, v66
	v_fma_mix_f32 v66, v27, v66, 0 op_sel_hi:[1,0,0]
	s_wait_loadcnt 0x6
	v_mul_i32_i24_e32 v72, v29, v72
	s_wait_loadcnt 0x5
	v_mul_i32_i24_e32 v70, v32, v70
	;; [unrolled: 2-line block ×3, first 2 shown]
	s_delay_alu instid0(VALU_DEP_2)
	v_add3_u32 v68, v68, v69, v70
	s_clause 0x1
	scratch_load_b32 v69, off, off offset:100 th:TH_LOAD_LU
	scratch_load_b32 v70, off, off offset:244 th:TH_LOAD_LU
	s_wait_loadcnt 0x5
	v_mul_i32_i24_e32 v76, v23, v76
	v_add3_u32 v68, v68, v71, v72
	s_clause 0x1
	scratch_load_b32 v71, off, off offset:248 th:TH_LOAD_LU
	scratch_load_b32 v72, off, off offset:252 th:TH_LOAD_LU
	v_add3_u32 v68, v68, v73, v74
	s_clause 0x1
	scratch_load_b32 v73, off, off offset:256 th:TH_LOAD_LU
	scratch_load_b32 v74, off, off offset:260 th:TH_LOAD_LU
	;; [unrolled: 4-line block ×6, first 2 shown]
	v_add3_u32 v68, v68, v92, v94
	v_mul_i32_i24_e32 v92, v36, v197
	v_mul_i32_i24_e32 v94, v34, v202
	;; [unrolled: 1-line block ×3, first 2 shown]
	s_delay_alu instid0(VALU_DEP_4) | instskip(SKIP_1) | instid1(VALU_DEP_2)
	v_add3_u32 v68, v68, v95, v96
	v_mul_i32_i24_e32 v96, v3, v140
	v_add3_u32 v68, v68, v97, v93
	scratch_load_b32 v97, off, off offset:792 th:TH_LOAD_LU ; 4-byte Folded Reload
	v_mul_i32_i24_e32 v93, v35, v198
	v_mul_i32_i24_e32 v35, v35, v207
	v_add3_u32 v68, v68, v91, v90
	v_mul_i32_i24_e32 v90, v38, v191
	v_mul_i32_i24_e32 v91, v37, v195
	s_delay_alu instid0(VALU_DEP_3)
	v_add3_u32 v68, v68, v98, v88
	scratch_load_b32 v88, off, off offset:304 th:TH_LOAD_LU ; 4-byte Folded Reload
	v_add3_u32 v68, v68, v87, v86
	s_clause 0x1
	scratch_load_b32 v86, off, off offset:300 th:TH_LOAD_LU
	scratch_load_b32 v87, off, off offset:816 th:TH_LOAD_LU
	v_add3_u32 v68, v68, v89, v85
	scratch_load_b32 v85, off, off offset:296 th:TH_LOAD_LU ; 4-byte Folded Reload
	v_mul_i32_i24_e32 v89, v39, v189
	v_mul_i32_i24_e32 v39, v39, v233
	v_mul_lo_u32 v68, v68, v167
	s_delay_alu instid0(VALU_DEP_1) | instskip(NEXT) | instid1(VALU_DEP_1)
	v_cvt_f32_i32_e32 v68, v68
	v_fma_mix_f32 v66, v28, v68, v66 op_sel_hi:[1,0,0]
	scratch_load_b32 v68, off, off offset:104 th:TH_LOAD_LU ; 4-byte Folded Reload
	v_fma_f32 v66, v66, v135, -v67
	scratch_load_b32 v67, off, off offset:236 th:TH_LOAD_LU ; 4-byte Folded Reload
	s_wait_loadcnt 0x13
	v_mul_i32_i24_e32 v70, v60, v70
	v_mul_i32_i24_e32 v60, v60, v249
	s_wait_loadcnt 0x12
	v_mul_i32_i24_e32 v71, v59, v71
	s_wait_loadcnt 0x11
	v_mul_i32_i24_e32 v72, v57, v72
	v_mul_i32_i24_e32 v59, v59, v250
	v_mul_i32_i24_e32 v57, v57, v251
	s_wait_loadcnt 0x10
	v_mul_i32_i24_e32 v73, v55, v73
	s_wait_loadcnt 0xf
	v_mul_i32_i24_e32 v74, v54, v74
	;; [unrolled: 6-line block ×6, first 2 shown]
	v_mul_i32_i24_e32 v47, v47, v234
	v_mul_i32_i24_e32 v46, v46, v235
	s_wait_loadcnt 0x6
	v_add_f32_e32 v97, v97, v66
	scratch_load_b32 v66, off, off offset:232 th:TH_LOAD_LU ; 4-byte Folded Reload
	s_wait_loadcnt 0x6
	v_mul_i32_i24_e32 v88, v40, v88
	v_mul_i32_i24_e32 v40, v40, v242
	s_wait_loadcnt 0x5
	v_mul_i32_i24_e32 v86, v42, v86
	s_wait_loadcnt 0x4
	v_mul_i32_i24_e32 v87, v41, v87
	v_mul_i32_i24_e32 v42, v42, v239
	;; [unrolled: 1-line block ×3, first 2 shown]
	s_wait_loadcnt 0x3
	v_mul_i32_i24_e32 v85, v43, v85
	v_mul_i32_i24_e32 v43, v43, v238
	s_wait_loadcnt 0x2
	v_mul_i32_i24_e32 v68, v56, v68
	v_mul_i32_i24_e32 v56, v56, v134
	;; [unrolled: 3-line block ×4, first 2 shown]
	s_delay_alu instid0(VALU_DEP_2)
	v_mad_i32_i24 v66, v65, v69, v66
	scratch_load_b32 v69, off, off offset:112 th:TH_LOAD_LU ; 4-byte Folded Reload
	v_mad_i32_i24 v62, v65, v245, v62
	v_add3_u32 v66, v66, v67, v68
	s_clause 0x1
	scratch_load_b32 v67, off, off offset:108 th:TH_LOAD_LU
	scratch_load_b32 v68, off, off offset:240 th:TH_LOAD_LU
	v_add3_u32 v56, v62, v58, v56
	v_mul_i32_i24_e32 v62, v63, v247
	v_mul_i32_i24_e32 v58, v64, v246
	s_delay_alu instid0(VALU_DEP_1)
	v_add3_u32 v56, v56, v58, v62
	s_wait_loadcnt 0x2
	v_mul_i32_i24_e32 v69, v61, v69
	v_mul_i32_i24_e32 v61, v61, v248
	s_wait_loadcnt 0x1
	v_mul_i32_i24_e32 v67, v64, v67
	s_wait_loadcnt 0x0
	v_mul_i32_i24_e32 v68, v63, v68
	v_add3_u32 v56, v56, v61, v60
	s_delay_alu instid0(VALU_DEP_2) | instskip(SKIP_1) | instid1(VALU_DEP_3)
	v_add3_u32 v66, v66, v67, v68
	v_mul_i32_i24_e32 v68, v18, v192
	v_add3_u32 v56, v56, v59, v57
	v_mul_i32_i24_e32 v18, v18, v229
	v_fma_mix_f32 v67, v190, v27, 0 op_sel:[0,1,0] op_sel_hi:[0,1,0]
	v_add3_u32 v66, v66, v69, v70
	v_mul_i32_i24_e32 v69, v17, v193
	v_mul_i32_i24_e32 v70, v16, v196
	v_mad_i32_i24 v68, v19, v194, v68
	v_add3_u32 v54, v56, v55, v54
	v_add3_u32 v66, v66, v71, v72
	v_mul_i32_i24_e32 v17, v17, v231
	v_mul_i32_i24_e32 v16, v16, v232
	v_add3_u32 v68, v68, v69, v70
	v_mul_i32_i24_e32 v69, v33, v199
	v_add3_u32 v66, v66, v73, v74
	;; [unrolled: 2-line block ×3, first 2 shown]
	v_mad_i32_i24 v18, v19, v228, v18
	v_mul_i32_i24_e32 v72, v29, v203
	v_add3_u32 v66, v66, v75, v76
	v_add3_u32 v68, v68, v69, v70
	;; [unrolled: 1-line block ×3, first 2 shown]
	v_mul_i32_i24_e32 v73, v30, v241
	v_mul_i32_i24_e32 v75, v25, v243
	v_add3_u32 v66, v66, v77, v78
	v_mul_i32_i24_e32 v71, v26, v201
	v_add3_u32 v48, v50, v49, v48
	v_mul_i32_i24_e32 v76, v23, v209
	v_mul_i32_i24_e32 v78, v22, v212
	v_add3_u32 v66, v66, v79, v80
	v_mul_i32_i24_e32 v22, v22, v103
	v_add3_u32 v46, v48, v47, v46
	;; [unrolled: 5-line block ×3, first 2 shown]
	v_mul_i32_i24_e32 v81, v15, v214
	v_add3_u32 v68, v68, v71, v72
	v_add3_u32 v66, v66, v83, v84
	v_mul_i32_i24_e32 v83, v10, v215
	v_add3_u32 v42, v44, v43, v42
	v_mul_i32_i24_e32 v84, v13, v217
	v_add3_u32 v68, v68, v73, v74
	v_add3_u32 v66, v66, v85, v86
	v_mul_i32_i24_e32 v86, v12, v220
	v_add3_u32 v40, v42, v41, v40
	v_mul_i32_i24_e32 v12, v12, v113
	v_mul_i32_i24_e32 v85, v11, v218
	v_add3_u32 v66, v66, v87, v88
	v_mul_i32_i24_e32 v87, v8, v219
	v_mul_i32_i24_e32 v88, v9, v221
	;; [unrolled: 1-line block ×3, first 2 shown]
	v_add3_u32 v68, v68, v75, v76
	v_add3_u32 v66, v66, v89, v90
	v_mul_i32_i24_e32 v89, v4, v141
	v_mul_i32_i24_e32 v90, v5, v222
	;; [unrolled: 1-line block ×4, first 2 shown]
	v_add3_u32 v66, v66, v91, v92
	s_clause 0x2
	scratch_load_b32 v154, off, off offset:1292
	scratch_load_b32 v92, off, off offset:308 th:TH_LOAD_LU
	scratch_load_b32 v95, off, off offset:316 th:TH_LOAD_LU
	v_mul_i32_i24_e32 v91, v6, v164
	v_add3_u32 v68, v68, v77, v78
	v_add3_u32 v66, v66, v93, v94
	s_clause 0x4
	scratch_load_b32 v93, off, off offset:312 th:TH_LOAD_LU
	scratch_load_b32 v94, off, off offset:320 th:TH_LOAD_LU
	scratch_load_b32 v70, off, off offset:1308
	scratch_load_b32 v69, off, off offset:1288
	scratch_load_b32 v63, off, off offset:220 th:TH_LOAD_LU
	v_add3_u32 v68, v68, v79, v80
	v_mul_lo_u32 v66, v66, v188
	v_fma_mix_f32 v67, v223, v28, v67 op_sel:[0,1,0] op_sel_hi:[0,1,0]
	s_clause 0x1
	scratch_load_b32 v71, off, off offset:1312
	scratch_load_b32 v64, off, off offset:1256
	v_add3_u32 v68, v68, v81, v82
	v_mul_f32_e32 v67, v67, v224
	v_cvt_f32_i32_e32 v66, v66
	s_delay_alu instid0(VALU_DEP_3) | instskip(NEXT) | instid1(VALU_DEP_2)
	v_add3_u32 v68, v68, v83, v84
	v_fma_mix_f32 v66, v27, v66, 0 op_sel_hi:[1,0,0]
	s_delay_alu instid0(VALU_DEP_2) | instskip(NEXT) | instid1(VALU_DEP_1)
	v_add3_u32 v68, v68, v85, v86
	v_add3_u32 v68, v68, v87, v88
	s_delay_alu instid0(VALU_DEP_1)
	v_add3_u32 v68, v68, v89, v90
	s_wait_loadcnt 0x8
	v_mul_i32_i24_e32 v92, v2, v92
	s_wait_loadcnt 0x7
	v_mul_i32_i24_e32 v95, v0, v95
	v_mul_i32_i24_e32 v0, v0, v124
	s_wait_loadcnt 0x6
	v_mul_i32_i24_e32 v93, v7, v93
	s_wait_loadcnt 0x5
	v_mul_i32_i24_e32 v94, v1, v94
	v_add3_u32 v68, v68, v91, v92
	s_wait_loadcnt 0x2
	v_mul_i32_i24_e32 v38, v38, v63
	scratch_load_b32 v63, off, off offset:224 th:TH_LOAD_LU ; 4-byte Folded Reload
	v_add3_u32 v68, v68, v93, v94
	v_add3_u32 v38, v40, v39, v38
	scratch_load_b32 v40, off, off offset:788 th:TH_LOAD_LU ; 4-byte Folded Reload
	v_add3_u32 v68, v68, v95, v96
	s_delay_alu instid0(VALU_DEP_1) | instskip(NEXT) | instid1(VALU_DEP_1)
	v_mul_lo_u32 v68, v68, v227
	v_cvt_f32_i32_e32 v68, v68
	s_delay_alu instid0(VALU_DEP_1) | instskip(NEXT) | instid1(VALU_DEP_1)
	v_fma_mix_f32 v66, v28, v68, v66 op_sel_hi:[1,0,0]
	v_fma_f32 v66, v66, v225, -v67
	scratch_load_b32 v67, off, off          ; 4-byte Folded Reload
	s_wait_loadcnt 0x2
	v_mul_i32_i24_e32 v37, v37, v63
	scratch_load_b32 v63, off, off offset:228 th:TH_LOAD_LU ; 4-byte Folded Reload
	s_wait_loadcnt 0x1
	v_add_f32_e32 v67, v67, v66
	scratch_store_b32 off, v67, off         ; 4-byte Folded Spill
	scratch_load_b32 v66, off, off          ; 4-byte Folded Reload
	s_wait_loadcnt 0x1
	v_mul_i32_i24_e32 v36, v36, v63
	s_delay_alu instid0(VALU_DEP_1) | instskip(NEXT) | instid1(VALU_DEP_1)
	v_add3_u32 v36, v38, v37, v36
	v_add3_u32 v34, v36, v35, v34
	;; [unrolled: 1-line block ×3, first 2 shown]
	scratch_load_b32 v16, off, off offset:192 th:TH_LOAD_LU ; 4-byte Folded Reload
	v_mul_i32_i24_e32 v17, v14, v107
	v_mul_i32_i24_e32 v14, v10, v106
	scratch_load_b32 v10, off, off offset:812 th:TH_LOAD_LU ; 4-byte Folded Reload
	v_mul_i32_i24_e32 v18, v21, v102
	v_mul_lo_u32 v34, v34, v244
	s_delay_alu instid0(VALU_DEP_1) | instskip(NEXT) | instid1(VALU_DEP_1)
	v_cvt_f32_i32_e32 v34, v34
	v_fma_mix_f32 v34, v27, v34, 0 op_sel_hi:[1,0,0]
	v_fma_mix_f32 v27, v226, v27, 0 op_sel:[0,1,0] op_sel_hi:[0,1,0]
	s_wait_loadcnt 0x1
	v_mul_i32_i24_e32 v36, v33, v16
	scratch_load_b32 v16, off, off offset:200 th:TH_LOAD_LU ; 4-byte Folded Reload
	s_wait_loadcnt 0x1
	v_mul_i32_i24_e32 v10, v8, v10
	v_mul_i32_i24_e32 v8, v4, v117
	;; [unrolled: 1-line block ×4, first 2 shown]
	s_wait_loadcnt 0x0
	v_mul_i32_i24_e32 v37, v32, v16
	scratch_load_b32 v16, off, off offset:196 th:TH_LOAD_LU ; 4-byte Folded Reload
	v_add3_u32 v3, v35, v36, v37
	s_wait_loadcnt 0x0
	v_mul_i32_i24_e32 v32, v26, v16
	scratch_load_b32 v16, off, off offset:780 th:TH_LOAD_LU ; 4-byte Folded Reload
	s_wait_loadcnt 0x0
	v_mul_i32_i24_e32 v33, v29, v16
	scratch_load_b32 v16, off, off offset:204 th:TH_LOAD_LU ; 4-byte Folded Reload
	v_add3_u32 v3, v3, v32, v33
	s_wait_loadcnt 0x0
	v_mul_i32_i24_e32 v29, v30, v16
	scratch_load_b32 v16, off, off offset:212 th:TH_LOAD_LU ; 4-byte Folded Reload
	;; [unrolled: 7-line block ×3, first 2 shown]
	s_wait_loadcnt 0x0
	v_mul_i32_i24_e32 v26, v23, v16
	scratch_load_b32 v16, off, off offset:216 th:TH_LOAD_LU ; 4-byte Folded Reload
	v_add3_u32 v3, v3, v25, v26
	scratch_load_b32 v25, off, off offset:1248 ; 4-byte Folded Reload
	s_wait_loadcnt 0x1
	v_mul_i32_i24_e32 v23, v24, v16
	v_mul_i32_i24_e32 v16, v15, v105
	;; [unrolled: 1-line block ×5, first 2 shown]
	v_add3_u32 v3, v3, v23, v22
	v_mul_i32_i24_e32 v9, v5, v119
	v_mul_i32_i24_e32 v5, v6, v118
	;; [unrolled: 1-line block ×4, first 2 shown]
	v_add3_u32 v3, v3, v18, v19
	scratch_load_b32 v23, off, off offset:808 ; 4-byte Folded Reload
	v_add3_u32 v3, v3, v16, v17
	s_delay_alu instid0(VALU_DEP_1) | instskip(NEXT) | instid1(VALU_DEP_1)
	v_add3_u32 v3, v3, v14, v15
	v_add3_u32 v3, v3, v13, v12
	s_delay_alu instid0(VALU_DEP_1) | instskip(NEXT) | instid1(VALU_DEP_1)
	v_add3_u32 v3, v3, v10, v11
	v_add3_u32 v3, v3, v8, v9
	s_delay_alu instid0(VALU_DEP_1) | instskip(NEXT) | instid1(VALU_DEP_1)
	v_add3_u32 v3, v3, v5, v6
	v_add3_u32 v2, v3, v2, v4
	s_delay_alu instid0(VALU_DEP_1)
	v_add3_u32 v0, v2, v0, v1
	s_clause 0x1
	scratch_load_b32 v1, off, off offset:152 th:TH_LOAD_LU
	scratch_load_b32 v2, off, off offset:4
	s_wait_loadcnt 0x1
	v_mul_lo_u32 v0, v0, v1
	scratch_load_b32 v1, off, off offset:148 th:TH_LOAD_LU ; 4-byte Folded Reload
	v_cvt_f32_i32_e32 v0, v0
	s_delay_alu instid0(VALU_DEP_1) | instskip(SKIP_4) | instid1(VALU_DEP_1)
	v_fma_mix_f32 v0, v28, v0, v34 op_sel_hi:[1,0,0]
	s_wait_loadcnt 0x0
	v_fma_mix_f32 v1, v1, v28, v27 op_sel:[0,1,0] op_sel_hi:[0,1,0]
	scratch_load_b32 v27, off, off offset:1252 ; 4-byte Folded Reload
	v_mul_f32_e32 v1, v1, v146
	v_fma_f32 v0, v0, v2, -v1
	s_delay_alu instid0(VALU_DEP_1)
	v_add_f32_e32 v40, v40, v0
	s_cbranch_vccnz .LBB132_6
; %bb.7:                                ;   in Loop: Header=BB132_5 Depth=1
	scratch_load_b32 v0, off, off offset:1656 ; 4-byte Folded Reload
	s_wait_loadcnt 0x0
	s_wait_storecnt 0x0
	s_barrier_signal -1
	s_barrier_wait -1
	v_add_nc_u32_e32 v10, s7, v0
	scratch_load_b32 v0, off, off offset:1332 ; 4-byte Folded Reload
	s_wait_loadcnt 0x0
	global_inv scope:SCOPE_SE
	s_clause 0x6
	scratch_load_b32 v1, off, off offset:1336
	scratch_load_b32 v5, off, off offset:1344
	;; [unrolled: 1-line block ×4, first 2 shown]
	scratch_load_b64 v[17:18], off, off offset:1380
	scratch_load_b32 v7, off, off offset:1348
	scratch_load_b32 v13, off, off offset:1356
	s_mov_b32 s7, 16
	v_add_nc_u32_e32 v0, v10, v0
	s_wait_loadcnt 0x6
	v_add_nc_u32_e32 v2, v10, v1
	scratch_load_b32 v1, off, off offset:1340 ; 4-byte Folded Reload
	s_wait_loadcnt 0x5
	v_add_nc_u32_e32 v11, v10, v9
	v_add_nc_u32_e32 v6, v10, v5
	s_wait_loadcnt 0x4
	v_add_nc_u32_e32 v12, v10, v12
	s_wait_loadcnt 0x3
	v_mad_co_i64_i32 v[2:3], null, v2, 36, v[17:18]
	s_wait_loadcnt 0x1
	v_add_nc_u32_e32 v14, v10, v13
	scratch_load_b32 v13, off, off offset:1420 th:TH_LOAD_LU ; 4-byte Folded Reload
	v_add_nc_u32_e32 v8, v10, v7
	v_mad_co_i64_i32 v[6:7], null, v6, 36, v[17:18]
	v_mad_co_i64_i32 v[14:15], null, v14, 36, v[17:18]
	s_delay_alu instid0(VALU_DEP_3) | instskip(SKIP_4) | instid1(VALU_DEP_3)
	v_mad_co_i64_i32 v[8:9], null, v8, 36, v[17:18]
	s_wait_loadcnt 0x1
	v_add_nc_u32_e32 v4, v10, v1
	v_mad_co_i64_i32 v[10:11], null, v11, 36, v[17:18]
	v_mad_co_i64_i32 v[0:1], null, v0, 36, v[17:18]
	;; [unrolled: 1-line block ×3, first 2 shown]
	s_wait_loadcnt 0x0
	v_add_nc_u32_e32 v16, 4, v13
	v_mad_co_i64_i32 v[12:13], null, v12, 36, v[17:18]
	s_delay_alu instid0(VALU_DEP_2)
	v_mad_co_u64_u32 v[16:17], null, v16, 36, s[2:3]
	s_clause 0x8
	global_load_b32 v10, v[10:11], off offset:4
	global_load_b32 v0, v[0:1], off offset:4
	;; [unrolled: 1-line block ×8, first 2 shown]
	global_load_b32 v7, v[16:17], off
	scratch_load_b32 v8, off, off offset:1416 ; 4-byte Folded Reload
	s_wait_loadcnt 0x0
	ds_store_b32 v8, v10
	scratch_load_b32 v8, off, off offset:1388 ; 4-byte Folded Reload
	s_wait_loadcnt 0x0
	ds_store_b32 v8, v0
	;; [unrolled: 3-line block ×9, first 2 shown]
	s_wait_dscnt 0x0
	s_barrier_signal -1
	s_barrier_wait -1
	global_inv scope:SCOPE_SE
	s_clause 0x3
	scratch_load_b32 v0, off, off offset:1364
	scratch_load_b32 v1, off, off offset:1368
	;; [unrolled: 1-line block ×4, first 2 shown]
	s_wait_loadcnt 0x3
	ds_load_b32 v0, v0
	s_wait_loadcnt 0x2
	ds_load_b32 v1, v1 offset:128
	s_wait_loadcnt 0x1
	ds_load_b32 v2, v2 offset:256
	;; [unrolled: 2-line block ×3, first 2 shown]
	s_wait_dscnt 0x3
	v_lshrrev_b32_e32 v4, 16, v0
	v_cvt_f32_f16_e32 v0, v0
	scratch_store_b32 off, v0, off offset:776 ; 4-byte Folded Spill
	s_wait_dscnt 0x2
	v_cvt_f32_f16_e32 v0, v1
	scratch_store_b32 off, v0, off offset:1128 ; 4-byte Folded Spill
	v_lshrrev_b32_e32 v0, 16, v1
	s_wait_dscnt 0x1
	v_cvt_f32_f16_e32 v1, v2
	s_delay_alu instid0(VALU_DEP_2)
	v_cvt_f32_f16_e32 v0, v0
	scratch_store_b32 off, v1, off offset:780 ; 4-byte Folded Spill
	v_lshrrev_b32_e32 v1, 16, v2
	s_wait_dscnt 0x0
	v_lshrrev_b32_e32 v2, 16, v3
	v_cvt_f32_f16_e32 v3, v3
	scratch_store_b32 off, v0, off offset:1132 ; 4-byte Folded Spill
	v_cvt_f32_f16_e32 v0, v1
	scratch_store_b32 off, v0, off offset:784 ; 4-byte Folded Spill
	;; [unrolled: 2-line block ×3, first 2 shown]
	v_cvt_f32_f16_e32 v3, v4
	s_clause 0x1
	scratch_store_b32 off, v0, off offset:4
	scratch_store_b32 off, v3, off offset:180
.LBB132_8:                              ;   Parent Loop BB132_5 Depth=1
                                        ; =>  This Inner Loop Header: Depth=2
	s_wait_alu 0xfffe
	s_lshl_b32 s16, s7, 2
	s_clause 0x4
	scratch_store_b32 off, v127, off offset:800
	scratch_store_b32 off, v122, off offset:796
	;; [unrolled: 1-line block ×3, first 2 shown]
	scratch_store_b32 off, v66, off
	scratch_store_b32 off, v40, off offset:788
	s_wait_alu 0xfffe
	v_add_nc_u32_e32 v5, s16, v69
	s_lshr_b32 s10, s7, 2
	s_wait_alu 0xfffe
	s_and_b32 s11, s10, 0x3ffffffe
	s_lshl_b32 s10, s7, 1
	ds_load_2addr_b32 v[43:44], v5 offset1:1
	s_wait_alu 0xfffe
	s_and_b32 s10, s10, 16
	s_addk_co_i32 s11, 0x6200
	s_wait_alu 0xfffe
	v_or_b32_e32 v0, s10, v64
	v_add3_u32 v4, s11, v70, v71
	s_delay_alu instid0(VALU_DEP_2)
	v_lshlrev_b32_e32 v1, 2, v0
	v_lshrrev_b32_e32 v91, 1, v0
	s_wait_dscnt 0x0
	v_and_b32_e32 v0, 0xf0f0f0f, v43
	v_bfe_u32 v9, v43, 16, 4
	v_bfe_u32 v214, v44, 24, 4
	;; [unrolled: 1-line block ×4, first 2 shown]
	v_lshrrev_b16 v8, 8, v0
	ds_load_b128 v[16:19], v1 offset:16896
	ds_load_b128 v[32:35], v1 offset:16912
	;; [unrolled: 1-line block ×4, first 2 shown]
	ds_load_2addr_b32 v[53:54], v5 offset0:2 offset1:3
	ds_load_2addr_b32 v[60:61], v5 offset0:4 offset1:5
	;; [unrolled: 1-line block ×3, first 2 shown]
	v_and_b32_e32 v212, 0xffff, v8
	v_and_b32_e32 v8, 0xf0f0f0f, v44
	v_bfe_u32 v157, v44, 4, 4
	v_lshrrev_b32_e32 v249, 28, v43
	v_bfe_u32 v250, v43, 20, 4
	v_mov_b32_e32 v223, v9
	v_lshrrev_b16 v12, 8, v8
	v_bfe_u32 v8, v44, 16, 4
	s_delay_alu instid0(VALU_DEP_2) | instskip(NEXT) | instid1(VALU_DEP_2)
	v_and_b32_e32 v247, 0xffff, v12
	v_mov_b32_e32 v173, v8
	s_wait_dscnt 0x6
	v_bfe_i32 v123, v17, 16, 8
	v_lshrrev_b16 v6, 8, v16
	v_bfe_i32 v106, v17, 0, 8
	v_bfe_i32 v104, v18, 16, 8
	v_ashrrev_i32_e32 v96, 24, v19
	v_mul_i32_i24_e32 v39, v8, v123
	s_wait_dscnt 0x2
	v_bfe_u32 v8, v53, 16, 4
	v_and_b32_e32 v12, 15, v44
	v_bfe_i32 v128, v6, 0, 8
	v_bfe_u32 v6, v54, 24, 4
	v_bfe_i32 v126, v16, 16, 8
	v_mul_i32_i24_e32 v45, v8, v104
	v_mov_b32_e32 v235, v8
	s_clause 0x1
	scratch_store_b32 off, v12, off offset:428
	scratch_store_b32 off, v6, off offset:432
	v_mul_i32_i24_e32 v37, v12, v106
	s_wait_dscnt 0x1
	v_bfe_u32 v8, v60, 16, 4
	v_and_b32_e32 v12, 0xf0f0f0f, v53
	v_bfe_i32 v125, v16, 0, 8
	v_ashrrev_i32_e32 v127, 24, v16
	v_bfe_i32 v99, v18, 0, 8
	v_mul_i32_i24_e32 v56, v6, v96
	v_bfe_u32 v6, v60, 24, 4
	v_ashrrev_i32_e32 v89, 24, v32
	v_mov_b32_e32 v167, v8
	v_lshrrev_b16 v16, 8, v12
	v_and_b32_e32 v12, 15, v53
	v_bfe_i32 v86, v32, 0, 8
	v_mul_i32_i24_e32 v63, v6, v89
	v_mov_b32_e32 v166, v6
	v_bfe_u32 v6, v61, 24, 4
	v_mul_i32_i24_e32 v41, v12, v99
	v_dual_mov_b32 v163, v12 :: v_dual_and_b32 v12, 15, v60
	v_ashrrev_i32_e32 v85, 24, v33
	v_lshrrev_b16 v10, 8, v17
	v_lshrrev_b16 v20, 8, v19
	v_bfe_i32 v82, v33, 0, 8
	v_mul_i32_i24_e32 v58, v12, v86
	v_mov_b32_e32 v164, v12
	v_and_b32_e32 v12, 15, v61
	v_mul_i32_i24_e32 v71, v6, v85
	v_mov_b32_e32 v169, v6
	s_wait_dscnt 0x0
	v_bfe_u32 v6, v65, 24, 4
	v_ashrrev_i32_e32 v81, 24, v34
	v_lshrrev_b16 v14, 8, v18
	v_bfe_i32 v122, v10, 0, 8
	v_bfe_i32 v92, v20, 0, 8
	v_dual_mov_b32 v180, v12 :: v_dual_and_b32 v133, 15, v54
	v_mul_i32_i24_e32 v64, v12, v82
	v_and_b32_e32 v12, 15, v65
	v_and_b32_e32 v10, 0xffff, v16
	v_dual_mov_b32 v181, v6 :: v_dual_and_b32 v16, 0xf0f0f0f, v54
	v_mul_i32_i24_e32 v74, v6, v81
	v_bfe_u32 v6, v66, 24, 4
	v_and_b32_e32 v20, 0xf0f0f0f, v60
	v_bfe_i32 v103, v14, 0, 8
	v_lshrrev_b16 v22, 8, v32
	v_mov_b32_e32 v253, v12
	v_mov_b32_e32 v215, v6
	v_lshrrev_b16 v24, 8, v20
	v_mul_i32_i24_e32 v42, v10, v103
	v_mov_b32_e32 v162, v10
	v_bfe_i32 v87, v22, 0, 8
	v_lshrrev_b16 v26, 8, v33
	v_and_b32_e32 v10, 0xffff, v24
	v_and_b32_e32 v24, 0xf0f0f0f, v61
	;; [unrolled: 1-line block ×4, first 2 shown]
	v_ashrrev_i32_e32 v124, 24, v17
	v_mul_i32_i24_e32 v59, v10, v87
	v_lshrrev_b16 v28, 8, v24
	v_mov_b32_e32 v240, v10
	v_lshrrev_b16 v30, 8, v34
	v_bfe_i32 v88, v32, 16, 8
	v_bfe_i32 v83, v26, 0, 8
	v_and_b32_e32 v10, 0xffff, v28
	v_lshrrev_b16 v5, 8, v5
	v_and_b32_e32 v32, 0xf0f0f0f, v66
	v_mul_i32_i24_e32 v40, v214, v124
	v_bfe_u32 v130, v53, 24, 4
	v_mov_b32_e32 v172, v10
	v_ashrrev_i32_e32 v105, 24, v18
	v_lshrrev_b16 v21, 8, v16
	v_bfe_i32 v93, v19, 16, 8
	v_bfe_i32 v90, v19, 0, 8
	v_bfe_u32 v131, v54, 16, 4
	v_mul_i32_i24_e32 v69, v10, v83
	v_bfe_i32 v79, v30, 0, 8
	v_and_b32_e32 v10, 0xffff, v5
	v_lshrrev_b16 v75, 8, v32
	v_mul_i32_i24_e32 v36, v212, v128
	v_mul_i32_i24_e32 v38, v247, v122
	;; [unrolled: 1-line block ×6, first 2 shown]
	v_bfe_i32 v84, v33, 16, 8
	v_bfe_u32 v8, v61, 16, 4
	v_bfe_i32 v78, v34, 0, 8
	v_mul_i32_i24_e32 v72, v10, v79
	v_dual_mov_b32 v205, v10 :: v_dual_and_b32 v10, 0xffff, v75
	v_and_b32_e32 v132, 0xffff, v21
	v_mad_i32_i24 v40, v129, v127, v40
	v_mad_i32_i24 v37, v11, v125, v37
	;; [unrolled: 1-line block ×3, first 2 shown]
	v_lshrrev_b16 v57, 8, v35
	v_mul_i32_i24_e32 v70, v8, v84
	v_mov_b32_e32 v170, v8
	v_bfe_i32 v80, v34, 16, 8
	v_bfe_u32 v8, v65, 16, 4
	v_mul_i32_i24_e32 v5, v12, v78
	v_ashrrev_i32_e32 v68, 24, v35
	v_bfe_i32 v67, v35, 16, 8
	v_bfe_i32 v35, v35, 0, 8
	v_dual_mov_b32 v217, v10 :: v_dual_and_b32 v12, 15, v66
	v_mul_i32_i24_e32 v48, v132, v92
	v_add3_u32 v36, v36, v38, v42
	v_add3_u32 v38, v39, v45, v55
	v_add3_u32 v37, v37, v41, v47
	v_add3_u32 v39, v40, v46, v56
	v_mul_i32_i24_e32 v73, v8, v80
	v_mov_b32_e32 v204, v8
	v_bfe_i32 v34, v57, 0, 8
	v_bfe_u32 v8, v66, 16, 4
	v_mul_i32_i24_e32 v57, v12, v35
	v_mul_i32_i24_e32 v77, v6, v68
	v_add3_u32 v36, v36, v48, v59
	v_add3_u32 v39, v39, v63, v71
	;; [unrolled: 1-line block ×3, first 2 shown]
	v_mul_i32_i24_e32 v75, v10, v34
	v_mul_i32_i24_e32 v76, v8, v67
	v_add3_u32 v38, v38, v62, v70
	v_add3_u32 v36, v36, v69, v72
	;; [unrolled: 1-line block ×4, first 2 shown]
	v_mov_b32_e32 v224, v11
	v_add3_u32 v38, v38, v73, v76
	v_bfe_u32 v73, v43, 4, 4
	v_lshrrev_b16 v46, 8, v51
	v_add3_u32 v36, v36, v75, v37
	v_ashrrev_i32_e32 v40, 24, v50
	v_lshrrev_b16 v47, 8, v52
	v_bfe_i32 v45, v51, 16, 8
	v_bfe_i32 v46, v46, 0, 8
	v_add3_u32 v5, v5, v38, v36
	ds_load_u16 v36, v4
	ds_load_u16 v69, v4 offset:8
	v_bfe_i32 v48, v51, 0, 8
	v_bfe_u32 v74, v54, 4, 4
	v_lshrrev_b16 v42, 8, v50
	v_bfe_i32 v39, v49, 0, 8
	v_ashrrev_i32_e32 v37, 24, v49
	v_bfe_i32 v41, v50, 16, 8
	v_bfe_u32 v158, v53, 20, 4
	v_bfe_i32 v42, v42, 0, 8
	v_bfe_u32 v159, v53, 4, 4
	v_bfe_u32 v14, v54, 20, 4
	v_mul_i32_i24_e32 v101, v152, v41
	v_lshrrev_b32_e32 v75, 28, v60
	v_lshrrev_b16 v63, 8, v2
	v_bfe_i32 v56, v0, 0, 8
	v_bfe_u32 v76, v60, 20, 4
	v_bfe_u32 v134, v60, 4, 4
	v_lshrrev_b32_e32 v135, 28, v61
	v_ashrrev_i32_e32 v57, 24, v1
	s_wait_dscnt 0x1
	v_and_b32_e32 v6, 0xff, v36
	v_lshrrev_b16 v94, 8, v36
	v_bfe_i32 v36, v49, 16, 8
	v_bfe_u32 v138, v61, 4, 4
	v_lshrrev_b16 v70, 8, v3
	v_mul_lo_u32 v4, v5, v6
	v_lshrrev_b16 v5, 8, v49
	v_ashrrev_i32_e32 v49, 24, v52
	v_mad_i32_i24 v101, v250, v36, v101
	v_bfe_i32 v58, v1, 16, 8
	v_bfe_u32 v136, v61, 20, 4
	v_bfe_i32 v38, v5, 0, 8
	v_lshrrev_b32_e32 v5, 28, v44
	v_cvt_f32_i32_e32 v95, v4
	v_lshrrev_b32_e32 v4, 4, v43
	v_bfe_i32 v43, v50, 0, 8
	v_bfe_i32 v50, v52, 16, 8
	v_mov_b32_e32 v228, v5
	v_mul_i32_i24_e32 v102, v5, v40
	v_lshrrev_b16 v4, 8, v4
	v_lshrrev_b32_e32 v5, 28, v53
	v_mul_i32_i24_e32 v109, v14, v50
	v_mul_i32_i24_e32 v98, v157, v43
	v_mad_i32_i24 v102, v249, v37, v102
	v_and_b32_e32 v4, 15, v4
	v_mov_b32_e32 v150, v5
	v_bfe_i32 v52, v52, 0, 8
	v_mad_i32_i24 v98, v73, v39, v98
	v_mul_i32_i24_e32 v116, v135, v57
	v_and_b32_e32 v4, 0xffff, v4
	v_lshrrev_b32_e32 v143, 28, v65
	v_mul_i32_i24_e32 v107, v74, v52
	v_bfe_i32 v63, v63, 0, 8
	v_bfe_i32 v33, v2, 0, 8
	scratch_store_b32 off, v4, off offset:864 ; 4-byte Folded Spill
	v_mul_i32_i24_e32 v97, v4, v38
	v_lshrrev_b32_e32 v4, 4, v44
	v_ashrrev_i32_e32 v44, 24, v51
	v_bfe_i32 v51, v47, 0, 8
	v_lshrrev_b16 v47, 8, v1
	v_bfe_u32 v146, v65, 4, 4
	v_lshrrev_b16 v4, 8, v4
	v_mul_i32_i24_e32 v9, v5, v44
	v_lshrrev_b32_e32 v5, 28, v54
	v_bfe_i32 v59, v47, 0, 8
	v_lshrrev_b32_e32 v149, 28, v66
	v_and_b32_e32 v4, 15, v4
	v_ashrrev_i32_e32 v64, 24, v3
	s_clause 0x1
	scratch_store_b32 off, v5, off offset:924
	scratch_store_b32 off, v14, off offset:928
	v_mul_i32_i24_e32 v110, v5, v49
	v_and_b32_e32 v156, 0xffff, v4
	v_lshrrev_b32_e32 v4, 4, v53
	v_lshrrev_b16 v5, 8, v0
	v_ashrrev_i32_e32 v53, 24, v0
	v_bfe_i32 v32, v3, 0, 8
	v_mul_i32_i24_e32 v100, v156, v42
	v_lshrrev_b16 v4, 8, v4
	v_bfe_i32 v55, v5, 0, 8
	v_mul_i32_i24_e32 v113, v75, v53
	v_bfe_u32 v148, v66, 4, 4
	v_mul_i32_i24_e32 v115, v136, v58
	v_and_b32_e32 v4, 15, v4
	v_bfe_i32 v62, v2, 16, 8
	v_bfe_u32 v144, v65, 20, 4
	v_bfe_i32 v47, v70, 0, 8
	v_mul_i32_i24_e32 v121, v149, v64
	v_and_b32_e32 v4, 0xffff, v4
	s_wait_dscnt 0x0
	v_cvt_f32_ubyte0_e32 v11, v69
	v_mul_i32_i24_e32 v118, v144, v62
	scratch_store_b32 off, v4, off offset:368 ; 4-byte Folded Spill
	v_mul_i32_i24_e32 v7, v4, v46
	v_lshrrev_b32_e32 v4, 4, v54
	v_bfe_i32 v54, v0, 16, 8
	v_mul_i32_i24_e32 v0, v134, v56
	s_delay_alu instid0(VALU_DEP_4) | instskip(NEXT) | instid1(VALU_DEP_4)
	v_add3_u32 v97, v97, v100, v7
	v_lshrrev_b16 v4, 8, v4
	s_delay_alu instid0(VALU_DEP_4) | instskip(NEXT) | instid1(VALU_DEP_2)
	v_mul_i32_i24_e32 v112, v76, v54
	v_and_b32_e32 v4, 15, v4
	s_delay_alu instid0(VALU_DEP_1) | instskip(SKIP_4) | instid1(VALU_DEP_2)
	v_and_b32_e32 v4, 0xffff, v4
	scratch_store_b32 off, v4, off offset:372 ; 4-byte Folded Spill
	v_mul_i32_i24_e32 v108, v4, v51
	v_lshrrev_b32_e32 v4, 4, v60
	v_bfe_i32 v60, v1, 0, 8
	v_lshrrev_b16 v4, 8, v4
	s_delay_alu instid0(VALU_DEP_2) | instskip(NEXT) | instid1(VALU_DEP_2)
	v_mul_i32_i24_e32 v1, v138, v60
	v_and_b32_e32 v4, 15, v4
	s_delay_alu instid0(VALU_DEP_1) | instskip(SKIP_3) | instid1(VALU_DEP_4)
	v_and_b32_e32 v77, 0xffff, v4
	v_lshrrev_b32_e32 v4, 4, v61
	v_ashrrev_i32_e32 v61, 24, v2
	v_mul_i32_i24_e32 v2, v146, v33
	v_mul_i32_i24_e32 v111, v77, v55
	s_delay_alu instid0(VALU_DEP_4) | instskip(NEXT) | instid1(VALU_DEP_4)
	v_lshrrev_b16 v4, 8, v4
	v_mul_i32_i24_e32 v119, v143, v61
	s_delay_alu instid0(VALU_DEP_3) | instskip(NEXT) | instid1(VALU_DEP_3)
	v_add3_u32 v97, v97, v108, v111
	v_and_b32_e32 v4, 15, v4
	v_cvt_f32_ubyte1_e32 v108, v69
	s_delay_alu instid0(VALU_DEP_2) | instskip(SKIP_3) | instid1(VALU_DEP_4)
	v_and_b32_e32 v137, 0xffff, v4
	v_lshrrev_b32_e32 v4, 4, v65
	v_bfe_i32 v65, v3, 16, 8
	v_mul_i32_i24_e32 v3, v148, v32
	v_mul_i32_i24_e32 v114, v137, v59
	s_delay_alu instid0(VALU_DEP_4) | instskip(NEXT) | instid1(VALU_DEP_1)
	v_lshrrev_b16 v4, 8, v4
	v_dual_mov_b32 v218, v12 :: v_dual_and_b32 v5, 15, v4
	v_mov_b32_e32 v216, v8
	v_mul_i32_i24_e32 v8, v158, v45
	s_delay_alu instid0(VALU_DEP_3) | instskip(SKIP_1) | instid1(VALU_DEP_3)
	v_and_b32_e32 v145, 0xffff, v5
	v_lshrrev_b32_e32 v5, 4, v66
	v_add3_u32 v100, v101, v8, v109
	scratch_load_b32 v109, off, off offset:180 ; 4-byte Folded Reload
	v_add3_u32 v101, v102, v9, v110
	scratch_load_b32 v110, off, off offset:776 ; 4-byte Folded Reload
	v_lshrrev_b16 v5, 8, v5
	v_mul_i32_i24_e32 v117, v145, v63
	v_add3_u32 v101, v101, v113, v116
	s_delay_alu instid0(VALU_DEP_3) | instskip(SKIP_3) | instid1(VALU_DEP_4)
	v_dual_mov_b32 v220, v6 :: v_dual_and_b32 v71, 15, v5
	v_mul_i32_i24_e32 v6, v159, v48
	v_bfe_u32 v5, v66, 20, 4
	v_add3_u32 v97, v97, v114, v117
	v_and_b32_e32 v147, 0xffff, v71
	s_delay_alu instid0(VALU_DEP_4) | instskip(NEXT) | instid1(VALU_DEP_4)
	v_add3_u32 v98, v98, v6, v107
	v_mul_i32_i24_e32 v120, v5, v65
	v_and_b32_e32 v107, 0xffff, v94
	s_delay_alu instid0(VALU_DEP_4) | instskip(SKIP_4) | instid1(VALU_DEP_3)
	v_mul_i32_i24_e32 v66, v147, v47
	scratch_store_b32 off, v5, off offset:116 ; 4-byte Folded Spill
	v_add3_u32 v0, v98, v0, v1
	v_add3_u32 v1, v100, v112, v115
	v_mov_b32_e32 v115, v11
	v_add3_u32 v0, v0, v2, v3
	v_add3_u32 v2, v101, v119, v121
	s_delay_alu instid0(VALU_DEP_4) | instskip(SKIP_1) | instid1(VALU_DEP_3)
	v_add3_u32 v1, v1, v118, v120
	v_mov_b32_e32 v118, v173
	v_add3_u32 v2, v97, v66, v2
	s_delay_alu instid0(VALU_DEP_1) | instskip(SKIP_2) | instid1(VALU_DEP_1)
	v_add3_u32 v0, v0, v1, v2
	ds_load_b64 v[2:3], v91 offset:27200
	v_mul_lo_u32 v0, v0, v107
	v_cvt_f32_i32_e32 v0, v0
	s_wait_dscnt 0x0
	v_fma_mix_f32 v1, v95, v2, 0 op_sel_hi:[0,1,0]
	v_fma_mix_f32 v66, v11, v2, 0 op_sel:[0,1,0] op_sel_hi:[0,1,0]
	s_delay_alu instid0(VALU_DEP_2) | instskip(NEXT) | instid1(VALU_DEP_2)
	v_fma_mix_f32 v0, v0, v3, v1 op_sel_hi:[0,1,0]
	v_fma_mix_f32 v1, v108, v3, v66 op_sel:[0,1,0] op_sel_hi:[0,1,0]
	s_wait_loadcnt 0x1
	s_delay_alu instid0(VALU_DEP_1) | instskip(SKIP_1) | instid1(VALU_DEP_1)
	v_mul_f32_e32 v1, v1, v109
	s_wait_loadcnt 0x0
	v_fma_f32 v0, v0, v110, -v1
	v_add_nc_u32_e32 v1, s16, v155
	s_delay_alu instid0(VALU_DEP_2)
	v_add_f32_e32 v153, v153, v0
	ds_load_2addr_b32 v[94:95], v1 offset1:1
	ds_load_2addr_b32 v[139:140], v1 offset0:4 offset1:5
	ds_load_2addr_b32 v[141:142], v1 offset0:6 offset1:7
	v_add3_u32 v0, s11, v151, v154
	scratch_store_b32 off, v153, off offset:804 ; 4-byte Folded Spill
	s_wait_dscnt 0x2
	v_and_b32_e32 v4, 15, v94
	v_bfe_u32 v5, v94, 16, 4
	v_bfe_u32 v239, v95, 24, 4
	s_wait_dscnt 0x1
	v_bfe_u32 v242, v140, 8, 4
	v_bfe_u32 v241, v140, 16, 4
	s_clause 0x1
	scratch_store_b32 off, v4, off offset:1068
	scratch_store_b32 off, v5, off offset:1072
	v_mul_i32_i24_e32 v66, v125, v4
	v_bfe_u32 v4, v94, 8, 4
	v_mul_i32_i24_e32 v91, v126, v5
	v_bfe_u32 v5, v94, 24, 4
	;; [unrolled: 2-line block ×3, first 2 shown]
	v_mad_i32_i24 v66, v128, v4, v66
	v_mov_b32_e32 v232, v4
	v_mul_i32_i24_e32 v97, v127, v5
	v_and_b32_e32 v4, 15, v95
	s_wait_dscnt 0x0
	v_and_b32_e32 v230, 15, v141
	v_bfe_u32 v210, v141, 8, 4
	v_mov_b32_e32 v233, v5
	v_add3_u32 v66, v66, v91, v97
	scratch_store_b32 off, v4, off offset:656 ; 4-byte Folded Spill
	v_mul_i32_i24_e32 v91, v106, v4
	v_bfe_u32 v4, v95, 8, 4
	v_bfe_u32 v5, v94, 4, 4
	;; [unrolled: 1-line block ×4, first 2 shown]
	s_clause 0x4
	scratch_store_b32 off, v242, off offset:300
	scratch_store_b32 off, v241, off offset:304
	;; [unrolled: 1-line block ×5, first 2 shown]
	v_mul_i32_i24_e32 v97, v122, v4
	v_bfe_u32 v4, v95, 16, 4
	v_bfe_u32 v213, v94, 20, 4
	scratch_store_b32 off, v151, off offset:1212 ; 4-byte Folded Spill
	v_bfe_u32 v171, v95, 4, 4
	v_add3_u32 v66, v66, v97, v91
	v_mul_i32_i24_e32 v98, v123, v4
	scratch_store_b32 off, v4, off offset:652 ; 4-byte Folded Spill
	v_lshrrev_b32_e32 v254, 28, v139
	v_mul_i32_i24_e32 v175, v43, v171
	v_bfe_u32 v252, v140, 4, 4
	v_add3_u32 v66, v66, v98, v100
	ds_load_2addr_b32 v[97:98], v1 offset0:2 offset1:3
	v_mul_i32_i24_e32 v1, v78, v230
	v_mul_i32_i24_e32 v192, v53, v254
	v_bfe_u32 v251, v140, 12, 4
	v_bfe_u32 v248, v140, 20, 4
	v_mul_i32_i24_e32 v193, v60, v252
	v_mul_i32_i24_e32 v199, v62, v70
	v_bfe_u32 v246, v142, 4, 4
	v_mul_i32_i24_e32 v194, v59, v251
	v_mul_i32_i24_e32 v195, v58, v248
	v_bfe_u32 v244, v142, 12, 4
	v_bfe_u32 v245, v142, 20, 4
	v_mul_i32_i24_e32 v201, v32, v246
	v_lshrrev_b32_e32 v211, 28, v142
	s_delay_alu instid0(VALU_DEP_4) | instskip(NEXT) | instid1(VALU_DEP_4)
	v_mul_i32_i24_e32 v202, v47, v244
	v_mul_i32_i24_e32 v203, v65, v245
	s_wait_dscnt 0x0
	v_and_b32_e32 v111, 15, v97
	v_bfe_u32 v4, v97, 8, 4
	v_bfe_u32 v112, v97, 16, 4
	;; [unrolled: 1-line block ×3, first 2 shown]
	v_and_b32_e32 v114, 15, v98
	v_mul_i32_i24_e32 v91, v99, v111
	v_mul_i32_i24_e32 v100, v103, v4
	scratch_store_b32 off, v4, off offset:56 ; 4-byte Folded Spill
	v_mul_i32_i24_e32 v101, v104, v112
	v_mul_i32_i24_e32 v102, v105, v113
	v_bfe_u32 v4, v98, 16, 4
	v_add3_u32 v66, v66, v100, v91
	v_bfe_u32 v222, v98, 8, 4
	v_mul_i32_i24_e32 v91, v90, v114
	s_clause 0x1
	scratch_store_b32 off, v111, off offset:1208
	scratch_store_b32 off, v4, off offset:92
	v_add3_u32 v66, v66, v101, v102
	v_mul_i32_i24_e32 v101, v93, v4
	v_bfe_u32 v4, v98, 24, 4
	v_mul_i32_i24_e32 v100, v92, v222
	v_lshrrev_b32_e32 v255, 28, v98
	scratch_store_b32 off, v4, off offset:96 ; 4-byte Folded Spill
	v_mul_i32_i24_e32 v102, v96, v4
	v_and_b32_e32 v4, 15, v139
	v_add3_u32 v66, v66, v100, v91
	v_mul_i32_i24_e32 v188, v49, v255
	scratch_store_b32 off, v4, off offset:100 ; 4-byte Folded Spill
	v_mul_i32_i24_e32 v91, v86, v4
	v_bfe_u32 v4, v139, 8, 4
	v_add3_u32 v66, v66, v101, v102
	scratch_store_b32 off, v4, off offset:296 ; 4-byte Folded Spill
	v_mul_i32_i24_e32 v100, v87, v4
	v_bfe_u32 v4, v139, 16, 4
	s_delay_alu instid0(VALU_DEP_2)
	v_add3_u32 v66, v66, v100, v91
	scratch_store_b32 off, v4, off offset:104 ; 4-byte Folded Spill
	v_mul_i32_i24_e32 v101, v88, v4
	v_bfe_u32 v4, v139, 24, 4
	v_mul_i32_i24_e32 v100, v83, v242
	scratch_store_b32 off, v4, off offset:108 ; 4-byte Folded Spill
	v_mul_i32_i24_e32 v102, v89, v4
	v_and_b32_e32 v4, 15, v140
	v_lshrrev_b32_e32 v140, 28, v140
	s_delay_alu instid0(VALU_DEP_3) | instskip(NEXT) | instid1(VALU_DEP_3)
	v_add3_u32 v66, v66, v101, v102
	v_mul_i32_i24_e32 v91, v82, v4
	scratch_store_b32 off, v4, off offset:112 ; 4-byte Folded Spill
	v_mul_i32_i24_e32 v101, v84, v241
	v_mul_i32_i24_e32 v102, v85, v234
	v_bfe_u32 v4, v141, 16, 4
	v_add3_u32 v66, v66, v100, v91
	v_mul_i32_i24_e32 v91, v79, v210
	v_mul_i32_i24_e32 v196, v57, v140
	scratch_store_b32 off, v4, off offset:1080 ; 4-byte Folded Spill
	v_add3_u32 v66, v66, v101, v102
	v_mul_i32_i24_e32 v100, v80, v4
	v_and_b32_e32 v4, 15, v142
	v_mul_i32_i24_e32 v101, v81, v151
	v_lshrrev_b32_e32 v102, 28, v94
	v_add3_u32 v1, v66, v91, v1
	s_clause 0x1
	scratch_store_b32 off, v210, off offset:316
	scratch_store_b32 off, v4, off offset:288
	v_mul_i32_i24_e32 v66, v35, v4
	v_bfe_u32 v4, v142, 8, 4
	v_add3_u32 v1, v1, v100, v101
	scratch_store_b32 off, v4, off offset:240 ; 4-byte Folded Spill
	v_mul_i32_i24_e32 v91, v34, v4
	v_bfe_u32 v4, v142, 16, 4
	s_delay_alu instid0(VALU_DEP_2)
	v_add3_u32 v1, v1, v91, v66
	scratch_store_b32 off, v4, off offset:80 ; 4-byte Folded Spill
	v_mul_i32_i24_e32 v100, v67, v4
	v_bfe_u32 v4, v142, 24, 4
	v_mul_i32_i24_e32 v142, v64, v211
	scratch_store_b32 off, v4, off offset:84 ; 4-byte Folded Spill
	ds_load_u16 v66, v0
	ds_load_u16 v0, v0 offset:8
	v_mul_i32_i24_e32 v101, v68, v4
	scratch_store_b32 off, v5, off offset:1084 ; 4-byte Folded Spill
	scratch_load_b32 v165, off, off offset:1128 ; 4-byte Folded Reload
	s_clause 0x1
	scratch_store_b32 off, v213, off offset:1216
	scratch_store_b32 off, v102, off offset:320
	v_add3_u32 v1, v1, v100, v101
	v_mul_i32_i24_e32 v100, v39, v5
	v_bfe_u32 v5, v94, 12, 4
	v_mul_i32_i24_e32 v101, v36, v213
	v_mul_i32_i24_e32 v94, v37, v102
	s_clause 0x5
	scratch_store_b32 off, v254, off offset:264
	scratch_store_b32 off, v252, off offset:268
	;; [unrolled: 1-line block ×6, first 2 shown]
	v_mad_i32_i24 v100, v38, v5, v100
	scratch_store_b32 off, v5, off offset:60 ; 4-byte Folded Spill
	s_wait_dscnt 0x1
	v_and_b32_e32 v4, 0xff, v66
	v_bfe_u32 v5, v97, 4, 4
	s_wait_dscnt 0x0
	v_cvt_f32_ubyte0_e32 v243, v0
	v_add3_u32 v174, v100, v101, v94
	v_bfe_u32 v100, v95, 12, 4
	scratch_store_b32 off, v4, off offset:1076 ; 4-byte Folded Spill
	v_mul_lo_u32 v1, v1, v4
	v_bfe_u32 v4, v95, 20, 4
	v_lshrrev_b32_e32 v95, 28, v95
	v_mul_i32_i24_e32 v176, v42, v100
	v_bfe_u32 v101, v97, 12, 4
	v_bfe_u32 v94, v97, 20, 4
	v_mul_i32_i24_e32 v177, v41, v4
	v_mul_i32_i24_e32 v178, v40, v95
	v_add3_u32 v174, v174, v175, v176
	scratch_store_b32 off, v5, off offset:88 ; 4-byte Folded Spill
	v_mul_i32_i24_e32 v179, v48, v5
	v_mul_i32_i24_e32 v182, v46, v101
	v_lshrrev_b32_e32 v97, 28, v97
	scratch_store_b32 off, v4, off offset:244 ; 4-byte Folded Spill
	v_bfe_u32 v4, v98, 20, 4
	v_bfe_u32 v5, v98, 4, 4
	v_add3_u32 v174, v174, v177, v178
	v_mul_i32_i24_e32 v183, v45, v94
	v_mul_i32_i24_e32 v184, v44, v97
	scratch_store_b32 off, v4, off offset:292 ; 4-byte Folded Spill
	v_mul_i32_i24_e32 v185, v52, v5
	v_mul_i32_i24_e32 v187, v50, v4
	v_bfe_u32 v4, v139, 20, 4
	scratch_store_b32 off, v5, off offset:252 ; 4-byte Folded Spill
	v_bfe_u32 v5, v98, 12, 4
	v_add3_u32 v174, v174, v179, v182
	v_bfe_u32 v98, v139, 4, 4
	v_mul_i32_i24_e32 v191, v54, v4
	v_lshrrev_b16 v91, 8, v66
	v_mul_i32_i24_e32 v186, v51, v5
	v_add3_u32 v174, v174, v183, v184
	scratch_store_b32 off, v5, off offset:64 ; 4-byte Folded Spill
	v_bfe_u32 v5, v139, 12, 4
	v_mul_i32_i24_e32 v189, v56, v98
	scratch_store_b32 off, v4, off offset:256 ; 4-byte Folded Spill
	v_add3_u32 v174, v174, v185, v186
	v_lshrrev_b32_e32 v4, 28, v141
	v_mul_i32_i24_e32 v190, v55, v5
	scratch_store_b32 off, v5, off offset:260 ; 4-byte Folded Spill
	v_bfe_u32 v5, v141, 4, 4
	v_add3_u32 v174, v174, v187, v188
	scratch_load_b32 v188, off, off offset:1132 ; 4-byte Folded Reload
	v_mul_i32_i24_e32 v200, v61, v4
	v_fma_mix_f32 v66, v2, v243, 0 op_sel:[1,0,0] op_sel_hi:[1,0,0]
	s_clause 0x1
	scratch_store_b32 off, v5, off offset:68
	scratch_store_b32 off, v4, off offset:76
	v_add3_u32 v174, v174, v189, v190
	v_mul_i32_i24_e32 v197, v33, v5
	v_bfe_u32 v5, v141, 12, 4
	v_cvt_f32_ubyte1_e32 v168, v0
	v_cvt_f32_i32_e32 v1, v1
	v_add3_u32 v174, v174, v191, v192
	s_clause 0x1
	scratch_store_b32 off, v171, off offset:324
	scratch_store_b32 off, v100, off offset:328
	v_mul_i32_i24_e32 v198, v63, v5
	v_fma_mix_f32 v0, v3, v168, v66 op_sel:[1,0,0] op_sel_hi:[1,0,0]
	v_add3_u32 v174, v174, v193, v194
	v_and_b32_e32 v187, 0xffff, v91
	v_fma_mix_f32 v1, v2, v1, 0 op_sel_hi:[1,0,0]
	s_clause 0x8
	scratch_store_b32 off, v5, off offset:72
	scratch_store_b32 off, v101, off offset:336
	;; [unrolled: 1-line block ×9, first 2 shown]
	v_add3_u32 v174, v174, v195, v196
	s_delay_alu instid0(VALU_DEP_1) | instskip(NEXT) | instid1(VALU_DEP_1)
	v_add3_u32 v174, v174, v197, v198
	v_add3_u32 v174, v174, v199, v200
	v_mov_b32_e32 v200, v129
	s_delay_alu instid0(VALU_DEP_2) | instskip(NEXT) | instid1(VALU_DEP_1)
	v_add3_u32 v174, v174, v201, v202
	v_add3_u32 v174, v174, v203, v142
	s_wait_loadcnt 0x0
	v_mul_f32_e32 v0, v0, v188
	s_delay_alu instid0(VALU_DEP_2) | instskip(SKIP_4) | instid1(VALU_DEP_1)
	v_mul_lo_u32 v91, v174, v187
	s_clause 0x1
	scratch_store_b32 off, v243, off offset:1224
	scratch_store_b32 off, v168, off offset:1232
	v_cvt_f32_i32_e32 v91, v91
	v_fma_mix_f32 v1, v3, v91, v1 op_sel_hi:[1,0,0]
	v_mov_b32_e32 v91, v115
	v_mov_b32_e32 v115, v73
	s_delay_alu instid0(VALU_DEP_3) | instskip(NEXT) | instid1(VALU_DEP_1)
	v_fma_f32 v0, v1, v165, -v0
	v_add_f32_e32 v23, v23, v0
	scratch_load_b32 v0, off, off offset:1320 ; 4-byte Folded Reload
	scratch_store_b32 off, v23, off offset:808 ; 4-byte Folded Spill
	s_wait_loadcnt 0x0
	v_add3_u32 v66, s11, v0, v25
	v_add_nc_u32_e32 v0, s16, v27
	ds_load_2addr_b32 v[174:175], v0 offset1:1
	s_wait_dscnt 0x0
	v_and_b32_e32 v189, 15, v174
	v_bfe_u32 v190, v174, 8, 4
	v_bfe_u32 v161, v174, 16, 4
	;; [unrolled: 1-line block ×3, first 2 shown]
	v_and_b32_e32 v160, 15, v175
	v_mul_i32_i24_e32 v1, v125, v189
	v_bfe_u32 v155, v175, 8, 4
	v_mul_i32_i24_e32 v176, v126, v161
	v_mul_i32_i24_e32 v177, v127, v191
	v_bfe_u32 v192, v175, 16, 4
	v_mad_i32_i24 v1, v128, v190, v1
	v_bfe_u32 v154, v175, 24, 4
	v_bfe_u32 v5, v174, 12, 4
	scratch_store_b32 off, v161, off offset:828 ; 4-byte Folded Spill
	v_mul_i32_i24_e32 v178, v123, v192
	v_add3_u32 v1, v1, v176, v177
	v_mul_i32_i24_e32 v176, v106, v160
	v_mul_i32_i24_e32 v177, v122, v155
	;; [unrolled: 1-line block ×3, first 2 shown]
	s_clause 0x2
	scratch_store_b32 off, v160, off offset:1176
	scratch_store_b32 off, v155, off offset:1180
	;; [unrolled: 1-line block ×3, first 2 shown]
	v_add3_u32 v1, v1, v177, v176
	ds_load_2addr_b32 v[176:177], v0 offset0:2 offset1:3
	v_add3_u32 v1, v1, v178, v179
	s_wait_dscnt 0x0
	v_and_b32_e32 v193, 15, v176
	v_bfe_u32 v153, v176, 8, 4
	v_bfe_u32 v194, v176, 16, 4
	;; [unrolled: 1-line block ×3, first 2 shown]
	v_and_b32_e32 v201, 15, v177
	v_mul_i32_i24_e32 v178, v99, v193
	v_mul_i32_i24_e32 v179, v103, v153
	;; [unrolled: 1-line block ×4, first 2 shown]
	v_bfe_u32 v142, v177, 8, 4
	v_bfe_u32 v202, v177, 16, 4
	v_add3_u32 v1, v1, v179, v178
	v_mul_i32_i24_e32 v178, v90, v201
	v_bfe_u32 v4, v177, 24, 4
	v_mul_i32_i24_e32 v179, v92, v142
	scratch_store_b32 off, v153, off offset:1012 ; 4-byte Folded Spill
	v_add3_u32 v1, v1, v182, v183
	v_mul_i32_i24_e32 v182, v93, v202
	scratch_store_b32 off, v4, off offset:572 ; 4-byte Folded Spill
	v_mul_i32_i24_e32 v183, v96, v4
	v_add3_u32 v1, v1, v179, v178
	ds_load_2addr_b32 v[178:179], v0 offset0:4 offset1:5
	v_add3_u32 v1, v1, v182, v183
	s_wait_dscnt 0x0
	v_and_b32_e32 v4, 15, v178
	v_bfe_u32 v236, v179, 4, 4
	v_lshrrev_b32_e32 v231, 28, v179
	scratch_store_b32 off, v4, off offset:660 ; 4-byte Folded Spill
	v_mul_i32_i24_e32 v182, v86, v4
	v_bfe_u32 v4, v178, 8, 4
	v_mul_i32_i24_e32 v13, v60, v236
	v_mul_i32_i24_e32 v10, v57, v231
	scratch_store_b32 off, v4, off offset:468 ; 4-byte Folded Spill
	v_mul_i32_i24_e32 v183, v87, v4
	v_bfe_u32 v4, v178, 16, 4
	s_delay_alu instid0(VALU_DEP_2)
	v_add3_u32 v1, v1, v183, v182
	scratch_store_b32 off, v4, off offset:672 ; 4-byte Folded Spill
	v_mul_i32_i24_e32 v184, v88, v4
	v_bfe_u32 v4, v178, 24, 4
	scratch_store_b32 off, v4, off offset:944 ; 4-byte Folded Spill
	v_mul_i32_i24_e32 v185, v89, v4
	v_and_b32_e32 v4, 15, v179
	s_delay_alu instid0(VALU_DEP_2)
	v_add3_u32 v1, v1, v184, v185
	scratch_store_b32 off, v4, off offset:1088 ; 4-byte Folded Spill
	v_mul_i32_i24_e32 v182, v82, v4
	v_bfe_u32 v4, v179, 8, 4
	scratch_store_b32 off, v4, off offset:948 ; 4-byte Folded Spill
	v_mul_i32_i24_e32 v183, v83, v4
	v_bfe_u32 v4, v179, 16, 4
	s_delay_alu instid0(VALU_DEP_2) | instskip(SKIP_3) | instid1(VALU_DEP_1)
	v_add3_u32 v1, v1, v183, v182
	scratch_store_b32 off, v4, off offset:1092 ; 4-byte Folded Spill
	v_mul_i32_i24_e32 v184, v84, v4
	v_bfe_u32 v4, v179, 24, 4
	v_mul_i32_i24_e32 v185, v85, v4
	scratch_store_b32 off, v4, off offset:1096 ; 4-byte Folded Spill
	v_add3_u32 v182, v1, v184, v185
	ds_load_2addr_b32 v[0:1], v0 offset0:6 offset1:7
	s_wait_dscnt 0x0
	v_and_b32_e32 v4, 15, v0
	v_lshrrev_b32_e32 v219, 28, v1
	scratch_store_b32 off, v142, off offset:1028 ; 4-byte Folded Spill
	v_bfe_u32 v229, v0, 4, 4
	v_bfe_u32 v226, v0, 12, 4
	scratch_store_b32 off, v4, off offset:1100 ; 4-byte Folded Spill
	v_mul_i32_i24_e32 v183, v78, v4
	v_bfe_u32 v4, v0, 8, 4
	v_bfe_u32 v227, v0, 20, 4
	v_mul_i32_i24_e32 v9, v33, v229
	v_mul_i32_i24_e32 v8, v63, v226
	v_lshrrev_b32_e32 v237, 28, v0
	scratch_store_b32 off, v4, off offset:664 ; 4-byte Folded Spill
	v_mul_i32_i24_e32 v184, v79, v4
	v_bfe_u32 v4, v0, 16, 4
	v_mul_i32_i24_e32 v7, v62, v227
	v_mul_i32_i24_e32 v6, v61, v237
	v_bfe_u32 v238, v1, 4, 4
	v_add3_u32 v182, v182, v184, v183
	scratch_store_b32 off, v4, off offset:1104 ; 4-byte Folded Spill
	v_mul_i32_i24_e32 v185, v80, v4
	v_bfe_u32 v4, v0, 24, 4
	v_bfe_u32 v221, v1, 12, 4
	;; [unrolled: 1-line block ×3, first 2 shown]
	scratch_store_b32 off, v4, off offset:668 ; 4-byte Folded Spill
	v_mul_i32_i24_e32 v186, v81, v4
	v_and_b32_e32 v4, 15, v1
	v_mul_i32_i24_e32 v0, v47, v221
	s_delay_alu instid0(VALU_DEP_3)
	v_add3_u32 v182, v182, v185, v186
	scratch_store_b32 off, v4, off offset:476 ; 4-byte Folded Spill
	v_mul_i32_i24_e32 v183, v35, v4
	v_bfe_u32 v4, v1, 8, 4
	scratch_store_b32 off, v4, off offset:484 ; 4-byte Folded Spill
	v_mul_i32_i24_e32 v184, v34, v4
	v_bfe_u32 v4, v1, 16, 4
	s_delay_alu instid0(VALU_DEP_2)
	v_add3_u32 v182, v182, v184, v183
	scratch_store_b32 off, v4, off offset:488 ; 4-byte Folded Spill
	v_mul_i32_i24_e32 v185, v67, v4
	v_bfe_u32 v4, v1, 24, 4
	v_bfe_u32 v184, v178, 12, 4
	v_mul_i32_i24_e32 v1, v64, v219
	scratch_store_b32 off, v4, off offset:492 ; 4-byte Folded Spill
	ds_load_u16 v183, v66
	ds_load_u16 v66, v66 offset:8
	v_mul_i32_i24_e32 v186, v68, v4
	v_bfe_u32 v4, v174, 20, 4
	scratch_store_b32 off, v5, off offset:472 ; 4-byte Folded Spill
	v_mul_i32_i24_e32 v18, v55, v184
	scratch_store_b32 off, v184, off offset:520 ; 4-byte Folded Spill
	v_add3_u32 v182, v182, v185, v186
	v_bfe_u32 v186, v174, 4, 4
	s_clause 0x9
	scratch_store_b32 off, v4, off offset:576
	scratch_store_b32 off, v237, off offset:556
	;; [unrolled: 1-line block ×10, first 2 shown]
	s_wait_dscnt 0x1
	v_and_b32_e32 v185, 0xff, v183
	v_lshrrev_b16 v15, 8, v183
	v_mul_i32_i24_e32 v183, v36, v4
	v_lshrrev_b32_e32 v4, 28, v174
	s_wait_dscnt 0x0
	v_cvt_f32_ubyte0_e32 v141, v66
	v_mul_lo_u32 v182, v182, v185
	v_cvt_f32_ubyte1_e32 v71, v66
	v_mul_i32_i24_e32 v174, v37, v4
	scratch_store_b32 off, v4, off offset:480 ; 4-byte Folded Spill
	v_lshrrev_b32_e32 v4, 28, v175
	v_fma_mix_f32 v31, v2, v141, 0 op_sel:[1,0,0] op_sel_hi:[1,0,0]
	scratch_store_b32 off, v141, off offset:1124 ; 4-byte Folded Spill
	v_cvt_f32_i32_e32 v182, v182
	scratch_store_b32 off, v71, off offset:1056 ; 4-byte Folded Spill
	v_fma_mix_f32 v14, v2, v182, 0 op_sel_hi:[1,0,0]
	v_mul_i32_i24_e32 v182, v39, v186
	s_delay_alu instid0(VALU_DEP_1) | instskip(SKIP_1) | instid1(VALU_DEP_2)
	v_mad_i32_i24 v182, v38, v5, v182
	v_bfe_u32 v5, v175, 12, 4
	v_add3_u32 v174, v182, v183, v174
	v_bfe_u32 v182, v175, 4, 4
	v_bfe_u32 v183, v175, 20, 4
	scratch_store_b32 off, v5, off offset:496 ; 4-byte Folded Spill
	v_mul_i32_i24_e32 v28, v42, v5
	v_bfe_u32 v5, v176, 4, 4
	v_mul_i32_i24_e32 v30, v43, v182
	v_mul_i32_i24_e32 v29, v41, v183
	scratch_store_b32 off, v4, off offset:500 ; 4-byte Folded Spill
	v_mul_i32_i24_e32 v175, v40, v4
	v_bfe_u32 v4, v176, 20, 4
	scratch_store_b32 off, v5, off offset:504 ; 4-byte Folded Spill
	v_mul_i32_i24_e32 v27, v48, v5
	v_bfe_u32 v5, v176, 12, 4
	v_add3_u32 v28, v174, v30, v28
	scratch_store_b32 off, v4, off offset:512 ; 4-byte Folded Spill
	v_mul_i32_i24_e32 v25, v45, v4
	v_lshrrev_b32_e32 v4, 28, v176
	v_mul_i32_i24_e32 v26, v46, v5
	v_add3_u32 v28, v28, v29, v175
	scratch_store_b32 off, v5, off offset:508 ; 4-byte Folded Spill
	v_bfe_u32 v176, v177, 4, 4
	scratch_store_b32 off, v4, off offset:516 ; 4-byte Folded Spill
	v_mul_i32_i24_e32 v24, v44, v4
	v_bfe_u32 v4, v177, 20, 4
	v_bfe_u32 v5, v177, 12, 4
	v_add3_u32 v26, v28, v27, v26
	v_mul_i32_i24_e32 v23, v52, v176
	s_clause 0x1
	scratch_store_b32 off, v4, off offset:156
	scratch_store_b32 off, v5, off offset:160
	v_mul_i32_i24_e32 v22, v51, v5
	v_mul_i32_i24_e32 v21, v50, v4
	v_lshrrev_b32_e32 v4, 28, v177
	v_add3_u32 v24, v26, v25, v24
	v_bfe_u32 v5, v178, 4, 4
	v_bfe_u32 v177, v179, 12, 4
	scratch_store_b32 off, v4, off offset:164 ; 4-byte Folded Spill
	v_mul_i32_i24_e32 v20, v49, v4
	v_bfe_u32 v4, v178, 20, 4
	v_add3_u32 v22, v24, v23, v22
	v_mul_i32_i24_e32 v19, v56, v5
	v_mul_i32_i24_e32 v12, v59, v177
	s_clause 0x1
	scratch_store_b32 off, v5, off offset:168
	scratch_store_b32 off, v4, off offset:172
	v_mul_i32_i24_e32 v17, v54, v4
	v_lshrrev_b32_e32 v4, 28, v178
	v_add3_u32 v20, v22, v21, v20
	v_mul_i32_i24_e32 v5, v32, v238
	scratch_load_b32 v178, off, off offset:780 ; 4-byte Folded Reload
	s_clause 0x1
	scratch_store_b32 off, v177, off offset:536
	scratch_store_b32 off, v4, off offset:524
	v_mul_i32_i24_e32 v16, v53, v4
	v_add3_u32 v18, v20, v19, v18
	v_bfe_u32 v4, v179, 20, 4
	v_and_b32_e32 v179, 0xffff, v15
	scratch_store_b32 off, v219, off offset:1048 ; 4-byte Folded Spill
	v_add3_u32 v16, v18, v17, v16
	v_mul_i32_i24_e32 v11, v58, v4
	scratch_store_b32 off, v4, off offset:532 ; 4-byte Folded Spill
	v_mul_i32_i24_e32 v4, v65, v225
	scratch_store_b32 off, v179, off offset:1052 ; 4-byte Folded Spill
	v_add3_u32 v12, v16, v13, v12
	s_delay_alu instid0(VALU_DEP_1) | instskip(NEXT) | instid1(VALU_DEP_1)
	v_add3_u32 v10, v12, v11, v10
	v_add3_u32 v8, v10, v9, v8
	s_delay_alu instid0(VALU_DEP_1) | instskip(NEXT) | instid1(VALU_DEP_1)
	v_add3_u32 v6, v8, v7, v6
	v_add3_u32 v0, v6, v5, v0
	s_delay_alu instid0(VALU_DEP_1) | instskip(SKIP_3) | instid1(VALU_DEP_1)
	v_add3_u32 v0, v0, v4, v1
	scratch_load_b32 v4, off, off offset:784 ; 4-byte Folded Reload
	v_fma_mix_f32 v1, v3, v71, v31 op_sel:[1,0,0] op_sel_hi:[1,0,0]
	v_mul_lo_u32 v0, v0, v179
	v_cvt_f32_i32_e32 v0, v0
	s_delay_alu instid0(VALU_DEP_1) | instskip(SKIP_2) | instid1(VALU_DEP_1)
	v_fma_mix_f32 v0, v3, v0, v14 op_sel_hi:[1,0,0]
	s_wait_loadcnt 0x0
	v_mul_f32_e32 v1, v1, v4
	v_fma_f32 v0, v0, v178, -v1
	scratch_load_b32 v1, off, off offset:772 ; 4-byte Folded Reload
	s_wait_loadcnt 0x0
	v_add_f32_e32 v1, v1, v0
	scratch_store_b32 off, v1, off offset:772 ; 4-byte Folded Spill
	s_clause 0x1
	scratch_load_b32 v0, off, off offset:1300
	scratch_load_b32 v1, off, off offset:1324
	s_wait_loadcnt 0x0
	v_add3_u32 v4, s11, v1, v0
	scratch_load_b32 v0, off, off offset:1304 ; 4-byte Folded Reload
	s_wait_loadcnt 0x0
	v_add_nc_u32_e32 v5, s16, v0
	ds_load_2addr_b32 v[0:1], v5 offset1:1
	s_wait_dscnt 0x0
	v_and_b32_e32 v72, 15, v0
	v_bfe_u32 v9, v0, 8, 4
	v_bfe_u32 v7, v0, 16, 4
	;; [unrolled: 1-line block ×4, first 2 shown]
	v_mul_i32_i24_e32 v6, v125, v72
	s_clause 0x1
	scratch_store_b32 off, v9, off offset:824
	scratch_store_b32 off, v7, off offset:52
	v_mul_i32_i24_e32 v7, v126, v7
	scratch_store_b32 off, v8, off offset:580 ; 4-byte Folded Spill
	v_mul_i32_i24_e32 v8, v127, v8
	v_mad_i32_i24 v6, v128, v9, v6
	v_bfe_u32 v9, v1, 16, 4
	scratch_store_b32 off, v10, off offset:220 ; 4-byte Folded Spill
	v_mul_i32_i24_e32 v10, v124, v10
	v_bfe_u32 v16, v1, 20, 4
	v_add3_u32 v6, v6, v7, v8
	v_and_b32_e32 v7, 15, v1
	v_bfe_u32 v8, v1, 8, 4
	scratch_store_b32 off, v9, off offset:216 ; 4-byte Folded Spill
	v_mul_i32_i24_e32 v9, v123, v9
	s_clause 0x2
	scratch_store_b32 off, v72, off offset:464
	scratch_store_b32 off, v7, off offset:36
	;; [unrolled: 1-line block ×3, first 2 shown]
	v_mul_i32_i24_e32 v7, v106, v7
	v_mul_i32_i24_e32 v8, v122, v8
	s_delay_alu instid0(VALU_DEP_1) | instskip(NEXT) | instid1(VALU_DEP_1)
	v_add3_u32 v6, v6, v8, v7
	v_add3_u32 v8, v6, v9, v10
	ds_load_2addr_b32 v[6:7], v5 offset0:2 offset1:3
	s_wait_dscnt 0x0
	v_and_b32_e32 v9, 15, v6
	v_bfe_u32 v10, v6, 8, 4
	v_bfe_u32 v11, v6, 16, 4
	;; [unrolled: 1-line block ×4, first 2 shown]
	s_clause 0x1
	scratch_store_b32 off, v9, off offset:224
	scratch_store_b32 off, v10, off offset:228
	v_mul_i32_i24_e32 v9, v99, v9
	v_mul_i32_i24_e32 v10, v103, v10
	s_clause 0x1
	scratch_store_b32 off, v11, off offset:44
	scratch_store_b32 off, v12, off offset:48
	v_mul_i32_i24_e32 v11, v104, v11
	v_mul_i32_i24_e32 v12, v105, v12
	v_add3_u32 v8, v8, v10, v9
	v_and_b32_e32 v9, 15, v7
	v_bfe_u32 v10, v7, 8, 4
	v_bfe_u32 v17, v6, 12, 4
	;; [unrolled: 1-line block ×3, first 2 shown]
	v_add3_u32 v8, v8, v11, v12
	scratch_store_b32 off, v9, off offset:584 ; 4-byte Folded Spill
	v_mul_i32_i24_e32 v9, v90, v9
	v_bfe_u32 v11, v7, 16, 4
	scratch_store_b32 off, v10, off offset:588 ; 4-byte Folded Spill
	v_mul_i32_i24_e32 v10, v92, v10
	v_bfe_u32 v12, v7, 24, 4
	v_mul_i32_i24_e32 v18, v45, v19
	scratch_store_b32 off, v11, off offset:592 ; 4-byte Folded Spill
	v_mul_i32_i24_e32 v11, v93, v11
	v_add3_u32 v8, v8, v10, v9
	scratch_store_b32 off, v12, off offset:596 ; 4-byte Folded Spill
	v_mul_i32_i24_e32 v12, v96, v12
	v_bfe_u32 v20, v7, 12, 4
	v_mul_i32_i24_e32 v21, v50, v22
	s_delay_alu instid0(VALU_DEP_3)
	v_add3_u32 v10, v8, v11, v12
	ds_load_2addr_b32 v[8:9], v5 offset0:4 offset1:5
	s_wait_dscnt 0x0
	v_and_b32_e32 v11, 15, v8
	v_bfe_u32 v12, v8, 8, 4
	v_bfe_u32 v13, v8, 16, 4
	;; [unrolled: 1-line block ×4, first 2 shown]
	s_clause 0x2
	scratch_store_b32 off, v11, off offset:600
	scratch_store_b32 off, v12, off offset:604
	scratch_store_b32 off, v13, off offset:608
	v_mul_i32_i24_e32 v11, v86, v11
	v_mul_i32_i24_e32 v12, v87, v12
	;; [unrolled: 1-line block ×3, first 2 shown]
	v_bfe_u32 v208, v8, 4, 4
	v_bfe_u32 v23, v8, 12, 4
	v_lshrrev_b32_e32 v8, 28, v8
	v_add3_u32 v10, v10, v12, v11
	v_and_b32_e32 v11, 15, v9
	scratch_store_b32 off, v14, off offset:612 ; 4-byte Folded Spill
	v_mul_i32_i24_e32 v14, v89, v14
	v_bfe_u32 v12, v9, 8, 4
	v_bfe_u32 v28, v9, 20, 4
	scratch_store_b32 off, v11, off offset:616 ; 4-byte Folded Spill
	v_mul_i32_i24_e32 v11, v82, v11
	v_add3_u32 v10, v10, v13, v14
	v_bfe_u32 v13, v9, 16, 4
	scratch_store_b32 off, v12, off offset:620 ; 4-byte Folded Spill
	v_mul_i32_i24_e32 v12, v83, v12
	v_bfe_u32 v14, v9, 24, 4
	v_mul_i32_i24_e32 v24, v54, v25
	scratch_store_b32 off, v13, off offset:624 ; 4-byte Folded Spill
	v_mul_i32_i24_e32 v13, v84, v13
	v_add3_u32 v10, v10, v12, v11
	scratch_store_b32 off, v14, off offset:628 ; 4-byte Folded Spill
	v_mul_i32_i24_e32 v14, v85, v14
	v_mul_i32_i24_e32 v27, v58, v28
	v_bfe_u32 v26, v9, 12, 4
	s_delay_alu instid0(VALU_DEP_3)
	v_add3_u32 v12, v10, v13, v14
	ds_load_2addr_b32 v[10:11], v5 offset0:6 offset1:7
	s_wait_dscnt 0x0
	v_and_b32_e32 v5, 15, v10
	v_bfe_u32 v13, v10, 8, 4
	v_bfe_u32 v14, v10, 16, 4
	;; [unrolled: 1-line block ×4, first 2 shown]
	s_clause 0x2
	scratch_store_b32 off, v5, off offset:632
	scratch_store_b32 off, v13, off offset:636
	;; [unrolled: 1-line block ×3, first 2 shown]
	v_mul_i32_i24_e32 v5, v78, v5
	v_mul_i32_i24_e32 v13, v79, v13
	;; [unrolled: 1-line block ×3, first 2 shown]
	v_bfe_u32 v29, v10, 12, 4
	v_bfe_u32 v209, v11, 4, 4
	v_mul_i32_i24_e32 v30, v62, v31
	v_add3_u32 v5, v12, v13, v5
	v_and_b32_e32 v12, 15, v11
	scratch_store_b32 off, v15, off offset:1112 ; 4-byte Folded Spill
	v_mul_i32_i24_e32 v15, v81, v15
	v_bfe_u32 v13, v11, 8, 4
	scratch_store_b32 off, v12, off offset:1116 ; 4-byte Folded Spill
	v_mul_i32_i24_e32 v12, v35, v12
	v_add3_u32 v5, v5, v14, v15
	v_bfe_u32 v14, v11, 16, 4
	v_bfe_u32 v15, v11, 24, 4
	scratch_store_b32 off, v13, off offset:1120 ; 4-byte Folded Spill
	v_mul_i32_i24_e32 v13, v34, v13
	v_bfe_u32 v34, v11, 20, 4
	s_clause 0x1
	scratch_store_b32 off, v14, off offset:436
	scratch_store_b32 off, v15, off offset:440
	v_mul_i32_i24_e32 v14, v67, v14
	v_add3_u32 v5, v5, v13, v12
	ds_load_u16 v12, v4
	ds_load_u16 v4, v4 offset:8
	v_mul_i32_i24_e32 v15, v68, v15
	scratch_load_b32 v206, off, off offset:176 ; 4-byte Folded Reload
	scratch_store_b32 off, v17, off offset:8 ; 4-byte Folded Spill
	v_mul_i32_i24_e32 v17, v46, v17
	s_clause 0x3
	scratch_store_b32 off, v22, off offset:444
	scratch_store_b32 off, v20, off offset:448
	;; [unrolled: 1-line block ×4, first 2 shown]
	v_add3_u32 v5, v5, v14, v15
	v_bfe_u32 v14, v0, 20, 4
	v_bfe_u32 v15, v0, 12, 4
	v_mul_i32_i24_e32 v20, v51, v20
	v_bfe_u32 v25, v9, 4, 4
	s_clause 0x2
	scratch_store_b32 off, v8, off offset:120
	scratch_store_b32 off, v28, off offset:128
	;; [unrolled: 1-line block ×3, first 2 shown]
	v_bfe_u32 v28, v10, 4, 4
	v_lshrrev_b32_e32 v10, 28, v10
	s_wait_dscnt 0x1
	v_lshrrev_b16 v13, 8, v12
	v_and_b32_e32 v12, 0xff, v12
	v_mul_i32_i24_e32 v22, v56, v208
	v_mul_i32_i24_e32 v23, v55, v23
	;; [unrolled: 1-line block ×3, first 2 shown]
	scratch_store_b32 off, v25, off offset:124 ; 4-byte Folded Spill
	v_mul_lo_u32 v5, v5, v12
	scratch_store_b32 off, v12, off offset:640 ; 4-byte Folded Spill
	s_wait_dscnt 0x0
	v_cvt_f32_ubyte0_e32 v12, v4
	v_mul_i32_i24_e32 v25, v60, v25
	v_lshrrev_b32_e32 v9, 28, v9
	s_clause 0x5
	scratch_store_b32 off, v26, off offset:132
	scratch_store_b32 off, v28, off offset:140
	;; [unrolled: 1-line block ×6, first 2 shown]
	v_cvt_f32_i32_e32 v5, v5
	scratch_store_b32 off, v12, off offset:1108 ; 4-byte Folded Spill
	v_mul_i32_i24_e32 v26, v59, v26
	v_mul_i32_i24_e32 v9, v57, v9
	;; [unrolled: 1-line block ×3, first 2 shown]
	v_fma_mix_f32 v5, v2, v5, 0 op_sel_hi:[1,0,0]
	v_fma_mix_f32 v2, v2, v12, 0 op_sel:[1,0,0] op_sel_hi:[1,0,0]
	v_bfe_u32 v12, v0, 4, 4
	scratch_store_b32 off, v14, off offset:1196 ; 4-byte Folded Spill
	v_lshrrev_b32_e32 v0, 28, v0
	v_mul_i32_i24_e32 v14, v36, v14
	v_mul_i32_i24_e32 v29, v63, v29
	scratch_store_b32 off, v12, off offset:1192 ; 4-byte Folded Spill
	v_mul_i32_i24_e32 v12, v39, v12
	scratch_store_b32 off, v0, off offset:1204 ; 4-byte Folded Spill
	v_mul_i32_i24_e32 v0, v37, v0
	v_mul_i32_i24_e32 v31, v32, v209
	v_bfe_u32 v32, v11, 12, 4
	v_mad_i32_i24 v12, v38, v15, v12
	v_mul_i32_i24_e32 v15, v41, v16
	scratch_store_b32 off, v10, off offset:956 ; 4-byte Folded Spill
	v_mul_i32_i24_e32 v10, v61, v10
	scratch_store_b32 off, v32, off offset:960 ; 4-byte Folded Spill
	v_add3_u32 v0, v12, v14, v0
	v_bfe_u32 v12, v1, 4, 4
	v_bfe_u32 v14, v1, 12, 4
	scratch_store_b32 off, v16, off offset:212 ; 4-byte Folded Spill
	v_lshrrev_b32_e32 v1, 28, v1
	v_bfe_u32 v16, v6, 4, 4
	scratch_store_b32 off, v12, off offset:208 ; 4-byte Folded Spill
	v_mul_i32_i24_e32 v12, v43, v12
	s_clause 0x2
	scratch_store_b32 off, v14, off offset:12
	scratch_store_b32 off, v1, off offset:16
	;; [unrolled: 1-line block ×3, first 2 shown]
	v_mul_i32_i24_e32 v14, v42, v14
	v_mul_i32_i24_e32 v1, v40, v1
	;; [unrolled: 1-line block ×3, first 2 shown]
	v_lshrrev_b32_e32 v6, 28, v6
	scratch_store_b32 off, v19, off offset:24 ; 4-byte Folded Spill
	v_add3_u32 v0, v0, v12, v14
	v_bfe_u32 v19, v7, 4, 4
	v_lshrrev_b32_e32 v7, 28, v7
	scratch_store_b32 off, v6, off offset:28 ; 4-byte Folded Spill
	v_mul_i32_i24_e32 v6, v44, v6
	v_add3_u32 v0, v0, v15, v1
	v_cvt_f32_ubyte1_e32 v1, v4
	scratch_store_b32 off, v19, off offset:32 ; 4-byte Folded Spill
	v_mul_i32_i24_e32 v19, v52, v19
	scratch_store_b32 off, v7, off offset:952 ; 4-byte Folded Spill
	v_add3_u32 v0, v0, v16, v17
	scratch_store_b32 off, v1, off offset:184 ; 4-byte Folded Spill
	v_fma_mix_f32 v1, v3, v1, v2 op_sel:[1,0,0] op_sel_hi:[1,0,0]
	scratch_load_b32 v2, off, off offset:4  ; 4-byte Folded Reload
	v_mul_i32_i24_e32 v7, v49, v7
	v_add3_u32 v0, v0, v18, v6
	v_mul_i32_i24_e32 v32, v47, v32
	v_lshrrev_b32_e32 v11, 28, v11
	v_mul_i32_i24_e32 v33, v65, v34
	v_and_b32_e32 v207, 0xffff, v13
	v_add3_u32 v0, v0, v19, v20
	s_clause 0x2
	scratch_store_b32 off, v208, off offset:1060
	scratch_store_b32 off, v209, off offset:1064
	;; [unrolled: 1-line block ×3, first 2 shown]
	v_mul_i32_i24_e32 v11, v64, v11
	v_add3_u32 v0, v0, v21, v7
	scratch_store_b32 off, v207, off offset:812 ; 4-byte Folded Spill
	v_add3_u32 v0, v0, v22, v23
	s_delay_alu instid0(VALU_DEP_1) | instskip(NEXT) | instid1(VALU_DEP_1)
	v_add3_u32 v0, v0, v24, v8
	v_add3_u32 v0, v0, v25, v26
	s_delay_alu instid0(VALU_DEP_1) | instskip(NEXT) | instid1(VALU_DEP_1)
	v_add3_u32 v0, v0, v27, v9
	;; [unrolled: 3-line block ×4, first 2 shown]
	v_mul_lo_u32 v0, v0, v207
	s_delay_alu instid0(VALU_DEP_1) | instskip(NEXT) | instid1(VALU_DEP_1)
	v_cvt_f32_i32_e32 v0, v0
	v_fma_mix_f32 v0, v3, v0, v5 op_sel_hi:[1,0,0]
	s_wait_loadcnt 0x0
	v_mul_f32_e32 v1, v1, v2
	s_delay_alu instid0(VALU_DEP_1)
	v_fma_f32 v0, v0, v206, -v1
	scratch_load_b32 v1, off, off offset:768 ; 4-byte Folded Reload
	s_wait_loadcnt 0x0
	v_add_f32_e32 v1, v1, v0
	scratch_load_b32 v0, off, off offset:1260 ; 4-byte Folded Reload
	scratch_store_b32 off, v1, off offset:768 ; 4-byte Folded Spill
	s_wait_loadcnt 0x0
	v_or_b32_e32 v0, s10, v0
	s_delay_alu instid0(VALU_DEP_1)
	v_lshlrev_b32_e32 v12, 2, v0
	v_lshrrev_b32_e32 v16, 1, v0
	ds_load_b128 v[0:3], v12 offset:16896
	ds_load_b128 v[4:7], v12 offset:16912
	;; [unrolled: 1-line block ×4, first 2 shown]
	s_clause 0xe
	scratch_load_b32 v129, off, off offset:428
	scratch_load_b32 v120, off, off offset:864
	;; [unrolled: 1-line block ×15, first 2 shown]
	s_clause 0x2
	scratch_store_b32 off, v224, off offset:860
	scratch_store_b32 off, v223, off offset:856
	;; [unrolled: 1-line block ×3, first 2 shown]
	s_wait_dscnt 0x3
	v_bfe_i32 v17, v0, 0, 8
	v_bfe_i32 v18, v0, 8, 8
	;; [unrolled: 1-line block ×3, first 2 shown]
	v_ashrrev_i32_e32 v20, 24, v0
	v_bfe_i32 v21, v1, 0, 8
	v_mul_i32_i24_e32 v66, v224, v17
	v_bfe_i32 v22, v1, 8, 8
	v_mul_i32_i24_e32 v67, v223, v19
	v_mul_i32_i24_e32 v68, v200, v20
	v_bfe_i32 v23, v1, 16, 8
	v_mad_i32_i24 v66, v212, v18, v66
	v_ashrrev_i32_e32 v24, 24, v1
	ds_load_b64 v[0:1], v16 offset:27200
	s_wait_dscnt 0x2
	v_bfe_i32 v16, v8, 0, 8
	v_bfe_i32 v43, v8, 8, 8
	v_add3_u32 v66, v66, v67, v68
	v_mul_i32_i24_e32 v68, v247, v22
	v_bfe_i32 v44, v8, 16, 8
	v_ashrrev_i32_e32 v8, 24, v8
	v_mul_i32_i24_e32 v78, v118, v23
	v_mul_i32_i24_e32 v79, v214, v24
	v_bfe_i32 v25, v2, 0, 8
	v_bfe_i32 v26, v2, 8, 8
	;; [unrolled: 1-line block ×5, first 2 shown]
	v_ashrrev_i32_e32 v2, 24, v2
	v_bfe_i32 v47, v9, 16, 8
	v_ashrrev_i32_e32 v9, 24, v9
	v_mul_i32_i24_e32 v80, v163, v25
	v_mul_i32_i24_e32 v81, v162, v26
	v_bfe_i32 v28, v3, 0, 8
	v_bfe_i32 v29, v3, 8, 8
	;; [unrolled: 1-line block ×4, first 2 shown]
	v_mul_i32_i24_e32 v82, v235, v27
	v_mul_i32_i24_e32 v83, v130, v2
	v_bfe_i32 v30, v3, 16, 8
	v_ashrrev_i32_e32 v3, 24, v3
	v_bfe_i32 v50, v10, 16, 8
	v_ashrrev_i32_e32 v10, 24, v10
	v_mul_i32_i24_e32 v84, v133, v28
	v_mul_i32_i24_e32 v85, v132, v29
	v_bfe_i32 v51, v11, 0, 8
	v_bfe_i32 v52, v11, 8, 8
	v_mul_i32_i24_e32 v86, v131, v30
	v_bfe_i32 v31, v4, 0, 8
	v_bfe_i32 v32, v4, 8, 8
	;; [unrolled: 1-line block ×3, first 2 shown]
	v_ashrrev_i32_e32 v11, 24, v11
	v_bfe_i32 v33, v4, 16, 8
	v_mul_i32_i24_e32 v88, v164, v31
	v_mul_i32_i24_e32 v89, v240, v32
	v_ashrrev_i32_e32 v4, 24, v4
	v_bfe_i32 v34, v5, 0, 8
	v_bfe_i32 v35, v5, 8, 8
	s_wait_dscnt 0x1
	v_bfe_i32 v54, v12, 0, 8
	v_bfe_i32 v55, v12, 8, 8
	v_mul_i32_i24_e32 v90, v167, v33
	v_mul_i32_i24_e32 v92, v166, v4
	v_bfe_i32 v36, v5, 16, 8
	v_ashrrev_i32_e32 v5, 24, v5
	v_bfe_i32 v56, v12, 16, 8
	v_ashrrev_i32_e32 v12, 24, v12
	v_mul_i32_i24_e32 v93, v180, v34
	v_mul_i32_i24_e32 v96, v172, v35
	v_bfe_i32 v37, v6, 0, 8
	v_bfe_i32 v38, v6, 8, 8
	v_bfe_i32 v57, v13, 0, 8
	v_bfe_i32 v58, v13, 8, 8
	v_mul_i32_i24_e32 v99, v170, v36
	v_mul_i32_i24_e32 v103, v169, v5
	v_bfe_i32 v39, v6, 16, 8
	v_ashrrev_i32_e32 v6, 24, v6
	v_bfe_i32 v59, v13, 16, 8
	v_ashrrev_i32_e32 v13, 24, v13
	v_mul_i32_i24_e32 v104, v253, v37
	v_mul_i32_i24_e32 v105, v205, v38
	v_bfe_i32 v40, v7, 0, 8
	v_bfe_i32 v41, v7, 8, 8
	;; [unrolled: 12-line block ×3, first 2 shown]
	v_mul_i32_i24_e32 v125, v216, v42
	v_mul_i32_i24_e32 v126, v215, v7
	v_bfe_i32 v65, v15, 16, 8
	v_ashrrev_i32_e32 v15, 24, v15
	s_clause 0xa
	scratch_store_b32 off, v212, off offset:848
	scratch_store_b32 off, v247, off offset:852
	;; [unrolled: 1-line block ×11, first 2 shown]
	v_mul_i32_i24_e32 v128, v149, v15
	s_clause 0x1f
	scratch_store_b32 off, v164, off offset:1008
	scratch_store_b32 off, v172, off offset:1004
	;; [unrolled: 1-line block ×32, first 2 shown]
	s_clause 0x3
	scratch_store_b32 off, v232, off offset:1220
	scratch_store_b32 off, v187, off offset:1228
	;; [unrolled: 1-line block ×4, first 2 shown]
	s_wait_loadcnt 0xe
	v_mul_i32_i24_e32 v67, v129, v21
	s_delay_alu instid0(VALU_DEP_1)
	v_add3_u32 v66, v66, v67, v68
	v_mul_i32_i24_e32 v68, v115, v16
	s_wait_loadcnt 0x9
	v_mul_i32_i24_e32 v87, v119, v3
	s_wait_dscnt 0x0
	v_fma_mix_f32 v67, v91, v0, 0 op_sel:[0,1,0] op_sel_hi:[0,1,0]
	v_add3_u32 v66, v66, v78, v79
	v_mul_i32_i24_e32 v78, v250, v44
	v_mul_i32_i24_e32 v79, v249, v8
	v_mad_i32_i24 v68, v120, v43, v68
	s_wait_loadcnt 0x4
	v_mul_i32_i24_e32 v127, v116, v65
	v_add3_u32 v66, v66, v80, v81
	v_mul_i32_i24_e32 v80, v152, v47
	v_mul_i32_i24_e32 v81, v228, v9
	v_add3_u32 v68, v68, v78, v79
	v_mul_i32_i24_e32 v78, v157, v45
	;; [unrolled: 3-line block ×3, first 2 shown]
	v_mul_i32_i24_e32 v83, v117, v49
	v_fma_mix_f32 v67, v108, v1, v67 op_sel:[0,1,0] op_sel_hi:[0,1,0]
	v_add3_u32 v68, v68, v78, v79
	v_add3_u32 v66, v66, v84, v85
	v_mul_i32_i24_e32 v84, v158, v50
	v_mul_i32_i24_e32 v85, v150, v10
	v_mul_f32_e32 v67, v67, v109
	v_add3_u32 v68, v68, v80, v81
	v_add3_u32 v66, v66, v86, v87
	v_mul_i32_i24_e32 v86, v74, v51
	s_wait_loadcnt 0x1
	v_mul_i32_i24_e32 v87, v73, v52
	v_mul_i32_i24_e32 v78, v23, v203
	v_add3_u32 v68, v68, v82, v83
	v_add3_u32 v66, v66, v88, v89
	s_wait_loadcnt 0x0
	v_mul_i32_i24_e32 v88, v173, v53
	v_mul_i32_i24_e32 v89, v121, v11
	;; [unrolled: 1-line block ×3, first 2 shown]
	v_add3_u32 v68, v68, v84, v85
	v_add3_u32 v66, v66, v90, v92
	v_mul_i32_i24_e32 v90, v134, v54
	v_mul_i32_i24_e32 v92, v77, v55
	;; [unrolled: 1-line block ×3, first 2 shown]
	v_add3_u32 v68, v68, v86, v87
	v_mul_i32_i24_e32 v86, v30, v69
	scratch_load_b32 v69, off, off offset:96 ; 4-byte Folded Reload
	v_add3_u32 v66, v66, v93, v96
	v_mul_i32_i24_e32 v93, v76, v56
	v_add3_u32 v68, v68, v88, v89
	v_mul_i32_i24_e32 v96, v75, v12
	scratch_load_b32 v111, off, off offset:56 ; 4-byte Folded Reload
	v_add3_u32 v66, v66, v99, v103
	v_mul_i32_i24_e32 v99, v138, v57
	v_add3_u32 v68, v68, v90, v92
	v_mul_i32_i24_e32 v103, v137, v58
	v_mul_i32_i24_e32 v82, v27, v112
	v_add3_u32 v66, v66, v104, v105
	v_mul_i32_i24_e32 v104, v136, v59
	v_add3_u32 v68, v68, v93, v96
	v_mul_i32_i24_e32 v105, v135, v13
	v_mul_i32_i24_e32 v96, v35, v242
	v_add3_u32 v66, v66, v106, v122
	v_mul_i32_i24_e32 v106, v146, v60
	v_add3_u32 v68, v68, v99, v103
	v_mul_i32_i24_e32 v122, v145, v61
	scratch_load_b32 v242, off, off offset:1080 ; 4-byte Folded Reload
	v_add3_u32 v66, v66, v123, v124
	v_mul_i32_i24_e32 v123, v144, v62
	v_add3_u32 v68, v68, v104, v105
	v_mul_i32_i24_e32 v124, v143, v14
	v_mul_i32_i24_e32 v104, v37, v230
	v_add3_u32 v66, v66, v125, v126
	v_mul_i32_i24_e32 v125, v148, v63
	v_add3_u32 v68, v68, v106, v122
	v_mul_i32_i24_e32 v126, v147, v64
	v_mul_i32_i24_e32 v122, v6, v151
	v_mul_lo_u32 v66, v66, v220
	scratch_load_b32 v230, off, off offset:288 ; 4-byte Folded Reload
	v_add3_u32 v68, v68, v123, v124
	scratch_load_b32 v151, off, off offset:240 ; 4-byte Folded Reload
	v_mul_i32_i24_e32 v83, v2, v113
	v_mul_i32_i24_e32 v84, v28, v114
	;; [unrolled: 1-line block ×3, first 2 shown]
	v_add3_u32 v68, v68, v125, v126
	v_cvt_f32_i32_e32 v66, v66
	v_mul_i32_i24_e32 v99, v36, v241
	v_mul_i32_i24_e32 v103, v5, v234
	;; [unrolled: 1-line block ×3, first 2 shown]
	v_add3_u32 v68, v68, v127, v128
	v_fma_mix_f32 v66, v0, v66, 0 op_sel_hi:[1,0,0]
	s_clause 0x2
	scratch_load_b32 v234, off, off offset:80
	scratch_load_b32 v210, off, off offset:84
	;; [unrolled: 1-line block ×3, first 2 shown]
	v_mul_lo_u32 v68, v68, v107
	v_mul_i32_i24_e32 v127, v65, v245
	v_mul_i32_i24_e32 v128, v15, v211
	s_delay_alu instid0(VALU_DEP_3) | instskip(NEXT) | instid1(VALU_DEP_1)
	v_cvt_f32_i32_e32 v68, v68
	v_fma_mix_f32 v66, v1, v68, v66 op_sel_hi:[1,0,0]
	v_mul_i32_i24_e32 v68, v20, v233
	s_delay_alu instid0(VALU_DEP_2)
	v_fma_f32 v66, v66, v110, -v67
	scratch_load_b32 v67, off, off offset:764 ; 4-byte Folded Reload
	s_wait_loadcnt 0x8
	v_mul_i32_i24_e32 v87, v3, v69
	scratch_load_b32 v69, off, off offset:100 ; 4-byte Folded Reload
	s_wait_loadcnt 0x8
	v_mul_i32_i24_e32 v81, v26, v111
	s_wait_loadcnt 0x7
	v_mul_i32_i24_e32 v106, v39, v242
	;; [unrolled: 2-line block ×6, first 2 shown]
	s_wait_loadcnt 0x1
	v_add_f32_e32 v67, v67, v66
	v_mul_i32_i24_e32 v66, v17, v196
	scratch_store_b32 off, v67, off offset:764 ; 4-byte Folded Spill
	v_mul_i32_i24_e32 v67, v19, v197
	v_mad_i32_i24 v66, v18, v232, v66
	s_delay_alu instid0(VALU_DEP_1) | instskip(SKIP_2) | instid1(VALU_DEP_1)
	v_add3_u32 v66, v66, v67, v68
	v_mul_i32_i24_e32 v67, v21, v198
	v_mul_i32_i24_e32 v68, v22, v199
	v_add3_u32 v66, v66, v67, v68
	v_fma_mix_f32 v67, v243, v0, 0 op_sel:[0,1,0] op_sel_hi:[0,1,0]
	scratch_load_b32 v243, off, off offset:1084 ; 4-byte Folded Reload
	v_add3_u32 v66, v66, v78, v79
	v_mul_i32_i24_e32 v79, v8, v102
	scratch_load_b32 v102, off, off offset:60 ; 4-byte Folded Reload
	v_mul_i32_i24_e32 v78, v44, v213
	scratch_load_b32 v213, off, off offset:88 ; 4-byte Folded Reload
	v_add3_u32 v66, v66, v80, v81
	v_mul_i32_i24_e32 v81, v9, v95
	v_fma_mix_f32 v67, v168, v1, v67 op_sel:[0,1,0] op_sel_hi:[0,1,0]
	s_delay_alu instid0(VALU_DEP_3)
	v_add3_u32 v66, v66, v82, v83
	v_mul_i32_i24_e32 v83, v49, v101
	scratch_load_b32 v101, off, off offset:252 ; 4-byte Folded Reload
	v_mul_f32_e32 v67, v67, v188
	v_add3_u32 v66, v66, v84, v85
	v_mul_i32_i24_e32 v84, v50, v94
	scratch_load_b32 v94, off, off offset:64 ; 4-byte Folded Reload
	v_mul_i32_i24_e32 v85, v10, v97
	v_add3_u32 v66, v66, v86, v87
	s_wait_loadcnt 0x5
	v_mul_i32_i24_e32 v88, v31, v69
	scratch_load_b32 v69, off, off offset:296 ; 4-byte Folded Reload
	s_wait_loadcnt 0x5
	v_mul_i32_i24_e32 v68, v16, v243
	s_wait_loadcnt 0x4
	s_delay_alu instid0(VALU_DEP_1) | instskip(SKIP_2) | instid1(VALU_DEP_2)
	v_mad_i32_i24 v68, v43, v102, v68
	s_wait_loadcnt 0x3
	v_mul_i32_i24_e32 v82, v48, v213
	v_add3_u32 v68, v68, v78, v79
	v_mul_i32_i24_e32 v79, v46, v100
	scratch_load_b32 v100, off, off offset:244 ; 4-byte Folded Reload
	v_mul_i32_i24_e32 v78, v45, v171
	scratch_load_b32 v171, off, off offset:292 ; 4-byte Folded Reload
	s_wait_loadcnt 0x4
	v_mul_i32_i24_e32 v86, v51, v101
	v_add3_u32 v68, v68, v78, v79
	v_mul_i32_i24_e32 v78, v23, v192
	s_wait_loadcnt 0x3
	v_mul_i32_i24_e32 v87, v52, v94
	v_mul_i32_i24_e32 v79, v24, v154
	s_wait_loadcnt 0x2
	v_mul_i32_i24_e32 v89, v32, v69
	scratch_load_b32 v69, off, off offset:104 ; 4-byte Folded Reload
	v_add3_u32 v66, v66, v88, v89
	v_mul_i32_i24_e32 v89, v11, v255
	s_wait_loadcnt 0x2
	v_mul_i32_i24_e32 v80, v47, v100
	s_wait_loadcnt 0x1
	v_mul_i32_i24_e32 v88, v53, v171
	s_delay_alu instid0(VALU_DEP_2) | instskip(SKIP_2) | instid1(VALU_DEP_3)
	v_add3_u32 v68, v68, v80, v81
	v_mul_i32_i24_e32 v80, v25, v193
	v_mul_i32_i24_e32 v81, v26, v153
	v_add3_u32 v68, v68, v82, v83
	v_mul_i32_i24_e32 v82, v27, v194
	v_mul_i32_i24_e32 v83, v2, v195
	s_delay_alu instid0(VALU_DEP_3) | instskip(SKIP_2) | instid1(VALU_DEP_3)
	v_add3_u32 v68, v68, v84, v85
	v_mul_i32_i24_e32 v84, v28, v201
	v_mul_i32_i24_e32 v85, v29, v142
	v_add3_u32 v68, v68, v86, v87
	v_mul_i32_i24_e32 v86, v30, v202
	s_delay_alu instid0(VALU_DEP_2)
	v_add3_u32 v68, v68, v88, v89
	s_wait_loadcnt 0x0
	v_mul_i32_i24_e32 v90, v33, v69
	scratch_load_b32 v69, off, off offset:108 ; 4-byte Folded Reload
	s_wait_loadcnt 0x0
	v_mul_i32_i24_e32 v92, v4, v69
	scratch_load_b32 v69, off, off offset:112 ; 4-byte Folded Reload
	v_add3_u32 v66, v66, v90, v92
	v_mul_i32_i24_e32 v90, v54, v98
	scratch_load_b32 v98, off, off offset:256 ; 4-byte Folded Reload
	v_mul_i32_i24_e32 v92, v55, v139
	s_delay_alu instid0(VALU_DEP_1)
	v_add3_u32 v68, v68, v90, v92
	s_wait_loadcnt 0x1
	v_mul_i32_i24_e32 v93, v34, v69
	scratch_load_b32 v69, off, off offset:72 ; 4-byte Folded Reload
	v_add3_u32 v66, v66, v93, v96
	s_wait_loadcnt 0x1
	v_mul_i32_i24_e32 v93, v56, v98
	v_mul_i32_i24_e32 v96, v12, v254
	s_delay_alu instid0(VALU_DEP_3) | instskip(SKIP_2) | instid1(VALU_DEP_4)
	v_add3_u32 v66, v66, v99, v103
	v_mul_i32_i24_e32 v99, v57, v252
	v_mul_i32_i24_e32 v103, v58, v251
	v_add3_u32 v68, v68, v93, v96
	s_delay_alu instid0(VALU_DEP_4)
	v_add3_u32 v66, v66, v104, v105
	v_mul_i32_i24_e32 v105, v13, v140
	scratch_load_b32 v140, off, off offset:68 ; 4-byte Folded Reload
	v_mul_i32_i24_e32 v104, v59, v248
	v_add3_u32 v68, v68, v99, v103
	v_add3_u32 v66, v66, v106, v122
	s_delay_alu instid0(VALU_DEP_2) | instskip(NEXT) | instid1(VALU_DEP_2)
	v_add3_u32 v68, v68, v104, v105
	v_add3_u32 v66, v66, v123, v124
	v_mul_i32_i24_e32 v123, v62, v70
	scratch_load_b32 v70, off, off offset:76 ; 4-byte Folded Reload
	v_add3_u32 v66, v66, v125, v126
	v_mul_i32_i24_e32 v125, v63, v246
	v_mul_i32_i24_e32 v126, v64, v244
	s_delay_alu instid0(VALU_DEP_3) | instskip(NEXT) | instid1(VALU_DEP_1)
	v_mul_lo_u32 v66, v66, v241
	v_cvt_f32_i32_e32 v66, v66
	s_delay_alu instid0(VALU_DEP_1) | instskip(SKIP_4) | instid1(VALU_DEP_1)
	v_fma_mix_f32 v66, v0, v66, 0 op_sel_hi:[1,0,0]
	s_wait_loadcnt 0x2
	v_mul_i32_i24_e32 v122, v61, v69
	s_wait_loadcnt 0x1
	v_mul_i32_i24_e32 v106, v60, v140
	v_add3_u32 v68, v68, v106, v122
	s_wait_loadcnt 0x0
	v_mul_i32_i24_e32 v124, v14, v70
	s_delay_alu instid0(VALU_DEP_1) | instskip(NEXT) | instid1(VALU_DEP_1)
	v_add3_u32 v68, v68, v123, v124
	v_add3_u32 v68, v68, v125, v126
	s_delay_alu instid0(VALU_DEP_1) | instskip(SKIP_2) | instid1(VALU_DEP_3)
	v_add3_u32 v68, v68, v127, v128
	v_mul_i32_i24_e32 v127, v65, v225
	v_mul_i32_i24_e32 v128, v15, v219
	v_mul_lo_u32 v68, v68, v187
	s_delay_alu instid0(VALU_DEP_1) | instskip(NEXT) | instid1(VALU_DEP_1)
	v_cvt_f32_i32_e32 v68, v68
	v_fma_mix_f32 v66, v1, v68, v66 op_sel_hi:[1,0,0]
	v_mul_i32_i24_e32 v68, v20, v191
	s_delay_alu instid0(VALU_DEP_2)
	v_fma_f32 v66, v66, v165, -v67
	scratch_load_b32 v67, off, off offset:760 ; 4-byte Folded Reload
	s_wait_loadcnt 0x0
	v_add_f32_e32 v67, v67, v66
	s_clause 0x2
	scratch_store_b32 off, v156, off offset:872
	scratch_store_b32 off, v67, off offset:760
	;; [unrolled: 1-line block ×3, first 2 shown]
	s_clause 0xf
	scratch_load_b32 v87, off, off offset:572
	scratch_load_b32 v244, off, off offset:660
	;; [unrolled: 1-line block ×16, first 2 shown]
	v_mul_i32_i24_e32 v66, v17, v189
	v_mul_i32_i24_e32 v67, v19, v161
	s_clause 0x2
	scratch_load_b32 v255, off, off offset:1104
	scratch_load_b32 v161, off, off offset:668
	;; [unrolled: 1-line block ×3, first 2 shown]
	v_mad_i32_i24 v66, v18, v190, v66
	s_clause 0x1
	scratch_load_b32 v153, off, off offset:488
	scratch_load_b32 v154, off, off offset:492
	v_mul_i32_i24_e32 v17, v17, v72
	scratch_load_b32 v219, off, off offset:220 ; 4-byte Folded Reload
	v_add3_u32 v66, v66, v67, v68
	v_mul_i32_i24_e32 v67, v21, v160
	v_mul_i32_i24_e32 v68, v22, v155
	s_clause 0x3
	scratch_load_b32 v160, off, off offset:496
	scratch_load_b32 v155, off, off offset:504
	;; [unrolled: 1-line block ×4, first 2 shown]
	v_add3_u32 v66, v66, v67, v68
	v_fma_mix_f32 v67, v141, v0, 0 op_sel:[0,1,0] op_sel_hi:[0,1,0]
	scratch_load_b32 v141, off, off offset:480 ; 4-byte Folded Reload
	v_mul_i32_i24_e32 v68, v16, v186
	s_clause 0x4
	scratch_store_b32 off, v201, off offset:1024
	scratch_store_b32 off, v193, off offset:1036
	;; [unrolled: 1-line block ×5, first 2 shown]
	v_add3_u32 v66, v66, v78, v79
	scratch_load_b32 v78, off, off offset:576 ; 4-byte Folded Reload
	v_fma_mix_f32 v67, v71, v1, v67 op_sel:[0,1,0] op_sel_hi:[0,1,0]
	scratch_load_b32 v71, off, off offset:784 ; 4-byte Folded Reload
	s_clause 0x4
	scratch_store_b32 off, v195, off offset:1020
	scratch_store_b32 off, v182, off offset:932
	;; [unrolled: 1-line block ×5, first 2 shown]
	v_add3_u32 v66, v66, v80, v81
	scratch_load_b32 v81, off, off offset:500 ; 4-byte Folded Reload
	v_mul_i32_i24_e32 v80, v47, v183
	v_add3_u32 v66, v66, v82, v83
	s_delay_alu instid0(VALU_DEP_1)
	v_add3_u32 v66, v66, v84, v85
	s_wait_loadcnt 0x1d
	v_mul_i32_i24_e32 v87, v3, v87
	s_wait_loadcnt 0x1c
	v_mul_i32_i24_e32 v88, v31, v244
	;; [unrolled: 2-line block ×5, first 2 shown]
	v_add3_u32 v66, v66, v86, v87
	scratch_load_b32 v87, off, off offset:160 ; 4-byte Folded Reload
	s_wait_loadcnt 0x17
	v_mad_i32_i24 v68, v43, v168, v68
	s_wait_loadcnt 0x16
	v_mul_i32_i24_e32 v90, v33, v245
	s_wait_loadcnt 0x15
	v_mul_i32_i24_e32 v92, v4, v92
	v_add3_u32 v66, v66, v88, v89
	s_clause 0x1
	scratch_load_b32 v88, off, off offset:156
	scratch_load_b32 v89, off, off offset:164
	s_wait_loadcnt 0x16
	v_mul_i32_i24_e32 v93, v34, v246
	s_wait_loadcnt 0x12
	v_mul_i32_i24_e32 v96, v35, v96
	v_add3_u32 v66, v66, v90, v92
	scratch_load_b32 v90, off, off offset:168 ; 4-byte Folded Reload
	v_mul_i32_i24_e32 v92, v55, v184
	scratch_load_b32 v184, off, off offset:524 ; 4-byte Folded Reload
	v_mul_i32_i24_e32 v99, v36, v248
	v_add3_u32 v66, v66, v93, v96
	scratch_load_b32 v93, off, off offset:172 ; 4-byte Folded Reload
	v_mul_i32_i24_e32 v103, v5, v251
	v_mul_i32_i24_e32 v84, v50, v174
	;; [unrolled: 1-line block ×5, first 2 shown]
	v_add3_u32 v66, v66, v99, v103
	v_mul_i32_i24_e32 v103, v58, v177
	scratch_load_b32 v177, off, off offset:532 ; 4-byte Folded Reload
	s_wait_loadcnt 0xd
	v_mul_i32_i24_e32 v82, v48, v155
	v_mul_i32_i24_e32 v105, v38, v254
	;; [unrolled: 1-line block ×5, first 2 shown]
	s_wait_loadcnt 0xa
	v_mul_i32_i24_e32 v79, v8, v141
	v_add3_u32 v66, v66, v104, v105
	v_mul_i32_i24_e32 v105, v13, v231
	v_mul_i32_i24_e32 v124, v41, v142
	;; [unrolled: 1-line block ×4, first 2 shown]
	v_add3_u32 v66, v66, v106, v122
	v_mul_i32_i24_e32 v106, v60, v229
	s_wait_loadcnt 0x9
	v_mul_i32_i24_e32 v78, v44, v78
	v_mul_i32_i24_e32 v122, v61, v226
	s_wait_loadcnt 0x8
	v_mul_f32_e32 v67, v67, v71
	v_add3_u32 v66, v66, v123, v124
	v_mul_i32_i24_e32 v123, v62, v227
	v_add3_u32 v68, v68, v78, v79
	v_mul_i32_i24_e32 v78, v45, v182
	v_mul_i32_i24_e32 v79, v46, v160
	;; [unrolled: 1-line block ×3, first 2 shown]
	s_wait_loadcnt 0x7
	v_mul_i32_i24_e32 v81, v9, v81
	v_add3_u32 v66, v66, v125, v126
	v_mul_i32_i24_e32 v125, v63, v238
	v_add3_u32 v68, v68, v78, v79
	v_mul_i32_i24_e32 v126, v64, v221
	scratch_load_b32 v221, off, off offset:224 ; 4-byte Folded Reload
	v_mul_lo_u32 v66, v66, v185
	scratch_load_b32 v231, off, off offset:1116 ; 4-byte Folded Reload
	v_add3_u32 v68, v68, v80, v81
	s_clause 0x3
	scratch_load_b32 v226, off, off offset:1112
	scratch_load_b32 v238, off, off offset:1120
	;; [unrolled: 1-line block ×4, first 2 shown]
	v_add3_u32 v68, v68, v82, v83
	v_cvt_f32_i32_e32 v66, v66
	s_clause 0x1
	scratch_load_b32 v237, off, off offset:1204
	scratch_load_b32 v236, off, off offset:1200
	v_add3_u32 v68, v68, v84, v85
	v_fma_mix_f32 v66, v0, v66, 0 op_sel_hi:[1,0,0]
	s_wait_loadcnt 0xe
	v_mul_i32_i24_e32 v87, v52, v87
	s_wait_loadcnt 0xd
	v_mul_i32_i24_e32 v88, v53, v88
	;; [unrolled: 2-line block ×3, first 2 shown]
	v_add3_u32 v68, v68, v86, v87
	s_wait_loadcnt 0xb
	v_mul_i32_i24_e32 v90, v54, v90
	s_delay_alu instid0(VALU_DEP_2)
	v_add3_u32 v68, v68, v88, v89
	s_wait_loadcnt 0xa
	v_mul_i32_i24_e32 v96, v12, v184
	s_wait_loadcnt 0x9
	v_mul_i32_i24_e32 v93, v56, v93
	v_add3_u32 v68, v68, v90, v92
	s_delay_alu instid0(VALU_DEP_1) | instskip(SKIP_2) | instid1(VALU_DEP_2)
	v_add3_u32 v68, v68, v93, v96
	s_wait_loadcnt 0x8
	v_mul_i32_i24_e32 v104, v59, v177
	v_add3_u32 v68, v68, v99, v103
	s_delay_alu instid0(VALU_DEP_1) | instskip(NEXT) | instid1(VALU_DEP_1)
	v_add3_u32 v68, v68, v104, v105
	v_add3_u32 v68, v68, v106, v122
	s_delay_alu instid0(VALU_DEP_1) | instskip(NEXT) | instid1(VALU_DEP_1)
	v_add3_u32 v68, v68, v123, v124
	v_add3_u32 v68, v68, v125, v126
	s_delay_alu instid0(VALU_DEP_1) | instskip(SKIP_2) | instid1(VALU_DEP_2)
	v_add3_u32 v68, v68, v127, v128
	s_wait_loadcnt 0x5
	v_mul_i32_i24_e32 v6, v6, v226
	v_mul_lo_u32 v68, v68, v179
	scratch_load_b32 v179, off, off offset:216 ; 4-byte Folded Reload
	v_cvt_f32_i32_e32 v68, v68
	s_delay_alu instid0(VALU_DEP_1) | instskip(NEXT) | instid1(VALU_DEP_1)
	v_fma_mix_f32 v66, v1, v68, v66 op_sel_hi:[1,0,0]
	v_fma_f32 v66, v66, v178, -v67
	s_clause 0x1
	scratch_load_b32 v67, off, off offset:756
	scratch_load_b32 v178, off, off offset:824
	s_wait_loadcnt 0x1
	v_add_f32_e32 v67, v67, v66
	scratch_load_b32 v66, off, off offset:52 ; 4-byte Folded Reload
	s_wait_loadcnt 0x1
	v_mad_i32_i24 v17, v18, v178, v17
	scratch_load_b32 v18, off, off offset:36 ; 4-byte Folded Reload
	s_wait_loadcnt 0x1
	v_mul_i32_i24_e32 v19, v19, v66
	scratch_load_b32 v66, off, off offset:580 ; 4-byte Folded Reload
	s_wait_loadcnt 0x1
	v_mul_i32_i24_e32 v18, v21, v18
	v_mul_i32_i24_e32 v21, v24, v219
	scratch_load_b32 v24, off, off offset:44 ; 4-byte Folded Reload
	s_wait_loadcnt 0x1
	v_mul_i32_i24_e32 v20, v20, v66
	s_wait_loadcnt 0x0
	v_mul_i32_i24_e32 v24, v27, v24
	scratch_load_b32 v27, off, off offset:592 ; 4-byte Folded Reload
	v_add3_u32 v17, v17, v19, v20
	scratch_load_b32 v19, off, off offset:40 ; 4-byte Folded Reload
	v_mul_i32_i24_e32 v20, v23, v179
	v_mul_i32_i24_e32 v23, v26, v72
	scratch_load_b32 v26, off, off offset:588 ; 4-byte Folded Reload
	s_wait_loadcnt 0x2
	v_mul_i32_i24_e32 v27, v30, v27
	scratch_load_b32 v30, off, off offset:608 ; 4-byte Folded Reload
	s_wait_loadcnt 0x2
	v_mul_i32_i24_e32 v19, v22, v19
	v_mul_i32_i24_e32 v22, v25, v221
	scratch_load_b32 v25, off, off offset:48 ; 4-byte Folded Reload
	s_wait_loadcnt 0x2
	v_mul_i32_i24_e32 v26, v29, v26
	scratch_load_b32 v29, off, off offset:604 ; 4-byte Folded Reload
	v_add3_u32 v17, v17, v18, v19
	s_clause 0x1
	scratch_load_b32 v18, off, off offset:448
	scratch_load_b32 v19, off, off offset:444
	v_add3_u32 v17, v17, v20, v21
	s_clause 0x1
	scratch_load_b32 v20, off, off offset:952
	scratch_load_b32 v21, off, off offset:456
	;; [unrolled: 4-line block ×3, first 2 shown]
	s_wait_loadcnt 0x8
	v_mul_i32_i24_e32 v30, v33, v30
	scratch_load_b32 v33, off, off offset:624 ; 4-byte Folded Reload
	s_wait_loadcnt 0x8
	v_mul_i32_i24_e32 v2, v2, v25
	scratch_load_b32 v25, off, off offset:584 ; 4-byte Folded Reload
	;; [unrolled: 3-line block ×3, first 2 shown]
	s_wait_loadcnt 0x8
	v_mul_i32_i24_e32 v18, v52, v18
	v_add3_u32 v2, v17, v24, v2
	s_clause 0x1
	scratch_load_b32 v17, off, off offset:28
	scratch_load_b32 v24, off, off offset:132
	s_wait_loadcnt 0x9
	v_mul_i32_i24_e32 v19, v53, v19
	s_wait_loadcnt 0x8
	v_mul_i32_i24_e32 v11, v11, v20
	v_mul_i32_i24_e32 v20, v54, v208
	s_wait_loadcnt 0x7
	v_mul_i32_i24_e32 v21, v55, v21
	s_wait_loadcnt 0x6
	;; [unrolled: 2-line block ×3, first 2 shown]
	v_mul_i32_i24_e32 v12, v12, v23
	scratch_load_b32 v23, off, off offset:124 ; 4-byte Folded Reload
	s_wait_loadcnt 0x5
	v_mul_i32_i24_e32 v33, v36, v33
	scratch_load_b32 v36, off, off offset:644 ; 4-byte Folded Reload
	s_wait_loadcnt 0x5
	;; [unrolled: 3-line block ×3, first 2 shown]
	v_mul_i32_i24_e32 v32, v35, v32
	scratch_load_b32 v35, off, off offset:636 ; 4-byte Folded Reload
	v_add3_u32 v2, v2, v25, v26
	s_clause 0x1
	scratch_load_b32 v25, off, off offset:128
	scratch_load_b32 v26, off, off offset:136
	s_wait_loadcnt 0x7
	v_mul_i32_i24_e32 v10, v10, v17
	scratch_load_b32 v17, off, off offset:32 ; 4-byte Folded Reload
	s_wait_loadcnt 0x7
	v_mul_i32_i24_e32 v24, v58, v24
	s_wait_loadcnt 0x6
	v_mul_i32_i24_e32 v23, v57, v23
	;; [unrolled: 2-line block ×3, first 2 shown]
	scratch_load_b32 v39, off, off offset:436 ; 4-byte Folded Reload
	s_wait_loadcnt 0x5
	v_mul_i32_i24_e32 v3, v3, v28
	scratch_load_b32 v28, off, off offset:600 ; 4-byte Folded Reload
	s_wait_loadcnt 0x5
	v_mul_i32_i24_e32 v35, v38, v35
	v_mul_i32_i24_e32 v38, v41, v238
	v_add3_u32 v2, v2, v27, v3
	s_clause 0x1
	scratch_load_b32 v3, off, off offset:640
	scratch_load_b32 v27, off, off offset:148
	s_wait_loadcnt 0x5
	v_mul_i32_i24_e32 v13, v13, v26
	scratch_load_b32 v26, off, off offset:140 ; 4-byte Folded Reload
	s_wait_loadcnt 0x5
	v_mul_i32_i24_e32 v17, v51, v17
	v_mul_i32_i24_e32 v25, v59, v25
	s_wait_loadcnt 0x4
	v_mul_i32_i24_e32 v39, v42, v39
	s_wait_loadcnt 0x3
	v_mul_i32_i24_e32 v28, v31, v28
	scratch_load_b32 v31, off, off offset:612 ; 4-byte Folded Reload
	v_add3_u32 v2, v2, v28, v29
	s_clause 0x1
	scratch_load_b32 v28, off, off offset:144
	scratch_load_b32 v29, off, off offset:956
	s_wait_loadcnt 0x3
	v_mul_i32_i24_e32 v26, v60, v26
	v_mul_i32_i24_e32 v27, v61, v27
	s_wait_loadcnt 0x2
	v_mul_i32_i24_e32 v4, v4, v31
	scratch_load_b32 v31, off, off offset:616 ; 4-byte Folded Reload
	v_add3_u32 v2, v2, v30, v4
	v_mul_i32_i24_e32 v4, v44, v229
	scratch_load_b32 v30, off, off offset:960 ; 4-byte Folded Reload
	s_wait_loadcnt 0x3
	v_mul_i32_i24_e32 v28, v62, v28
	s_wait_loadcnt 0x2
	v_mul_i32_i24_e32 v14, v14, v29
	v_mul_i32_i24_e32 v29, v63, v209
	s_wait_loadcnt 0x1
	v_mul_i32_i24_e32 v31, v34, v31
	scratch_load_b32 v34, off, off offset:628 ; 4-byte Folded Reload
	v_add3_u32 v2, v2, v31, v32
	s_clause 0x1
	scratch_load_b32 v31, off, off offset:152
	scratch_load_b32 v32, off, off offset:460
	s_wait_loadcnt 0x3
	v_mul_i32_i24_e32 v30, v64, v30
	s_wait_loadcnt 0x2
	v_mul_i32_i24_e32 v5, v5, v34
	scratch_load_b32 v34, off, off offset:632 ; 4-byte Folded Reload
	v_add3_u32 v2, v2, v33, v5
	v_mul_i32_i24_e32 v5, v8, v237
	scratch_load_b32 v8, off, off offset:20 ; 4-byte Folded Reload
	s_wait_loadcnt 0x3
	v_mul_i32_i24_e32 v31, v65, v31
	s_wait_loadcnt 0x2
	v_mul_i32_i24_e32 v15, v15, v32
	;; [unrolled: 2-line block ×3, first 2 shown]
	v_mul_i32_i24_e32 v37, v40, v231
	scratch_load_b32 v40, off, off offset:440 ; 4-byte Folded Reload
	v_add3_u32 v2, v2, v34, v35
	s_wait_loadcnt 0x1
	v_mul_i32_i24_e32 v8, v48, v8
	s_delay_alu instid0(VALU_DEP_2) | instskip(SKIP_4) | instid1(VALU_DEP_1)
	v_add3_u32 v2, v2, v36, v6
	scratch_load_b32 v6, off, off offset:212 ; 4-byte Folded Reload
	v_add3_u32 v2, v2, v37, v38
	s_wait_loadcnt 0x1
	v_mul_i32_i24_e32 v7, v7, v40
	v_add3_u32 v2, v2, v39, v7
	scratch_load_b32 v7, off, off offset:16 ; 4-byte Folded Reload
	s_wait_loadcnt 0x1
	v_mul_i32_i24_e32 v6, v47, v6
	v_mul_lo_u32 v2, v2, v3
	v_mul_i32_i24_e32 v3, v16, v227
	scratch_load_b32 v16, off, off offset:24 ; 4-byte Folded Reload
	v_mad_i32_i24 v3, v43, v236, v3
	v_cvt_f32_i32_e32 v2, v2
	s_delay_alu instid0(VALU_DEP_2)
	v_add3_u32 v3, v3, v4, v5
	s_clause 0x1
	scratch_load_b32 v4, off, off offset:208
	scratch_load_b32 v5, off, off offset:12
	v_fma_mix_f32 v2, v0, v2, 0 op_sel_hi:[1,0,0]
	v_fma_mix_f32 v0, v225, v0, 0 op_sel:[0,1,0] op_sel_hi:[0,1,0]
	s_wait_loadcnt 0x3
	v_mul_i32_i24_e32 v7, v9, v7
	scratch_load_b32 v9, off, off offset:8  ; 4-byte Folded Reload
	s_wait_loadcnt 0x3
	v_mul_i32_i24_e32 v16, v50, v16
	s_wait_loadcnt 0x2
	v_mul_i32_i24_e32 v4, v45, v4
	;; [unrolled: 2-line block ×3, first 2 shown]
	s_delay_alu instid0(VALU_DEP_1) | instskip(NEXT) | instid1(VALU_DEP_1)
	v_add3_u32 v3, v3, v4, v5
	v_add3_u32 v3, v3, v6, v7
	s_wait_loadcnt 0x0
	v_mul_i32_i24_e32 v9, v49, v9
	s_delay_alu instid0(VALU_DEP_1) | instskip(NEXT) | instid1(VALU_DEP_1)
	v_add3_u32 v3, v3, v8, v9
	v_add3_u32 v3, v3, v16, v10
	s_delay_alu instid0(VALU_DEP_1) | instskip(NEXT) | instid1(VALU_DEP_1)
	v_add3_u32 v3, v3, v17, v18
	v_add3_u32 v3, v3, v19, v11
	;; [unrolled: 3-line block ×6, first 2 shown]
	s_delay_alu instid0(VALU_DEP_1) | instskip(NEXT) | instid1(VALU_DEP_1)
	v_mul_lo_u32 v3, v3, v207
	v_cvt_f32_i32_e32 v3, v3
	s_delay_alu instid0(VALU_DEP_1)
	v_fma_mix_f32 v2, v1, v3, v2 op_sel_hi:[1,0,0]
	scratch_load_b32 v3, off, off offset:184 ; 4-byte Folded Reload
	s_wait_loadcnt 0x0
	v_fma_mix_f32 v0, v3, v1, v0 op_sel:[0,1,0] op_sel_hi:[0,1,0]
	scratch_load_b32 v1, off, off offset:4  ; 4-byte Folded Reload
	s_wait_loadcnt 0x0
	v_mul_f32_e32 v0, v0, v1
	scratch_load_b32 v1, off, off offset:752 ; 4-byte Folded Reload
	s_clause 0x1
	scratch_store_b32 off, v190, off offset:1172
	scratch_store_b32 off, v185, off offset:1044
	v_fma_f32 v0, v2, v206, -v0
	s_wait_loadcnt 0x0
	s_delay_alu instid0(VALU_DEP_1)
	v_add_f32_e32 v1, v1, v0
	scratch_load_b32 v0, off, off offset:1264 ; 4-byte Folded Reload
	s_clause 0x2
	scratch_store_b32 off, v191, off offset:832
	scratch_store_b32 off, v67, off offset:756
	;; [unrolled: 1-line block ×3, first 2 shown]
	s_wait_loadcnt 0x0
	v_or_b32_e32 v0, s10, v0
	s_delay_alu instid0(VALU_DEP_1)
	v_lshlrev_b32_e32 v12, 2, v0
	v_lshrrev_b32_e32 v16, 1, v0
	ds_load_b128 v[0:3], v12 offset:16896
	ds_load_b128 v[4:7], v12 offset:16912
	;; [unrolled: 1-line block ×4, first 2 shown]
	s_clause 0x3
	scratch_load_b32 v206, off, off offset:264
	scratch_load_b32 v207, off, off offset:268
	;; [unrolled: 1-line block ×4, first 2 shown]
	s_wait_dscnt 0x3
	v_bfe_i32 v17, v0, 0, 8
	v_bfe_i32 v18, v0, 8, 8
	;; [unrolled: 1-line block ×3, first 2 shown]
	v_ashrrev_i32_e32 v20, 24, v0
	v_bfe_i32 v21, v1, 0, 8
	v_mul_i32_i24_e32 v66, v224, v17
	v_bfe_i32 v22, v1, 8, 8
	v_mul_i32_i24_e32 v67, v223, v19
	v_mul_i32_i24_e32 v68, v200, v20
	v_bfe_i32 v23, v1, 16, 8
	v_mad_i32_i24 v66, v212, v18, v66
	v_ashrrev_i32_e32 v24, 24, v1
	ds_load_b64 v[0:1], v16 offset:27200
	s_wait_dscnt 0x2
	v_bfe_i32 v16, v8, 0, 8
	v_mov_b32_e32 v212, v118
	v_add3_u32 v66, v66, v67, v68
	v_mul_i32_i24_e32 v67, v129, v21
	v_mul_i32_i24_e32 v68, v247, v22
	v_bfe_i32 v43, v8, 8, 8
	v_bfe_i32 v44, v8, 16, 8
	v_ashrrev_i32_e32 v8, 24, v8
	v_mov_b32_e32 v223, v200
	v_mul_i32_i24_e32 v78, v212, v23
	v_mul_i32_i24_e32 v79, v214, v24
	v_add3_u32 v66, v66, v67, v68
	v_mul_i32_i24_e32 v68, v115, v16
	v_mov_b32_e32 v200, v120
	v_bfe_i32 v25, v2, 0, 8
	v_bfe_i32 v26, v2, 8, 8
	;; [unrolled: 1-line block ×4, first 2 shown]
	v_add3_u32 v66, v66, v78, v79
	v_mul_i32_i24_e32 v78, v250, v44
	v_mul_i32_i24_e32 v79, v249, v8
	v_mad_i32_i24 v68, v200, v43, v68
	v_bfe_i32 v27, v2, 16, 8
	v_ashrrev_i32_e32 v2, 24, v2
	v_bfe_i32 v47, v9, 16, 8
	v_ashrrev_i32_e32 v9, 24, v9
	v_mul_i32_i24_e32 v80, v163, v25
	v_mul_i32_i24_e32 v81, v162, v26
	v_add3_u32 v68, v68, v78, v79
	v_mul_i32_i24_e32 v78, v157, v45
	v_mul_i32_i24_e32 v79, v156, v46
	v_bfe_i32 v28, v3, 0, 8
	v_bfe_i32 v29, v3, 8, 8
	;; [unrolled: 1-line block ×4, first 2 shown]
	v_mul_i32_i24_e32 v82, v235, v27
	v_mul_i32_i24_e32 v83, v130, v2
	v_add3_u32 v66, v66, v80, v81
	v_mul_i32_i24_e32 v80, v152, v47
	v_mul_i32_i24_e32 v81, v228, v9
	v_add3_u32 v68, v68, v78, v79
	v_bfe_i32 v30, v3, 16, 8
	v_ashrrev_i32_e32 v3, 24, v3
	v_bfe_i32 v50, v10, 16, 8
	v_ashrrev_i32_e32 v10, 24, v10
	v_mov_b32_e32 v162, v130
	v_mul_i32_i24_e32 v84, v133, v28
	v_mul_i32_i24_e32 v85, v132, v29
	v_mov_b32_e32 v130, v119
	v_add3_u32 v66, v66, v82, v83
	v_mul_i32_i24_e32 v82, v159, v48
	v_mul_i32_i24_e32 v83, v117, v49
	v_add3_u32 v68, v68, v80, v81
	v_bfe_i32 v31, v4, 0, 8
	v_bfe_i32 v32, v4, 8, 8
	;; [unrolled: 1-line block ×4, first 2 shown]
	v_mul_i32_i24_e32 v86, v131, v30
	v_mul_i32_i24_e32 v87, v130, v3
	v_add3_u32 v66, v66, v84, v85
	v_mul_i32_i24_e32 v84, v158, v50
	v_mul_i32_i24_e32 v85, v150, v10
	v_add3_u32 v68, v68, v82, v83
	v_bfe_i32 v33, v4, 16, 8
	v_ashrrev_i32_e32 v4, 24, v4
	v_bfe_i32 v53, v11, 16, 8
	v_ashrrev_i32_e32 v11, 24, v11
	v_mul_i32_i24_e32 v88, v164, v31
	v_mul_i32_i24_e32 v89, v240, v32
	v_add3_u32 v66, v66, v86, v87
	v_mul_i32_i24_e32 v86, v74, v51
	v_mul_i32_i24_e32 v87, v73, v52
	v_dual_mov_b32 v159, v173 :: v_dual_mov_b32 v158, v121
	v_add3_u32 v68, v68, v84, v85
	v_bfe_i32 v34, v5, 0, 8
	v_bfe_i32 v35, v5, 8, 8
	s_wait_dscnt 0x1
	v_bfe_i32 v54, v12, 0, 8
	v_bfe_i32 v55, v12, 8, 8
	v_mul_i32_i24_e32 v90, v167, v33
	v_mul_i32_i24_e32 v92, v166, v4
	v_add3_u32 v66, v66, v88, v89
	v_mul_i32_i24_e32 v88, v159, v53
	v_mul_i32_i24_e32 v89, v158, v11
	v_add3_u32 v68, v68, v86, v87
	v_bfe_i32 v36, v5, 16, 8
	v_ashrrev_i32_e32 v5, 24, v5
	v_bfe_i32 v56, v12, 16, 8
	v_ashrrev_i32_e32 v12, 24, v12
	v_mul_i32_i24_e32 v93, v180, v34
	v_mul_i32_i24_e32 v96, v172, v35
	v_add3_u32 v66, v66, v90, v92
	v_mul_i32_i24_e32 v90, v134, v54
	v_mul_i32_i24_e32 v92, v77, v55
	v_add3_u32 v68, v68, v88, v89
	v_bfe_i32 v37, v6, 0, 8
	v_bfe_i32 v38, v6, 8, 8
	v_bfe_i32 v57, v13, 0, 8
	v_bfe_i32 v58, v13, 8, 8
	v_mul_i32_i24_e32 v99, v170, v36
	v_mul_i32_i24_e32 v103, v169, v5
	v_add3_u32 v66, v66, v93, v96
	v_mul_i32_i24_e32 v93, v76, v56
	v_mul_i32_i24_e32 v96, v75, v12
	v_add3_u32 v68, v68, v90, v92
	v_bfe_i32 v39, v6, 16, 8
	v_ashrrev_i32_e32 v6, 24, v6
	v_bfe_i32 v59, v13, 16, 8
	v_ashrrev_i32_e32 v13, 24, v13
	v_mul_i32_i24_e32 v104, v253, v37
	v_mul_i32_i24_e32 v105, v205, v38
	v_add3_u32 v66, v66, v99, v103
	v_mul_i32_i24_e32 v99, v138, v57
	v_mul_i32_i24_e32 v103, v137, v58
	v_add3_u32 v68, v68, v93, v96
	v_bfe_i32 v40, v7, 0, 8
	v_bfe_i32 v41, v7, 8, 8
	;; [unrolled: 20-line block ×3, first 2 shown]
	v_mul_i32_i24_e32 v125, v216, v42
	v_mul_i32_i24_e32 v126, v215, v7
	v_add3_u32 v66, v66, v123, v124
	v_mul_i32_i24_e32 v123, v144, v62
	v_mul_i32_i24_e32 v124, v143, v14
	v_add3_u32 v68, v68, v106, v122
	v_bfe_i32 v65, v15, 16, 8
	v_ashrrev_i32_e32 v15, 24, v15
	v_add3_u32 v66, v66, v125, v126
	v_mul_i32_i24_e32 v125, v148, v63
	v_mul_i32_i24_e32 v126, v147, v64
	v_add3_u32 v68, v68, v123, v124
	v_mul_i32_i24_e32 v127, v116, v65
	v_mul_i32_i24_e32 v128, v149, v15
	v_mul_lo_u32 v66, v66, v220
	s_wait_dscnt 0x0
	v_fma_mix_f32 v67, v91, v0, 0 op_sel:[0,1,0] op_sel_hi:[0,1,0]
	v_add3_u32 v68, v68, v125, v126
	v_mul_i32_i24_e32 v79, v24, v239
	scratch_load_b32 v239, off, off offset:1208 ; 4-byte Folded Reload
	v_mul_i32_i24_e32 v81, v26, v111
	v_fma_mix_f32 v67, v108, v1, v67 op_sel:[0,1,0] op_sel_hi:[0,1,0]
	v_add3_u32 v68, v68, v127, v128
	v_cvt_f32_i32_e32 v66, v66
	v_mul_i32_i24_e32 v82, v27, v112
	scratch_load_b32 v111, off, off offset:92 ; 4-byte Folded Reload
	v_mul_f32_e32 v67, v67, v109
	v_mul_lo_u32 v68, v68, v107
	v_fma_mix_f32 v66, v0, v66, 0 op_sel_hi:[1,0,0]
	scratch_load_b32 v112, off, off offset:96 ; 4-byte Folded Reload
	v_mul_i32_i24_e32 v83, v2, v113
	v_mul_i32_i24_e32 v84, v28, v114
	s_clause 0x2
	scratch_load_b32 v114, off, off offset:296
	scratch_load_b32 v115, off, off offset:104
	;; [unrolled: 1-line block ×3, first 2 shown]
	v_cvt_f32_i32_e32 v68, v68
	s_clause 0x3
	scratch_load_b32 v117, off, off offset:112
	scratch_load_b32 v118, off, off offset:300
	;; [unrolled: 1-line block ×4, first 2 shown]
	v_fma_mix_f32 v66, v1, v68, v66 op_sel_hi:[1,0,0]
	v_mul_i32_i24_e32 v68, v20, v233
	v_mul_i32_i24_e32 v85, v29, v222
	scratch_load_b32 v121, off, off offset:312 ; 4-byte Folded Reload
	v_mul_i32_i24_e32 v106, v39, v242
	v_fma_f32 v66, v66, v110, -v67
	s_clause 0x1
	scratch_load_b32 v67, off, off offset:748
	scratch_load_b32 v242, off, off offset:1212
	v_mul_i32_i24_e32 v78, v23, v203
	v_mul_i32_i24_e32 v123, v40, v230
	scratch_load_b32 v230, off, off offset:320 ; 4-byte Folded Reload
	v_mul_i32_i24_e32 v125, v42, v234
	v_mul_i32_i24_e32 v126, v7, v210
	s_clause 0x3
	scratch_load_b32 v234, off, off offset:324
	scratch_load_b32 v210, off, off offset:328
	;; [unrolled: 1-line block ×4, first 2 shown]
	v_dual_mov_b32 v233, v171 :: v_dual_mov_b32 v228, v139
	v_mov_b32_e32 v215, v145
	s_clause 0x1
	scratch_load_b32 v145, off, off offset:348
	scratch_load_b32 v147, off, off offset:356
	v_mov_b32_e32 v170, v157
	v_mov_b32_e32 v156, v152
	s_clause 0x1
	scratch_load_b32 v152, off, off offset:352
	scratch_load_b32 v157, off, off offset:360
	v_mul_i32_i24_e32 v124, v41, v151
	scratch_load_b32 v218, off, off offset:500 ; 4-byte Folded Reload
	v_dual_mov_b32 v205, v91 :: v_dual_mov_b32 v172, v76
	v_dual_mov_b32 v240, v107 :: v_dual_mov_b32 v217, v95
	v_mov_b32_e32 v220, v101
	v_mov_b32_e32 v224, v98
	s_clause 0x8
	scratch_load_b32 v150, off, off offset:40
	scratch_load_b32 v74, off, off offset:584
	;; [unrolled: 1-line block ×9, first 2 shown]
	v_dual_mov_b32 v216, v100 :: v_dual_mov_b32 v253, v108
	s_clause 0x1
	scratch_load_b32 v108, off, off offset:636
	scratch_load_b32 v109, off, off offset:640
	v_mov_b32_e32 v235, v149
	scratch_load_b32 v149, off, off offset:184 ; 4-byte Folded Reload
	v_dual_mov_b32 v181, v137 :: v_dual_mov_b32 v180, v136
	s_clause 0x9
	scratch_store_b32 off, v205, off offset:908
	scratch_store_b32 off, v215, off offset:888
	;; [unrolled: 1-line block ×10, first 2 shown]
	v_mov_b32_e32 v163, v133
	v_mov_b32_e32 v247, v132
	;; [unrolled: 1-line block ×3, first 2 shown]
	scratch_store_b32 off, v217, off offset:840 ; 4-byte Folded Spill
	v_mov_b32_e32 v167, v247
	s_wait_loadcnt 0x22
	v_mul_i32_i24_e32 v80, v25, v239
	s_wait_loadcnt 0x21
	v_mul_i32_i24_e32 v86, v30, v111
	;; [unrolled: 2-line block ×11, first 2 shown]
	s_wait_loadcnt 0x17
	v_add_f32_e32 v67, v67, v66
	v_mul_i32_i24_e32 v66, v17, v196
	s_wait_loadcnt 0x16
	v_mul_i32_i24_e32 v122, v6, v242
	scratch_load_b32 v196, off, off offset:572 ; 4-byte Folded Reload
	scratch_store_b32 off, v67, off offset:748 ; 4-byte Folded Spill
	v_mul_i32_i24_e32 v67, v19, v197
	v_mad_i32_i24 v66, v18, v232, v66
	v_dual_mov_b32 v232, v222 :: v_dual_mov_b32 v197, v158
	scratch_load_b32 v222, off, off offset:316 ; 4-byte Folded Reload
	v_add3_u32 v66, v66, v67, v68
	v_mul_i32_i24_e32 v67, v21, v198
	v_mov_b32_e32 v198, v113
	scratch_load_b32 v113, off, off offset:100 ; 4-byte Folded Reload
	v_mul_i32_i24_e32 v68, v22, v199
	scratch_load_b32 v199, off, off offset:1128 ; 4-byte Folded Reload
	s_wait_loadcnt 0x12
	v_mul_i32_i24_e32 v127, v65, v152
	s_wait_loadcnt 0x11
	v_mul_i32_i24_e32 v128, v15, v157
	v_add3_u32 v66, v66, v67, v68
	v_mul_i32_i24_e32 v68, v16, v243
	scratch_load_b32 v243, off, off offset:1216 ; 4-byte Folded Reload
	v_add3_u32 v66, v66, v78, v79
	v_mul_i32_i24_e32 v79, v8, v230
	v_mad_i32_i24 v68, v43, v102, v68
	scratch_load_b32 v102, off, off offset:628 ; 4-byte Folded Reload
	v_add3_u32 v66, v66, v80, v81
	v_mul_i32_i24_e32 v80, v47, v100
	v_mul_i32_i24_e32 v81, v9, v95
	s_clause 0x1
	scratch_load_b32 v95, off, off offset:608
	scratch_load_b32 v100, off, off offset:620
	v_add3_u32 v66, v66, v82, v83
	v_mul_i32_i24_e32 v82, v48, v213
	scratch_load_b32 v213, off, off offset:336 ; 4-byte Folded Reload
	v_add3_u32 v66, v66, v84, v85
	v_mul_i32_i24_e32 v84, v50, v138
	v_mul_i32_i24_e32 v85, v10, v97
	scratch_load_b32 v97, off, off offset:612 ; 4-byte Folded Reload
	v_add3_u32 v66, v66, v86, v87
	v_mul_i32_i24_e32 v86, v51, v101
	v_mul_i32_i24_e32 v87, v52, v94
	s_clause 0x1
	scratch_load_b32 v101, off, off offset:624
	scratch_load_b32 v94, off, off offset:604
	s_wait_loadcnt 0xa
	v_mul_i32_i24_e32 v105, v38, v222
	s_wait_loadcnt 0x9
	v_mul_i32_i24_e32 v88, v31, v113
	s_delay_alu instid0(VALU_DEP_1)
	v_add3_u32 v66, v66, v88, v89
	v_mul_i32_i24_e32 v88, v53, v171
	scratch_load_b32 v171, off, off offset:344 ; 4-byte Folded Reload
	s_wait_loadcnt 0x8
	v_mul_i32_i24_e32 v78, v44, v243
	v_mul_i32_i24_e32 v89, v11, v173
	v_add3_u32 v66, v66, v90, v92
	v_mul_i32_i24_e32 v92, v55, v139
	scratch_load_b32 v139, off, off offset:280 ; 4-byte Folded Reload
	v_add3_u32 v68, v68, v78, v79
	v_mul_i32_i24_e32 v78, v45, v234
	v_add3_u32 v66, v66, v93, v96
	v_mul_i32_i24_e32 v79, v46, v210
	v_mul_i32_i24_e32 v93, v56, v98
	;; [unrolled: 1-line block ×3, first 2 shown]
	scratch_load_b32 v98, off, off offset:616 ; 4-byte Folded Reload
	v_add3_u32 v66, v66, v99, v103
	v_add3_u32 v68, v68, v78, v79
	v_mul_i32_i24_e32 v99, v57, v207
	s_wait_loadcnt 0x6
	v_mul_i32_i24_e32 v83, v49, v213
	v_mul_i32_i24_e32 v103, v58, v209
	v_add3_u32 v66, v66, v104, v105
	v_add3_u32 v68, v68, v80, v81
	v_mul_i32_i24_e32 v104, v59, v208
	v_mul_i32_i24_e32 v78, v23, v192
	scratch_load_b32 v192, off, off offset:1188 ; 4-byte Folded Reload
	v_add3_u32 v66, v66, v106, v122
	v_mul_i32_i24_e32 v106, v60, v140
	scratch_load_b32 v140, off, off offset:284 ; 4-byte Folded Reload
	v_add3_u32 v68, v68, v82, v83
	v_mul_i32_i24_e32 v122, v61, v69
	v_add3_u32 v66, v66, v123, v124
	v_mul_i32_i24_e32 v124, v14, v70
	v_mul_i32_i24_e32 v80, v25, v193
	v_add3_u32 v68, v68, v84, v85
	scratch_load_b32 v193, off, off offset:1012 ; 4-byte Folded Reload
	v_add3_u32 v66, v66, v125, v126
	v_mul_i32_i24_e32 v125, v63, v145
	v_mul_i32_i24_e32 v126, v64, v147
	v_add3_u32 v68, v68, v86, v87
	scratch_load_b32 v69, off, off offset:160 ; 4-byte Folded Reload
	v_mul_lo_u32 v66, v66, v241
	scratch_load_b32 v241, off, off offset:1224 ; 4-byte Folded Reload
	v_mul_i32_i24_e32 v82, v27, v194
	v_add3_u32 v68, v68, v88, v89
	v_mul_i32_i24_e32 v83, v2, v195
	v_mul_i32_i24_e32 v84, v28, v201
	;; [unrolled: 1-line block ×4, first 2 shown]
	v_cvt_f32_i32_e32 v66, v66
	v_mul_i32_i24_e32 v88, v31, v244
	scratch_load_b32 v244, off, off offset:468 ; 4-byte Folded Reload
	v_mul_i32_i24_e32 v2, v2, v73
	v_mul_i32_i24_e32 v3, v3, v77
	v_fma_mix_f32 v66, v0, v66, 0 op_sel_hi:[1,0,0]
	v_mov_b32_e32 v201, v159
	s_clause 0x1
	scratch_store_b32 off, v198, off offset:836
	scratch_store_b32 off, v232, off offset:844
	v_mov_b32_e32 v204, v151
	s_wait_loadcnt 0x8
	v_mul_i32_i24_e32 v90, v54, v171
	s_delay_alu instid0(VALU_DEP_1)
	v_add3_u32 v68, v68, v90, v92
	s_wait_loadcnt 0x7
	v_mul_i32_i24_e32 v105, v13, v139
	v_mul_i32_i24_e32 v90, v33, v245
	scratch_load_b32 v245, off, off offset:944 ; 4-byte Folded Reload
	v_add3_u32 v68, v68, v93, v96
	v_mul_i32_i24_e32 v93, v34, v246
	scratch_load_b32 v246, off, off offset:948 ; 4-byte Folded Reload
	v_add3_u32 v68, v68, v99, v103
	v_mul_i32_i24_e32 v99, v36, v248
	v_mul_i32_i24_e32 v103, v5, v251
	;; [unrolled: 1-line block ×3, first 2 shown]
	s_delay_alu instid0(VALU_DEP_4)
	v_add3_u32 v68, v68, v104, v105
	v_mul_i32_i24_e32 v104, v37, v252
	s_wait_loadcnt 0x7
	v_mul_i32_i24_e32 v79, v24, v192
	v_mul_i32_i24_e32 v105, v38, v254
	s_wait_loadcnt 0x6
	v_mul_i32_i24_e32 v123, v62, v140
	v_add3_u32 v68, v68, v106, v122
	v_mul_i32_i24_e32 v106, v39, v255
	v_mul_i32_i24_e32 v122, v6, v161
	v_mul_i32_i24_e32 v6, v6, v226
	s_delay_alu instid0(VALU_DEP_4)
	v_add3_u32 v68, v68, v123, v124
	s_wait_loadcnt 0x5
	v_mul_i32_i24_e32 v81, v26, v193
	v_mul_i32_i24_e32 v123, v40, v211
	;; [unrolled: 1-line block ×3, first 2 shown]
	scratch_load_b32 v142, off, off offset:956 ; 4-byte Folded Reload
	v_add3_u32 v68, v68, v125, v126
	v_mul_i32_i24_e32 v125, v42, v153
	v_mul_i32_i24_e32 v126, v7, v154
	s_wait_loadcnt 0x4
	v_fma_mix_f32 v67, v241, v0, 0 op_sel:[0,1,0] op_sel_hi:[0,1,0]
	v_add3_u32 v68, v68, v127, v128
	s_delay_alu instid0(VALU_DEP_1) | instskip(SKIP_4) | instid1(VALU_DEP_1)
	v_mul_lo_u32 v68, v68, v187
	scratch_load_b32 v187, off, off offset:1232 ; 4-byte Folded Reload
	s_wait_loadcnt 0x4
	v_mul_i32_i24_e32 v89, v32, v244
	v_cvt_f32_i32_e32 v68, v68
	v_fma_mix_f32 v66, v1, v68, v66 op_sel_hi:[1,0,0]
	v_mul_i32_i24_e32 v68, v20, v191
	scratch_load_b32 v191, off, off offset:1180 ; 4-byte Folded Reload
	s_wait_loadcnt 0x4
	v_mul_i32_i24_e32 v92, v4, v245
	v_mul_i32_i24_e32 v4, v4, v97
	s_wait_loadcnt 0x3
	v_mul_i32_i24_e32 v96, v35, v246
	s_wait_loadcnt 0x1
	v_fma_mix_f32 v67, v187, v1, v67 op_sel:[0,1,0] op_sel_hi:[0,1,0]
	v_mov_b32_e32 v195, v187
	s_delay_alu instid0(VALU_DEP_2)
	v_mul_f32_e32 v67, v67, v188
	scratch_load_b32 v188, off, off offset:828 ; 4-byte Folded Reload
	v_fma_f32 v66, v66, v199, -v67
	scratch_load_b32 v67, off, off offset:744 ; 4-byte Folded Reload
	s_wait_loadcnt 0x0
	v_add_f32_e32 v67, v67, v66
	v_mul_i32_i24_e32 v66, v17, v189
	scratch_load_b32 v189, off, off offset:1028 ; 4-byte Folded Reload
	scratch_store_b32 off, v67, off offset:744 ; 4-byte Folded Spill
	v_mad_i32_i24 v66, v18, v190, v66
	scratch_load_b32 v190, off, off offset:1176 ; 4-byte Folded Reload
	v_mul_i32_i24_e32 v67, v19, v188
	s_delay_alu instid0(VALU_DEP_1)
	v_add3_u32 v66, v66, v67, v68
	v_mul_i32_i24_e32 v68, v22, v191
	s_wait_loadcnt 0x1
	v_mul_i32_i24_e32 v85, v29, v189
	s_wait_loadcnt 0x0
	v_mul_i32_i24_e32 v67, v21, v190
	s_delay_alu instid0(VALU_DEP_1)
	v_add3_u32 v66, v66, v67, v68
	v_mul_i32_i24_e32 v68, v16, v186
	scratch_load_b32 v67, off, off offset:1124 ; 4-byte Folded Reload
	v_add3_u32 v66, v66, v78, v79
	v_mul_i32_i24_e32 v79, v8, v141
	v_mad_i32_i24 v68, v43, v168, v68
	scratch_load_b32 v141, off, off offset:952 ; 4-byte Folded Reload
	v_add3_u32 v66, v66, v80, v81
	v_mul_i32_i24_e32 v80, v47, v183
	v_mul_i32_i24_e32 v81, v9, v218
	v_mov_b32_e32 v183, v245
	s_delay_alu instid0(VALU_DEP_4) | instskip(SKIP_3) | instid1(VALU_DEP_4)
	v_add3_u32 v66, v66, v82, v83
	v_mul_i32_i24_e32 v82, v48, v155
	v_mul_i32_i24_e32 v83, v49, v165
	v_mov_b32_e32 v165, v212
	v_add3_u32 v66, v66, v84, v85
	v_mul_i32_i24_e32 v84, v50, v174
	v_mul_i32_i24_e32 v85, v10, v175
	v_mov_b32_e32 v174, v244
	s_delay_alu instid0(VALU_DEP_4)
	v_add3_u32 v66, v66, v86, v87
	v_mul_i32_i24_e32 v87, v52, v69
	scratch_load_b32 v69, off, off offset:156 ; 4-byte Folded Reload
	v_mul_i32_i24_e32 v86, v51, v176
	scratch_load_b32 v176, off, off offset:36 ; 4-byte Folded Reload
	v_add3_u32 v66, v66, v88, v89
	s_delay_alu instid0(VALU_DEP_1) | instskip(NEXT) | instid1(VALU_DEP_1)
	v_add3_u32 v66, v66, v90, v92
	v_add3_u32 v66, v66, v93, v96
	v_mul_i32_i24_e32 v96, v12, v184
	scratch_load_b32 v184, off, off offset:580 ; 4-byte Folded Reload
	v_add3_u32 v66, v66, v99, v103
	s_delay_alu instid0(VALU_DEP_1) | instskip(SKIP_3) | instid1(VALU_DEP_1)
	v_add3_u32 v66, v66, v104, v105
	v_mul_i32_i24_e32 v104, v59, v177
	scratch_load_b32 v177, off, off offset:52 ; 4-byte Folded Reload
	v_add3_u32 v66, v66, v106, v122
	v_add3_u32 v66, v66, v123, v124
	s_delay_alu instid0(VALU_DEP_1) | instskip(NEXT) | instid1(VALU_DEP_1)
	v_add3_u32 v66, v66, v125, v126
	v_mul_lo_u32 v66, v66, v185
	scratch_load_b32 v185, off, off offset:576 ; 4-byte Folded Reload
	v_cvt_f32_i32_e32 v66, v66
	s_delay_alu instid0(VALU_DEP_1)
	v_fma_mix_f32 v66, v0, v66, 0 op_sel_hi:[1,0,0]
	s_wait_loadcnt 0x6
	v_fma_mix_f32 v67, v67, v0, 0 op_sel:[0,1,0] op_sel_hi:[0,1,0]
	s_wait_loadcnt 0x4
	v_mul_i32_i24_e32 v88, v53, v69
	scratch_load_b32 v69, off, off offset:164 ; 4-byte Folded Reload
	s_wait_loadcnt 0x3
	v_mul_i32_i24_e32 v20, v20, v184
	s_wait_loadcnt 0x2
	v_mul_i32_i24_e32 v19, v19, v177
	;; [unrolled: 2-line block ×3, first 2 shown]
	s_delay_alu instid0(VALU_DEP_1) | instskip(SKIP_4) | instid1(VALU_DEP_1)
	v_add3_u32 v68, v68, v78, v79
	v_mul_i32_i24_e32 v78, v45, v182
	v_mul_i32_i24_e32 v79, v46, v160
	scratch_load_b32 v160, off, off offset:812 ; 4-byte Folded Reload
	v_add3_u32 v68, v68, v78, v79
	v_add3_u32 v68, v68, v80, v81
	s_delay_alu instid0(VALU_DEP_1) | instskip(NEXT) | instid1(VALU_DEP_1)
	v_add3_u32 v68, v68, v82, v83
	v_add3_u32 v68, v68, v84, v85
	s_delay_alu instid0(VALU_DEP_1)
	v_add3_u32 v68, v68, v86, v87
	s_wait_loadcnt 0x1
	v_mul_i32_i24_e32 v89, v11, v69
	scratch_load_b32 v69, off, off offset:168 ; 4-byte Folded Reload
	v_mul_i32_i24_e32 v11, v11, v141
	v_add3_u32 v68, v68, v88, v89
	s_wait_loadcnt 0x0
	v_mul_i32_i24_e32 v90, v54, v69
	scratch_load_b32 v69, off, off offset:520 ; 4-byte Folded Reload
	s_wait_loadcnt 0x0
	v_mul_i32_i24_e32 v92, v55, v69
	scratch_load_b32 v69, off, off offset:172 ; 4-byte Folded Reload
	v_add3_u32 v68, v68, v90, v92
	s_wait_loadcnt 0x0
	v_mul_i32_i24_e32 v93, v56, v69
	scratch_load_b32 v69, off, off offset:528 ; 4-byte Folded Reload
	v_add3_u32 v68, v68, v93, v96
	s_wait_loadcnt 0x0
	v_mul_i32_i24_e32 v99, v57, v69
	scratch_load_b32 v69, off, off offset:536 ; 4-byte Folded Reload
	s_wait_loadcnt 0x0
	v_mul_i32_i24_e32 v103, v58, v69
	scratch_load_b32 v69, off, off offset:540 ; 4-byte Folded Reload
	v_add3_u32 v68, v68, v99, v103
	s_wait_loadcnt 0x0
	v_mul_i32_i24_e32 v105, v13, v69
	scratch_load_b32 v69, off, off offset:544 ; 4-byte Folded Reload
	;; [unrolled: 11-line block ×3, first 2 shown]
	s_wait_loadcnt 0x0
	v_mul_i32_i24_e32 v124, v14, v69
	scratch_load_b32 v69, off, off offset:560 ; 4-byte Folded Reload
	v_mul_i32_i24_e32 v14, v14, v142
	v_add3_u32 v68, v68, v123, v124
	s_wait_loadcnt 0x0
	v_mul_i32_i24_e32 v125, v63, v69
	scratch_load_b32 v69, off, off offset:568 ; 4-byte Folded Reload
	s_wait_loadcnt 0x0
	v_mul_i32_i24_e32 v126, v64, v69
	scratch_load_b32 v69, off, off offset:564 ; 4-byte Folded Reload
	v_add3_u32 v68, v68, v125, v126
	s_wait_loadcnt 0x0
	v_mul_i32_i24_e32 v127, v65, v69
	scratch_load_b32 v69, off, off offset:1048 ; 4-byte Folded Reload
	s_wait_loadcnt 0x0
	v_mul_i32_i24_e32 v128, v15, v69
	scratch_load_b32 v69, off, off offset:1052 ; 4-byte Folded Reload
	v_add3_u32 v68, v68, v127, v128
	s_wait_loadcnt 0x0
	s_delay_alu instid0(VALU_DEP_1) | instskip(NEXT) | instid1(VALU_DEP_1)
	v_mul_lo_u32 v68, v68, v69
	v_cvt_f32_i32_e32 v68, v68
	s_delay_alu instid0(VALU_DEP_1)
	v_fma_mix_f32 v66, v1, v68, v66 op_sel_hi:[1,0,0]
	scratch_load_b32 v68, off, off offset:1056 ; 4-byte Folded Reload
	s_wait_loadcnt 0x0
	v_fma_mix_f32 v67, v68, v1, v67 op_sel:[0,1,0] op_sel_hi:[0,1,0]
	scratch_load_b32 v68, off, off offset:780 ; 4-byte Folded Reload
	v_mul_f32_e32 v67, v67, v71
	scratch_load_b32 v71, off, off offset:960 ; 4-byte Folded Reload
	s_wait_loadcnt 0x1
	v_fma_f32 v66, v66, v68, -v67
	scratch_load_b32 v67, off, off offset:740 ; 4-byte Folded Reload
	s_wait_loadcnt 0x0
	v_add_f32_e32 v67, v67, v66
	scratch_load_b32 v66, off, off offset:464 ; 4-byte Folded Reload
	s_wait_loadcnt 0x0
	v_mul_i32_i24_e32 v17, v17, v66
	s_delay_alu instid0(VALU_DEP_1) | instskip(SKIP_2) | instid1(VALU_DEP_3)
	v_mad_i32_i24 v17, v18, v178, v17
	v_mul_i32_i24_e32 v18, v21, v176
	v_mul_i32_i24_e32 v21, v24, v219
	v_add3_u32 v17, v17, v19, v20
	v_mul_i32_i24_e32 v20, v23, v179
	v_mul_i32_i24_e32 v23, v26, v72
	scratch_load_b32 v72, off, off offset:44 ; 4-byte Folded Reload
	v_mul_i32_i24_e32 v19, v22, v150
	v_mul_i32_i24_e32 v22, v25, v221
	;; [unrolled: 1-line block ×7, first 2 shown]
	scratch_load_b32 v40, off, off offset:440 ; 4-byte Folded Reload
	v_add3_u32 v17, v17, v18, v19
	v_mul_i32_i24_e32 v26, v29, v75
	v_mul_i32_i24_e32 v29, v32, v94
	;; [unrolled: 1-line block ×4, first 2 shown]
	v_add3_u32 v17, v17, v20, v21
	v_mul_i32_i24_e32 v38, v41, v238
	s_clause 0x3
	scratch_load_b32 v18, off, off offset:448
	scratch_load_b32 v19, off, off offset:444
	;; [unrolled: 1-line block ×4, first 2 shown]
	v_add3_u32 v17, v17, v22, v23
	s_clause 0x1
	scratch_load_b32 v22, off, off offset:452
	scratch_load_b32 v23, off, off offset:120
	s_wait_loadcnt 0x7
	v_mul_i32_i24_e32 v24, v27, v72
	v_mul_i32_i24_e32 v27, v30, v76
	;; [unrolled: 1-line block ×5, first 2 shown]
	scratch_load_b32 v39, off, off offset:436 ; 4-byte Folded Reload
	v_add3_u32 v2, v17, v24, v2
	s_clause 0x1
	scratch_load_b32 v17, off, off offset:28
	scratch_load_b32 v24, off, off offset:132
	s_wait_loadcnt 0x9
	v_mul_i32_i24_e32 v7, v7, v40
	v_add3_u32 v2, v2, v25, v26
	s_clause 0x1
	scratch_load_b32 v25, off, off offset:128
	scratch_load_b32 v26, off, off offset:136
	v_add3_u32 v2, v2, v27, v3
	v_mul_i32_i24_e32 v3, v16, v227
	s_clause 0x1
	scratch_load_b32 v16, off, off offset:24
	scratch_load_b32 v27, off, off offset:148
	s_wait_loadcnt 0xc
	v_mul_i32_i24_e32 v18, v52, v18
	v_add3_u32 v2, v2, v28, v29
	v_mad_i32_i24 v3, v43, v236, v3
	s_wait_loadcnt 0x7
	v_mul_i32_i24_e32 v12, v12, v23
	s_clause 0x2
	scratch_load_b32 v23, off, off offset:124
	scratch_load_b32 v28, off, off offset:144
	;; [unrolled: 1-line block ×3, first 2 shown]
	v_add3_u32 v2, v2, v30, v4
	v_mul_i32_i24_e32 v4, v44, v229
	v_mul_i32_i24_e32 v19, v53, v19
	v_mul_i32_i24_e32 v20, v54, v20
	v_mul_i32_i24_e32 v21, v55, v21
	v_add3_u32 v2, v2, v31, v32
	s_clause 0x1
	scratch_load_b32 v31, off, off offset:152
	scratch_load_b32 v32, off, off offset:460
	v_mul_i32_i24_e32 v22, v56, v22
	v_mul_i32_i24_e32 v30, v64, v71
	v_add3_u32 v2, v2, v33, v5
	v_mul_i32_i24_e32 v5, v8, v237
	scratch_load_b32 v8, off, off offset:20 ; 4-byte Folded Reload
	v_add3_u32 v2, v2, v34, v35
	v_add3_u32 v3, v3, v4, v5
	s_clause 0x1
	scratch_load_b32 v4, off, off offset:208
	scratch_load_b32 v5, off, off offset:12
	v_add3_u32 v2, v2, v36, v6
	scratch_load_b32 v6, off, off offset:212 ; 4-byte Folded Reload
	v_add3_u32 v2, v2, v37, v38
	s_wait_loadcnt 0xf
	v_mul_i32_i24_e32 v39, v42, v39
	s_wait_loadcnt 0xe
	v_mul_i32_i24_e32 v10, v10, v17
	scratch_load_b32 v17, off, off offset:32 ; 4-byte Folded Reload
	s_wait_loadcnt 0xe
	v_mul_i32_i24_e32 v24, v58, v24
	v_add3_u32 v2, v2, v39, v7
	scratch_load_b32 v7, off, off offset:16 ; 4-byte Folded Reload
	s_wait_loadcnt 0xe
	v_mul_i32_i24_e32 v25, v59, v25
	s_wait_loadcnt 0xd
	v_mul_i32_i24_e32 v13, v13, v26
	scratch_load_b32 v26, off, off offset:140 ; 4-byte Folded Reload
	v_mul_lo_u32 v2, v2, v109
	s_wait_loadcnt 0xd
	v_mul_i32_i24_e32 v16, v50, v16
	s_wait_loadcnt 0xc
	v_mul_i32_i24_e32 v27, v61, v27
	s_delay_alu instid0(VALU_DEP_3)
	v_cvt_f32_i32_e32 v2, v2
	s_wait_loadcnt 0xb
	v_mul_i32_i24_e32 v23, v57, v23
	s_wait_loadcnt 0xa
	v_mul_i32_i24_e32 v28, v62, v28
	;; [unrolled: 2-line block ×3, first 2 shown]
	v_fma_mix_f32 v2, v0, v2, 0 op_sel_hi:[1,0,0]
	v_fma_mix_f32 v0, v225, v0, 0 op_sel:[0,1,0] op_sel_hi:[0,1,0]
	s_wait_loadcnt 0x8
	v_mul_i32_i24_e32 v31, v65, v31
	s_wait_loadcnt 0x7
	v_mul_i32_i24_e32 v15, v15, v32
	v_fma_mix_f32 v0, v149, v1, v0 op_sel:[0,1,0] op_sel_hi:[0,1,0]
	s_wait_loadcnt 0x6
	v_mul_i32_i24_e32 v8, v48, v8
	s_wait_loadcnt 0x5
	v_mul_i32_i24_e32 v4, v45, v4
	;; [unrolled: 2-line block ×4, first 2 shown]
	s_delay_alu instid0(VALU_DEP_2)
	v_add3_u32 v3, v3, v4, v5
	s_wait_loadcnt 0x2
	v_mul_i32_i24_e32 v17, v51, v17
	s_wait_loadcnt 0x1
	v_mul_i32_i24_e32 v7, v9, v7
	scratch_load_b32 v9, off, off offset:8  ; 4-byte Folded Reload
	s_wait_loadcnt 0x1
	v_mul_i32_i24_e32 v26, v60, v26
	v_add3_u32 v3, v3, v6, v7
	s_wait_loadcnt 0x0
	v_mul_i32_i24_e32 v9, v49, v9
	s_delay_alu instid0(VALU_DEP_1) | instskip(NEXT) | instid1(VALU_DEP_1)
	v_add3_u32 v3, v3, v8, v9
	v_add3_u32 v3, v3, v16, v10
	s_delay_alu instid0(VALU_DEP_1) | instskip(NEXT) | instid1(VALU_DEP_1)
	v_add3_u32 v3, v3, v17, v18
	v_add3_u32 v3, v3, v19, v11
	;; [unrolled: 3-line block ×6, first 2 shown]
	s_delay_alu instid0(VALU_DEP_1) | instskip(NEXT) | instid1(VALU_DEP_1)
	v_mul_lo_u32 v3, v3, v160
	v_cvt_f32_i32_e32 v3, v3
	s_delay_alu instid0(VALU_DEP_1)
	v_fma_mix_f32 v2, v1, v3, v2 op_sel_hi:[1,0,0]
	scratch_load_b32 v1, off, off offset:4  ; 4-byte Folded Reload
	s_wait_loadcnt 0x0
	v_mul_f32_e32 v0, v0, v1
	scratch_load_b32 v1, off, off offset:176 ; 4-byte Folded Reload
	s_wait_loadcnt 0x0
	v_fma_f32 v0, v2, v1, -v0
	scratch_load_b32 v1, off, off offset:736 ; 4-byte Folded Reload
	s_wait_loadcnt 0x0
	v_add_f32_e32 v1, v1, v0
	scratch_load_b32 v0, off, off offset:1268 ; 4-byte Folded Reload
	s_clause 0x1
	scratch_store_b32 off, v67, off offset:740
	scratch_store_b32 off, v1, off offset:736
	s_wait_loadcnt 0x0
	v_or_b32_e32 v0, s10, v0
	s_delay_alu instid0(VALU_DEP_1)
	v_lshlrev_b32_e32 v12, 2, v0
	v_lshrrev_b32_e32 v16, 1, v0
	ds_load_b128 v[0:3], v12 offset:16896
	ds_load_b128 v[4:7], v12 offset:16912
	;; [unrolled: 1-line block ×4, first 2 shown]
	s_clause 0x17
	scratch_load_b32 v250, off, off offset:860
	scratch_load_b32 v133, off, off offset:972
	;; [unrolled: 1-line block ×24, first 2 shown]
	s_wait_dscnt 0x3
	v_bfe_i32 v17, v0, 0, 8
	v_bfe_i32 v18, v0, 8, 8
	;; [unrolled: 1-line block ×3, first 2 shown]
	v_ashrrev_i32_e32 v20, 24, v0
	v_bfe_i32 v21, v1, 0, 8
	v_bfe_i32 v22, v1, 8, 8
	;; [unrolled: 1-line block ×3, first 2 shown]
	v_ashrrev_i32_e32 v24, 24, v1
	v_mul_i32_i24_e32 v68, v223, v20
	s_wait_dscnt 0x1
	v_bfe_i32 v44, v8, 16, 8
	s_clause 0x7
	scratch_load_b32 v137, off, off offset:1008
	scratch_load_b32 v136, off, off offset:992
	;; [unrolled: 1-line block ×8, first 2 shown]
	v_mul_i32_i24_e32 v78, v212, v23
	v_mul_i32_i24_e32 v79, v214, v24
	ds_load_b64 v[0:1], v16 offset:27200
	v_bfe_i32 v16, v8, 0, 8
	v_bfe_i32 v25, v2, 0, 8
	;; [unrolled: 1-line block ×4, first 2 shown]
	s_clause 0x7
	scratch_load_b32 v146, off, off offset:188
	scratch_load_b32 v211, off, off offset:196
	;; [unrolled: 1-line block ×8, first 2 shown]
	v_bfe_i32 v27, v2, 16, 8
	v_ashrrev_i32_e32 v2, 24, v2
	v_ashrrev_i32_e32 v8, 24, v8
	v_bfe_i32 v28, v3, 0, 8
	v_bfe_i32 v29, v3, 8, 8
	scratch_load_b32 v214, off, off offset:820 ; 4-byte Folded Reload
	v_mul_i32_i24_e32 v83, v162, v2
	v_bfe_i32 v30, v3, 16, 8
	v_ashrrev_i32_e32 v3, 24, v3
	v_mul_i32_i24_e32 v84, v163, v28
	v_mul_i32_i24_e32 v85, v247, v29
	s_clause 0x8
	scratch_load_b32 v212, off, off offset:816
	scratch_load_b32 v69, off, off offset:1240
	;; [unrolled: 1-line block ×9, first 2 shown]
	v_mul_i32_i24_e32 v87, v130, v3
	scratch_load_b32 v247, off, off offset:200 ; 4-byte Folded Reload
	v_bfe_i32 v31, v4, 0, 8
	v_bfe_i32 v32, v4, 8, 8
	;; [unrolled: 1-line block ×3, first 2 shown]
	v_ashrrev_i32_e32 v4, 24, v4
	v_bfe_i32 v34, v5, 0, 8
	v_bfe_i32 v35, v5, 8, 8
	;; [unrolled: 1-line block ×3, first 2 shown]
	v_ashrrev_i32_e32 v5, 24, v5
	v_bfe_i32 v45, v9, 0, 8
	v_bfe_i32 v46, v9, 8, 8
	;; [unrolled: 1-line block ×5, first 2 shown]
	v_ashrrev_i32_e32 v9, 24, v9
	v_bfe_i32 v39, v6, 16, 8
	v_ashrrev_i32_e32 v6, 24, v6
	v_bfe_i32 v48, v10, 0, 8
	v_bfe_i32 v49, v10, 8, 8
	;; [unrolled: 1-line block ×5, first 2 shown]
	v_ashrrev_i32_e32 v10, 24, v10
	v_bfe_i32 v51, v11, 0, 8
	v_bfe_i32 v52, v11, 8, 8
	;; [unrolled: 1-line block ×3, first 2 shown]
	v_ashrrev_i32_e32 v7, 24, v7
	v_bfe_i32 v53, v11, 16, 8
	v_ashrrev_i32_e32 v11, 24, v11
	s_wait_dscnt 0x1
	v_bfe_i32 v54, v12, 0, 8
	v_bfe_i32 v55, v12, 8, 8
	v_bfe_i32 v56, v12, 16, 8
	v_ashrrev_i32_e32 v12, 24, v12
	v_bfe_i32 v57, v13, 0, 8
	v_bfe_i32 v58, v13, 8, 8
	v_bfe_i32 v59, v13, 16, 8
	v_ashrrev_i32_e32 v13, 24, v13
	;; [unrolled: 4-line block ×4, first 2 shown]
	v_mov_b32_e32 v130, v239
	s_clause 0x2
	scratch_load_b32 v187, off, off offset:1016
	scratch_load_b32 v239, off, off offset:560
	;; [unrolled: 1-line block ×3, first 2 shown]
	v_mul_i32_i24_e32 v128, v235, v15
	s_clause 0x1
	scratch_load_b32 v235, off, off offset:544
	scratch_load_b32 v245, off, off offset:780
	s_clause 0x5
	scratch_store_b32 off, v165, off offset:1140
	scratch_store_b32 off, v223, off offset:1148
	scratch_store_b32 off, v169, off offset:1144
	scratch_store_b32 off, v162, off offset:1152
	scratch_store_b32 off, v163, off offset:1160
	scratch_store_b32 off, v167, off offset:1156
	s_wait_loadcnt 0x37
	v_mul_i32_i24_e32 v66, v250, v17
	s_wait_loadcnt 0x36
	v_mul_i32_i24_e32 v80, v133, v25
	s_wait_loadcnt 0x35
	v_mul_i32_i24_e32 v81, v132, v26
	s_wait_loadcnt 0x34
	v_mul_i32_i24_e32 v86, v164, v30
	s_wait_loadcnt 0x32
	v_mul_i32_i24_e32 v82, v131, v27
	s_wait_loadcnt 0x30
	v_mul_i32_i24_e32 v67, v249, v19
	s_wait_loadcnt 0x2f
	v_mad_i32_i24 v66, v168, v18, v66
	s_delay_alu instid0(VALU_DEP_1) | instskip(SKIP_4) | instid1(VALU_DEP_1)
	v_add3_u32 v66, v66, v67, v68
	s_wait_loadcnt 0x2e
	v_mul_i32_i24_e32 v68, v166, v22
	s_wait_loadcnt 0x27
	v_mul_i32_i24_e32 v67, v161, v21
	v_add3_u32 v66, v66, v67, v68
	scratch_load_b32 v68, off, off offset:424 ; 4-byte Folded Reload
	s_wait_dscnt 0x0
	v_fma_mix_f32 v67, v205, v0, 0 op_sel:[0,1,0] op_sel_hi:[0,1,0]
	scratch_load_b32 v205, off, off offset:472 ; 4-byte Folded Reload
	v_add3_u32 v66, v66, v78, v79
	s_wait_loadcnt 0x22
	v_mul_i32_i24_e32 v78, v70, v44
	scratch_load_b32 v70, off, off offset:904 ; 4-byte Folded Reload
	v_fma_mix_f32 v67, v253, v1, v67 op_sel:[0,1,0] op_sel_hi:[0,1,0]
	scratch_load_b32 v253, off, off offset:648 ; 4-byte Folded Reload
	v_add3_u32 v66, v66, v80, v81
	v_mul_i32_i24_e32 v80, v156, v47
	scratch_load_b32 v156, off, off offset:976 ; 4-byte Folded Reload
	s_wait_loadcnt 0x24
	v_mul_i32_i24_e32 v88, v137, v31
	s_wait_loadcnt 0x23
	v_mul_i32_i24_e32 v89, v136, v32
	v_add3_u32 v66, v66, v82, v83
	scratch_load_b32 v83, off, off offset:368 ; 4-byte Folded Reload
	s_wait_loadcnt 0x23
	v_mul_i32_i24_e32 v92, v134, v4
	s_wait_loadcnt 0x20
	v_mul_i32_i24_e32 v90, v135, v33
	v_mul_i32_i24_e32 v99, v144, v36
	v_add3_u32 v66, v66, v84, v85
	s_clause 0x1
	scratch_load_b32 v84, off, off offset:916
	scratch_load_b32 v85, off, off offset:364
	s_wait_loadcnt 0x20
	v_mul_i32_i24_e32 v96, v148, v35
	v_mul_i32_i24_e32 v103, v143, v5
	v_add3_u32 v66, v66, v86, v87
	s_clause 0x1
	scratch_load_b32 v86, off, off offset:376
	scratch_load_b32 v87, off, off offset:372
	s_wait_loadcnt 0x21
	v_mul_i32_i24_e32 v93, v146, v34
	s_wait_loadcnt 0x20
	v_mul_i32_i24_e32 v104, v211, v37
	v_add3_u32 v66, v66, v88, v89
	s_wait_loadcnt 0x1e
	v_mul_i32_i24_e32 v122, v151, v6
	v_mul_i32_i24_e32 v82, v203, v48
	;; [unrolled: 1-line block ×4, first 2 shown]
	v_add3_u32 v66, v66, v90, v92
	s_clause 0x1
	scratch_load_b32 v90, off, off offset:388
	scratch_load_b32 v92, off, off offset:384
	v_mul_i32_i24_e32 v89, v158, v11
	s_wait_loadcnt 0x1f
	v_mul_i32_i24_e32 v127, v127, v65
	v_add3_u32 v66, v66, v93, v96
	scratch_load_b32 v96, off, off offset:380 ; 4-byte Folded Reload
	s_wait_loadcnt 0x1c
	v_mul_i32_i24_e32 v105, v214, v38
	v_mul_i32_i24_e32 v93, v172, v56
	scratch_load_b32 v159, off, off offset:1032 ; 4-byte Folded Reload
	v_add3_u32 v66, v66, v99, v103
	scratch_load_b32 v99, off, off offset:396 ; 4-byte Folded Reload
	s_wait_loadcnt 0x1d
	v_mul_i32_i24_e32 v106, v212, v39
	s_wait_loadcnt 0x1c
	v_mul_i32_i24_e32 v123, v69, v40
	v_mul_i32_i24_e32 v103, v181, v58
	v_add3_u32 v66, v66, v104, v105
	scratch_load_b32 v105, off, off offset:392 ; 4-byte Folded Reload
	s_wait_loadcnt 0x1b
	v_mul_i32_i24_e32 v124, v110, v41
	v_mul_i32_i24_e32 v104, v180, v59
	scratch_load_b32 v181, off, off offset:1040 ; 4-byte Folded Reload
	v_add3_u32 v66, v66, v106, v122
	scratch_load_b32 v106, off, off offset:408 ; 4-byte Folded Reload
	s_wait_loadcnt 0x17
	v_mul_i32_i24_e32 v126, v247, v7
	v_mul_i32_i24_e32 v122, v215, v61
	scratch_load_b32 v215, off, off offset:1076 ; 4-byte Folded Reload
	v_add3_u32 v66, v66, v123, v124
	s_clause 0x1
	scratch_load_b32 v123, off, off offset:404
	scratch_load_b32 v124, off, off offset:400
	v_mov_b32_e32 v158, v189
	scratch_load_b32 v189, off, off offset:1092 ; 4-byte Folded Reload
	v_add3_u32 v66, v66, v125, v126
	s_clause 0x3
	scratch_load_b32 v125, off, off offset:416
	scratch_load_b32 v126, off, off offset:412
	scratch_load_b32 v172, off, off offset:1104
	scratch_load_b32 v180, off, off offset:668
	v_mul_lo_u32 v66, v66, v251
	s_delay_alu instid0(VALU_DEP_1) | instskip(NEXT) | instid1(VALU_DEP_1)
	v_cvt_f32_i32_e32 v66, v66
	v_fma_mix_f32 v66, v0, v66, 0 op_sel_hi:[1,0,0]
	s_wait_loadcnt 0x19
	v_mul_i32_i24_e32 v68, v68, v16
	s_delay_alu instid0(VALU_DEP_1)
	v_mad_i32_i24 v68, v200, v43, v68
	scratch_load_b32 v200, off, off offset:872 ; 4-byte Folded Reload
	s_wait_loadcnt 0x18
	v_mul_i32_i24_e32 v79, v70, v8
	scratch_load_b32 v70, off, off offset:868 ; 4-byte Folded Reload
	v_add3_u32 v68, v68, v78, v79
	v_mul_i32_i24_e32 v78, v170, v45
	scratch_load_b32 v170, off, off offset:664 ; 4-byte Folded Reload
	s_wait_loadcnt 0x17
	v_mul_i32_i24_e32 v83, v83, v49
	s_wait_loadcnt 0x16
	v_mul_i32_i24_e32 v84, v84, v50
	;; [unrolled: 2-line block ×17, first 2 shown]
	s_delay_alu instid0(VALU_DEP_2) | instskip(SKIP_2) | instid1(VALU_DEP_3)
	v_add3_u32 v68, v68, v78, v79
	v_mul_i32_i24_e32 v78, v23, v254
	v_mul_i32_i24_e32 v79, v24, v255
	v_add3_u32 v68, v68, v80, v81
	scratch_load_b32 v81, off, off offset:56 ; 4-byte Folded Reload
	v_mul_i32_i24_e32 v80, v25, v130
	v_add3_u32 v68, v68, v82, v83
	scratch_load_b32 v82, off, off offset:232 ; 4-byte Folded Reload
	v_mul_i32_i24_e32 v83, v2, v198
	scratch_load_b32 v198, off, off offset:1132 ; 4-byte Folded Reload
	v_add3_u32 v68, v68, v84, v85
	scratch_load_b32 v84, off, off offset:236 ; 4-byte Folded Reload
	v_mul_i32_i24_e32 v85, v29, v232
	scratch_load_b32 v232, off, off offset:532 ; 4-byte Folded Reload
	v_add3_u32 v68, v68, v86, v87
	v_mul_i32_i24_e32 v86, v30, v111
	scratch_load_b32 v111, off, off offset:288 ; 4-byte Folded Reload
	v_mul_i32_i24_e32 v87, v3, v112
	scratch_load_b32 v112, off, off offset:1080 ; 4-byte Folded Reload
	v_add3_u32 v68, v68, v88, v89
	v_mul_i32_i24_e32 v88, v31, v113
	v_mul_i32_i24_e32 v89, v32, v114
	v_dual_mov_b32 v114, v242 :: v_dual_mov_b32 v113, v241
	s_delay_alu instid0(VALU_DEP_4)
	v_add3_u32 v68, v68, v90, v92
	v_mul_i32_i24_e32 v90, v33, v115
	scratch_load_b32 v115, off, off offset:1084 ; 4-byte Folded Reload
	v_mul_i32_i24_e32 v92, v4, v116
	v_mov_b32_e32 v116, v243
	v_add3_u32 v68, v68, v93, v96
	v_mul_i32_i24_e32 v93, v34, v117
	v_mul_i32_i24_e32 v96, v35, v118
	s_clause 0x1
	scratch_load_b32 v117, off, off offset:1136
	scratch_load_b32 v241, off, off offset:568
	v_add3_u32 v68, v68, v99, v103
	v_mul_i32_i24_e32 v99, v36, v119
	v_mul_i32_i24_e32 v103, v5, v120
	s_clause 0x1
	scratch_load_b32 v120, off, off offset:832
	scratch_load_b32 v119, off, off offset:1172
	;; [unrolled: 6-line block ×3, first 2 shown]
	v_add3_u32 v68, v68, v106, v122
	v_mul_i32_i24_e32 v122, v6, v114
	scratch_load_b32 v243, off, off offset:1052 ; 4-byte Folded Reload
	v_mov_b32_e32 v118, v188
	v_mov_b32_e32 v188, v246
	v_add3_u32 v68, v68, v123, v124
	v_mul_i32_i24_e32 v124, v41, v204
	scratch_load_b32 v246, off, off offset:784 ; 4-byte Folded Reload
	v_mov_b32_e32 v121, v190
	scratch_load_b32 v190, off, off offset:216 ; 4-byte Folded Reload
	v_add3_u32 v68, v68, v125, v126
	s_delay_alu instid0(VALU_DEP_1)
	v_add3_u32 v68, v68, v127, v128
	v_mul_i32_i24_e32 v127, v65, v152
	v_mul_i32_i24_e32 v128, v15, v157
	s_clause 0x1
	scratch_load_b32 v152, off, off offset:1020
	scratch_load_b32 v157, off, off offset:1024
	v_mul_lo_u32 v68, v68, v240
	scratch_load_b32 v240, off, off offset:564 ; 4-byte Folded Reload
	v_cvt_f32_i32_e32 v68, v68
	s_delay_alu instid0(VALU_DEP_1)
	v_fma_mix_f32 v66, v1, v68, v66 op_sel_hi:[1,0,0]
	scratch_load_b32 v68, off, off offset:180 ; 4-byte Folded Reload
	s_wait_loadcnt 0x14
	v_mul_i32_i24_e32 v81, v26, v81
	s_wait_loadcnt 0x13
	v_mul_i32_i24_e32 v82, v27, v82
	;; [unrolled: 2-line block ×4, first 2 shown]
	scratch_load_b32 v111, off, off offset:80 ; 4-byte Folded Reload
	s_wait_loadcnt 0xf
	v_mul_i32_i24_e32 v106, v39, v112
	s_wait_loadcnt 0x1
	v_mul_f32_e32 v67, v67, v68
	v_mul_i32_i24_e32 v68, v20, v156
	s_delay_alu instid0(VALU_DEP_2)
	v_fma_f32 v66, v66, v202, -v67
	scratch_load_b32 v67, off, off offset:732 ; 4-byte Folded Reload
	s_wait_loadcnt 0x1
	v_mul_i32_i24_e32 v125, v42, v111
	scratch_load_b32 v111, off, off offset:84 ; 4-byte Folded Reload
	s_wait_loadcnt 0x1
	v_add_f32_e32 v67, v67, v66
	v_mul_i32_i24_e32 v66, v17, v155
	scratch_store_b32 off, v67, off offset:732 ; 4-byte Folded Spill
	v_mul_i32_i24_e32 v67, v19, v153
	v_mad_i32_i24 v66, v18, v154, v66
	s_delay_alu instid0(VALU_DEP_1) | instskip(SKIP_2) | instid1(VALU_DEP_1)
	v_add3_u32 v66, v66, v67, v68
	v_mul_i32_i24_e32 v67, v21, v252
	v_mul_i32_i24_e32 v68, v22, v253
	v_add3_u32 v66, v66, v67, v68
	v_mul_i32_i24_e32 v68, v16, v115
	v_fma_mix_f32 v67, v113, v0, 0 op_sel:[0,1,0] op_sel_hi:[0,1,0]
	s_delay_alu instid0(VALU_DEP_3) | instskip(SKIP_2) | instid1(VALU_DEP_4)
	v_add3_u32 v66, v66, v78, v79
	v_mul_i32_i24_e32 v78, v44, v116
	v_mul_i32_i24_e32 v79, v8, v230
	v_fma_mix_f32 v67, v195, v1, v67 op_sel:[0,1,0] op_sel_hi:[0,1,0]
	scratch_load_b32 v230, off, off offset:524 ; 4-byte Folded Reload
	v_add3_u32 v66, v66, v80, v81
	scratch_load_b32 v80, off, off offset:60 ; 4-byte Folded Reload
	v_mul_i32_i24_e32 v81, v9, v217
	v_mul_f32_e32 v67, v67, v198
	scratch_load_b32 v217, off, off offset:496 ; 4-byte Folded Reload
	v_add3_u32 v66, v66, v82, v83
	scratch_load_b32 v82, off, off offset:88 ; 4-byte Folded Reload
	v_mul_i32_i24_e32 v83, v49, v213
	scratch_load_b32 v213, off, off offset:936 ; 4-byte Folded Reload
	v_add3_u32 v66, v66, v84, v85
	scratch_load_b32 v85, off, off offset:248 ; 4-byte Folded Reload
	v_mul_i32_i24_e32 v84, v50, v138
	v_mov_b32_e32 v138, v191
	scratch_load_b32 v191, off, off offset:220 ; 4-byte Folded Reload
	v_add3_u32 v66, v66, v86, v87
	scratch_load_b32 v87, off, off offset:64 ; 4-byte Folded Reload
	v_mul_i32_i24_e32 v86, v51, v220
	scratch_load_b32 v220, off, off offset:508 ; 4-byte Folded Reload
	v_add3_u32 v66, v66, v88, v89
	v_mul_i32_i24_e32 v88, v53, v233
	v_mul_i32_i24_e32 v89, v11, v173
	s_clause 0x1
	scratch_load_b32 v233, off, off offset:536
	scratch_load_b32 v173, off, off offset:1124
	v_add3_u32 v66, v66, v90, v92
	v_mul_i32_i24_e32 v90, v54, v171
	v_mul_i32_i24_e32 v92, v55, v228
	s_clause 0x1
	scratch_load_b32 v228, off, off offset:172
	scratch_load_b32 v171, off, off offset:1044
	;; [unrolled: 6-line block ×5, first 2 shown]
	v_add3_u32 v66, v66, v106, v122
	scratch_load_b32 v106, off, off offset:68 ; 4-byte Folded Reload
	v_add3_u32 v66, v66, v123, v124
	v_mul_i32_i24_e32 v123, v62, v140
	v_mov_b32_e32 v140, v192
	scratch_load_b32 v192, off, off offset:224 ; 4-byte Folded Reload
	s_wait_loadcnt 0x15
	v_mul_i32_i24_e32 v126, v7, v111
	scratch_load_b32 v111, off, off offset:72 ; 4-byte Folded Reload
	v_add3_u32 v66, v66, v125, v126
	v_mul_i32_i24_e32 v125, v63, v145
	v_mul_i32_i24_e32 v126, v64, v147
	v_dual_mov_b32 v145, v193 :: v_dual_mov_b32 v204, v185
	s_delay_alu instid0(VALU_DEP_4)
	v_mul_lo_u32 v66, v66, v215
	scratch_load_b32 v185, off, off offset:940 ; 4-byte Folded Reload
	v_mov_b32_e32 v147, v196
	s_clause 0x1
	scratch_load_b32 v196, off, off offset:1100
	scratch_load_b32 v193, off, off offset:228
	v_cvt_f32_i32_e32 v66, v66
	s_delay_alu instid0(VALU_DEP_1)
	v_fma_mix_f32 v66, v0, v66, 0 op_sel_hi:[1,0,0]
	s_wait_loadcnt 0x17
	v_mad_i32_i24 v68, v43, v80, v68
	v_mul_i32_i24_e32 v80, v47, v216
	scratch_load_b32 v216, off, off offset:492 ; 4-byte Folded Reload
	v_add3_u32 v68, v68, v78, v79
	v_mul_i32_i24_e32 v78, v45, v234
	v_mul_i32_i24_e32 v79, v46, v210
	s_wait_loadcnt 0x16
	v_mul_i32_i24_e32 v82, v48, v82
	scratch_load_b32 v210, off, off offset:932 ; 4-byte Folded Reload
	s_wait_loadcnt 0x15
	v_mul_i32_i24_e32 v85, v10, v85
	scratch_load_b32 v234, off, off offset:540 ; 4-byte Folded Reload
	v_add3_u32 v68, v68, v78, v79
	v_mul_i32_i24_e32 v79, v24, v140
	s_wait_loadcnt 0x14
	v_mul_i32_i24_e32 v87, v52, v87
	s_delay_alu instid0(VALU_DEP_3) | instskip(SKIP_1) | instid1(VALU_DEP_2)
	v_add3_u32 v68, v68, v80, v81
	v_mul_i32_i24_e32 v81, v26, v145
	v_add3_u32 v68, v68, v82, v83
	v_mul_i32_i24_e32 v82, v27, v187
	v_mul_i32_i24_e32 v83, v2, v152
	;; [unrolled: 1-line block ×3, first 2 shown]
	scratch_load_b32 v73, off, off offset:1060 ; 4-byte Folded Reload
	v_add3_u32 v68, v68, v84, v85
	v_mul_i32_i24_e32 v84, v28, v157
	v_mul_i32_i24_e32 v85, v29, v158
	s_delay_alu instid0(VALU_DEP_3)
	v_add3_u32 v68, v68, v86, v87
	v_mul_i32_i24_e32 v86, v30, v159
	v_mul_i32_i24_e32 v87, v3, v147
	;; [unrolled: 1-line block ×3, first 2 shown]
	scratch_load_b32 v77, off, off offset:32 ; 4-byte Folded Reload
	v_add3_u32 v68, v68, v88, v89
	v_mul_i32_i24_e32 v88, v31, v182
	v_mul_i32_i24_e32 v89, v32, v174
	s_delay_alu instid0(VALU_DEP_3)
	v_add3_u32 v68, v68, v90, v92
	s_wait_loadcnt 0xc
	v_mul_i32_i24_e32 v78, v23, v139
	v_mul_i32_i24_e32 v90, v33, v175
	s_wait_loadcnt 0xa
	v_mul_i32_i24_e32 v106, v60, v106
	v_mul_i32_i24_e32 v92, v4, v183
	v_add3_u32 v68, v68, v93, v96
	v_mul_i32_i24_e32 v93, v34, v186
	v_mul_i32_i24_e32 v96, v35, v188
	;; [unrolled: 1-line block ×3, first 2 shown]
	scratch_load_b32 v97, off, off offset:456 ; 4-byte Folded Reload
	v_add3_u32 v68, v68, v99, v103
	v_mul_i32_i24_e32 v99, v36, v189
	v_mul_i32_i24_e32 v103, v5, v179
	;; [unrolled: 1-line block ×3, first 2 shown]
	scratch_load_b32 v102, off, off offset:208 ; 4-byte Folded Reload
	v_add3_u32 v68, v68, v104, v105
	v_mul_i32_i24_e32 v105, v38, v170
	s_wait_loadcnt 0xa
	v_mul_i32_i24_e32 v122, v61, v111
	scratch_load_b32 v111, off, off offset:76 ; 4-byte Folded Reload
	v_add3_u32 v68, v68, v106, v122
	v_mul_i32_i24_e32 v106, v39, v172
	v_mul_i32_i24_e32 v122, v6, v180
	s_wait_loadcnt 0x9
	v_mul_i32_i24_e32 v104, v37, v196
	s_wait_loadcnt 0x0
	v_mul_i32_i24_e32 v124, v14, v111
	scratch_load_b32 v111, off, off offset:1036 ; 4-byte Folded Reload
	v_add3_u32 v68, v68, v123, v124
	v_mul_i32_i24_e32 v123, v40, v206
	v_mul_i32_i24_e32 v124, v41, v208
	s_delay_alu instid0(VALU_DEP_3) | instskip(SKIP_2) | instid1(VALU_DEP_3)
	v_add3_u32 v68, v68, v125, v126
	v_mul_i32_i24_e32 v125, v42, v209
	v_mul_i32_i24_e32 v126, v7, v216
	v_add3_u32 v68, v68, v127, v128
	v_mul_i32_i24_e32 v127, v65, v240
	v_mul_i32_i24_e32 v128, v15, v242
	s_delay_alu instid0(VALU_DEP_3) | instskip(NEXT) | instid1(VALU_DEP_1)
	v_mul_lo_u32 v68, v68, v194
	v_cvt_f32_i32_e32 v68, v68
	s_delay_alu instid0(VALU_DEP_1)
	v_fma_mix_f32 v66, v1, v68, v66 op_sel_hi:[1,0,0]
	v_mul_i32_i24_e32 v68, v20, v120
	v_mul_i32_i24_e32 v20, v20, v184
	scratch_load_b32 v184, off, off offset:212 ; 4-byte Folded Reload
	v_fma_f32 v66, v66, v199, -v67
	scratch_load_b32 v67, off, off offset:728 ; 4-byte Folded Reload
	s_wait_loadcnt 0x2
	v_mul_i32_i24_e32 v80, v25, v111
	s_wait_loadcnt 0x0
	v_add_f32_e32 v67, v67, v66
	v_mul_i32_i24_e32 v66, v17, v117
	scratch_store_b32 off, v67, off offset:728 ; 4-byte Folded Spill
	v_mul_i32_i24_e32 v67, v19, v118
	v_mad_i32_i24 v66, v18, v119, v66
	v_mul_i32_i24_e32 v19, v19, v177
	scratch_load_b32 v177, off, off offset:24 ; 4-byte Folded Reload
	v_add3_u32 v66, v66, v67, v68
	v_mul_i32_i24_e32 v67, v21, v121
	v_mul_i32_i24_e32 v68, v22, v138
	s_delay_alu instid0(VALU_DEP_1) | instskip(SKIP_2) | instid1(VALU_DEP_3)
	v_add3_u32 v66, v66, v67, v68
	v_mul_i32_i24_e32 v68, v16, v181
	v_fma_mix_f32 v67, v173, v0, 0 op_sel:[0,1,0] op_sel_hi:[0,1,0]
	v_add3_u32 v66, v66, v78, v79
	v_mul_i32_i24_e32 v78, v44, v204
	v_mul_i32_i24_e32 v79, v8, v207
	v_mad_i32_i24 v68, v43, v205, v68
	v_fma_mix_f32 v67, v244, v1, v67 op_sel:[0,1,0] op_sel_hi:[0,1,0]
	v_add3_u32 v66, v66, v80, v81
	v_mul_i32_i24_e32 v80, v47, v213
	v_mul_i32_i24_e32 v81, v9, v218
	v_add3_u32 v68, v68, v78, v79
	v_mul_i32_i24_e32 v78, v45, v210
	v_mul_i32_i24_e32 v79, v46, v217
	;; [unrolled: 3-line block ×3, first 2 shown]
	v_mul_f32_e32 v67, v67, v246
	v_add3_u32 v68, v68, v78, v79
	v_add3_u32 v66, v66, v84, v85
	v_mul_i32_i24_e32 v84, v50, v221
	v_mul_i32_i24_e32 v85, v10, v222
	s_delay_alu instid0(VALU_DEP_4) | instskip(NEXT) | instid1(VALU_DEP_4)
	v_add3_u32 v68, v68, v80, v81
	v_add3_u32 v66, v66, v86, v87
	v_mul_i32_i24_e32 v86, v51, v185
	v_mul_i32_i24_e32 v87, v52, v225
	s_delay_alu instid0(VALU_DEP_4) | instskip(NEXT) | instid1(VALU_DEP_4)
	v_add3_u32 v68, v68, v82, v83
	v_add3_u32 v66, v66, v88, v89
	v_mul_i32_i24_e32 v88, v53, v224
	v_mul_i32_i24_e32 v89, v11, v226
	v_mul_i32_i24_e32 v11, v11, v141
	v_add3_u32 v68, v68, v84, v85
	v_add3_u32 v66, v66, v90, v92
	v_mul_i32_i24_e32 v90, v54, v227
	v_mul_i32_i24_e32 v92, v55, v229
	scratch_load_b32 v141, off, off offset:452 ; 4-byte Folded Reload
	v_add3_u32 v68, v68, v86, v87
	v_add3_u32 v66, v66, v93, v96
	v_mul_i32_i24_e32 v93, v56, v228
	v_mul_i32_i24_e32 v96, v12, v230
	s_delay_alu instid0(VALU_DEP_4) | instskip(NEXT) | instid1(VALU_DEP_4)
	v_add3_u32 v68, v68, v88, v89
	v_add3_u32 v66, v66, v99, v103
	v_mul_i32_i24_e32 v99, v57, v231
	v_mul_i32_i24_e32 v103, v58, v233
	s_delay_alu instid0(VALU_DEP_4) | instskip(NEXT) | instid1(VALU_DEP_4)
	;; [unrolled: 5-line block ×4, first 2 shown]
	v_add3_u32 v68, v68, v99, v103
	v_add3_u32 v66, v66, v123, v124
	v_mul_i32_i24_e32 v123, v62, v236
	v_mul_i32_i24_e32 v124, v14, v238
	;; [unrolled: 1-line block ×3, first 2 shown]
	v_add3_u32 v68, v68, v104, v105
	v_add3_u32 v66, v66, v125, v126
	v_mul_i32_i24_e32 v125, v63, v239
	v_mul_i32_i24_e32 v126, v64, v241
	scratch_load_b32 v142, off, off offset:1064 ; 4-byte Folded Reload
	v_add3_u32 v68, v68, v106, v122
	v_mul_lo_u32 v66, v66, v171
	s_delay_alu instid0(VALU_DEP_2) | instskip(NEXT) | instid1(VALU_DEP_2)
	v_add3_u32 v68, v68, v123, v124
	v_cvt_f32_i32_e32 v66, v66
	s_delay_alu instid0(VALU_DEP_2) | instskip(NEXT) | instid1(VALU_DEP_2)
	v_add3_u32 v68, v68, v125, v126
	v_fma_mix_f32 v66, v0, v66, 0 op_sel_hi:[1,0,0]
	s_delay_alu instid0(VALU_DEP_2) | instskip(NEXT) | instid1(VALU_DEP_1)
	v_add3_u32 v68, v68, v127, v128
	v_mul_lo_u32 v68, v68, v243
	s_delay_alu instid0(VALU_DEP_1) | instskip(NEXT) | instid1(VALU_DEP_1)
	v_cvt_f32_i32_e32 v68, v68
	v_fma_mix_f32 v66, v1, v68, v66 op_sel_hi:[1,0,0]
	s_delay_alu instid0(VALU_DEP_1)
	v_fma_f32 v66, v66, v245, -v67
	scratch_load_b32 v67, off, off offset:724 ; 4-byte Folded Reload
	s_wait_loadcnt 0x0
	v_add_f32_e32 v67, v67, v66
	scratch_load_b32 v66, off, off offset:464 ; 4-byte Folded Reload
	s_wait_loadcnt 0x0
	v_mul_i32_i24_e32 v17, v17, v66
	s_delay_alu instid0(VALU_DEP_1)
	v_mad_i32_i24 v17, v18, v178, v17
	v_mul_i32_i24_e32 v18, v21, v176
	v_mul_i32_i24_e32 v21, v24, v191
	;; [unrolled: 1-line block ×3, first 2 shown]
	scratch_load_b32 v72, off, off offset:1112 ; 4-byte Folded Reload
	v_add3_u32 v17, v17, v19, v20
	v_mul_i32_i24_e32 v19, v22, v150
	v_mul_i32_i24_e32 v20, v23, v190
	;; [unrolled: 1-line block ×10, first 2 shown]
	s_clause 0x3
	scratch_load_b32 v98, off, off offset:1116
	scratch_load_b32 v100, off, off offset:1120
	;; [unrolled: 1-line block ×4, first 2 shown]
	v_mul_i32_i24_e32 v27, v30, v76
	v_mul_i32_i24_e32 v30, v33, v95
	v_mul_i32_i24_e32 v33, v36, v101
	scratch_load_b32 v101, off, off offset:16 ; 4-byte Folded Reload
	v_add3_u32 v17, v17, v18, v19
	v_mul_i32_i24_e32 v34, v37, v107
	v_mul_i32_i24_e32 v35, v38, v108
	;; [unrolled: 1-line block ×3, first 2 shown]
	scratch_load_b32 v108, off, off offset:1192 th:TH_LOAD_LU ; 4-byte Folded Reload
	v_add3_u32 v17, v17, v20, v21
	s_clause 0x3
	scratch_load_b32 v150, off, off offset:1204 th:TH_LOAD_LU
	scratch_load_b32 v129, off, off offset:1200 th:TH_LOAD_LU
	scratch_load_b32 v107, off, off offset:12
	scratch_load_b32 v176, off, off offset:20
	v_add3_u32 v17, v17, v22, v23
	s_clause 0x3
	scratch_load_b32 v23, off, off offset:120
	scratch_load_b32 v76, off, off offset:28
	;; [unrolled: 1-line block ×4, first 2 shown]
	v_add3_u32 v2, v17, v24, v2
	s_clause 0x1
	scratch_load_b32 v24, off, off offset:132
	scratch_load_b32 v95, off, off offset:1108
	v_mul_i32_i24_e32 v17, v51, v77
	v_mul_i32_i24_e32 v20, v54, v73
	v_add3_u32 v2, v2, v25, v26
	s_clause 0x1
	scratch_load_b32 v25, off, off offset:128
	scratch_load_b32 v26, off, off offset:136
	v_mul_i32_i24_e32 v21, v55, v97
	v_mul_i32_i24_e32 v22, v56, v141
	v_add3_u32 v2, v2, v27, v3
	scratch_load_b32 v27, off, off offset:148 ; 4-byte Folded Reload
	v_add3_u32 v2, v2, v28, v29
	scratch_load_b32 v28, off, off offset:144 ; 4-byte Folded Reload
	v_mul_i32_i24_e32 v29, v63, v142
	v_add3_u32 v2, v2, v30, v4
	v_mul_i32_i24_e32 v30, v64, v71
	scratch_load_b32 v71, off, off offset:460 ; 4-byte Folded Reload
	v_add3_u32 v2, v2, v31, v32
	scratch_load_b32 v31, off, off offset:152 ; 4-byte Folded Reload
	v_add3_u32 v2, v2, v33, v5
	s_delay_alu instid0(VALU_DEP_1) | instskip(SKIP_2) | instid1(VALU_DEP_1)
	v_add3_u32 v2, v2, v34, v35
	s_wait_loadcnt 0x16
	v_mul_i32_i24_e32 v6, v6, v72
	v_add3_u32 v2, v2, v36, v6
	v_mul_i32_i24_e32 v6, v47, v184
	s_wait_loadcnt 0x15
	v_mul_i32_i24_e32 v37, v40, v98
	s_wait_loadcnt 0x14
	;; [unrolled: 2-line block ×4, first 2 shown]
	v_mul_i32_i24_e32 v7, v7, v75
	v_add3_u32 v2, v2, v37, v38
	s_delay_alu instid0(VALU_DEP_1)
	v_add3_u32 v2, v2, v39, v7
	s_wait_loadcnt 0x11
	v_mul_i32_i24_e32 v7, v9, v101
	scratch_load_b32 v9, off, off offset:8  ; 4-byte Folded Reload
	s_wait_loadcnt 0x11
	v_mul_i32_i24_e32 v3, v16, v108
	s_wait_loadcnt 0x10
	v_mul_i32_i24_e32 v5, v8, v150
	v_mul_lo_u32 v2, v2, v109
	scratch_load_b32 v109, off, off offset:1196 th:TH_LOAD_LU ; 4-byte Folded Reload
	s_wait_loadcnt 0xe
	v_mul_i32_i24_e32 v8, v48, v176
	s_wait_loadcnt 0xd
	v_mul_i32_i24_e32 v12, v12, v23
	scratch_load_b32 v23, off, off offset:124 ; 4-byte Folded Reload
	v_mad_i32_i24 v3, v43, v129, v3
	v_mul_i32_i24_e32 v16, v50, v177
	s_wait_loadcnt 0xd
	v_mul_i32_i24_e32 v10, v10, v76
	s_wait_loadcnt 0xc
	;; [unrolled: 2-line block ×4, first 2 shown]
	v_mul_i32_i24_e32 v24, v58, v24
	v_cvt_f32_i32_e32 v2, v2
	s_wait_loadcnt 0x8
	v_mul_i32_i24_e32 v25, v59, v25
	s_wait_loadcnt 0x7
	v_mul_i32_i24_e32 v13, v13, v26
	scratch_load_b32 v26, off, off offset:140 ; 4-byte Folded Reload
	v_fma_mix_f32 v2, v0, v2, 0 op_sel_hi:[1,0,0]
	v_fma_mix_f32 v0, v95, v0, 0 op_sel:[0,1,0] op_sel_hi:[0,1,0]
	s_wait_loadcnt 0x7
	v_mul_i32_i24_e32 v27, v61, v27
	s_delay_alu instid0(VALU_DEP_2)
	v_fma_mix_f32 v0, v149, v1, v0 op_sel:[0,1,0] op_sel_hi:[0,1,0]
	s_wait_loadcnt 0x6
	v_mul_i32_i24_e32 v28, v62, v28
	s_wait_loadcnt 0x5
	v_mul_i32_i24_e32 v15, v15, v71
	;; [unrolled: 2-line block ×6, first 2 shown]
	s_delay_alu instid0(VALU_DEP_2) | instskip(SKIP_2) | instid1(VALU_DEP_1)
	v_add3_u32 v3, v3, v4, v5
	v_mul_i32_i24_e32 v4, v45, v102
	v_mul_i32_i24_e32 v5, v46, v107
	v_add3_u32 v3, v3, v4, v5
	s_wait_loadcnt 0x0
	v_mul_i32_i24_e32 v26, v60, v26
	s_delay_alu instid0(VALU_DEP_2) | instskip(NEXT) | instid1(VALU_DEP_1)
	v_add3_u32 v3, v3, v6, v7
	v_add3_u32 v3, v3, v8, v9
	s_delay_alu instid0(VALU_DEP_1) | instskip(NEXT) | instid1(VALU_DEP_1)
	v_add3_u32 v3, v3, v16, v10
	v_add3_u32 v3, v3, v17, v18
	s_delay_alu instid0(VALU_DEP_1) | instskip(NEXT) | instid1(VALU_DEP_1)
	;; [unrolled: 3-line block ×6, first 2 shown]
	v_add3_u32 v3, v3, v31, v15
	v_mul_lo_u32 v3, v3, v160
	v_mov_b32_e32 v160, v149
	scratch_load_b32 v149, off, off offset:176 ; 4-byte Folded Reload
	v_cvt_f32_i32_e32 v3, v3
	s_delay_alu instid0(VALU_DEP_1)
	v_fma_mix_f32 v2, v1, v3, v2 op_sel_hi:[1,0,0]
	scratch_load_b32 v1, off, off offset:4  ; 4-byte Folded Reload
	s_wait_loadcnt 0x0
	v_mul_f32_e32 v0, v0, v1
	scratch_load_b32 v1, off, off offset:720 ; 4-byte Folded Reload
	v_fma_f32 v0, v2, v149, -v0
	s_wait_loadcnt 0x0
	s_delay_alu instid0(VALU_DEP_1)
	v_add_f32_e32 v1, v1, v0
	scratch_load_b32 v0, off, off offset:1272 ; 4-byte Folded Reload
	s_clause 0x1
	scratch_store_b32 off, v67, off offset:724
	scratch_store_b32 off, v1, off offset:720
	s_wait_loadcnt 0x0
	v_or_b32_e32 v0, s10, v0
	s_delay_alu instid0(VALU_DEP_1)
	v_lshlrev_b32_e32 v12, 2, v0
	v_lshrrev_b32_e32 v16, 1, v0
	ds_load_b128 v[0:3], v12 offset:16896
	ds_load_b128 v[4:7], v12 offset:16912
	;; [unrolled: 1-line block ×4, first 2 shown]
	scratch_load_b32 v87, off, off offset:432 ; 4-byte Folded Reload
	s_wait_dscnt 0x3
	v_bfe_i32 v61, v3, 16, 8
	s_wait_dscnt 0x2
	v_bfe_i32 v44, v7, 0, 8
	v_bfe_i32 v63, v0, 0, 8
	;; [unrolled: 1-line block ×4, first 2 shown]
	v_mul_i32_i24_e32 v86, v164, v61
	v_mul_i32_i24_e32 v123, v69, v44
	v_mov_b32_e32 v164, v69
	scratch_load_b32 v69, off, off offset:420 ; 4-byte Folded Reload
	v_ashrrev_i32_e32 v65, 24, v0
	v_bfe_i32 v51, v1, 0, 8
	v_bfe_i32 v52, v1, 8, 8
	;; [unrolled: 1-line block ×3, first 2 shown]
	v_ashrrev_i32_e32 v54, 24, v1
	v_bfe_i32 v55, v2, 0, 8
	v_bfe_i32 v56, v2, 8, 8
	v_bfe_i32 v57, v2, 16, 8
	v_ashrrev_i32_e32 v58, 24, v2
	v_bfe_i32 v59, v3, 0, 8
	v_bfe_i32 v60, v3, 8, 8
	v_ashrrev_i32_e32 v62, 24, v3
	v_bfe_i32 v48, v4, 0, 8
	v_bfe_i32 v49, v4, 8, 8
	v_bfe_i32 v34, v4, 16, 8
	v_ashrrev_i32_e32 v35, 24, v4
	v_bfe_i32 v36, v5, 0, 8
	;; [unrolled: 4-line block ×4, first 2 shown]
	v_bfe_i32 v46, v7, 16, 8
	v_ashrrev_i32_e32 v47, 24, v7
	ds_load_b64 v[0:1], v16 offset:27200
	s_wait_dscnt 0x2
	v_bfe_i32 v31, v8, 0, 8
	v_bfe_i32 v16, v8, 8, 8
	v_bfe_i32 v32, v8, 16, 8
	v_ashrrev_i32_e32 v33, 24, v8
	v_bfe_i32 v17, v9, 0, 8
	v_bfe_i32 v18, v9, 8, 8
	v_bfe_i32 v19, v9, 16, 8
	v_ashrrev_i32_e32 v20, 24, v9
	;; [unrolled: 4-line block ×4, first 2 shown]
	s_wait_dscnt 0x1
	v_bfe_i32 v29, v12, 0, 8
	v_bfe_i32 v30, v12, 8, 8
	v_bfe_i32 v2, v12, 16, 8
	v_ashrrev_i32_e32 v66, 24, v12
	v_bfe_i32 v3, v13, 0, 8
	v_bfe_i32 v4, v13, 8, 8
	v_bfe_i32 v5, v13, 16, 8
	v_ashrrev_i32_e32 v6, 24, v13
	;; [unrolled: 4-line block ×4, first 2 shown]
	v_mul_i32_i24_e32 v15, v250, v63
	v_mul_i32_i24_e32 v67, v249, v64
	;; [unrolled: 1-line block ×5, first 2 shown]
	v_mad_i32_i24 v15, v168, v50, v15
	v_mul_i32_i24_e32 v80, v133, v55
	v_mul_i32_i24_e32 v81, v132, v56
	;; [unrolled: 1-line block ×4, first 2 shown]
	v_add3_u32 v15, v15, v67, v68
	v_mul_i32_i24_e32 v67, v161, v51
	v_mul_i32_i24_e32 v68, v166, v52
	;; [unrolled: 1-line block ×4, first 2 shown]
	s_clause 0x1
	scratch_load_b32 v167, off, off offset:904
	scratch_load_b32 v165, off, off offset:864
	v_add3_u32 v15, v15, v67, v68
	s_clause 0x2
	scratch_load_b32 v67, off, off offset:908
	scratch_load_b32 v68, off, off offset:424
	;; [unrolled: 1-line block ×3, first 2 shown]
	v_mul_i32_i24_e32 v106, v212, v42
	v_add3_u32 v15, v15, v78, v79
	v_mov_b32_e32 v162, v212
	scratch_load_b32 v212, off, off offset:1164 ; 4-byte Folded Reload
	v_mul_i32_i24_e32 v88, v137, v48
	v_mul_i32_i24_e32 v89, v136, v49
	v_add3_u32 v15, v15, v80, v81
	v_mul_i32_i24_e32 v81, v70, v20
	scratch_load_b32 v70, off, off offset:56 ; 4-byte Folded Reload
	v_mul_i32_i24_e32 v90, v135, v34
	v_mul_i32_i24_e32 v92, v134, v35
	v_add3_u32 v15, v15, v82, v83
	v_mul_i32_i24_e32 v82, v203, v21
	scratch_load_b32 v203, off, off offset:368 ; 4-byte Folded Reload
	v_mul_i32_i24_e32 v93, v146, v36
	v_mul_i32_i24_e32 v96, v148, v37
	v_add3_u32 v15, v15, v84, v85
	scratch_load_b32 v169, off, off offset:916 ; 4-byte Folded Reload
	v_mul_i32_i24_e32 v99, v144, v38
	v_mul_i32_i24_e32 v103, v143, v39
	scratch_load_b32 v166, off, off offset:372 ; 4-byte Folded Reload
	v_mul_i32_i24_e32 v104, v211, v40
	v_mul_i32_i24_e32 v105, v214, v41
	;; [unrolled: 1-line block ×6, first 2 shown]
	scratch_load_b32 v223, off, off offset:296 ; 4-byte Folded Reload
	v_mov_b32_e32 v161, v251
	s_clause 0x2
	scratch_load_b32 v137, off, off offset:580
	scratch_load_b32 v132, off, off offset:600
	;; [unrolled: 1-line block ×3, first 2 shown]
	v_mov_b32_e32 v148, v114
	scratch_load_b32 v248, off, off offset:956 th:TH_LOAD_LU ; 4-byte Folded Reload
	v_mov_b32_e32 v250, v195
	v_dual_mov_b32 v134, v183 :: v_dual_mov_b32 v249, v194
	v_mov_b32_e32 v135, v189
	v_mov_b32_e32 v247, v173
	s_wait_loadcnt 0x10
	v_mul_i32_i24_e32 v87, v87, v62
	s_delay_alu instid0(VALU_DEP_1) | instskip(NEXT) | instid1(VALU_DEP_1)
	v_add3_u32 v15, v15, v86, v87
	v_add3_u32 v15, v15, v88, v89
	v_mul_i32_i24_e32 v88, v201, v27
	v_mul_i32_i24_e32 v89, v197, v28
	scratch_load_b32 v201, off, off offset:288 ; 4-byte Folded Reload
	v_add3_u32 v15, v15, v90, v92
	s_delay_alu instid0(VALU_DEP_1) | instskip(SKIP_4) | instid1(VALU_DEP_1)
	v_add3_u32 v15, v15, v93, v96
	s_wait_loadcnt 0x10
	v_mul_i32_i24_e32 v78, v69, v32
	scratch_load_b32 v69, off, off offset:364 ; 4-byte Folded Reload
	v_add3_u32 v15, v15, v99, v103
	v_add3_u32 v15, v15, v104, v105
	s_delay_alu instid0(VALU_DEP_1) | instskip(NEXT) | instid1(VALU_DEP_1)
	v_add3_u32 v15, v15, v106, v122
	v_add3_u32 v15, v15, v123, v124
	s_delay_alu instid0(VALU_DEP_1) | instskip(NEXT) | instid1(VALU_DEP_1)
	v_add3_u32 v15, v15, v125, v126
	v_mul_lo_u32 v15, v15, v251
	v_mov_b32_e32 v251, v198
	s_delay_alu instid0(VALU_DEP_2) | instskip(SKIP_1) | instid1(VALU_DEP_1)
	v_cvt_f32_i32_e32 v15, v15
	s_wait_dscnt 0x0
	v_fma_mix_f32 v15, v0, v15, 0 op_sel_hi:[1,0,0]
	s_wait_loadcnt 0x10
	v_mul_i32_i24_e32 v79, v167, v33
	s_wait_loadcnt 0xe
	v_fma_mix_f32 v67, v67, v0, 0 op_sel:[0,1,0] op_sel_hi:[0,1,0]
	s_wait_loadcnt 0xd
	v_mul_i32_i24_e32 v68, v68, v31
	s_delay_alu instid0(VALU_DEP_1) | instskip(SKIP_2) | instid1(VALU_DEP_2)
	v_mad_i32_i24 v68, v165, v16, v68
	s_wait_loadcnt 0xb
	v_mul_i32_i24_e32 v80, v212, v19
	v_add3_u32 v68, v68, v78, v79
	v_mul_i32_i24_e32 v78, v163, v17
	v_mul_i32_i24_e32 v79, v200, v18
	s_wait_loadcnt 0x9
	v_mul_i32_i24_e32 v83, v203, v22
	s_delay_alu instid0(VALU_DEP_2)
	v_add3_u32 v68, v68, v78, v79
	v_mul_i32_i24_e32 v78, v53, v254
	s_wait_loadcnt 0x8
	v_mul_i32_i24_e32 v84, v169, v23
	v_mul_i32_i24_e32 v79, v54, v255
	v_mov_b32_e32 v254, v112
	v_add3_u32 v68, v68, v80, v81
	v_mul_i32_i24_e32 v81, v56, v70
	scratch_load_b32 v70, off, off offset:232 ; 4-byte Folded Reload
	s_wait_loadcnt 0x8
	v_mul_i32_i24_e32 v87, v166, v26
	v_mul_i32_i24_e32 v80, v55, v130
	v_add3_u32 v68, v68, v82, v83
	v_mov_b32_e32 v255, v199
	s_wait_loadcnt 0x1
	v_mul_i32_i24_e32 v85, v69, v24
	scratch_load_b32 v69, off, off offset:376 ; 4-byte Folded Reload
	v_add3_u32 v68, v68, v84, v85
	s_wait_loadcnt 0x1
	v_mul_i32_i24_e32 v82, v57, v70
	scratch_load_b32 v70, off, off offset:836 ; 4-byte Folded Reload
	s_wait_loadcnt 0x1
	v_mul_i32_i24_e32 v86, v69, v25
	scratch_load_b32 v69, off, off offset:388 ; 4-byte Folded Reload
	v_add3_u32 v68, v68, v86, v87
	s_delay_alu instid0(VALU_DEP_1)
	v_add3_u32 v68, v68, v88, v89
	v_mul_i32_i24_e32 v89, v49, v223
	s_wait_loadcnt 0x1
	v_mul_i32_i24_e32 v83, v58, v70
	scratch_load_b32 v70, off, off offset:236 ; 4-byte Folded Reload
	s_wait_loadcnt 0x1
	v_mul_i32_i24_e32 v90, v69, v29
	scratch_load_b32 v69, off, off offset:384 ; 4-byte Folded Reload
	s_wait_loadcnt 0x1
	v_mul_i32_i24_e32 v84, v59, v70
	scratch_load_b32 v70, off, off offset:844 ; 4-byte Folded Reload
	s_wait_loadcnt 0x1
	v_mul_i32_i24_e32 v92, v69, v30
	scratch_load_b32 v69, off, off offset:876 ; 4-byte Folded Reload
	v_add3_u32 v68, v68, v90, v92
	s_wait_loadcnt 0x1
	v_mul_i32_i24_e32 v85, v60, v70
	scratch_load_b32 v70, off, off offset:92 ; 4-byte Folded Reload
	s_wait_loadcnt 0x1
	v_mul_i32_i24_e32 v93, v69, v2
	scratch_load_b32 v69, off, off offset:380 ; 4-byte Folded Reload
	s_wait_loadcnt 0x1
	v_mul_i32_i24_e32 v86, v61, v70
	scratch_load_b32 v70, off, off offset:96 ; 4-byte Folded Reload
	s_wait_loadcnt 0x1
	v_mul_i32_i24_e32 v96, v69, v66
	scratch_load_b32 v69, off, off offset:396 ; 4-byte Folded Reload
	v_add3_u32 v68, v68, v93, v96
	;; [unrolled: 13-line block ×5, first 2 shown]
	v_mul_i32_i24_e32 v106, v42, v112
	v_mul_i32_i24_e32 v122, v43, v114
	s_clause 0x1
	scratch_load_b32 v112, off, off offset:612
	scratch_load_b32 v114, off, off offset:620
	s_wait_loadcnt 0x3
	v_mul_i32_i24_e32 v99, v38, v70
	scratch_load_b32 v70, off, off offset:308 ; 4-byte Folded Reload
	s_wait_loadcnt 0x3
	v_mul_i32_i24_e32 v123, v69, v9
	scratch_load_b32 v69, off, off offset:400 ; 4-byte Folded Reload
	;; [unrolled: 3-line block ×4, first 2 shown]
	v_add3_u32 v68, v68, v123, v124
	v_mul_i32_i24_e32 v123, v44, v201
	s_wait_loadcnt 0x1
	v_mul_i32_i24_e32 v104, v40, v70
	scratch_load_b32 v70, off, off offset:316 ; 4-byte Folded Reload
	s_wait_loadcnt 0x1
	v_mul_i32_i24_e32 v125, v69, v11
	scratch_load_b32 v69, off, off offset:412 ; 4-byte Folded Reload
	;; [unrolled: 3-line block ×4, first 2 shown]
	v_add3_u32 v68, v68, v125, v126
	s_wait_loadcnt 0x1
	v_mul_i32_i24_e32 v124, v45, v70
	scratch_load_b32 v70, off, off offset:80 ; 4-byte Folded Reload
	s_wait_loadcnt 0x1
	v_mul_i32_i24_e32 v127, v69, v13
	scratch_load_b32 v69, off, off offset:892 ; 4-byte Folded Reload
	;; [unrolled: 3-line block ×4, first 2 shown]
	v_add3_u32 v68, v68, v127, v128
	s_wait_loadcnt 0x1
	v_mul_i32_i24_e32 v126, v47, v70
	scratch_load_b32 v70, off, off offset:320 ; 4-byte Folded Reload
	s_wait_loadcnt 0x1
	v_mul_lo_u32 v68, v68, v69
	v_dual_mov_b32 v69, v130 :: v_dual_mov_b32 v130, v72
	s_delay_alu instid0(VALU_DEP_2) | instskip(NEXT) | instid1(VALU_DEP_1)
	v_cvt_f32_i32_e32 v68, v68
	v_fma_mix_f32 v15, v1, v68, v15 op_sel_hi:[1,0,0]
	scratch_load_b32 v68, off, off offset:900 ; 4-byte Folded Reload
	s_wait_loadcnt 0x0
	v_fma_mix_f32 v67, v68, v1, v67 op_sel:[0,1,0] op_sel_hi:[0,1,0]
	scratch_load_b32 v68, off, off offset:180 ; 4-byte Folded Reload
	s_wait_loadcnt 0x0
	v_mul_f32_e32 v67, v67, v68
	v_mul_i32_i24_e32 v68, v65, v156
	v_mov_b32_e32 v156, v215
	s_delay_alu instid0(VALU_DEP_3)
	v_fma_f32 v15, v15, v202, -v67
	scratch_load_b32 v67, off, off offset:716 ; 4-byte Folded Reload
	s_wait_loadcnt 0x0
	v_add_f32_e32 v67, v67, v15
	v_mul_i32_i24_e32 v15, v63, v155
	v_mov_b32_e32 v200, v155
	scratch_store_b32 off, v67, off offset:716 ; 4-byte Folded Spill
	v_mul_i32_i24_e32 v67, v64, v153
	v_mad_i32_i24 v15, v50, v154, v15
	s_delay_alu instid0(VALU_DEP_1) | instskip(SKIP_3) | instid1(VALU_DEP_2)
	v_add3_u32 v15, v15, v67, v68
	v_mul_i32_i24_e32 v67, v51, v252
	v_mul_i32_i24_e32 v68, v52, v253
	v_mov_b32_e32 v253, v115
	v_add3_u32 v15, v15, v67, v68
	v_mul_i32_i24_e32 v68, v31, v115
	v_fma_mix_f32 v67, v113, v0, 0 op_sel:[0,1,0] op_sel_hi:[0,1,0]
	scratch_load_b32 v115, off, off offset:624 ; 4-byte Folded Reload
	v_add3_u32 v15, v15, v78, v79
	v_mul_i32_i24_e32 v79, v33, v70
	scratch_load_b32 v70, off, off offset:60 ; 4-byte Folded Reload
	v_mul_i32_i24_e32 v78, v32, v116
	v_fma_mix_f32 v67, v195, v1, v67 op_sel:[0,1,0] op_sel_hi:[0,1,0]
	v_add3_u32 v15, v15, v80, v81
	s_delay_alu instid0(VALU_DEP_2) | instskip(NEXT) | instid1(VALU_DEP_2)
	v_mul_f32_e32 v67, v67, v198
	v_add3_u32 v15, v15, v82, v83
	s_delay_alu instid0(VALU_DEP_1) | instskip(NEXT) | instid1(VALU_DEP_1)
	v_add3_u32 v15, v15, v84, v85
	v_add3_u32 v15, v15, v86, v87
	s_delay_alu instid0(VALU_DEP_1) | instskip(NEXT) | instid1(VALU_DEP_1)
	v_add3_u32 v15, v15, v88, v89
	;; [unrolled: 3-line block ×5, first 2 shown]
	v_add3_u32 v15, v15, v125, v126
	s_delay_alu instid0(VALU_DEP_1) | instskip(NEXT) | instid1(VALU_DEP_1)
	v_mul_lo_u32 v15, v15, v215
	v_cvt_f32_i32_e32 v15, v15
	s_delay_alu instid0(VALU_DEP_1)
	v_fma_mix_f32 v15, v0, v15, 0 op_sel_hi:[1,0,0]
	s_wait_loadcnt 0x0
	v_mad_i32_i24 v68, v16, v70, v68
	scratch_load_b32 v70, off, off offset:324 ; 4-byte Folded Reload
	v_add3_u32 v68, v68, v78, v79
	s_wait_loadcnt 0x0
	v_mul_i32_i24_e32 v78, v17, v70
	scratch_load_b32 v70, off, off offset:328 ; 4-byte Folded Reload
	s_wait_loadcnt 0x0
	v_mul_i32_i24_e32 v79, v18, v70
	scratch_load_b32 v70, off, off offset:244 ; 4-byte Folded Reload
	v_add3_u32 v68, v68, v78, v79
	v_mul_i32_i24_e32 v78, v53, v139
	v_mul_i32_i24_e32 v79, v54, v140
	v_mov_b32_e32 v139, v188
	s_wait_loadcnt 0x0
	v_mul_i32_i24_e32 v80, v19, v70
	scratch_load_b32 v70, off, off offset:840 ; 4-byte Folded Reload
	s_wait_loadcnt 0x0
	v_mul_i32_i24_e32 v81, v20, v70
	scratch_load_b32 v70, off, off offset:88 ; 4-byte Folded Reload
	v_add3_u32 v68, v68, v80, v81
	v_mul_i32_i24_e32 v80, v55, v111
	v_mul_i32_i24_e32 v81, v56, v145
	v_mov_b32_e32 v111, v95
	;; [unrolled: 10-line block ×3, first 2 shown]
	s_wait_loadcnt 0x0
	v_mul_i32_i24_e32 v84, v23, v70
	scratch_load_b32 v70, off, off offset:248 ; 4-byte Folded Reload
	s_wait_loadcnt 0x0
	v_mul_i32_i24_e32 v85, v24, v70
	scratch_load_b32 v70, off, off offset:252 ; 4-byte Folded Reload
	v_add3_u32 v68, v68, v84, v85
	v_mul_i32_i24_e32 v84, v59, v157
	v_mul_i32_i24_e32 v85, v60, v158
	s_wait_loadcnt 0x0
	v_mul_i32_i24_e32 v86, v25, v70
	scratch_load_b32 v70, off, off offset:64 ; 4-byte Folded Reload
	s_wait_loadcnt 0x0
	v_mul_i32_i24_e32 v87, v26, v70
	scratch_load_b32 v70, off, off offset:292 ; 4-byte Folded Reload
	v_add3_u32 v68, v68, v86, v87
	v_mul_i32_i24_e32 v86, v61, v159
	v_mul_i32_i24_e32 v87, v62, v147
	v_mov_b32_e32 v159, v166
	s_wait_loadcnt 0x0
	v_mul_i32_i24_e32 v88, v27, v70
	scratch_load_b32 v70, off, off offset:340 ; 4-byte Folded Reload
	s_wait_loadcnt 0x0
	v_mul_i32_i24_e32 v89, v28, v70
	scratch_load_b32 v70, off, off offset:344 ; 4-byte Folded Reload
	v_add3_u32 v68, v68, v88, v89
	v_mul_i32_i24_e32 v88, v48, v182
	v_mul_i32_i24_e32 v89, v49, v174
	;; [unrolled: 1-line block ×4, first 2 shown]
	s_wait_loadcnt 0x0
	v_mul_i32_i24_e32 v90, v29, v70
	scratch_load_b32 v70, off, off offset:260 ; 4-byte Folded Reload
	s_wait_loadcnt 0x0
	v_mul_i32_i24_e32 v92, v30, v70
	scratch_load_b32 v70, off, off offset:256 ; 4-byte Folded Reload
	v_add3_u32 v68, v68, v90, v92
	v_mul_i32_i24_e32 v90, v34, v175
	v_mul_i32_i24_e32 v92, v35, v183
	v_mul_i32_i24_e32 v35, v35, v112
	s_wait_loadcnt 0x0
	v_mul_i32_i24_e32 v93, v2, v70
	scratch_load_b32 v70, off, off offset:264 ; 4-byte Folded Reload
	s_wait_loadcnt 0x0
	v_mul_i32_i24_e32 v96, v66, v70
	scratch_load_b32 v70, off, off offset:268 ; 4-byte Folded Reload
	v_add3_u32 v68, v68, v93, v96
	v_mul_i32_i24_e32 v93, v36, v186
	v_mul_i32_i24_e32 v96, v37, v188
	v_mul_i32_i24_e32 v37, v37, v114
	;; [unrolled: 10-line block ×3, first 2 shown]
	s_wait_loadcnt 0x0
	v_mul_i32_i24_e32 v104, v5, v70
	scratch_load_b32 v70, off, off offset:280 ; 4-byte Folded Reload
	s_wait_loadcnt 0x0
	v_mul_i32_i24_e32 v105, v6, v70
	scratch_load_b32 v70, off, off offset:68 ; 4-byte Folded Reload
	v_add3_u32 v68, v68, v104, v105
	v_mul_i32_i24_e32 v104, v40, v196
	v_mul_i32_i24_e32 v105, v41, v170
	s_wait_loadcnt 0x0
	v_mul_i32_i24_e32 v106, v7, v70
	scratch_load_b32 v70, off, off offset:72 ; 4-byte Folded Reload
	s_wait_loadcnt 0x0
	v_mul_i32_i24_e32 v122, v8, v70
	scratch_load_b32 v70, off, off offset:284 ; 4-byte Folded Reload
	v_add3_u32 v68, v68, v106, v122
	v_mul_i32_i24_e32 v106, v42, v172
	v_mul_i32_i24_e32 v122, v43, v180
	v_mul_i32_i24_e32 v43, v43, v72
	v_mov_b32_e32 v72, v98
	s_wait_loadcnt 0x0
	v_mul_i32_i24_e32 v123, v9, v70
	scratch_load_b32 v70, off, off offset:76 ; 4-byte Folded Reload
	s_wait_loadcnt 0x0
	v_mul_i32_i24_e32 v124, v10, v70
	scratch_load_b32 v70, off, off offset:348 ; 4-byte Folded Reload
	v_add3_u32 v68, v68, v123, v124
	v_mul_i32_i24_e32 v123, v44, v206
	v_mul_i32_i24_e32 v124, v45, v208
	;; [unrolled: 1-line block ×4, first 2 shown]
	v_mov_b32_e32 v98, v100
	scratch_load_b32 v100, off, off offset:640 ; 4-byte Folded Reload
	s_wait_loadcnt 0x1
	v_mul_i32_i24_e32 v125, v11, v70
	scratch_load_b32 v70, off, off offset:356 ; 4-byte Folded Reload
	s_wait_loadcnt 0x0
	v_mul_i32_i24_e32 v126, v12, v70
	scratch_load_b32 v70, off, off offset:352 ; 4-byte Folded Reload
	v_add3_u32 v68, v68, v125, v126
	v_mul_i32_i24_e32 v125, v46, v209
	v_mul_i32_i24_e32 v126, v47, v216
	;; [unrolled: 1-line block ×4, first 2 shown]
	s_wait_loadcnt 0x0
	v_mul_i32_i24_e32 v127, v13, v70
	scratch_load_b32 v70, off, off offset:360 ; 4-byte Folded Reload
	s_wait_loadcnt 0x0
	v_mul_i32_i24_e32 v128, v14, v70
	s_delay_alu instid0(VALU_DEP_1)
	v_add3_u32 v68, v68, v127, v128
	v_mul_i32_i24_e32 v127, v13, v240
	v_mul_i32_i24_e32 v128, v14, v242
	;; [unrolled: 1-line block ×3, first 2 shown]
	scratch_load_b32 v71, off, off offset:812 ; 4-byte Folded Reload
	v_mul_lo_u32 v68, v68, v194
	s_delay_alu instid0(VALU_DEP_1) | instskip(NEXT) | instid1(VALU_DEP_1)
	v_cvt_f32_i32_e32 v68, v68
	v_fma_mix_f32 v15, v1, v68, v15 op_sel_hi:[1,0,0]
	v_mul_i32_i24_e32 v68, v65, v120
	scratch_load_b32 v120, off, off offset:960 th:TH_LOAD_LU ; 4-byte Folded Reload
	v_fma_f32 v15, v15, v199, -v67
	scratch_load_b32 v67, off, off offset:712 ; 4-byte Folded Reload
	v_mov_b32_e32 v168, v110
	scratch_load_b32 v110, off, off offset:608 ; 4-byte Folded Reload
	v_mov_b32_e32 v199, v172
	s_wait_loadcnt 0x1
	v_add_f32_e32 v67, v67, v15
	v_mul_i32_i24_e32 v15, v63, v117
	s_wait_loadcnt 0x0
	v_mul_i32_i24_e32 v34, v34, v110
	scratch_store_b32 off, v67, off offset:712 ; 4-byte Folded Spill
	v_mul_i32_i24_e32 v67, v64, v118
	v_mad_i32_i24 v15, v50, v119, v15
	s_clause 0x1
	scratch_load_b32 v118, off, off offset:632
	scratch_load_b32 v119, off, off offset:636
	v_add3_u32 v15, v15, v67, v68
	v_mul_i32_i24_e32 v67, v51, v121
	v_mul_i32_i24_e32 v68, v52, v138
	scratch_load_b32 v121, off, off offset:644 ; 4-byte Folded Reload
	v_mov_b32_e32 v138, v186
	v_add3_u32 v15, v15, v67, v68
	v_mul_i32_i24_e32 v68, v31, v181
	v_fma_mix_f32 v67, v173, v0, 0 op_sel:[0,1,0] op_sel_hi:[0,1,0]
	v_mul_i32_i24_e32 v31, v31, v108
	s_delay_alu instid0(VALU_DEP_4)
	v_add3_u32 v15, v15, v78, v79
	v_mul_i32_i24_e32 v78, v32, v204
	v_mul_i32_i24_e32 v79, v33, v207
	v_mad_i32_i24 v68, v16, v205, v68
	v_fma_mix_f32 v67, v244, v1, v67 op_sel:[0,1,0] op_sel_hi:[0,1,0]
	v_add3_u32 v15, v15, v80, v81
	v_mul_i32_i24_e32 v80, v19, v213
	v_mul_i32_i24_e32 v81, v20, v218
	v_add3_u32 v68, v68, v78, v79
	v_mul_i32_i24_e32 v78, v17, v210
	v_mul_i32_i24_e32 v79, v18, v217
	;; [unrolled: 3-line block ×3, first 2 shown]
	v_dual_mov_b32 v252, v113 :: v_dual_mul_f32 v67, v67, v246
	v_add3_u32 v68, v68, v78, v79
	v_add3_u32 v15, v15, v84, v85
	v_mul_i32_i24_e32 v84, v23, v221
	v_mul_i32_i24_e32 v85, v24, v222
	;; [unrolled: 1-line block ×3, first 2 shown]
	v_add3_u32 v68, v68, v80, v81
	v_add3_u32 v15, v15, v86, v87
	v_mul_i32_i24_e32 v86, v25, v185
	v_mul_i32_i24_e32 v87, v26, v225
	;; [unrolled: 1-line block ×3, first 2 shown]
	v_add3_u32 v68, v68, v82, v83
	v_add3_u32 v15, v15, v88, v89
	v_mul_i32_i24_e32 v88, v27, v224
	v_mul_i32_i24_e32 v89, v28, v226
	v_mad_i32_i24 v16, v16, v129, v31
	v_add3_u32 v68, v68, v84, v85
	v_add3_u32 v15, v15, v90, v92
	v_mul_i32_i24_e32 v90, v29, v227
	v_mul_i32_i24_e32 v92, v30, v229
	v_add3_u32 v16, v16, v32, v33
	v_add3_u32 v68, v68, v86, v87
	;; [unrolled: 1-line block ×3, first 2 shown]
	v_mul_i32_i24_e32 v93, v2, v228
	v_mul_i32_i24_e32 v96, v66, v230
	scratch_load_b32 v32, off, off offset:124 ; 4-byte Folded Reload
	v_add3_u32 v68, v68, v88, v89
	v_add3_u32 v15, v15, v99, v103
	v_mul_i32_i24_e32 v99, v3, v231
	v_mul_i32_i24_e32 v103, v4, v233
	scratch_load_b32 v31, off, off offset:8 ; 4-byte Folded Reload
	v_add3_u32 v68, v68, v90, v92
	v_add3_u32 v15, v15, v104, v105
	v_mul_i32_i24_e32 v104, v5, v232
	v_mul_i32_i24_e32 v105, v6, v234
	;; [unrolled: 1-line block ×3, first 2 shown]
	v_add3_u32 v68, v68, v93, v96
	v_add3_u32 v15, v15, v106, v122
	v_mul_i32_i24_e32 v106, v7, v235
	v_mul_i32_i24_e32 v122, v8, v237
	scratch_load_b32 v101, off, off offset:952 th:TH_LOAD_LU ; 4-byte Folded Reload
	v_add3_u32 v68, v68, v99, v103
	v_add3_u32 v15, v15, v123, v124
	v_mul_i32_i24_e32 v123, v9, v236
	v_mul_i32_i24_e32 v124, v10, v238
	scratch_load_b32 v113, off, off offset:616 ; 4-byte Folded Reload
	v_add3_u32 v68, v68, v104, v105
	v_add3_u32 v15, v15, v125, v126
	v_mul_i32_i24_e32 v125, v11, v239
	v_mul_i32_i24_e32 v126, v12, v241
	;; [unrolled: 1-line block ×3, first 2 shown]
	v_add3_u32 v68, v68, v106, v122
	v_mul_lo_u32 v15, v15, v171
	v_mul_i32_i24_e32 v18, v18, v107
	v_mul_i32_i24_e32 v19, v19, v184
	;; [unrolled: 1-line block ×3, first 2 shown]
	v_add3_u32 v68, v68, v123, v124
	v_mul_i32_i24_e32 v23, v23, v177
	v_add3_u32 v16, v16, v17, v18
	v_mul_i32_i24_e32 v24, v24, v76
	v_cvt_f32_i32_e32 v15, v15
	v_add3_u32 v68, v68, v125, v126
	v_mul_i32_i24_e32 v25, v25, v77
	v_add3_u32 v16, v16, v19, v20
	v_mul_i32_i24_e32 v26, v26, v94
	v_fma_mix_f32 v15, v0, v15, 0 op_sel_hi:[1,0,0]
	v_add3_u32 v68, v68, v127, v128
	v_mul_i32_i24_e32 v27, v27, v91
	v_mul_i32_i24_e32 v29, v29, v73
	v_mul_i32_i24_e32 v30, v30, v97
	v_mul_i32_i24_e32 v2, v2, v141
	v_mul_lo_u32 v68, v68, v243
	v_mul_i32_i24_e32 v10, v10, v248
	v_mul_i32_i24_e32 v11, v11, v142
	;; [unrolled: 1-line block ×3, first 2 shown]
	v_mov_b32_e32 v107, v184
	v_mov_b32_e32 v213, v163
	v_cvt_f32_i32_e32 v68, v68
	s_delay_alu instid0(VALU_DEP_1) | instskip(NEXT) | instid1(VALU_DEP_1)
	v_fma_mix_f32 v15, v1, v68, v15 op_sel_hi:[1,0,0]
	v_fma_f32 v15, v15, v245, -v67
	scratch_load_b32 v67, off, off offset:708 ; 4-byte Folded Reload
	v_mov_b32_e32 v146, v116
	scratch_load_b32 v116, off, off offset:628 ; 4-byte Folded Reload
	s_wait_loadcnt 0x8
	v_mul_i32_i24_e32 v40, v40, v118
	s_wait_loadcnt 0x7
	v_mul_i32_i24_e32 v41, v41, v119
	;; [unrolled: 2-line block ×4, first 2 shown]
	scratch_load_b32 v32, off, off offset:132 ; 4-byte Folded Reload
	s_wait_loadcnt 0x5
	v_mul_i32_i24_e32 v22, v22, v31
	scratch_load_b32 v31, off, off offset:120 ; 4-byte Folded Reload
	v_add3_u32 v16, v16, v21, v22
	s_delay_alu instid0(VALU_DEP_1) | instskip(SKIP_2) | instid1(VALU_DEP_2)
	v_add3_u32 v16, v16, v23, v24
	s_wait_loadcnt 0x5
	v_mul_i32_i24_e32 v28, v28, v101
	v_add3_u32 v16, v16, v25, v26
	s_wait_loadcnt 0x4
	v_mul_i32_i24_e32 v36, v36, v113
	s_delay_alu instid0(VALU_DEP_2) | instskip(NEXT) | instid1(VALU_DEP_1)
	v_add3_u32 v16, v16, v27, v28
	v_add3_u32 v16, v16, v29, v30
	s_wait_loadcnt 0x3
	v_add_f32_e32 v67, v67, v15
	scratch_load_b32 v15, off, off offset:464 ; 4-byte Folded Reload
	s_wait_loadcnt 0x3
	v_mul_i32_i24_e32 v39, v39, v116
	s_wait_loadcnt 0x2
	v_mul_i32_i24_e32 v4, v4, v32
	scratch_load_b32 v32, off, off offset:128 ; 4-byte Folded Reload
	s_wait_loadcnt 0x2
	v_mul_i32_i24_e32 v31, v66, v31
	s_delay_alu instid0(VALU_DEP_1) | instskip(NEXT) | instid1(VALU_DEP_1)
	v_add3_u32 v2, v16, v2, v31
	v_add3_u32 v2, v2, v3, v4
	s_wait_loadcnt 0x1
	v_mul_i32_i24_e32 v15, v63, v15
	scratch_load_b32 v63, off, off offset:52 ; 4-byte Folded Reload
	v_mad_i32_i24 v15, v50, v178, v15
	scratch_load_b32 v50, off, off offset:36 ; 4-byte Folded Reload
	s_wait_loadcnt 0x2
	v_mul_i32_i24_e32 v5, v5, v32
	scratch_load_b32 v32, off, off offset:136 ; 4-byte Folded Reload
	s_wait_loadcnt 0x2
	v_mul_i32_i24_e32 v63, v64, v63
	v_mul_i32_i24_e32 v64, v65, v137
	s_wait_loadcnt 0x1
	v_mul_i32_i24_e32 v50, v51, v50
	scratch_load_b32 v51, off, off offset:40 ; 4-byte Folded Reload
	v_add3_u32 v15, v15, v63, v64
	s_wait_loadcnt 0x1
	v_mul_i32_i24_e32 v6, v6, v32
	scratch_load_b32 v32, off, off offset:140 ; 4-byte Folded Reload
	v_add3_u32 v2, v2, v5, v6
	s_wait_loadcnt 0x1
	v_mul_i32_i24_e32 v51, v52, v51
	v_mul_i32_i24_e32 v52, v53, v190
	;; [unrolled: 1-line block ×5, first 2 shown]
	scratch_load_b32 v56, off, off offset:44 ; 4-byte Folded Reload
	v_add3_u32 v15, v15, v50, v51
	v_mov_b32_e32 v191, v167
	s_delay_alu instid0(VALU_DEP_2) | instskip(NEXT) | instid1(VALU_DEP_1)
	v_add3_u32 v15, v15, v52, v53
	v_add3_u32 v15, v15, v54, v55
	s_wait_loadcnt 0x1
	v_mul_i32_i24_e32 v7, v7, v32
	scratch_load_b32 v32, off, off offset:148 ; 4-byte Folded Reload
	s_wait_loadcnt 0x1
	v_mul_i32_i24_e32 v56, v57, v56
	scratch_load_b32 v57, off, off offset:48 ; 4-byte Folded Reload
	;; [unrolled: 3-line block ×3, first 2 shown]
	v_add3_u32 v2, v2, v7, v8
	s_wait_loadcnt 0x1
	v_mul_i32_i24_e32 v57, v58, v57
	scratch_load_b32 v58, off, off offset:584 ; 4-byte Folded Reload
	v_add3_u32 v15, v15, v56, v57
	s_wait_loadcnt 0x1
	v_mul_i32_i24_e32 v9, v9, v32
	scratch_load_b32 v32, off, off offset:152 ; 4-byte Folded Reload
	v_add3_u32 v2, v2, v9, v10
	s_delay_alu instid0(VALU_DEP_1)
	v_add3_u32 v2, v2, v11, v12
	s_wait_loadcnt 0x1
	v_mul_i32_i24_e32 v58, v59, v58
	scratch_load_b32 v59, off, off offset:588 ; 4-byte Folded Reload
	s_wait_loadcnt 0x1
	v_mul_i32_i24_e32 v13, v13, v32
	s_delay_alu instid0(VALU_DEP_1) | instskip(NEXT) | instid1(VALU_DEP_1)
	v_add3_u32 v2, v2, v13, v14
	v_mul_lo_u32 v2, v2, v71
	s_delay_alu instid0(VALU_DEP_1)
	v_cvt_f32_i32_e32 v2, v2
	s_wait_loadcnt 0x0
	v_mul_i32_i24_e32 v59, v60, v59
	scratch_load_b32 v60, off, off offset:592 ; 4-byte Folded Reload
	v_add3_u32 v15, v15, v58, v59
	s_wait_loadcnt 0x0
	v_mul_i32_i24_e32 v60, v61, v60
	scratch_load_b32 v61, off, off offset:596 ; 4-byte Folded Reload
	s_wait_loadcnt 0x0
	v_mul_i32_i24_e32 v61, v62, v61
	s_delay_alu instid0(VALU_DEP_1) | instskip(NEXT) | instid1(VALU_DEP_1)
	v_add3_u32 v15, v15, v60, v61
	v_add3_u32 v15, v15, v48, v49
	s_delay_alu instid0(VALU_DEP_1) | instskip(NEXT) | instid1(VALU_DEP_1)
	v_add3_u32 v15, v15, v34, v35
	v_add3_u32 v15, v15, v36, v37
	;; [unrolled: 3-line block ×4, first 2 shown]
	s_delay_alu instid0(VALU_DEP_1) | instskip(NEXT) | instid1(VALU_DEP_1)
	v_add3_u32 v15, v15, v46, v47
	v_mul_lo_u32 v15, v15, v100
	s_delay_alu instid0(VALU_DEP_1) | instskip(NEXT) | instid1(VALU_DEP_1)
	v_cvt_f32_i32_e32 v15, v15
	v_fma_mix_f32 v15, v0, v15, 0 op_sel_hi:[1,0,0]
	v_fma_mix_f32 v0, v95, v0, 0 op_sel:[0,1,0] op_sel_hi:[0,1,0]
	v_mov_b32_e32 v95, v150
	v_mov_b32_e32 v219, v223
	s_delay_alu instid0(VALU_DEP_4) | instskip(NEXT) | instid1(VALU_DEP_4)
	v_fma_mix_f32 v2, v1, v2, v15 op_sel_hi:[1,0,0]
	v_fma_mix_f32 v0, v160, v1, v0 op_sel:[0,1,0] op_sel_hi:[0,1,0]
	scratch_load_b32 v1, off, off offset:4  ; 4-byte Folded Reload
	s_wait_loadcnt 0x0
	v_mul_f32_e32 v0, v0, v1
	scratch_load_b32 v1, off, off offset:704 ; 4-byte Folded Reload
	v_fma_f32 v0, v2, v149, -v0
	s_wait_loadcnt 0x0
	s_delay_alu instid0(VALU_DEP_1)
	v_dual_mov_b32 v136, v179 :: v_dual_add_f32 v1, v1, v0
	scratch_load_b32 v0, off, off offset:1276 ; 4-byte Folded Reload
	s_clause 0x1
	scratch_store_b32 off, v67, off offset:708
	scratch_store_b32 off, v1, off offset:704
	s_wait_loadcnt 0x0
	v_or_b32_e32 v0, s10, v0
	s_delay_alu instid0(VALU_DEP_1)
	v_dual_mov_b32 v140, v196 :: v_dual_lshlrev_b32 v1, 2, v0
	v_lshrrev_b32_e32 v4, 1, v0
	ds_load_b128 v[20:23], v1 offset:16896
	ds_load_b128 v[33:36], v1 offset:16912
	;; [unrolled: 1-line block ×4, first 2 shown]
	s_clause 0xf
	scratch_load_b32 v150, off, off offset:1148
	scratch_load_b32 v143, off, off offset:1140
	;; [unrolled: 1-line block ×16, first 2 shown]
	s_wait_dscnt 0x3
	v_bfe_i32 v11, v22, 0, 8
	v_bfe_i32 v12, v22, 8, 8
	;; [unrolled: 1-line block ×3, first 2 shown]
	v_ashrrev_i32_e32 v14, 24, v22
	s_wait_dscnt 0x2
	v_bfe_i32 v22, v33, 0, 8
	v_bfe_i32 v7, v21, 0, 8
	;; [unrolled: 1-line block ×4, first 2 shown]
	v_ashrrev_i32_e32 v10, 24, v21
	v_bfe_i32 v15, v23, 0, 8
	v_bfe_i32 v16, v23, 8, 8
	;; [unrolled: 1-line block ×3, first 2 shown]
	v_ashrrev_i32_e32 v21, 24, v23
	v_bfe_i32 v23, v33, 8, 8
	v_bfe_i32 v24, v33, 16, 8
	v_ashrrev_i32_e32 v25, 24, v33
	v_bfe_i32 v26, v34, 0, 8
	v_bfe_i32 v27, v34, 8, 8
	;; [unrolled: 1-line block ×3, first 2 shown]
	v_ashrrev_i32_e32 v29, 24, v34
	v_bfe_i32 v30, v35, 0, 8
	v_ashrrev_i32_e32 v33, 24, v35
	s_clause 0xa
	scratch_load_b32 v151, off, off offset:856
	scratch_load_b32 v133, off, off offset:848
	;; [unrolled: 1-line block ×11, first 2 shown]
	v_bfe_i32 v38, v36, 16, 8
	v_bfe_i32 v18, v20, 0, 8
	;; [unrolled: 1-line block ×4, first 2 shown]
	v_ashrrev_i32_e32 v20, 24, v20
	s_clause 0x7
	scratch_load_b32 v192, off, off offset:420
	scratch_load_b32 v202, off, off offset:364
	;; [unrolled: 1-line block ×8, first 2 shown]
	v_bfe_i32 v31, v35, 8, 8
	v_bfe_i32 v32, v35, 16, 8
	;; [unrolled: 1-line block ×4, first 2 shown]
	s_clause 0x7
	scratch_load_b32 v177, off, off offset:116
	scratch_load_b32 v189, off, off offset:180
	;; [unrolled: 1-line block ×8, first 2 shown]
	v_mul_i32_i24_e32 v105, v214, v31
	v_mul_i32_i24_e32 v106, v162, v32
	v_ashrrev_i32_e32 v39, 24, v36
	v_mul_i32_i24_e32 v123, v164, v34
	v_mul_i32_i24_e32 v124, v168, v35
	ds_load_b64 v[4:5], v4 offset:27200
	s_clause 0x6
	scratch_load_b32 v164, off, off offset:388
	scratch_load_b32 v163, off, off offset:384
	;; [unrolled: 1-line block ×7, first 2 shown]
	s_wait_dscnt 0x2
	v_bfe_i32 v36, v50, 0, 8
	v_bfe_i32 v37, v50, 8, 8
	v_bfe_i32 v40, v50, 16, 8
	v_ashrrev_i32_e32 v41, 24, v50
	v_bfe_i32 v42, v51, 0, 8
	v_bfe_i32 v43, v51, 8, 8
	v_bfe_i32 v44, v51, 16, 8
	v_ashrrev_i32_e32 v45, 24, v51
	;; [unrolled: 4-line block ×4, first 2 shown]
	s_wait_dscnt 0x1
	v_bfe_i32 v54, v0, 0, 8
	v_bfe_i32 v55, v0, 8, 8
	v_bfe_i32 v56, v0, 16, 8
	v_ashrrev_i32_e32 v0, 24, v0
	v_bfe_i32 v57, v1, 0, 8
	v_bfe_i32 v58, v1, 8, 8
	v_bfe_i32 v59, v1, 16, 8
	v_ashrrev_i32_e32 v1, 24, v1
	;; [unrolled: 4-line block ×4, first 2 shown]
	s_clause 0x1f
	scratch_load_b32 v224, off, off offset:304
	scratch_load_b32 v225, off, off offset:308
	;; [unrolled: 1-line block ×32, first 2 shown]
	s_clause 0x8
	scratch_load_b32 v216, off, off offset:92
	scratch_load_b32 v217, off, off offset:96
	;; [unrolled: 1-line block ×9, first 2 shown]
	s_wait_loadcnt 0x3e
	v_mul_i32_i24_e32 v68, v150, v20
	v_mul_i32_i24_e32 v78, v143, v9
	;; [unrolled: 1-line block ×4, first 2 shown]
	scratch_load_b32 v73, off, off offset:964 ; 4-byte Folded Reload
	v_mul_i32_i24_e32 v86, v207, v17
	v_mul_i32_i24_e32 v66, v155, v18
	;; [unrolled: 1-line block ×4, first 2 shown]
	s_delay_alu instid0(VALU_DEP_3) | instskip(SKIP_1) | instid1(VALU_DEP_2)
	v_mad_i32_i24 v66, v133, v6, v66
	v_mul_i32_i24_e32 v87, v239, v21
	v_add3_u32 v66, v66, v67, v68
	v_mul_i32_i24_e32 v67, v208, v7
	v_mul_i32_i24_e32 v68, v70, v8
	;; [unrolled: 1-line block ×5, first 2 shown]
	s_delay_alu instid0(VALU_DEP_4) | instskip(SKIP_3) | instid1(VALU_DEP_3)
	v_add3_u32 v66, v66, v67, v68
	s_wait_dscnt 0x0
	v_fma_mix_f32 v67, v195, v4, 0 op_sel:[0,1,0] op_sel_hi:[0,1,0]
	v_mul_i32_i24_e32 v68, v194, v36
	v_add3_u32 v66, v66, v78, v79
	s_delay_alu instid0(VALU_DEP_3)
	v_fma_mix_f32 v67, v190, v5, v67 op_sel:[0,1,0] op_sel_hi:[0,1,0]
	v_mov_b32_e32 v214, v169
	scratch_load_b32 v169, off, off offset:400 ; 4-byte Folded Reload
	v_mul_i32_i24_e32 v78, v192, v40
	v_mul_i32_i24_e32 v79, v191, v41
	v_mad_i32_i24 v68, v187, v37, v68
	s_wait_loadcnt 0x39
	v_mul_i32_i24_e32 v127, v177, v65
	s_delay_alu instid0(VALU_DEP_2) | instskip(SKIP_4) | instid1(VALU_DEP_2)
	v_add3_u32 v68, v68, v78, v79
	v_mul_i32_i24_e32 v78, v213, v42
	v_mul_i32_i24_e32 v79, v197, v43
	s_wait_loadcnt 0x38
	v_mul_f32_e32 v67, v67, v189
	v_add3_u32 v68, v68, v78, v79
	s_wait_loadcnt 0x1
	v_mul_i32_i24_e32 v81, v73, v12
	scratch_load_b32 v73, off, off offset:968 ; 4-byte Folded Reload
	v_add3_u32 v66, v66, v80, v81
	v_mul_i32_i24_e32 v80, v212, v44
	v_mul_i32_i24_e32 v81, v196, v45
	s_delay_alu instid0(VALU_DEP_1)
	v_add3_u32 v68, v68, v80, v81
	v_mul_i32_i24_e32 v80, v11, v69
	scratch_load_b32 v69, off, off offset:836 ; 4-byte Folded Reload
	s_wait_loadcnt 0x1
	v_mul_i32_i24_e32 v82, v73, v13
	scratch_load_b32 v73, off, off offset:1008 ; 4-byte Folded Reload
	v_add3_u32 v66, v66, v82, v83
	v_mul_i32_i24_e32 v82, v215, v46
	v_mul_i32_i24_e32 v83, v203, v47
	s_delay_alu instid0(VALU_DEP_3) | instskip(SKIP_2) | instid1(VALU_DEP_4)
	v_add3_u32 v66, v66, v84, v85
	v_mul_i32_i24_e32 v84, v214, v48
	v_mul_i32_i24_e32 v85, v202, v49
	v_add3_u32 v68, v68, v82, v83
	s_wait_loadcnt 0x1
	v_mul_i32_i24_e32 v83, v14, v69
	v_add3_u32 v66, v66, v86, v87
	v_mul_i32_i24_e32 v86, v160, v50
	v_mul_i32_i24_e32 v87, v159, v51
	v_add3_u32 v68, v68, v84, v85
	v_mul_i32_i24_e32 v84, v15, v176
	s_delay_alu instid0(VALU_DEP_2)
	v_add3_u32 v68, v68, v86, v87
	v_mul_i32_i24_e32 v86, v17, v216
	v_mul_i32_i24_e32 v87, v21, v217
	s_wait_loadcnt 0x0
	v_mul_i32_i24_e32 v88, v73, v22
	scratch_load_b32 v73, off, off offset:992 ; 4-byte Folded Reload
	s_wait_loadcnt 0x0
	v_mul_i32_i24_e32 v89, v73, v23
	scratch_load_b32 v73, off, off offset:988 ; 4-byte Folded Reload
	v_add3_u32 v66, v66, v88, v89
	v_mul_i32_i24_e32 v88, v241, v52
	v_mul_i32_i24_e32 v89, v240, v53
	s_delay_alu instid0(VALU_DEP_1)
	v_add3_u32 v68, v68, v88, v89
	v_mul_i32_i24_e32 v88, v22, v218
	v_mul_i32_i24_e32 v89, v23, v219
	s_wait_loadcnt 0x0
	v_mul_i32_i24_e32 v90, v73, v24
	scratch_load_b32 v73, off, off offset:984 ; 4-byte Folded Reload
	s_wait_loadcnt 0x0
	v_mul_i32_i24_e32 v92, v73, v25
	scratch_load_b32 v73, off, off offset:188 ; 4-byte Folded Reload
	v_add3_u32 v66, v66, v90, v92
	v_mul_i32_i24_e32 v90, v164, v54
	v_mul_i32_i24_e32 v92, v163, v55
	s_delay_alu instid0(VALU_DEP_1)
	v_add3_u32 v68, v68, v90, v92
	v_mul_i32_i24_e32 v90, v24, v220
	v_mul_i32_i24_e32 v92, v25, v221
	s_wait_loadcnt 0x0
	v_mul_i32_i24_e32 v93, v73, v26
	scratch_load_b32 v73, off, off offset:1004 ; 4-byte Folded Reload
	s_wait_loadcnt 0x0
	v_mul_i32_i24_e32 v96, v73, v27
	scratch_load_b32 v73, off, off offset:1000 ; 4-byte Folded Reload
	v_add3_u32 v66, v66, v93, v96
	v_mul_i32_i24_e32 v93, v162, v56
	s_wait_loadcnt 0x0
	v_mul_i32_i24_e32 v99, v73, v28
	scratch_load_b32 v73, off, off offset:996 ; 4-byte Folded Reload
	s_wait_loadcnt 0x0
	v_mul_i32_i24_e32 v103, v73, v29
	scratch_load_b32 v73, off, off offset:196 ; 4-byte Folded Reload
	v_add3_u32 v66, v66, v99, v103
	v_mul_i32_i24_e32 v99, v168, v57
	v_mul_i32_i24_e32 v103, v167, v58
	s_wait_loadcnt 0x0
	v_mul_i32_i24_e32 v104, v73, v30
	scratch_load_b32 v73, off, off offset:192 ; 4-byte Folded Reload
	v_add3_u32 v66, v66, v104, v105
	v_mul_i32_i24_e32 v104, v166, v59
	v_mul_i32_i24_e32 v105, v165, v1
	;; [unrolled: 6-line block ×3, first 2 shown]
	s_delay_alu instid0(VALU_DEP_3)
	v_add3_u32 v66, v66, v123, v124
	v_mul_i32_i24_e32 v123, v170, v62
	v_mul_i32_i24_e32 v124, v169, v2
	s_wait_loadcnt 0x0
	v_mul_i32_i24_e32 v125, v73, v38
	scratch_load_b32 v73, off, off offset:200 ; 4-byte Folded Reload
	s_wait_loadcnt 0x0
	v_mul_i32_i24_e32 v126, v73, v39
	scratch_load_b32 v73, off, off offset:652 ; 4-byte Folded Reload
	v_add3_u32 v66, v66, v125, v126
	v_mul_i32_i24_e32 v125, v181, v63
	v_mul_i32_i24_e32 v126, v180, v64
	s_delay_alu instid0(VALU_DEP_3) | instskip(SKIP_2) | instid1(VALU_DEP_1)
	v_mul_lo_u32 v66, v66, v161
	scratch_load_b32 v161, off, off offset:380 ; 4-byte Folded Reload
	v_cvt_f32_i32_e32 v66, v66
	v_fma_mix_f32 v66, v4, v66, 0 op_sel_hi:[1,0,0]
	s_wait_loadcnt 0x1
	v_mul_i32_i24_e32 v78, v9, v73
	scratch_load_b32 v73, off, off offset:980 ; 4-byte Folded Reload
	s_wait_loadcnt 0x1
	v_mul_i32_i24_e32 v96, v161, v0
	s_delay_alu instid0(VALU_DEP_1) | instskip(SKIP_2) | instid1(VALU_DEP_3)
	v_add3_u32 v68, v68, v93, v96
	v_mul_i32_i24_e32 v93, v26, v222
	v_mul_i32_i24_e32 v96, v27, v223
	v_add3_u32 v68, v68, v99, v103
	v_mul_i32_i24_e32 v99, v28, v224
	v_mul_i32_i24_e32 v103, v29, v225
	s_delay_alu instid0(VALU_DEP_3) | instskip(SKIP_2) | instid1(VALU_DEP_3)
	v_add3_u32 v68, v68, v104, v105
	v_mul_i32_i24_e32 v104, v30, v226
	v_mul_i32_i24_e32 v105, v31, v227
	v_add3_u32 v68, v68, v106, v122
	v_mul_i32_i24_e32 v122, v33, v148
	scratch_load_b32 v148, off, off offset:276 ; 4-byte Folded Reload
	v_mul_i32_i24_e32 v106, v32, v254
	scratch_load_b32 v254, off, off offset:1184 th:TH_LOAD_LU ; 4-byte Folded Reload
	v_add3_u32 v68, v68, v123, v124
	v_mul_i32_i24_e32 v123, v34, v201
	v_mul_i32_i24_e32 v124, v35, v179
	s_delay_alu instid0(VALU_DEP_3) | instskip(SKIP_2) | instid1(VALU_DEP_3)
	v_add3_u32 v68, v68, v125, v126
	v_mul_i32_i24_e32 v125, v38, v198
	v_mul_i32_i24_e32 v126, v39, v204
	v_add3_u32 v68, v68, v127, v128
	v_mul_i32_i24_e32 v127, v65, v236
	v_mul_i32_i24_e32 v128, v3, v238
	s_delay_alu instid0(VALU_DEP_3) | instskip(NEXT) | instid1(VALU_DEP_1)
	v_mul_lo_u32 v68, v68, v184
	v_cvt_f32_i32_e32 v68, v68
	s_delay_alu instid0(VALU_DEP_1)
	v_fma_mix_f32 v66, v5, v68, v66 op_sel_hi:[1,0,0]
	scratch_load_b32 v68, off, off offset:976 ; 4-byte Folded Reload
	v_fma_f32 v66, v66, v188, -v67
	scratch_load_b32 v67, off, off offset:700 ; 4-byte Folded Reload
	s_wait_loadcnt 0x4
	v_mul_i32_i24_e32 v79, v10, v73
	scratch_load_b32 v73, off, off offset:1036 ; 4-byte Folded Reload
	s_wait_loadcnt 0x2
	v_mul_i32_i24_e32 v68, v20, v68
	s_wait_loadcnt 0x1
	v_add_f32_e32 v67, v67, v66
	v_mul_i32_i24_e32 v66, v18, v200
	scratch_load_b32 v200, off, off offset:844 ; 4-byte Folded Reload
	scratch_store_b32 off, v67, off offset:700 ; 4-byte Folded Spill
	v_mul_i32_i24_e32 v67, v19, v153
	v_mad_i32_i24 v66, v6, v154, v66
	s_clause 0x1
	scratch_load_b32 v153, off, off offset:56
	scratch_load_b32 v154, off, off offset:232
	v_add3_u32 v66, v66, v67, v68
	s_clause 0x1
	scratch_load_b32 v67, off, off offset:656
	scratch_load_b32 v68, off, off offset:648
	s_wait_loadcnt 0x4
	v_mul_i32_i24_e32 v85, v16, v200
	s_wait_loadcnt 0x3
	v_mul_i32_i24_e32 v81, v12, v153
	;; [unrolled: 2-line block ×5, first 2 shown]
	s_delay_alu instid0(VALU_DEP_1)
	v_add3_u32 v66, v66, v67, v68
	v_mul_i32_i24_e32 v68, v36, v253
	v_fma_mix_f32 v67, v252, v4, 0 op_sel:[0,1,0] op_sel_hi:[0,1,0]
	s_clause 0x1
	scratch_load_b32 v253, off, off offset:1180 th:TH_LOAD_LU
	scratch_load_b32 v252, off, off offset:1176 th:TH_LOAD_LU
	v_add3_u32 v66, v66, v78, v79
	v_mul_i32_i24_e32 v78, v40, v146
	v_mul_i32_i24_e32 v79, v41, v228
	v_mad_i32_i24 v68, v37, v178, v68
	scratch_load_b32 v146, off, off offset:268 ; 4-byte Folded Reload
	v_add3_u32 v66, v66, v80, v81
	v_mul_i32_i24_e32 v80, v44, v182
	v_mul_i32_i24_e32 v81, v45, v183
	v_add3_u32 v68, v68, v78, v79
	v_mul_i32_i24_e32 v78, v42, v229
	v_mul_i32_i24_e32 v79, v43, v230
	;; [unrolled: 3-line block ×3, first 2 shown]
	v_fma_mix_f32 v67, v250, v5, v67 op_sel:[0,1,0] op_sel_hi:[0,1,0]
	v_add3_u32 v68, v68, v78, v79
	v_add3_u32 v66, v66, v84, v85
	v_mul_i32_i24_e32 v84, v48, v231
	v_mul_i32_i24_e32 v85, v49, v193
	v_mul_f32_e32 v67, v67, v251
	v_add3_u32 v68, v68, v80, v81
	v_mul_i32_i24_e32 v80, v11, v73
	scratch_load_b32 v73, off, off offset:1012 ; 4-byte Folded Reload
	v_add3_u32 v66, v66, v86, v87
	v_mul_i32_i24_e32 v86, v50, v185
	v_add3_u32 v68, v68, v82, v83
	v_mul_i32_i24_e32 v87, v51, v186
	scratch_load_b32 v251, off, off offset:832 ; 4-byte Folded Reload
	v_add3_u32 v66, v66, v88, v89
	v_mul_i32_i24_e32 v88, v52, v206
	v_add3_u32 v68, v68, v84, v85
	v_mul_i32_i24_e32 v89, v53, v233
	scratch_load_b32 v250, off, off offset:1172 th:TH_LOAD_LU ; 4-byte Folded Reload
	v_add3_u32 v66, v66, v90, v92
	v_mul_i32_i24_e32 v90, v54, v234
	v_add3_u32 v68, v68, v86, v87
	v_mul_i32_i24_e32 v92, v55, v175
	v_mul_i32_i24_e32 v78, v9, v254
	v_add3_u32 v66, v66, v93, v96
	v_mul_i32_i24_e32 v93, v56, v174
	v_add3_u32 v68, v68, v88, v89
	v_mul_i32_i24_e32 v96, v0, v145
	s_delay_alu instid0(VALU_DEP_4) | instskip(SKIP_1) | instid1(VALU_DEP_4)
	v_add3_u32 v66, v66, v99, v103
	v_mul_i32_i24_e32 v103, v58, v148
	v_add3_u32 v68, v68, v90, v92
	v_mul_i32_i24_e32 v92, v25, v134
	scratch_load_b32 v134, off, off offset:824 ; 4-byte Folded Reload
	v_add3_u32 v66, v66, v104, v105
	v_mul_i32_i24_e32 v104, v59, v147
	v_add3_u32 v68, v68, v93, v96
	v_mul_i32_i24_e32 v105, v1, v149
	v_mul_i32_i24_e32 v93, v26, v138
	v_add3_u32 v66, v66, v106, v122
	v_mul_i32_i24_e32 v106, v60, v152
	v_mul_i32_i24_e32 v122, v61, v157
	;; [unrolled: 1-line block ×3, first 2 shown]
	scratch_load_b32 v139, off, off offset:464 th:TH_LOAD_LU ; 4-byte Folded Reload
	v_add3_u32 v66, v66, v123, v124
	v_mul_i32_i24_e32 v124, v2, v158
	scratch_load_b32 v138, off, off offset:220 ; 4-byte Folded Reload
	v_add3_u32 v66, v66, v125, v126
	v_mul_i32_i24_e32 v125, v63, v235
	v_mul_i32_i24_e32 v126, v64, v237
	s_delay_alu instid0(VALU_DEP_3) | instskip(SKIP_2) | instid1(VALU_DEP_1)
	v_mul_lo_u32 v66, v66, v156
	scratch_load_b32 v156, off, off offset:284 ; 4-byte Folded Reload
	v_cvt_f32_i32_e32 v66, v66
	v_fma_mix_f32 v66, v4, v66, 0 op_sel_hi:[1,0,0]
	s_wait_loadcnt 0x7
	v_mul_i32_i24_e32 v99, v57, v146
	s_delay_alu instid0(VALU_DEP_1)
	v_add3_u32 v68, v68, v99, v103
	v_mul_i32_i24_e32 v99, v28, v135
	v_mul_i32_i24_e32 v103, v29, v136
	s_clause 0x1
	scratch_load_b32 v135, off, off offset:36
	scratch_load_b32 v136, off, off offset:40
	v_add3_u32 v68, v68, v104, v105
	v_mul_i32_i24_e32 v104, v30, v140
	scratch_load_b32 v140, off, off offset:224 ; 4-byte Folded Reload
	v_add3_u32 v68, v68, v106, v122
	v_mul_i32_i24_e32 v106, v32, v199
	scratch_load_b32 v199, off, off offset:4 ; 4-byte Folded Reload
	s_wait_loadcnt 0xa
	v_mul_i32_i24_e32 v81, v12, v73
	scratch_load_b32 v73, off, off offset:1016 ; 4-byte Folded Reload
	v_mul_i32_i24_e32 v12, v12, v142
	s_wait_loadcnt 0x5
	v_mul_i32_i24_e32 v123, v62, v156
	s_delay_alu instid0(VALU_DEP_1) | instskip(NEXT) | instid1(VALU_DEP_1)
	v_add3_u32 v68, v68, v123, v124
	v_add3_u32 v68, v68, v125, v126
	s_delay_alu instid0(VALU_DEP_1)
	v_add3_u32 v68, v68, v127, v128
	v_mul_i32_i24_e32 v128, v3, v242
	scratch_load_b32 v242, off, off offset:44 ; 4-byte Folded Reload
	v_mul_lo_u32 v68, v68, v249
	scratch_load_b32 v249, off, off offset:828 ; 4-byte Folded Reload
	v_cvt_f32_i32_e32 v68, v68
	s_delay_alu instid0(VALU_DEP_1)
	v_fma_mix_f32 v66, v5, v68, v66 op_sel_hi:[1,0,0]
	v_mul_i32_i24_e32 v68, v20, v251
	v_mul_i32_i24_e32 v20, v20, v137
	scratch_load_b32 v137, off, off offset:216 ; 4-byte Folded Reload
	v_fma_f32 v66, v66, v255, -v67
	s_clause 0x1
	scratch_load_b32 v67, off, off offset:696
	scratch_load_b32 v255, off, off offset:1188 th:TH_LOAD_LU
	s_wait_loadcnt 0x7
	v_mul_i32_i24_e32 v11, v11, v140
	s_wait_loadcnt 0x5
	v_mul_i32_i24_e32 v82, v13, v73
	scratch_load_b32 v73, off, off offset:1020 ; 4-byte Folded Reload
	s_wait_loadcnt 0x5
	v_mul_i32_i24_e32 v13, v13, v242
	s_wait_loadcnt 0x3
	v_mul_i32_i24_e32 v9, v9, v137
	s_wait_loadcnt 0x2
	v_add_f32_e32 v67, v67, v66
	v_mul_i32_i24_e32 v66, v18, v117
	s_wait_loadcnt 0x1
	v_mul_i32_i24_e32 v79, v10, v255
	v_mul_i32_i24_e32 v18, v18, v139
	v_mul_i32_i24_e32 v10, v10, v138
	scratch_store_b32 off, v67, off offset:696 ; 4-byte Folded Spill
	v_mul_i32_i24_e32 v67, v19, v249
	v_mad_i32_i24 v66, v6, v250, v66
	v_mul_i32_i24_e32 v19, v19, v141
	v_mad_i32_i24 v6, v6, v134, v18
	s_delay_alu instid0(VALU_DEP_3) | instskip(SKIP_2) | instid1(VALU_DEP_4)
	v_add3_u32 v66, v66, v67, v68
	v_mul_i32_i24_e32 v67, v7, v252
	v_mul_i32_i24_e32 v68, v8, v253
	v_add3_u32 v6, v6, v19, v20
	v_mul_i32_i24_e32 v7, v7, v135
	v_mul_i32_i24_e32 v8, v8, v136
	;; [unrolled: 1-line block ×3, first 2 shown]
	v_add3_u32 v66, v66, v67, v68
	s_clause 0x1
	scratch_load_b32 v67, off, off offset:1044
	scratch_load_b32 v68, off, off offset:1040
	v_add3_u32 v6, v6, v7, v8
	v_mul_i32_i24_e32 v20, v23, v131
	v_add3_u32 v66, v66, v78, v79
	v_mov_b32_e32 v132, v95
	scratch_load_b32 v95, off, off offset:28 ; 4-byte Folded Reload
	v_add3_u32 v6, v6, v9, v10
	v_mov_b32_e32 v131, v109
	v_add3_u32 v66, v66, v80, v81
	scratch_load_b32 v109, off, off offset:120 th:TH_LOAD_LU ; 4-byte Folded Reload
	v_mul_i32_i24_e32 v9, v41, v132
	v_add3_u32 v6, v6, v11, v12
	v_mul_i32_i24_e32 v11, v45, v76
	v_mul_i32_i24_e32 v12, v46, v77
	s_wait_loadcnt 0x4
	v_mul_i32_i24_e32 v83, v14, v73
	scratch_load_b32 v73, off, off offset:1024 ; 4-byte Folded Reload
	v_add3_u32 v66, v66, v82, v83
	s_wait_loadcnt 0x3
	v_mul_i32_i24_e32 v68, v36, v68
	s_wait_loadcnt 0x0
	v_mul_i32_i24_e32 v84, v15, v73
	scratch_load_b32 v73, off, off offset:1028 ; 4-byte Folded Reload
	s_wait_loadcnt 0x0
	v_mul_i32_i24_e32 v85, v16, v73
	scratch_load_b32 v73, off, off offset:1032 ; 4-byte Folded Reload
	v_add3_u32 v66, v66, v84, v85
	s_wait_loadcnt 0x0
	v_mul_i32_i24_e32 v86, v17, v73
	scratch_load_b32 v73, off, off offset:572 ; 4-byte Folded Reload
	s_wait_loadcnt 0x0
	v_mul_i32_i24_e32 v87, v21, v73
	scratch_load_b32 v73, off, off offset:660 ; 4-byte Folded Reload
	v_add3_u32 v66, v66, v86, v87
	s_wait_loadcnt 0x0
	v_mul_i32_i24_e32 v88, v22, v73
	scratch_load_b32 v73, off, off offset:468 ; 4-byte Folded Reload
	v_mul_i32_i24_e32 v22, v25, v112
	v_mul_i32_i24_e32 v25, v28, v115
	;; [unrolled: 1-line block ×3, first 2 shown]
	s_clause 0x2
	scratch_load_b32 v112, off, off offset:132 th:TH_LOAD_LU
	scratch_load_b32 v115, off, off offset:144 th:TH_LOAD_LU
	;; [unrolled: 1-line block ×3, first 2 shown]
	s_wait_loadcnt 0x3
	v_mul_i32_i24_e32 v89, v23, v73
	scratch_load_b32 v73, off, off offset:672 ; 4-byte Folded Reload
	v_mul_i32_i24_e32 v23, v26, v113
	v_mul_i32_i24_e32 v26, v29, v116
	;; [unrolled: 1-line block ×3, first 2 shown]
	v_add3_u32 v66, v66, v88, v89
	v_mul_i32_i24_e32 v32, v35, v98
	s_clause 0x3
	scratch_load_b32 v98, off, off offset:444 th:TH_LOAD_LU
	scratch_load_b32 v113, off, off offset:136 th:TH_LOAD_LU
	;; [unrolled: 1-line block ×4, first 2 shown]
	s_wait_loadcnt 0x4
	v_mul_i32_i24_e32 v90, v24, v73
	scratch_load_b32 v73, off, off offset:664 ; 4-byte Folded Reload
	v_add3_u32 v66, v66, v90, v92
	s_wait_loadcnt 0x1
	v_mul_i32_i24_e32 v3, v3, v121
	s_delay_alu instid0(VALU_DEP_2) | instskip(NEXT) | instid1(VALU_DEP_1)
	v_add3_u32 v66, v66, v93, v96
	v_add3_u32 v66, v66, v99, v103
	s_wait_loadcnt 0x0
	v_mul_i32_i24_e32 v105, v31, v73
	scratch_load_b32 v73, off, off offset:668 ; 4-byte Folded Reload
	v_mul_i32_i24_e32 v31, v34, v72
	v_mov_b32_e32 v72, v71
	scratch_load_b32 v71, off, off offset:184 ; 4-byte Folded Reload
	v_add3_u32 v66, v66, v104, v105
	s_wait_loadcnt 0x1
	v_mul_i32_i24_e32 v122, v33, v73
	scratch_load_b32 v73, off, off offset:476 ; 4-byte Folded Reload
	v_add3_u32 v66, v66, v106, v122
	s_wait_loadcnt 0x0
	v_mul_i32_i24_e32 v123, v34, v73
	scratch_load_b32 v73, off, off offset:484 ; 4-byte Folded Reload
	v_mul_i32_i24_e32 v34, v39, v75
	scratch_load_b32 v75, off, off offset:12 ; 4-byte Folded Reload
	s_wait_loadcnt 0x1
	v_mul_i32_i24_e32 v124, v35, v73
	scratch_load_b32 v73, off, off offset:488 ; 4-byte Folded Reload
	v_add3_u32 v66, v66, v123, v124
	s_wait_loadcnt 0x0
	v_mul_i32_i24_e32 v125, v38, v73
	scratch_load_b32 v73, off, off offset:492 ; 4-byte Folded Reload
	s_wait_loadcnt 0x0
	v_mul_i32_i24_e32 v126, v39, v73
	scratch_load_b32 v73, off, off offset:576 ; 4-byte Folded Reload
	v_add3_u32 v66, v66, v125, v126
	s_delay_alu instid0(VALU_DEP_1)
	v_mul_lo_u32 v66, v66, v67
	v_fma_mix_f32 v67, v247, v4, 0 op_sel:[0,1,0] op_sel_hi:[0,1,0]
	scratch_load_b32 v247, off, off offset:596 th:TH_LOAD_LU ; 4-byte Folded Reload
	v_fma_mix_f32 v67, v244, v5, v67 op_sel:[0,1,0] op_sel_hi:[0,1,0]
	scratch_load_b32 v244, off, off offset:584 th:TH_LOAD_LU ; 4-byte Folded Reload
	v_cvt_f32_i32_e32 v66, v66
	v_mul_f32_e32 v67, v67, v246
	scratch_load_b32 v246, off, off offset:592 th:TH_LOAD_LU ; 4-byte Folded Reload
	v_fma_mix_f32 v66, v4, v66, 0 op_sel_hi:[1,0,0]
	s_wait_loadcnt 0x3
	v_mul_i32_i24_e32 v78, v40, v73
	scratch_load_b32 v73, off, off offset:480 ; 4-byte Folded Reload
	s_wait_loadcnt 0x3
	v_mul_i32_i24_e32 v18, v21, v247
	v_mul_i32_i24_e32 v21, v24, v110
	;; [unrolled: 1-line block ×5, first 2 shown]
	s_wait_loadcnt 0x2
	v_mul_i32_i24_e32 v15, v15, v244
	v_mul_i32_i24_e32 v33, v38, v74
	v_mov_b32_e32 v130, v108
	scratch_load_b32 v108, off, off offset:456 th:TH_LOAD_LU ; 4-byte Folded Reload
	v_mov_b32_e32 v74, v107
	s_wait_loadcnt 0x2
	v_mul_i32_i24_e32 v17, v17, v246
	s_clause 0x2
	scratch_load_b32 v107, off, off offset:452 th:TH_LOAD_LU
	scratch_load_b32 v110, off, off offset:124 th:TH_LOAD_LU
	;; [unrolled: 1-line block ×3, first 2 shown]
	v_mul_i32_i24_e32 v7, v36, v130
	v_mul_i32_i24_e32 v8, v40, v131
	;; [unrolled: 1-line block ×3, first 2 shown]
	scratch_load_b32 v118, off, off offset:1064 th:TH_LOAD_LU ; 4-byte Folded Reload
	v_mad_i32_i24 v7, v37, v129, v7
	s_delay_alu instid0(VALU_DEP_1)
	v_add3_u32 v7, v7, v8, v9
	v_mul_i32_i24_e32 v9, v43, v75
	s_wait_loadcnt 0x5
	v_mul_i32_i24_e32 v79, v41, v73
	scratch_load_b32 v73, off, off offset:472 ; 4-byte Folded Reload
	s_wait_loadcnt 0x0
	v_mad_i32_i24 v68, v37, v73, v68
	scratch_load_b32 v73, off, off offset:932 ; 4-byte Folded Reload
	v_add3_u32 v68, v68, v78, v79
	s_wait_loadcnt 0x0
	v_mul_i32_i24_e32 v78, v42, v73
	scratch_load_b32 v73, off, off offset:496 ; 4-byte Folded Reload
	s_wait_loadcnt 0x0
	v_mul_i32_i24_e32 v79, v43, v73
	scratch_load_b32 v73, off, off offset:936 ; 4-byte Folded Reload
	v_add3_u32 v68, v68, v78, v79
	s_wait_loadcnt 0x0
	v_mul_i32_i24_e32 v80, v44, v73
	scratch_load_b32 v73, off, off offset:500 ; 4-byte Folded Reload
	s_wait_loadcnt 0x0
	v_mul_i32_i24_e32 v81, v45, v73
	;; [unrolled: 7-line block ×8, first 2 shown]
	scratch_load_b32 v73, off, off offset:528 ; 4-byte Folded Reload
	v_mul_i32_i24_e32 v0, v0, v109
	v_add3_u32 v68, v68, v93, v96
	s_wait_loadcnt 0x0
	v_mul_i32_i24_e32 v99, v57, v73
	scratch_load_b32 v73, off, off offset:536 ; 4-byte Folded Reload
	s_wait_loadcnt 0x0
	v_mul_i32_i24_e32 v103, v58, v73
	scratch_load_b32 v73, off, off offset:532 ; 4-byte Folded Reload
	v_add3_u32 v68, v68, v99, v103
	s_wait_loadcnt 0x0
	v_mul_i32_i24_e32 v104, v59, v73
	scratch_load_b32 v73, off, off offset:540 ; 4-byte Folded Reload
	s_wait_loadcnt 0x0
	v_mul_i32_i24_e32 v105, v1, v73
	scratch_load_b32 v73, off, off offset:544 ; 4-byte Folded Reload
	v_mul_i32_i24_e32 v1, v1, v113
	v_add3_u32 v68, v68, v104, v105
	s_wait_loadcnt 0x0
	v_mul_i32_i24_e32 v106, v60, v73
	scratch_load_b32 v73, off, off offset:552 ; 4-byte Folded Reload
	s_wait_loadcnt 0x0
	v_mul_i32_i24_e32 v122, v61, v73
	scratch_load_b32 v73, off, off offset:548 ; 4-byte Folded Reload
	v_add3_u32 v68, v68, v106, v122
	s_wait_loadcnt 0x0
	v_mul_i32_i24_e32 v123, v62, v73
	scratch_load_b32 v73, off, off offset:556 ; 4-byte Folded Reload
	s_wait_loadcnt 0x0
	v_mul_i32_i24_e32 v124, v2, v73
	scratch_load_b32 v73, off, off offset:560 ; 4-byte Folded Reload
	v_mul_i32_i24_e32 v2, v2, v248
	v_add3_u32 v68, v68, v123, v124
	s_wait_loadcnt 0x0
	v_mul_i32_i24_e32 v125, v63, v73
	scratch_load_b32 v73, off, off offset:568 ; 4-byte Folded Reload
	s_wait_loadcnt 0x0
	v_mul_i32_i24_e32 v126, v64, v73
	scratch_load_b32 v73, off, off offset:564 ; 4-byte Folded Reload
	v_add3_u32 v68, v68, v125, v126
	s_wait_loadcnt 0x0
	v_mul_i32_i24_e32 v127, v65, v73
	v_mov_b32_e32 v73, v102
	scratch_load_b32 v102, off, off offset:1060 th:TH_LOAD_LU ; 4-byte Folded Reload
	v_add3_u32 v68, v68, v127, v128
	v_mul_i32_i24_e32 v8, v42, v73
	s_delay_alu instid0(VALU_DEP_2) | instskip(SKIP_2) | instid1(VALU_DEP_1)
	v_mul_lo_u32 v68, v68, v243
	scratch_load_b32 v243, off, off offset:48 ; 4-byte Folded Reload
	v_add3_u32 v7, v7, v8, v9
	v_add3_u32 v7, v7, v10, v11
	v_cvt_f32_i32_e32 v68, v68
	s_delay_alu instid0(VALU_DEP_1) | instskip(NEXT) | instid1(VALU_DEP_1)
	v_fma_mix_f32 v66, v5, v68, v66 op_sel_hi:[1,0,0]
	v_fma_f32 v66, v66, v245, -v67
	s_clause 0x1
	scratch_load_b32 v67, off, off offset:692
	scratch_load_b32 v245, off, off offset:588 th:TH_LOAD_LU
	s_wait_loadcnt 0x2
	v_mul_i32_i24_e32 v14, v14, v243
	s_delay_alu instid0(VALU_DEP_1) | instskip(SKIP_2) | instid1(VALU_DEP_2)
	v_add3_u32 v6, v6, v13, v14
	v_mul_i32_i24_e32 v13, v47, v94
	v_mul_i32_i24_e32 v14, v48, v91
	v_add3_u32 v7, v7, v12, v13
	s_wait_loadcnt 0x1
	v_add_f32_e32 v67, v67, v66
	s_wait_loadcnt 0x0
	v_mul_i32_i24_e32 v16, v16, v245
	s_delay_alu instid0(VALU_DEP_1) | instskip(SKIP_2) | instid1(VALU_DEP_3)
	v_add3_u32 v6, v6, v15, v16
	v_mul_i32_i24_e32 v15, v49, v95
	v_mul_i32_i24_e32 v16, v50, v97
	v_add3_u32 v6, v6, v17, v18
	s_delay_alu instid0(VALU_DEP_3) | instskip(SKIP_1) | instid1(VALU_DEP_3)
	v_add3_u32 v7, v7, v14, v15
	v_mul_i32_i24_e32 v18, v52, v98
	v_add3_u32 v6, v6, v19, v20
	v_mul_i32_i24_e32 v19, v53, v101
	v_mul_i32_i24_e32 v20, v54, v102
	s_delay_alu instid0(VALU_DEP_3) | instskip(SKIP_2) | instid1(VALU_DEP_3)
	v_add3_u32 v6, v6, v21, v22
	v_mul_i32_i24_e32 v21, v55, v108
	v_mul_i32_i24_e32 v22, v56, v107
	v_add3_u32 v6, v6, v23, v24
	v_mul_i32_i24_e32 v23, v57, v110
	v_mul_i32_i24_e32 v24, v58, v112
	s_delay_alu instid0(VALU_DEP_3) | instskip(SKIP_1) | instid1(VALU_DEP_2)
	v_add3_u32 v6, v6, v25, v26
	v_mul_i32_i24_e32 v26, v60, v114
	v_add3_u32 v6, v6, v27, v28
	v_mul_i32_i24_e32 v27, v61, v116
	v_mul_i32_i24_e32 v28, v62, v115
	s_delay_alu instid0(VALU_DEP_3) | instskip(SKIP_2) | instid1(VALU_DEP_3)
	v_add3_u32 v6, v6, v29, v30
	v_mul_i32_i24_e32 v29, v63, v118
	v_mul_i32_i24_e32 v30, v64, v120
	v_add3_u32 v6, v6, v31, v32
	v_mul_i32_i24_e32 v31, v65, v119
	s_delay_alu instid0(VALU_DEP_2) | instskip(NEXT) | instid1(VALU_DEP_1)
	v_add3_u32 v6, v6, v33, v34
	v_mul_lo_u32 v6, v6, v100
	scratch_load_b32 v100, off, off offset:448 th:TH_LOAD_LU ; 4-byte Folded Reload
	v_cvt_f32_i32_e32 v6, v6
	s_delay_alu instid0(VALU_DEP_1) | instskip(SKIP_4) | instid1(VALU_DEP_1)
	v_fma_mix_f32 v6, v4, v6, 0 op_sel_hi:[1,0,0]
	v_fma_mix_f32 v4, v111, v4, 0 op_sel:[0,1,0] op_sel_hi:[0,1,0]
	scratch_load_b32 v111, off, off offset:128 th:TH_LOAD_LU ; 4-byte Folded Reload
	s_wait_loadcnt 0x1
	v_mul_i32_i24_e32 v17, v51, v100
	v_add3_u32 v7, v7, v16, v17
	s_delay_alu instid0(VALU_DEP_1) | instskip(SKIP_2) | instid1(VALU_DEP_2)
	v_add3_u32 v7, v7, v18, v19
	s_wait_loadcnt 0x0
	v_mul_i32_i24_e32 v25, v59, v111
	v_add3_u32 v7, v7, v20, v21
	s_delay_alu instid0(VALU_DEP_1) | instskip(NEXT) | instid1(VALU_DEP_1)
	v_add3_u32 v0, v7, v22, v0
	v_add3_u32 v0, v0, v23, v24
	s_delay_alu instid0(VALU_DEP_1) | instskip(SKIP_1) | instid1(VALU_DEP_2)
	v_add3_u32 v0, v0, v25, v1
	v_fma_mix_f32 v1, v71, v5, v4 op_sel:[0,1,0] op_sel_hi:[0,1,0]
	v_add3_u32 v0, v0, v26, v27
	s_delay_alu instid0(VALU_DEP_2) | instskip(NEXT) | instid1(VALU_DEP_2)
	v_mul_f32_e32 v1, v1, v199
	v_add3_u32 v0, v0, v28, v2
	scratch_load_b32 v2, off, off offset:176 ; 4-byte Folded Reload
	v_add3_u32 v0, v0, v29, v30
	s_delay_alu instid0(VALU_DEP_1) | instskip(NEXT) | instid1(VALU_DEP_1)
	v_add3_u32 v0, v0, v31, v3
	v_mul_lo_u32 v0, v0, v72
	s_delay_alu instid0(VALU_DEP_1) | instskip(NEXT) | instid1(VALU_DEP_1)
	v_cvt_f32_i32_e32 v0, v0
	v_fma_mix_f32 v0, v5, v0, v6 op_sel_hi:[1,0,0]
	s_wait_loadcnt 0x0
	s_delay_alu instid0(VALU_DEP_1)
	v_fma_f32 v0, v0, v2, -v1
	scratch_load_b32 v1, off, off offset:688 ; 4-byte Folded Reload
	s_wait_loadcnt 0x0
	v_add_f32_e32 v1, v1, v0
	scratch_load_b32 v0, off, off offset:1280 ; 4-byte Folded Reload
	s_clause 0x1
	scratch_store_b32 off, v67, off offset:692
	scratch_store_b32 off, v1, off offset:688
	s_wait_loadcnt 0x0
	v_or_b32_e32 v0, s10, v0
	s_delay_alu instid0(VALU_DEP_1)
	v_lshlrev_b32_e32 v1, 2, v0
	v_lshrrev_b32_e32 v4, 1, v0
	ds_load_b128 v[20:23], v1 offset:16896
	ds_load_b128 v[34:37], v1 offset:16912
	;; [unrolled: 1-line block ×4, first 2 shown]
	s_clause 0x6
	scratch_load_b32 v93, off, off offset:188
	scratch_load_b32 v104, off, off offset:196
	;; [unrolled: 1-line block ×7, first 2 shown]
	ds_load_b64 v[4:5], v4 offset:27200
	s_wait_dscnt 0x4
	v_bfe_i32 v18, v20, 0, 8
	v_bfe_i32 v6, v20, 8, 8
	;; [unrolled: 1-line block ×3, first 2 shown]
	v_ashrrev_i32_e32 v20, 24, v20
	v_bfe_i32 v8, v21, 8, 8
	v_mul_i32_i24_e32 v66, v155, v18
	v_ashrrev_i32_e32 v10, 24, v21
	v_mul_i32_i24_e32 v67, v151, v19
	v_mul_i32_i24_e32 v68, v150, v20
	scratch_load_b32 v150, off, off offset:964 th:TH_LOAD_LU ; 4-byte Folded Reload
	v_mad_i32_i24 v66, v133, v6, v66
	v_mul_i32_i24_e32 v79, v144, v10
	scratch_load_b32 v144, off, off offset:968 th:TH_LOAD_LU ; 4-byte Folded Reload
	v_bfe_i32 v7, v21, 0, 8
	v_bfe_i32 v17, v23, 16, 8
	v_add3_u32 v66, v66, v67, v68
	v_mul_i32_i24_e32 v68, v70, v8
	scratch_load_b32 v70, off, off offset:972 th:TH_LOAD_LU ; 4-byte Folded Reload
	v_mul_i32_i24_e32 v67, v208, v7
	s_clause 0x1
	scratch_load_b32 v133, off, off offset:1008 th:TH_LOAD_LU
	scratch_load_b32 v208, off, off offset:992 th:TH_LOAD_LU
	v_bfe_i32 v9, v21, 16, 8
	v_ashrrev_i32_e32 v21, 24, v23
	v_mul_i32_i24_e32 v86, v207, v17
	s_clause 0x1
	scratch_load_b32 v207, off, off offset:988 th:TH_LOAD_LU
	scratch_load_b32 v155, off, off offset:984 th:TH_LOAD_LU
	v_bfe_i32 v15, v23, 0, 8
	v_bfe_i32 v16, v23, 8, 8
	v_mul_i32_i24_e32 v87, v239, v21
	scratch_load_b32 v239, off, off offset:1004 th:TH_LOAD_LU ; 4-byte Folded Reload
	v_ashrrev_i32_e32 v14, 24, v22
	v_mul_i32_i24_e32 v84, v211, v15
	v_mul_i32_i24_e32 v85, v210, v16
	s_clause 0x1
	scratch_load_b32 v211, off, off offset:1000 th:TH_LOAD_LU
	scratch_load_b32 v210, off, off offset:996 th:TH_LOAD_LU
	v_mul_i32_i24_e32 v83, v209, v14
	s_clause 0x1
	scratch_load_b32 v209, off, off offset:1240 th:TH_LOAD_LU
	scratch_load_b32 v151, off, off offset:1236 th:TH_LOAD_LU
	v_mul_i32_i24_e32 v78, v143, v9
	scratch_load_b32 v143, off, off offset:1244 th:TH_LOAD_LU ; 4-byte Folded Reload
	s_wait_dscnt 0x2
	v_bfe_i32 v50, v52, 0, 8
	v_bfe_i32 v38, v52, 8, 8
	;; [unrolled: 1-line block ×3, first 2 shown]
	v_ashrrev_i32_e32 v52, 24, v52
	v_add3_u32 v66, v66, v67, v68
	v_mul_i32_i24_e32 v68, v194, v50
	v_bfe_i32 v11, v22, 0, 8
	v_bfe_i32 v12, v22, 8, 8
	v_bfe_i32 v39, v53, 0, 8
	v_bfe_i32 v40, v53, 8, 8
	v_add3_u32 v66, v66, v78, v79
	v_mul_i32_i24_e32 v78, v192, v51
	v_mul_i32_i24_e32 v79, v191, v52
	v_mad_i32_i24 v68, v187, v38, v68
	v_bfe_i32 v13, v22, 16, 8
	v_bfe_i32 v41, v53, 16, 8
	v_ashrrev_i32_e32 v42, 24, v53
	v_bfe_i32 v43, v54, 0, 8
	v_add3_u32 v68, v68, v78, v79
	v_mul_i32_i24_e32 v78, v213, v39
	v_mul_i32_i24_e32 v79, v197, v40
	v_bfe_i32 v44, v54, 8, 8
	v_bfe_i32 v45, v54, 16, 8
	v_ashrrev_i32_e32 v46, 24, v54
	v_bfe_i32 v22, v34, 0, 8
	v_add3_u32 v68, v68, v78, v79
	v_bfe_i32 v23, v34, 8, 8
	v_bfe_i32 v47, v55, 0, 8
	;; [unrolled: 1-line block ×4, first 2 shown]
	v_ashrrev_i32_e32 v25, 24, v34
	v_bfe_i32 v49, v55, 16, 8
	v_ashrrev_i32_e32 v53, 24, v55
	v_bfe_i32 v26, v35, 0, 8
	v_bfe_i32 v27, v35, 8, 8
	s_wait_dscnt 0x1
	v_bfe_i32 v54, v0, 0, 8
	v_bfe_i32 v55, v0, 8, 8
	v_bfe_i32 v28, v35, 16, 8
	v_ashrrev_i32_e32 v29, 24, v35
	v_bfe_i32 v56, v0, 16, 8
	v_ashrrev_i32_e32 v0, 24, v0
	v_bfe_i32 v30, v36, 0, 8
	v_bfe_i32 v31, v36, 8, 8
	v_bfe_i32 v57, v1, 0, 8
	v_bfe_i32 v58, v1, 8, 8
	v_bfe_i32 v32, v36, 16, 8
	v_ashrrev_i32_e32 v33, 24, v36
	v_bfe_i32 v59, v1, 16, 8
	v_ashrrev_i32_e32 v1, 24, v1
	v_bfe_i32 v34, v37, 0, 8
	v_bfe_i32 v35, v37, 8, 8
	;; [unrolled: 8-line block ×3, first 2 shown]
	v_bfe_i32 v65, v3, 16, 8
	v_ashrrev_i32_e32 v3, 24, v3
	s_wait_dscnt 0x0
	v_fma_mix_f32 v67, v195, v4, 0 op_sel:[0,1,0] op_sel_hi:[0,1,0]
	s_clause 0x1
	scratch_load_b32 v197, off, off offset:576 th:TH_LOAD_LU
	scratch_load_b32 v187, off, off offset:948 th:TH_LOAD_LU
	v_mul_i32_i24_e32 v127, v177, v65
	v_mul_i32_i24_e32 v128, v173, v3
	v_fma_mix_f32 v67, v190, v5, v67 op_sel:[0,1,0] op_sel_hi:[0,1,0]
	s_clause 0x3
	scratch_load_b32 v177, off, off offset:1016 th:TH_LOAD_LU
	scratch_load_b32 v173, off, off offset:936 th:TH_LOAD_LU
	;; [unrolled: 1-line block ×4, first 2 shown]
	v_mul_f32_e32 v67, v67, v189
	s_clause 0x4
	scratch_load_b32 v189, off, off offset:1096 th:TH_LOAD_LU
	scratch_load_b32 v195, off, off offset:668 th:TH_LOAD_LU
	;; [unrolled: 1-line block ×5, first 2 shown]
	s_wait_loadcnt 0x1e
	v_mul_i32_i24_e32 v93, v93, v26
	s_wait_loadcnt 0x1d
	v_mul_i32_i24_e32 v104, v104, v30
	s_wait_loadcnt 0x1c
	v_mul_i32_i24_e32 v105, v105, v31
	s_wait_loadcnt 0x1b
	v_mul_i32_i24_e32 v106, v106, v32
	s_wait_loadcnt 0x1a
	v_mul_i32_i24_e32 v125, v125, v36
	s_wait_loadcnt 0x19
	v_mul_i32_i24_e32 v126, v126, v37
	s_wait_loadcnt 0x18
	v_mul_i32_i24_e32 v122, v122, v33
	s_wait_loadcnt 0x17
	v_mul_i32_i24_e32 v81, v150, v12
	s_wait_loadcnt 0x16
	v_mul_i32_i24_e32 v82, v144, v13
	s_wait_loadcnt 0x15
	v_mul_i32_i24_e32 v80, v70, v11
	s_wait_loadcnt 0x14
	v_mul_i32_i24_e32 v88, v133, v22
	s_wait_loadcnt 0x13
	v_mul_i32_i24_e32 v89, v208, v23
	v_add3_u32 v66, v66, v80, v81
	v_mul_i32_i24_e32 v80, v212, v41
	v_mul_i32_i24_e32 v81, v196, v42
	s_wait_loadcnt 0x12
	v_mul_i32_i24_e32 v90, v207, v24
	s_wait_loadcnt 0x11
	v_mul_i32_i24_e32 v92, v155, v25
	v_add3_u32 v66, v66, v82, v83
	v_mul_i32_i24_e32 v82, v215, v43
	v_mul_i32_i24_e32 v83, v203, v44
	v_add3_u32 v68, v68, v80, v81
	s_wait_loadcnt 0x10
	v_mul_i32_i24_e32 v96, v239, v27
	v_add3_u32 v66, v66, v84, v85
	v_mul_i32_i24_e32 v84, v214, v45
	v_mul_i32_i24_e32 v85, v202, v46
	v_add3_u32 v68, v68, v82, v83
	;; [unrolled: 6-line block ×6, first 2 shown]
	scratch_load_b32 v159, off, off offset:1068 th:TH_LOAD_LU ; 4-byte Folded Reload
	v_add3_u32 v66, v66, v99, v103
	v_mul_i32_i24_e32 v99, v168, v57
	v_mul_i32_i24_e32 v103, v167, v58
	v_add3_u32 v68, v68, v93, v96
	scratch_load_b32 v161, off, off offset:976 th:TH_LOAD_LU ; 4-byte Folded Reload
	v_add3_u32 v66, v66, v104, v105
	v_mul_i32_i24_e32 v104, v166, v59
	v_mul_i32_i24_e32 v105, v165, v1
	v_add3_u32 v68, v68, v99, v103
	;; [unrolled: 5-line block ×5, first 2 shown]
	scratch_load_b32 v163, off, off offset:648 th:TH_LOAD_LU ; 4-byte Folded Reload
	s_wait_loadcnt 0x11
	v_mul_lo_u32 v66, v66, v143
	s_clause 0x1
	scratch_load_b32 v164, off, off offset:652 th:TH_LOAD_LU
	scratch_load_b32 v165, off, off offset:980 th:TH_LOAD_LU
	v_add3_u32 v68, v68, v125, v126
	s_clause 0x2
	scratch_load_b32 v170, off, off offset:1208 th:TH_LOAD_LU
	scratch_load_b32 v167, off, off offset:1084 th:TH_LOAD_LU
	;; [unrolled: 1-line block ×3, first 2 shown]
	v_mul_i32_i24_e32 v81, v12, v153
	v_add3_u32 v68, v68, v127, v128
	v_cvt_f32_i32_e32 v66, v66
	v_mul_i32_i24_e32 v82, v13, v154
	v_mul_i32_i24_e32 v83, v14, v69
	;; [unrolled: 1-line block ×3, first 2 shown]
	v_mul_lo_u32 v68, v68, v184
	v_fma_mix_f32 v66, v4, v66, 0 op_sel_hi:[1,0,0]
	v_mul_i32_i24_e32 v85, v16, v200
	s_clause 0x1
	scratch_load_b32 v153, off, off offset:1080 th:TH_LOAD_LU
	scratch_load_b32 v169, off, off offset:1212 th:TH_LOAD_LU
	v_mul_i32_i24_e32 v86, v17, v216
	v_mul_i32_i24_e32 v87, v21, v217
	;; [unrolled: 1-line block ×3, first 2 shown]
	v_cvt_f32_i32_e32 v68, v68
	v_mul_i32_i24_e32 v89, v23, v219
	v_mul_i32_i24_e32 v90, v24, v220
	;; [unrolled: 1-line block ×4, first 2 shown]
	v_fma_mix_f32 v66, v5, v68, v66 op_sel_hi:[1,0,0]
	v_mul_i32_i24_e32 v96, v27, v223
	v_mul_i32_i24_e32 v99, v28, v224
	;; [unrolled: 1-line block ×3, first 2 shown]
	scratch_load_b32 v154, off, off offset:1076 th:TH_LOAD_LU ; 4-byte Folded Reload
	v_fma_f32 v66, v66, v188, -v67
	s_clause 0x1
	scratch_load_b32 v67, off, off offset:684
	scratch_load_b32 v188, off, off offset:1092 th:TH_LOAD_LU
	v_mul_i32_i24_e32 v104, v30, v226
	v_mul_i32_i24_e32 v105, v31, v227
	scratch_load_b32 v166, off, off offset:1224 th:TH_LOAD_LU ; 4-byte Folded Reload
	v_mul_i32_i24_e32 v123, v34, v201
	v_mul_i32_i24_e32 v124, v35, v179
	;; [unrolled: 1-line block ×6, first 2 shown]
	s_clause 0x1a
	scratch_load_b32 v196, off, off offset:1040 th:TH_LOAD_LU
	scratch_load_b32 v236, off, off offset:480 th:TH_LOAD_LU
	;; [unrolled: 1-line block ×27, first 2 shown]
	s_wait_loadcnt 0x2a
	v_mul_i32_i24_e32 v68, v20, v161
	s_wait_loadcnt 0x25
	v_mul_i32_i24_e32 v78, v9, v164
	;; [unrolled: 2-line block ×6, first 2 shown]
	s_wait_loadcnt 0x1d
	v_add_f32_e32 v67, v67, v66
	v_mul_i32_i24_e32 v66, v18, v159
	scratch_store_b32 off, v67, off offset:684 ; 4-byte Folded Spill
	v_mul_i32_i24_e32 v67, v19, v171
	v_mad_i32_i24 v66, v6, v160, v66
	s_delay_alu instid0(VALU_DEP_1) | instskip(SKIP_2) | instid1(VALU_DEP_1)
	v_add3_u32 v66, v66, v67, v68
	v_mul_i32_i24_e32 v67, v7, v162
	v_mul_i32_i24_e32 v68, v8, v163
	v_add3_u32 v66, v66, v67, v68
	v_mul_i32_i24_e32 v68, v50, v167
	s_wait_loadcnt 0x1b
	v_fma_mix_f32 v67, v166, v4, 0 op_sel:[0,1,0] op_sel_hi:[0,1,0]
	s_delay_alu instid0(VALU_DEP_3)
	v_add3_u32 v66, v66, v78, v79
	v_mul_i32_i24_e32 v78, v51, v168
	v_mul_i32_i24_e32 v79, v52, v228
	v_mad_i32_i24 v68, v38, v178, v68
	scratch_load_b32 v178, off, off offset:1020 th:TH_LOAD_LU ; 4-byte Folded Reload
	v_add3_u32 v66, v66, v80, v81
	v_mul_i32_i24_e32 v80, v41, v182
	v_mul_i32_i24_e32 v81, v42, v183
	v_add3_u32 v68, v68, v78, v79
	v_mul_i32_i24_e32 v78, v39, v229
	v_add3_u32 v66, v66, v82, v83
	v_mul_i32_i24_e32 v79, v40, v230
	v_mul_i32_i24_e32 v82, v43, v205
	;; [unrolled: 1-line block ×3, first 2 shown]
	scratch_load_b32 v182, off, off offset:572 th:TH_LOAD_LU ; 4-byte Folded Reload
	v_add3_u32 v66, v66, v84, v85
	v_add3_u32 v68, v68, v78, v79
	v_mul_i32_i24_e32 v84, v45, v231
	v_mul_i32_i24_e32 v85, v46, v193
	;; [unrolled: 1-line block ×3, first 2 shown]
	v_add3_u32 v66, v66, v86, v87
	v_add3_u32 v68, v68, v80, v81
	v_mul_i32_i24_e32 v86, v47, v185
	v_mul_i32_i24_e32 v87, v48, v186
	;; [unrolled: 1-line block ×3, first 2 shown]
	v_add3_u32 v66, v66, v88, v89
	v_add3_u32 v68, v68, v82, v83
	v_mul_i32_i24_e32 v88, v49, v206
	v_mul_i32_i24_e32 v89, v53, v233
	scratch_load_b32 v183, off, off offset:660 th:TH_LOAD_LU ; 4-byte Folded Reload
	v_add3_u32 v66, v66, v90, v92
	v_add3_u32 v68, v68, v84, v85
	v_mul_i32_i24_e32 v90, v54, v234
	v_mul_i32_i24_e32 v92, v55, v175
	scratch_load_b32 v234, off, off offset:472 th:TH_LOAD_LU ; 4-byte Folded Reload
	v_add3_u32 v66, v66, v93, v96
	v_mul_i32_i24_e32 v96, v0, v145
	scratch_load_b32 v145, off, off offset:1128 ; 4-byte Folded Reload
	v_add3_u32 v68, v68, v86, v87
	v_mul_i32_i24_e32 v93, v56, v174
	v_add3_u32 v66, v66, v99, v103
	v_mul_i32_i24_e32 v99, v57, v146
	scratch_load_b32 v146, off, off offset:1228 th:TH_LOAD_LU ; 4-byte Folded Reload
	v_mul_i32_i24_e32 v103, v58, v148
	scratch_load_b32 v148, off, off offset:1132 ; 4-byte Folded Reload
	v_add3_u32 v66, v66, v104, v105
	v_mul_i32_i24_e32 v104, v59, v147
	scratch_load_b32 v147, off, off offset:1232 th:TH_LOAD_LU ; 4-byte Folded Reload
	v_add3_u32 v68, v68, v88, v89
	v_mul_i32_i24_e32 v105, v1, v149
	v_add3_u32 v66, v66, v106, v122
	v_mul_i32_i24_e32 v106, v60, v152
	v_mul_i32_i24_e32 v122, v61, v157
	v_add3_u32 v68, v68, v90, v92
	scratch_load_b32 v175, off, off offset:932 th:TH_LOAD_LU ; 4-byte Folded Reload
	v_add3_u32 v66, v66, v123, v124
	v_mul_i32_i24_e32 v123, v62, v156
	v_mul_i32_i24_e32 v124, v2, v158
	v_add3_u32 v68, v68, v93, v96
	scratch_load_b32 v149, off, off offset:516 th:TH_LOAD_LU ; 4-byte Folded Reload
	;; [unrolled: 5-line block ×3, first 2 shown]
	v_mul_lo_u32 v66, v66, v154
	s_clause 0x1
	scratch_load_b32 v152, off, off offset:160 th:TH_LOAD_LU
	scratch_load_b32 v185, off, off offset:944 th:TH_LOAD_LU
	v_add3_u32 v68, v68, v104, v105
	s_clause 0x3
	scratch_load_b32 v206, off, off offset:156 th:TH_LOAD_LU
	scratch_load_b32 v157, off, off offset:164 th:TH_LOAD_LU
	;; [unrolled: 1-line block ×4, first 2 shown]
	v_add3_u32 v68, v68, v106, v122
	v_cvt_f32_i32_e32 v66, v66
	s_clause 0x2
	scratch_load_b32 v193, off, off offset:1104 th:TH_LOAD_LU
	scratch_load_b32 v235, off, off offset:476 th:TH_LOAD_LU
	;; [unrolled: 1-line block ×3, first 2 shown]
	v_add3_u32 v68, v68, v123, v124
	v_fma_mix_f32 v66, v4, v66, 0 op_sel_hi:[1,0,0]
	scratch_load_b32 v174, off, off offset:492 th:TH_LOAD_LU ; 4-byte Folded Reload
	s_wait_loadcnt 0x2d
	v_mul_i32_i24_e32 v81, v12, v176
	v_mul_i32_i24_e32 v82, v13, v177
	v_add3_u32 v68, v68, v125, v126
	s_wait_loadcnt 0x2a
	v_mul_i32_i24_e32 v84, v15, v179
	s_wait_loadcnt 0x29
	v_mul_i32_i24_e32 v85, v16, v180
	;; [unrolled: 2-line block ×4, first 2 shown]
	v_add3_u32 v68, v68, v127, v128
	v_mul_i32_i24_e32 v96, v27, v187
	v_mul_i32_i24_e32 v99, v28, v188
	;; [unrolled: 1-line block ×6, first 2 shown]
	s_wait_loadcnt 0x1b
	v_mul_i32_i24_e32 v125, v36, v238
	s_wait_loadcnt 0x16
	v_mul_i32_i24_e32 v127, v65, v222
	;; [unrolled: 2-line block ×3, first 2 shown]
	v_mul_i32_i24_e32 v12, v12, v142
	v_mul_i32_i24_e32 v13, v13, v242
	;; [unrolled: 1-line block ×8, first 2 shown]
	s_wait_loadcnt 0x14
	v_mul_i32_i24_e32 v83, v14, v178
	v_mul_i32_i24_e32 v14, v14, v243
	s_wait_loadcnt 0x13
	v_mul_i32_i24_e32 v87, v21, v182
	s_wait_loadcnt 0x12
	;; [unrolled: 2-line block ×3, first 2 shown]
	v_mul_lo_u32 v68, v68, v146
	s_wait_loadcnt 0xd
	v_fma_mix_f32 v67, v147, v5, v67 op_sel:[0,1,0] op_sel_hi:[0,1,0]
	s_delay_alu instid0(VALU_DEP_2) | instskip(NEXT) | instid1(VALU_DEP_2)
	v_cvt_f32_i32_e32 v68, v68
	v_mul_f32_e32 v67, v67, v148
	s_delay_alu instid0(VALU_DEP_2) | instskip(SKIP_2) | instid1(VALU_DEP_3)
	v_fma_mix_f32 v66, v5, v68, v66 op_sel_hi:[1,0,0]
	v_mul_i32_i24_e32 v68, v20, v251
	v_mov_b32_e32 v251, v252
	v_fma_f32 v66, v66, v145, -v67
	scratch_load_b32 v67, off, off offset:680 ; 4-byte Folded Reload
	s_wait_loadcnt 0x9
	v_mul_i32_i24_e32 v92, v25, v185
	s_wait_loadcnt 0x6
	v_mul_i32_i24_e32 v93, v26, v186
	;; [unrolled: 2-line block ×6, first 2 shown]
	s_wait_loadcnt 0x0
	v_add_f32_e32 v67, v67, v66
	v_mul_i32_i24_e32 v66, v18, v117
	scratch_load_b32 v117, off, off offset:1036 th:TH_LOAD_LU ; 4-byte Folded Reload
	v_mul_i32_i24_e32 v18, v18, v139
	scratch_store_b32 off, v67, off offset:680 ; 4-byte Folded Spill
	v_mul_i32_i24_e32 v67, v19, v249
	v_mad_i32_i24 v66, v6, v250, v66
	v_dual_mov_b32 v249, v250 :: v_dual_mov_b32 v250, v139
	v_mad_i32_i24 v6, v6, v134, v18
	v_mul_i32_i24_e32 v19, v19, v141
	s_delay_alu instid0(VALU_DEP_4)
	v_add3_u32 v66, v66, v67, v68
	v_mul_i32_i24_e32 v67, v7, v252
	v_mul_i32_i24_e32 v68, v8, v253
	v_dual_mov_b32 v252, v253 :: v_dual_mov_b32 v253, v254
	v_mov_b32_e32 v254, v255
	scratch_load_b32 v255, off, off offset:468 th:TH_LOAD_LU ; 4-byte Folded Reload
	v_add3_u32 v66, v66, v67, v68
	v_mul_i32_i24_e32 v68, v50, v196
	v_mul_i32_i24_e32 v7, v7, v135
	;; [unrolled: 1-line block ×4, first 2 shown]
	v_add3_u32 v66, v66, v78, v79
	v_mul_i32_i24_e32 v78, v51, v197
	v_mul_i32_i24_e32 v79, v52, v236
	v_mad_i32_i24 v68, v38, v234, v68
	v_fma_mix_f32 v67, v194, v4, 0 op_sel:[0,1,0] op_sel_hi:[0,1,0]
	s_delay_alu instid0(VALU_DEP_2) | instskip(SKIP_2) | instid1(VALU_DEP_1)
	v_add3_u32 v68, v68, v78, v79
	v_mul_i32_i24_e32 v78, v39, v175
	v_mul_i32_i24_e32 v79, v40, v203
	v_add3_u32 v68, v68, v78, v79
	s_wait_loadcnt 0x1
	v_mul_i32_i24_e32 v80, v11, v117
	v_mul_i32_i24_e32 v11, v11, v140
	s_delay_alu instid0(VALU_DEP_2) | instskip(SKIP_2) | instid1(VALU_DEP_3)
	v_add3_u32 v66, v66, v80, v81
	v_mul_i32_i24_e32 v80, v41, v173
	v_mul_i32_i24_e32 v81, v42, v204
	v_add3_u32 v66, v66, v82, v83
	v_mul_i32_i24_e32 v82, v43, v216
	v_mul_i32_i24_e32 v83, v44, v217
	s_delay_alu instid0(VALU_DEP_4) | instskip(NEXT) | instid1(VALU_DEP_4)
	v_add3_u32 v68, v68, v80, v81
	v_add3_u32 v66, v66, v84, v85
	v_mul_i32_i24_e32 v84, v45, v218
	v_mul_i32_i24_e32 v85, v46, v149
	s_delay_alu instid0(VALU_DEP_4)
	v_add3_u32 v68, v68, v82, v83
	s_wait_loadcnt 0x0
	v_mul_i32_i24_e32 v89, v23, v255
	v_add3_u32 v66, v66, v86, v87
	v_mul_i32_i24_e32 v86, v47, v205
	v_mul_i32_i24_e32 v87, v48, v152
	v_add3_u32 v68, v68, v84, v85
	s_delay_alu instid0(VALU_DEP_4) | instskip(SKIP_2) | instid1(VALU_DEP_4)
	v_add3_u32 v66, v66, v88, v89
	v_mul_i32_i24_e32 v88, v49, v206
	v_mul_i32_i24_e32 v89, v53, v157
	v_add3_u32 v68, v68, v86, v87
	s_delay_alu instid0(VALU_DEP_4) | instskip(SKIP_2) | instid1(VALU_DEP_4)
	;; [unrolled: 5-line block ×3, first 2 shown]
	v_add3_u32 v66, v66, v93, v96
	v_mul_i32_i24_e32 v93, v56, v223
	v_mul_i32_i24_e32 v96, v0, v225
	v_add3_u32 v68, v68, v90, v92
	v_mul_i32_i24_e32 v0, v0, v109
	v_add3_u32 v66, v66, v99, v103
	v_mul_i32_i24_e32 v99, v57, v226
	v_mul_i32_i24_e32 v103, v58, v212
	v_add3_u32 v68, v68, v93, v96
	s_delay_alu instid0(VALU_DEP_4) | instskip(SKIP_2) | instid1(VALU_DEP_4)
	v_add3_u32 v66, v66, v104, v105
	v_mul_i32_i24_e32 v104, v59, v227
	v_mul_i32_i24_e32 v105, v1, v213
	v_add3_u32 v68, v68, v99, v103
	v_mul_i32_i24_e32 v1, v1, v113
	v_add3_u32 v66, v66, v106, v122
	v_mul_i32_i24_e32 v106, v60, v214
	v_mul_i32_i24_e32 v122, v61, v219
	v_add3_u32 v68, v68, v104, v105
	s_delay_alu instid0(VALU_DEP_4) | instskip(SKIP_2) | instid1(VALU_DEP_4)
	v_add3_u32 v66, v66, v123, v124
	v_mul_i32_i24_e32 v123, v62, v215
	v_mul_i32_i24_e32 v124, v2, v220
	v_add3_u32 v68, v68, v106, v122
	v_mul_i32_i24_e32 v2, v2, v248
	v_add3_u32 v66, v66, v125, v126
	v_mul_i32_i24_e32 v125, v63, v221
	v_mul_i32_i24_e32 v126, v64, v172
	v_add3_u32 v68, v68, v123, v124
	s_delay_alu instid0(VALU_DEP_4) | instskip(NEXT) | instid1(VALU_DEP_2)
	v_mul_lo_u32 v66, v66, v192
	v_add3_u32 v68, v68, v125, v126
	s_delay_alu instid0(VALU_DEP_1)
	v_add3_u32 v68, v68, v127, v128
	s_clause 0x14
	scratch_load_b32 v127, off, off offset:800 th:TH_LOAD_LU
	scratch_load_b32 v128, off, off offset:1052 th:TH_LOAD_LU
	;; [unrolled: 1-line block ×21, first 2 shown]
	v_cvt_f32_i32_e32 v66, v66
	s_clause 0x2
	scratch_load_b32 v201, off, off offset:1056 th:TH_LOAD_LU
	scratch_load_b32 v202, off, off offset:784
	scratch_load_b32 v200, off, off offset:780
	v_fma_mix_f32 v66, v4, v66, 0 op_sel_hi:[1,0,0]
	s_wait_loadcnt 0x16
	v_mul_lo_u32 v68, v68, v128
	s_wait_loadcnt 0x15
	v_mul_i32_i24_e32 v20, v20, v139
	s_wait_loadcnt 0x12
	v_mul_i32_i24_e32 v21, v24, v141
	s_delay_alu instid0(VALU_DEP_2)
	v_add3_u32 v6, v6, v19, v20
	v_mul_i32_i24_e32 v19, v22, v134
	v_mul_i32_i24_e32 v20, v23, v135
	s_wait_loadcnt 0x11
	v_mul_i32_i24_e32 v22, v25, v142
	s_wait_loadcnt 0x10
	v_mul_i32_i24_e32 v23, v26, v241
	v_add3_u32 v6, v6, v7, v8
	v_mul_i32_i24_e32 v7, v50, v130
	v_mul_i32_i24_e32 v8, v51, v131
	s_wait_loadcnt 0x8
	v_mul_i32_i24_e32 v24, v27, v242
	v_mul_i32_i24_e32 v25, v28, v228
	v_add3_u32 v6, v6, v9, v10
	v_mul_i32_i24_e32 v9, v52, v132
	v_mad_i32_i24 v7, v38, v129, v7
	v_mul_i32_i24_e32 v26, v29, v229
	v_mul_i32_i24_e32 v10, v41, v74
	v_add3_u32 v6, v6, v11, v12
	v_mul_i32_i24_e32 v11, v42, v76
	v_add3_u32 v7, v7, v8, v9
	v_mul_i32_i24_e32 v8, v39, v73
	v_mul_i32_i24_e32 v9, v40, v75
	v_add3_u32 v6, v6, v13, v14
	v_mul_i32_i24_e32 v27, v30, v230
	v_mul_i32_i24_e32 v28, v31, v231
	;; [unrolled: 1-line block ×3, first 2 shown]
	v_add3_u32 v7, v7, v8, v9
	v_add3_u32 v6, v6, v15, v16
	v_mul_i32_i24_e32 v13, v44, v94
	v_mul_i32_i24_e32 v29, v32, v233
	s_wait_loadcnt 0x7
	v_mul_i32_i24_e32 v30, v33, v136
	v_add3_u32 v7, v7, v10, v11
	v_add3_u32 v6, v6, v17, v18
	v_mul_i32_i24_e32 v14, v45, v91
	v_mul_i32_i24_e32 v15, v46, v95
	s_wait_loadcnt 0x6
	v_mul_i32_i24_e32 v31, v34, v137
	v_add3_u32 v7, v7, v12, v13
	v_add3_u32 v6, v6, v19, v20
	s_wait_loadcnt 0x5
	v_mul_i32_i24_e32 v32, v35, v138
	v_mul_i32_i24_e32 v16, v47, v97
	;; [unrolled: 1-line block ×3, first 2 shown]
	v_add3_u32 v7, v7, v14, v15
	v_add3_u32 v6, v6, v21, v22
	v_mul_i32_i24_e32 v33, v36, v240
	s_wait_loadcnt 0x4
	v_mul_i32_i24_e32 v34, v37, v140
	v_mul_i32_i24_e32 v18, v49, v98
	v_mul_i32_i24_e32 v19, v53, v101
	v_add3_u32 v6, v6, v23, v24
	v_add3_u32 v7, v7, v16, v17
	v_mul_i32_i24_e32 v20, v54, v102
	v_mul_i32_i24_e32 v21, v55, v108
	v_mul_i32_i24_e32 v22, v56, v107
	v_add3_u32 v6, v6, v25, v26
	v_add3_u32 v7, v7, v18, v19
	;; [unrolled: 5-line block ×4, first 2 shown]
	v_mul_i32_i24_e32 v29, v63, v118
	v_mul_i32_i24_e32 v30, v64, v120
	v_cvt_f32_i32_e32 v68, v68
	v_add3_u32 v6, v6, v31, v32
	v_add3_u32 v0, v0, v23, v24
	v_mul_i32_i24_e32 v31, v65, v119
	s_wait_loadcnt 0x2
	v_fma_mix_f32 v67, v201, v5, v67 op_sel:[0,1,0] op_sel_hi:[0,1,0]
	v_fma_mix_f32 v66, v5, v68, v66 op_sel_hi:[1,0,0]
	v_add3_u32 v6, v6, v33, v34
	v_add3_u32 v0, v0, v25, v1
	s_wait_loadcnt 0x1
	v_mul_f32_e32 v67, v67, v202
	s_delay_alu instid0(VALU_DEP_3) | instskip(NEXT) | instid1(VALU_DEP_3)
	v_mul_lo_u32 v6, v6, v232
	v_add3_u32 v0, v0, v26, v27
	s_wait_loadcnt 0x0
	s_delay_alu instid0(VALU_DEP_3) | instskip(SKIP_3) | instid1(VALU_DEP_2)
	v_fma_f32 v66, v66, v200, -v67
	scratch_load_b32 v67, off, off offset:676 ; 4-byte Folded Reload
	v_add3_u32 v0, v0, v28, v2
	v_cvt_f32_i32_e32 v6, v6
	v_add3_u32 v0, v0, v29, v30
	s_delay_alu instid0(VALU_DEP_2) | instskip(SKIP_1) | instid1(VALU_DEP_3)
	v_fma_mix_f32 v6, v4, v6, 0 op_sel_hi:[1,0,0]
	v_fma_mix_f32 v4, v243, v4, 0 op_sel:[0,1,0] op_sel_hi:[0,1,0]
	v_add3_u32 v0, v0, v31, v3
	s_delay_alu instid0(VALU_DEP_2) | instskip(NEXT) | instid1(VALU_DEP_2)
	v_fma_mix_f32 v1, v71, v5, v4 op_sel:[0,1,0] op_sel_hi:[0,1,0]
	v_mul_lo_u32 v0, v0, v72
	s_delay_alu instid0(VALU_DEP_2) | instskip(SKIP_2) | instid1(VALU_DEP_1)
	v_mul_f32_e32 v1, v1, v199
	scratch_load_b32 v199, off, off offset:176 ; 4-byte Folded Reload
	v_cvt_f32_i32_e32 v0, v0
	v_fma_mix_f32 v0, v5, v0, v6 op_sel_hi:[1,0,0]
	s_wait_loadcnt 0x1
	v_add_f32_e32 v67, v67, v66
	scratch_store_b32 off, v67, off offset:676 ; 4-byte Folded Spill
	s_wait_loadcnt 0x0
	v_fma_f32 v0, v0, v199, -v1
	s_delay_alu instid0(VALU_DEP_1)
	v_add_f32_e32 v127, v127, v0
	scratch_load_b32 v0, off, off offset:1284 ; 4-byte Folded Reload
	s_wait_loadcnt 0x0
	v_or_b32_e32 v0, s10, v0
	s_add_co_i32 s10, s7, 8
	s_cmp_lt_u32 s7, 24
	s_wait_alu 0xfffe
	s_mov_b32 s7, s10
	v_lshlrev_b32_e32 v1, 2, v0
	v_lshrrev_b32_e32 v16, 1, v0
	ds_load_b128 v[8:11], v1 offset:16896
	ds_load_b128 v[12:15], v1 offset:16912
	;; [unrolled: 1-line block ×4, first 2 shown]
	s_clause 0x4
	scratch_load_b32 v66, off, off offset:860 th:TH_LOAD_LU
	scratch_load_b32 v68, off, off offset:1148 th:TH_LOAD_LU
	;; [unrolled: 1-line block ×5, first 2 shown]
	ds_load_b64 v[27:28], v16 offset:27200
	s_wait_dscnt 0x4
	v_bfe_i32 v61, v8, 0, 8
	v_bfe_i32 v65, v8, 8, 8
	;; [unrolled: 1-line block ×3, first 2 shown]
	v_ashrrev_i32_e32 v60, 24, v9
	v_ashrrev_i32_e32 v54, 24, v10
	v_bfe_i32 v53, v11, 0, 8
	v_bfe_i32 v52, v11, 8, 8
	;; [unrolled: 1-line block ×3, first 2 shown]
	v_ashrrev_i32_e32 v50, 24, v11
	s_wait_dscnt 0x3
	v_bfe_i32 v45, v13, 0, 8
	v_bfe_i32 v41, v14, 0, 8
	;; [unrolled: 1-line block ×4, first 2 shown]
	v_ashrrev_i32_e32 v38, 24, v14
	v_bfe_i32 v35, v15, 16, 8
	v_bfe_i32 v58, v8, 16, 8
	v_ashrrev_i32_e32 v56, 24, v8
	v_ashrrev_i32_e32 v34, 24, v15
	v_bfe_i32 v64, v9, 0, 8
	v_bfe_i32 v63, v9, 8, 8
	s_wait_dscnt 0x2
	v_bfe_i32 v17, v4, 16, 8
	v_ashrrev_i32_e32 v16, 24, v4
	v_bfe_i32 v18, v4, 0, 8
	v_bfe_i32 v19, v4, 8, 8
	;; [unrolled: 1-line block ×7, first 2 shown]
	v_ashrrev_i32_e32 v29, 24, v5
	v_bfe_i32 v55, v10, 16, 8
	v_mul_i32_i24_e32 v80, v70, v59
	v_mul_i32_i24_e32 v81, v150, v57
	v_bfe_i32 v30, v6, 0, 8
	v_bfe_i32 v31, v6, 8, 8
	v_mul_i32_i24_e32 v82, v144, v55
	v_bfe_i32 v25, v6, 16, 8
	v_ashrrev_i32_e32 v23, 24, v6
	v_bfe_i32 v24, v7, 0, 8
	v_bfe_i32 v22, v7, 8, 8
	;; [unrolled: 1-line block ×5, first 2 shown]
	v_ashrrev_i32_e32 v20, 24, v7
	v_bfe_i32 v47, v12, 16, 8
	v_mul_i32_i24_e32 v88, v133, v49
	v_mul_i32_i24_e32 v89, v208, v48
	v_ashrrev_i32_e32 v46, 24, v12
	v_bfe_i32 v37, v15, 0, 8
	v_bfe_i32 v36, v15, 8, 8
	s_wait_dscnt 0x1
	v_bfe_i32 v15, v0, 0, 8
	v_mul_i32_i24_e32 v90, v207, v47
	v_mul_i32_i24_e32 v92, v155, v46
	v_bfe_i32 v14, v0, 8, 8
	v_bfe_i32 v44, v13, 8, 8
	;; [unrolled: 1-line block ×4, first 2 shown]
	v_ashrrev_i32_e32 v42, 24, v13
	v_ashrrev_i32_e32 v13, 24, v0
	v_mul_i32_i24_e32 v96, v239, v44
	v_bfe_i32 v11, v1, 0, 8
	v_mul_i32_i24_e32 v99, v211, v43
	v_mul_i32_i24_e32 v103, v210, v42
	v_bfe_i32 v12, v1, 8, 8
	v_bfe_i32 v8, v1, 16, 8
	v_ashrrev_i32_e32 v9, 24, v1
	v_bfe_i32 v4, v2, 0, 8
	v_bfe_i32 v5, v2, 8, 8
	v_bfe_i32 v6, v2, 16, 8
	v_ashrrev_i32_e32 v2, 24, v2
	v_bfe_i32 v7, v3, 0, 8
	v_bfe_i32 v1, v3, 8, 8
	;; [unrolled: 1-line block ×3, first 2 shown]
	v_ashrrev_i32_e32 v3, 24, v3
	v_mul_i32_i24_e32 v123, v209, v37
	v_mul_i32_i24_e32 v124, v151, v36
	;; [unrolled: 1-line block ×3, first 2 shown]
	s_wait_loadcnt 0x4
	v_mul_i32_i24_e32 v66, v66, v61
	s_wait_loadcnt 0x3
	v_mul_i32_i24_e32 v68, v68, v56
	;; [unrolled: 2-line block ×3, first 2 shown]
	s_wait_loadcnt 0x1
	v_mad_i32_i24 v66, v69, v65, v66
	scratch_load_b32 v69, off, off offset:1140 th:TH_LOAD_LU ; 4-byte Folded Reload
	v_add3_u32 v66, v66, v67, v68
	s_clause 0x1
	scratch_load_b32 v67, off, off offset:428 th:TH_LOAD_LU
	scratch_load_b32 v68, off, off offset:852 th:TH_LOAD_LU
	s_wait_loadcnt 0x2
	v_mul_i32_i24_e32 v78, v69, v62
	scratch_load_b32 v69, off, off offset:1144 th:TH_LOAD_LU ; 4-byte Folded Reload
	s_wait_loadcnt 0x2
	v_mul_i32_i24_e32 v67, v67, v64
	s_wait_loadcnt 0x1
	v_mul_i32_i24_e32 v68, v68, v63
	s_delay_alu instid0(VALU_DEP_1)
	v_add3_u32 v66, v66, v67, v68
	s_clause 0x1
	scratch_load_b32 v67, off, off offset:908 th:TH_LOAD_LU
	scratch_load_b32 v68, off, off offset:424 th:TH_LOAD_LU
	s_wait_loadcnt 0x2
	v_mul_i32_i24_e32 v79, v69, v60
	scratch_load_b32 v69, off, off offset:1152 th:TH_LOAD_LU ; 4-byte Folded Reload
	v_add3_u32 v66, v66, v78, v79
	s_delay_alu instid0(VALU_DEP_1)
	v_add3_u32 v66, v66, v80, v81
	s_wait_loadcnt_dscnt 0x200
	v_fma_mix_f32 v67, v67, v27, 0 op_sel:[0,1,0] op_sel_hi:[0,1,0]
	s_wait_loadcnt 0x1
	v_mul_i32_i24_e32 v68, v68, v18
	s_wait_loadcnt 0x0
	v_mul_i32_i24_e32 v83, v69, v54
	scratch_load_b32 v69, off, off offset:1160 th:TH_LOAD_LU ; 4-byte Folded Reload
	v_add3_u32 v66, v66, v82, v83
	s_wait_loadcnt 0x0
	v_mul_i32_i24_e32 v84, v69, v53
	scratch_load_b32 v69, off, off offset:1156 th:TH_LOAD_LU ; 4-byte Folded Reload
	s_wait_loadcnt 0x0
	v_mul_i32_i24_e32 v85, v69, v52
	scratch_load_b32 v69, off, off offset:912 th:TH_LOAD_LU ; 4-byte Folded Reload
	v_add3_u32 v66, v66, v84, v85
	s_wait_loadcnt 0x0
	v_mul_i32_i24_e32 v86, v69, v51
	scratch_load_b32 v69, off, off offset:432 th:TH_LOAD_LU ; 4-byte Folded Reload
	s_wait_loadcnt 0x0
	v_mul_i32_i24_e32 v87, v69, v50
	scratch_load_b32 v69, off, off offset:188 th:TH_LOAD_LU ; 4-byte Folded Reload
	v_add3_u32 v66, v66, v86, v87
	s_delay_alu instid0(VALU_DEP_1) | instskip(NEXT) | instid1(VALU_DEP_1)
	v_add3_u32 v66, v66, v88, v89
	v_add3_u32 v66, v66, v90, v92
	s_wait_loadcnt 0x0
	v_mul_i32_i24_e32 v93, v69, v45
	scratch_load_b32 v69, off, off offset:196 th:TH_LOAD_LU ; 4-byte Folded Reload
	v_add3_u32 v66, v66, v93, v96
	s_delay_alu instid0(VALU_DEP_1)
	v_add3_u32 v66, v66, v99, v103
	s_wait_loadcnt 0x0
	v_mul_i32_i24_e32 v104, v69, v41
	scratch_load_b32 v69, off, off offset:820 th:TH_LOAD_LU ; 4-byte Folded Reload
	s_wait_loadcnt 0x0
	v_mul_i32_i24_e32 v105, v69, v40
	scratch_load_b32 v69, off, off offset:816 th:TH_LOAD_LU ; 4-byte Folded Reload
	v_add3_u32 v66, v66, v104, v105
	s_wait_loadcnt 0x0
	v_mul_i32_i24_e32 v106, v69, v39
	scratch_load_b32 v69, off, off offset:192 th:TH_LOAD_LU ; 4-byte Folded Reload
	s_wait_loadcnt 0x0
	v_mul_i32_i24_e32 v122, v69, v38
	scratch_load_b32 v69, off, off offset:204 th:TH_LOAD_LU ; 4-byte Folded Reload
	v_add3_u32 v66, v66, v106, v122
	scratch_load_b32 v122, off, off offset:796 th:TH_LOAD_LU ; 4-byte Folded Reload
	v_add3_u32 v66, v66, v123, v124
	s_wait_loadcnt 0x1
	v_mul_i32_i24_e32 v125, v69, v35
	scratch_load_b32 v69, off, off offset:200 th:TH_LOAD_LU ; 4-byte Folded Reload
	s_wait_loadcnt 0x0
	v_mul_i32_i24_e32 v126, v69, v34
	scratch_load_b32 v69, off, off offset:420 th:TH_LOAD_LU ; 4-byte Folded Reload
	v_add3_u32 v66, v66, v125, v126
	s_delay_alu instid0(VALU_DEP_1) | instskip(NEXT) | instid1(VALU_DEP_1)
	v_mul_lo_u32 v66, v66, v143
	v_cvt_f32_i32_e32 v66, v66
	s_delay_alu instid0(VALU_DEP_1)
	v_fma_mix_f32 v66, v27, v66, 0 op_sel_hi:[1,0,0]
	s_wait_loadcnt 0x0
	v_mul_i32_i24_e32 v78, v69, v17
	scratch_load_b32 v69, off, off offset:904 th:TH_LOAD_LU ; 4-byte Folded Reload
	s_wait_loadcnt 0x0
	v_mul_i32_i24_e32 v79, v69, v16
	scratch_load_b32 v69, off, off offset:864 th:TH_LOAD_LU ; 4-byte Folded Reload
	s_wait_loadcnt 0x0
	v_mad_i32_i24 v68, v69, v19, v68
	scratch_load_b32 v69, off, off offset:1168 th:TH_LOAD_LU ; 4-byte Folded Reload
	v_add3_u32 v68, v68, v78, v79
	s_wait_loadcnt 0x0
	v_mul_i32_i24_e32 v78, v69, v33
	scratch_load_b32 v69, off, off offset:872 th:TH_LOAD_LU ; 4-byte Folded Reload
	s_wait_loadcnt 0x0
	v_mul_i32_i24_e32 v79, v69, v32
	scratch_load_b32 v69, off, off offset:1164 th:TH_LOAD_LU ; 4-byte Folded Reload
	v_add3_u32 v68, v68, v78, v79
	s_clause 0x1
	scratch_load_b32 v78, off, off offset:96 th:TH_LOAD_LU
	scratch_load_b32 v79, off, off offset:100 th:TH_LOAD_LU
	s_wait_loadcnt 0x2
	v_mul_i32_i24_e32 v80, v69, v26
	scratch_load_b32 v69, off, off offset:868 th:TH_LOAD_LU ; 4-byte Folded Reload
	s_wait_loadcnt 0x2
	v_mul_i32_i24_e32 v78, v50, v78
	s_wait_loadcnt 0x1
	v_mul_i32_i24_e32 v79, v49, v79
	s_wait_loadcnt 0x0
	v_mul_i32_i24_e32 v81, v69, v29
	scratch_load_b32 v69, off, off offset:920 th:TH_LOAD_LU ; 4-byte Folded Reload
	v_add3_u32 v68, v68, v80, v81
	s_clause 0x1
	scratch_load_b32 v80, off, off offset:296 th:TH_LOAD_LU
	scratch_load_b32 v81, off, off offset:104 th:TH_LOAD_LU
	s_wait_loadcnt 0x2
	v_mul_i32_i24_e32 v82, v69, v30
	scratch_load_b32 v69, off, off offset:368 th:TH_LOAD_LU ; 4-byte Folded Reload
	s_wait_loadcnt 0x2
	v_mul_i32_i24_e32 v80, v48, v80
	s_wait_loadcnt 0x1
	v_mul_i32_i24_e32 v81, v47, v81
	s_wait_loadcnt 0x0
	v_mul_i32_i24_e32 v83, v69, v31
	scratch_load_b32 v69, off, off offset:916 th:TH_LOAD_LU ; 4-byte Folded Reload
	v_add3_u32 v68, v68, v82, v83
	s_clause 0x1
	scratch_load_b32 v82, off, off offset:108 th:TH_LOAD_LU
	scratch_load_b32 v83, off, off offset:112 th:TH_LOAD_LU
	s_wait_loadcnt 0x2
	v_mul_i32_i24_e32 v84, v69, v25
	scratch_load_b32 v69, off, off offset:364 th:TH_LOAD_LU ; 4-byte Folded Reload
	s_wait_loadcnt 0x2
	v_mul_i32_i24_e32 v82, v46, v82
	s_wait_loadcnt 0x1
	v_mul_i32_i24_e32 v83, v45, v83
	s_wait_loadcnt 0x0
	v_mul_i32_i24_e32 v85, v69, v23
	scratch_load_b32 v69, off, off offset:376 th:TH_LOAD_LU ; 4-byte Folded Reload
	v_add3_u32 v68, v68, v84, v85
	s_clause 0x1
	scratch_load_b32 v84, off, off offset:300 th:TH_LOAD_LU
	scratch_load_b32 v85, off, off offset:304 th:TH_LOAD_LU
	s_wait_loadcnt 0x2
	v_mul_i32_i24_e32 v86, v69, v24
	scratch_load_b32 v69, off, off offset:372 th:TH_LOAD_LU ; 4-byte Folded Reload
	s_wait_loadcnt 0x2
	v_mul_i32_i24_e32 v84, v44, v84
	s_wait_loadcnt 0x1
	v_mul_i32_i24_e32 v85, v43, v85
	s_wait_loadcnt 0x0
	v_mul_i32_i24_e32 v87, v69, v22
	scratch_load_b32 v69, off, off offset:928 th:TH_LOAD_LU ; 4-byte Folded Reload
	v_add3_u32 v68, v68, v86, v87
	s_clause 0x1
	scratch_load_b32 v86, off, off offset:308 th:TH_LOAD_LU
	scratch_load_b32 v87, off, off offset:312 th:TH_LOAD_LU
	s_wait_loadcnt 0x2
	v_mul_i32_i24_e32 v88, v69, v21
	scratch_load_b32 v69, off, off offset:924 th:TH_LOAD_LU ; 4-byte Folded Reload
	s_wait_loadcnt 0x2
	v_mul_i32_i24_e32 v86, v42, v86
	s_wait_loadcnt 0x1
	v_mul_i32_i24_e32 v87, v41, v87
	s_wait_loadcnt 0x0
	v_mul_i32_i24_e32 v89, v69, v20
	scratch_load_b32 v69, off, off offset:388 th:TH_LOAD_LU ; 4-byte Folded Reload
	v_add3_u32 v68, v68, v88, v89
	scratch_load_b32 v88, off, off offset:316 th:TH_LOAD_LU ; 4-byte Folded Reload
	v_mul_i32_i24_e32 v89, v39, v153
	s_wait_loadcnt 0x1
	v_mul_i32_i24_e32 v90, v69, v15
	scratch_load_b32 v69, off, off offset:384 th:TH_LOAD_LU ; 4-byte Folded Reload
	s_wait_loadcnt 0x1
	v_mul_i32_i24_e32 v88, v40, v88
	s_wait_loadcnt 0x0
	v_mul_i32_i24_e32 v92, v69, v14
	scratch_load_b32 v69, off, off offset:876 th:TH_LOAD_LU ; 4-byte Folded Reload
	v_add3_u32 v68, v68, v90, v92
	v_mul_i32_i24_e32 v92, v37, v91
	scratch_load_b32 v91, off, off offset:240 th:TH_LOAD_LU ; 4-byte Folded Reload
	v_mul_i32_i24_e32 v90, v38, v169
	s_wait_loadcnt 0x1
	v_mul_i32_i24_e32 v93, v69, v10
	scratch_load_b32 v69, off, off offset:380 th:TH_LOAD_LU ; 4-byte Folded Reload
	s_wait_loadcnt 0x0
	v_mul_i32_i24_e32 v96, v69, v13
	scratch_load_b32 v69, off, off offset:396 th:TH_LOAD_LU ; 4-byte Folded Reload
	v_add3_u32 v68, v68, v93, v96
	v_mul_i32_i24_e32 v93, v36, v91
	scratch_load_b32 v91, off, off offset:80 th:TH_LOAD_LU ; 4-byte Folded Reload
	s_wait_loadcnt 0x1
	v_mul_i32_i24_e32 v99, v69, v11
	scratch_load_b32 v69, off, off offset:884 th:TH_LOAD_LU ; 4-byte Folded Reload
	s_wait_loadcnt 0x1
	v_mul_i32_i24_e32 v96, v35, v91
	s_wait_loadcnt 0x0
	v_mul_i32_i24_e32 v103, v69, v12
	scratch_load_b32 v69, off, off offset:880 th:TH_LOAD_LU ; 4-byte Folded Reload
	v_add3_u32 v68, v68, v99, v103
	s_wait_loadcnt 0x0
	v_mul_i32_i24_e32 v104, v69, v8
	scratch_load_b32 v69, off, off offset:392 th:TH_LOAD_LU ; 4-byte Folded Reload
	s_wait_loadcnt 0x0
	v_mul_i32_i24_e32 v105, v69, v9
	scratch_load_b32 v69, off, off offset:408 th:TH_LOAD_LU ; 4-byte Folded Reload
	v_add3_u32 v68, v68, v104, v105
	s_wait_loadcnt 0x0
	v_mul_i32_i24_e32 v74, v69, v4
	scratch_load_b32 v69, off, off offset:888 th:TH_LOAD_LU ; 4-byte Folded Reload
	s_wait_loadcnt 0x0
	v_mul_i32_i24_e32 v76, v69, v5
	scratch_load_b32 v69, off, off offset:404 th:TH_LOAD_LU ; 4-byte Folded Reload
	v_add3_u32 v68, v68, v74, v76
	s_clause 0x1
	scratch_load_b32 v74, off, off offset:836 th:TH_LOAD_LU
	scratch_load_b32 v76, off, off offset:844 th:TH_LOAD_LU
	s_wait_loadcnt 0x2
	v_mul_i32_i24_e32 v77, v69, v6
	scratch_load_b32 v69, off, off offset:400 th:TH_LOAD_LU ; 4-byte Folded Reload
	s_wait_loadcnt 0x2
	v_mul_i32_i24_e32 v74, v54, v74
	s_wait_loadcnt 0x1
	v_mul_i32_i24_e32 v76, v52, v76
	;; [unrolled: 2-line block ×3, first 2 shown]
	scratch_load_b32 v69, off, off offset:416 th:TH_LOAD_LU ; 4-byte Folded Reload
	v_add3_u32 v68, v68, v77, v106
	scratch_load_b32 v77, off, off offset:92 th:TH_LOAD_LU ; 4-byte Folded Reload
	s_wait_loadcnt 0x1
	v_mul_i32_i24_e32 v71, v69, v7
	scratch_load_b32 v69, off, off offset:412 th:TH_LOAD_LU ; 4-byte Folded Reload
	s_wait_loadcnt 0x1
	v_mul_i32_i24_e32 v77, v51, v77
	s_wait_loadcnt 0x0
	v_mul_i32_i24_e32 v72, v69, v1
	scratch_load_b32 v69, off, off offset:116 th:TH_LOAD_LU ; 4-byte Folded Reload
	v_add3_u32 v68, v68, v71, v72
	scratch_load_b32 v72, off, off offset:56 th:TH_LOAD_LU ; 4-byte Folded Reload
	v_mul_i32_i24_e32 v71, v59, v170
	s_wait_loadcnt 0x1
	v_mul_i32_i24_e32 v73, v69, v0
	scratch_load_b32 v69, off, off offset:892 th:TH_LOAD_LU ; 4-byte Folded Reload
	s_wait_loadcnt 0x1
	v_mul_i32_i24_e32 v72, v57, v72
	s_wait_loadcnt 0x0
	v_mul_i32_i24_e32 v75, v69, v3
	scratch_load_b32 v69, off, off offset:896 th:TH_LOAD_LU ; 4-byte Folded Reload
	v_add3_u32 v68, v68, v73, v75
	s_clause 0x1
	scratch_load_b32 v73, off, off offset:232 th:TH_LOAD_LU
	scratch_load_b32 v75, off, off offset:236 th:TH_LOAD_LU
	s_wait_loadcnt 0x2
	v_mul_lo_u32 v68, v68, v69
	v_mul_i32_i24_e32 v69, v62, v164
	s_wait_loadcnt 0x1
	v_mul_i32_i24_e32 v73, v55, v73
	s_wait_loadcnt 0x0
	v_mul_i32_i24_e32 v75, v53, v75
	s_delay_alu instid0(VALU_DEP_4) | instskip(NEXT) | instid1(VALU_DEP_1)
	v_cvt_f32_i32_e32 v68, v68
	v_fma_mix_f32 v66, v28, v68, v66 op_sel_hi:[1,0,0]
	scratch_load_b32 v68, off, off offset:900 th:TH_LOAD_LU ; 4-byte Folded Reload
	s_wait_loadcnt 0x0
	v_fma_mix_f32 v67, v68, v28, v67 op_sel:[0,1,0] op_sel_hi:[0,1,0]
	scratch_load_b32 v68, off, off offset:180 ; 4-byte Folded Reload
	s_wait_loadcnt 0x0
	v_mul_f32_e32 v67, v67, v68
	s_clause 0x3
	scratch_load_b32 v68, off, off offset:776
	scratch_load_b32 v151, off, off offset:1316
	scratch_load_b32 v91, off, off offset:84 th:TH_LOAD_LU
	scratch_load_b32 v153, off, off offset:804
	s_wait_loadcnt 0x3
	v_fma_f32 v66, v66, v68, -v67
	v_mul_i32_i24_e32 v67, v58, v171
	v_mul_i32_i24_e32 v68, v56, v161
	s_wait_loadcnt 0x1
	v_mul_i32_i24_e32 v99, v34, v91
	v_add_f32_e32 v122, v122, v66
	v_mul_i32_i24_e32 v66, v61, v159
	s_delay_alu instid0(VALU_DEP_1) | instskip(NEXT) | instid1(VALU_DEP_1)
	v_mad_i32_i24 v66, v65, v160, v66
	v_add3_u32 v66, v66, v67, v68
	v_mul_i32_i24_e32 v67, v64, v162
	v_mul_i32_i24_e32 v68, v63, v163
	s_delay_alu instid0(VALU_DEP_1) | instskip(SKIP_2) | instid1(VALU_DEP_3)
	v_add3_u32 v66, v66, v67, v68
	v_mul_i32_i24_e32 v68, v18, v167
	v_fma_mix_f32 v67, v166, v27, 0 op_sel:[0,1,0] op_sel_hi:[0,1,0]
	v_add3_u32 v66, v66, v69, v70
	scratch_load_b32 v70, off, off offset:320 th:TH_LOAD_LU ; 4-byte Folded Reload
	v_mul_i32_i24_e32 v69, v17, v168
	v_fma_mix_f32 v67, v147, v28, v67 op_sel:[0,1,0] op_sel_hi:[0,1,0]
	v_add3_u32 v66, v66, v71, v72
	scratch_load_b32 v71, off, off offset:60 th:TH_LOAD_LU ; 4-byte Folded Reload
	v_mul_f32_e32 v67, v67, v148
	v_add3_u32 v66, v66, v73, v74
	s_delay_alu instid0(VALU_DEP_1) | instskip(NEXT) | instid1(VALU_DEP_1)
	v_add3_u32 v66, v66, v75, v76
	v_add3_u32 v66, v66, v77, v78
	s_delay_alu instid0(VALU_DEP_1) | instskip(NEXT) | instid1(VALU_DEP_1)
	v_add3_u32 v66, v66, v79, v80
	;; [unrolled: 3-line block ×5, first 2 shown]
	v_add3_u32 v66, v66, v96, v99
	s_delay_alu instid0(VALU_DEP_1) | instskip(NEXT) | instid1(VALU_DEP_1)
	v_mul_lo_u32 v66, v66, v154
	v_cvt_f32_i32_e32 v66, v66
	s_delay_alu instid0(VALU_DEP_1) | instskip(SKIP_4) | instid1(VALU_DEP_1)
	v_fma_mix_f32 v66, v27, v66, 0 op_sel_hi:[1,0,0]
	s_wait_loadcnt 0x1
	v_mul_i32_i24_e32 v70, v16, v70
	s_wait_loadcnt 0x0
	v_mad_i32_i24 v68, v19, v71, v68
	v_add3_u32 v68, v68, v69, v70
	s_clause 0x18
	scratch_load_b32 v69, off, off offset:324 th:TH_LOAD_LU
	scratch_load_b32 v155, off, off offset:1296
	scratch_load_b32 v70, off, off offset:328 th:TH_LOAD_LU
	scratch_load_b32 v71, off, off offset:244 th:TH_LOAD_LU
	;; [unrolled: 1-line block ×6, first 2 shown]
	scratch_load_b32 v154, off, off offset:1292
	scratch_load_b32 v76, off, off offset:248 th:TH_LOAD_LU
	scratch_load_b32 v79, off, off offset:292 th:TH_LOAD_LU
	;; [unrolled: 1-line block ×16, first 2 shown]
	s_wait_loadcnt 0x18
	v_mul_i32_i24_e32 v69, v33, v69
	s_wait_loadcnt 0x16
	v_mul_i32_i24_e32 v70, v32, v70
	;; [unrolled: 2-line block ×6, first 2 shown]
	v_add3_u32 v68, v68, v69, v70
	s_wait_loadcnt 0x11
	v_mul_i32_i24_e32 v73, v30, v73
	s_wait_loadcnt 0xf
	v_mul_i32_i24_e32 v76, v23, v76
	;; [unrolled: 2-line block ×4, first 2 shown]
	v_add3_u32 v68, v68, v71, v72
	s_wait_loadcnt 0xc
	v_mul_i32_i24_e32 v81, v15, v81
	s_wait_loadcnt 0x9
	v_mul_i32_i24_e32 v92, v6, v91
	scratch_load_b32 v91, off, off offset:76 th:TH_LOAD_LU ; 4-byte Folded Reload
	s_wait_loadcnt 0x8
	v_mul_i32_i24_e32 v77, v24, v77
	v_add3_u32 v68, v68, v73, v74
	s_wait_loadcnt 0x7
	v_mul_i32_i24_e32 v78, v22, v78
	s_wait_loadcnt 0x6
	v_mul_i32_i24_e32 v82, v14, v82
	;; [unrolled: 2-line block ×4, first 2 shown]
	v_add3_u32 v68, v68, v75, v76
	v_mul_i32_i24_e32 v85, v11, v85
	v_mul_i32_i24_e32 v86, v12, v86
	;; [unrolled: 1-line block ×4, first 2 shown]
	v_add3_u32 v68, v68, v77, v78
	s_wait_loadcnt 0x2
	v_mul_i32_i24_e32 v89, v4, v89
	s_wait_loadcnt 0x1
	v_mul_i32_i24_e32 v90, v5, v90
	v_mul_i32_i24_e32 v69, v62, v253
	v_mul_i32_i24_e32 v70, v60, v254
	v_add3_u32 v68, v68, v79, v80
	v_mul_i32_i24_e32 v71, v59, v117
	v_mul_i32_i24_e32 v72, v57, v176
	v_mul_i32_i24_e32 v73, v55, v177
	v_mul_i32_i24_e32 v74, v54, v178
	v_add3_u32 v68, v68, v81, v82
	v_mul_i32_i24_e32 v75, v53, v179
	;; [unrolled: 5-line block ×6, first 2 shown]
	v_mul_i32_i24_e32 v90, v38, v195
	v_mul_i32_i24_e32 v51, v51, v246
	;; [unrolled: 1-line block ×15, first 2 shown]
	s_wait_loadcnt 0x0
	v_mul_i32_i24_e32 v93, v2, v91
	scratch_load_b32 v91, off, off offset:348 th:TH_LOAD_LU ; 4-byte Folded Reload
	v_add3_u32 v68, v68, v92, v93
	v_mul_i32_i24_e32 v92, v36, v237
	v_mul_i32_i24_e32 v93, v35, v238
	;; [unrolled: 1-line block ×4, first 2 shown]
	s_wait_loadcnt 0x0
	v_mul_i32_i24_e32 v94, v7, v91
	scratch_load_b32 v91, off, off offset:356 th:TH_LOAD_LU ; 4-byte Folded Reload
	s_wait_loadcnt 0x0
	v_mul_i32_i24_e32 v96, v1, v91
	scratch_load_b32 v91, off, off offset:352 th:TH_LOAD_LU ; 4-byte Folded Reload
	v_add3_u32 v68, v68, v94, v96
	v_mul_i32_i24_e32 v94, v34, v174
	v_mul_i32_i24_e32 v96, v3, v198
	;; [unrolled: 1-line block ×3, first 2 shown]
	s_wait_loadcnt 0x0
	v_mul_i32_i24_e32 v95, v0, v91
	scratch_load_b32 v91, off, off offset:360 th:TH_LOAD_LU ; 4-byte Folded Reload
	s_wait_loadcnt 0x0
	v_mul_i32_i24_e32 v97, v3, v91
	v_mul_i32_i24_e32 v91, v37, v235
	;; [unrolled: 1-line block ×3, first 2 shown]
	s_delay_alu instid0(VALU_DEP_3) | instskip(SKIP_4) | instid1(VALU_DEP_1)
	v_add3_u32 v68, v68, v95, v97
	scratch_load_b32 v97, off, off offset:792 th:TH_LOAD_LU ; 4-byte Folded Reload
	v_mul_i32_i24_e32 v95, v0, v222
	v_mul_i32_i24_e32 v0, v0, v119
	v_mul_lo_u32 v68, v68, v146
	v_cvt_f32_i32_e32 v68, v68
	s_delay_alu instid0(VALU_DEP_1)
	v_fma_mix_f32 v66, v28, v68, v66 op_sel_hi:[1,0,0]
	scratch_load_b32 v68, off, off offset:832 th:TH_LOAD_LU ; 4-byte Folded Reload
	v_fma_f32 v66, v66, v145, -v67
	scratch_load_b32 v67, off, off offset:828 th:TH_LOAD_LU ; 4-byte Folded Reload
	s_wait_loadcnt 0x2
	v_add_f32_e32 v97, v97, v66
	scratch_load_b32 v66, off, off offset:1136 th:TH_LOAD_LU ; 4-byte Folded Reload
	s_wait_loadcnt 0x2
	v_mul_i32_i24_e32 v68, v56, v68
	v_mul_i32_i24_e32 v56, v56, v139
	s_wait_loadcnt 0x1
	v_mul_i32_i24_e32 v67, v58, v67
	s_wait_loadcnt 0x0
	v_mul_i32_i24_e32 v66, v61, v66
	v_mul_i32_i24_e32 v61, v61, v250
	s_delay_alu instid0(VALU_DEP_2) | instskip(NEXT) | instid1(VALU_DEP_1)
	v_mad_i32_i24 v66, v65, v249, v66
	v_add3_u32 v66, v66, v67, v68
	v_mul_i32_i24_e32 v67, v64, v251
	v_mul_i32_i24_e32 v68, v63, v252
	s_delay_alu instid0(VALU_DEP_1) | instskip(SKIP_3) | instid1(VALU_DEP_4)
	v_add3_u32 v66, v66, v67, v68
	v_mul_i32_i24_e32 v68, v18, v196
	v_fma_mix_f32 v67, v194, v27, 0 op_sel:[0,1,0] op_sel_hi:[0,1,0]
	v_mul_i32_i24_e32 v18, v18, v130
	v_add3_u32 v66, v66, v69, v70
	v_mul_i32_i24_e32 v69, v17, v197
	v_mul_i32_i24_e32 v70, v16, v236
	v_mad_i32_i24 v68, v19, v234, v68
	v_fma_mix_f32 v67, v201, v28, v67 op_sel:[0,1,0] op_sel_hi:[0,1,0]
	v_add3_u32 v66, v66, v71, v72
	v_mul_i32_i24_e32 v71, v26, v173
	v_mul_i32_i24_e32 v72, v29, v204
	v_add3_u32 v68, v68, v69, v70
	v_mul_i32_i24_e32 v69, v33, v175
	v_mul_i32_i24_e32 v70, v32, v203
	v_add3_u32 v66, v66, v73, v74
	v_mul_i32_i24_e32 v73, v30, v216
	v_mul_i32_i24_e32 v74, v31, v217
	v_mul_f32_e32 v67, v67, v202
	v_add3_u32 v68, v68, v69, v70
	v_add3_u32 v66, v66, v75, v76
	v_mul_i32_i24_e32 v75, v25, v218
	v_mul_i32_i24_e32 v76, v23, v149
	s_clause 0x1
	scratch_load_b32 v70, off, off offset:1308
	scratch_load_b32 v69, off, off offset:1288
	v_add3_u32 v68, v68, v71, v72
	v_add3_u32 v66, v66, v77, v78
	v_mul_i32_i24_e32 v77, v24, v205
	v_mul_i32_i24_e32 v78, v22, v152
	scratch_load_b32 v71, off, off offset:1312 ; 4-byte Folded Reload
	v_add3_u32 v68, v68, v73, v74
	v_add3_u32 v66, v66, v79, v80
	v_mul_i32_i24_e32 v79, v21, v206
	v_mul_i32_i24_e32 v80, v20, v157
	;; [unrolled: 1-line block ×3, first 2 shown]
	v_add3_u32 v68, v68, v75, v76
	v_add3_u32 v66, v66, v81, v82
	v_mul_i32_i24_e32 v81, v15, v158
	v_mul_i32_i24_e32 v82, v14, v224
	;; [unrolled: 1-line block ×3, first 2 shown]
	v_add3_u32 v68, v68, v77, v78
	v_add3_u32 v66, v66, v83, v84
	v_mul_i32_i24_e32 v83, v10, v223
	v_mul_i32_i24_e32 v84, v13, v225
	v_mad_i32_i24 v18, v19, v129, v18
	v_add3_u32 v68, v68, v79, v80
	v_add3_u32 v66, v66, v85, v86
	v_mul_i32_i24_e32 v85, v11, v226
	v_mul_i32_i24_e32 v86, v12, v212
	v_mul_i32_i24_e32 v22, v22, v100
	v_add3_u32 v68, v68, v81, v82
	v_add3_u32 v66, v66, v87, v88
	v_mul_i32_i24_e32 v87, v8, v227
	v_mul_i32_i24_e32 v88, v9, v213
	v_mul_i32_i24_e32 v19, v20, v101
	;; [unrolled: 5-line block ×3, first 2 shown]
	v_add3_u32 v68, v68, v85, v86
	v_add3_u32 v66, v66, v91, v92
	v_mul_i32_i24_e32 v91, v6, v215
	v_mul_i32_i24_e32 v92, v2, v220
	s_delay_alu instid0(VALU_DEP_4) | instskip(NEXT) | instid1(VALU_DEP_4)
	v_add3_u32 v68, v68, v87, v88
	v_add3_u32 v66, v66, v93, v94
	v_mul_i32_i24_e32 v93, v7, v221
	v_mul_i32_i24_e32 v94, v1, v172
	s_delay_alu instid0(VALU_DEP_4) | instskip(NEXT) | instid1(VALU_DEP_4)
	v_add3_u32 v68, v68, v89, v90
	v_mul_lo_u32 v66, v66, v192
	s_delay_alu instid0(VALU_DEP_2) | instskip(NEXT) | instid1(VALU_DEP_2)
	v_add3_u32 v68, v68, v91, v92
	v_cvt_f32_i32_e32 v66, v66
	s_delay_alu instid0(VALU_DEP_2) | instskip(NEXT) | instid1(VALU_DEP_2)
	v_add3_u32 v68, v68, v93, v94
	v_fma_mix_f32 v66, v27, v66, 0 op_sel_hi:[1,0,0]
	s_delay_alu instid0(VALU_DEP_2) | instskip(NEXT) | instid1(VALU_DEP_1)
	v_add3_u32 v68, v68, v95, v96
	v_mul_lo_u32 v68, v68, v128
	s_delay_alu instid0(VALU_DEP_1) | instskip(NEXT) | instid1(VALU_DEP_1)
	v_cvt_f32_i32_e32 v68, v68
	v_fma_mix_f32 v66, v28, v68, v66 op_sel_hi:[1,0,0]
	s_delay_alu instid0(VALU_DEP_1)
	v_fma_f32 v66, v66, v200, -v67
	scratch_load_b32 v67, off, off          ; 4-byte Folded Reload
	s_wait_loadcnt 0x0
	v_add_f32_e32 v67, v67, v66
	scratch_store_b32 off, v67, off         ; 4-byte Folded Spill
	s_clause 0x1
	scratch_load_b32 v66, off, off
	scratch_load_b32 v67, off, off offset:52 th:TH_LOAD_LU
	s_wait_loadcnt 0x0
	v_mul_i32_i24_e32 v58, v58, v67
	scratch_load_b32 v67, off, off offset:824 th:TH_LOAD_LU ; 4-byte Folded Reload
	s_wait_loadcnt 0x0
	v_mad_i32_i24 v61, v65, v67, v61
	s_delay_alu instid0(VALU_DEP_1)
	v_add3_u32 v56, v61, v58, v56
	scratch_load_b32 v58, off, off offset:36 th:TH_LOAD_LU ; 4-byte Folded Reload
	s_wait_loadcnt 0x0
	v_mul_i32_i24_e32 v58, v64, v58
	s_clause 0x1
	scratch_load_b32 v64, off, off offset:1256
	scratch_load_b32 v61, off, off offset:40 th:TH_LOAD_LU
	s_wait_loadcnt 0x0
	v_mul_i32_i24_e32 v61, v63, v61
	scratch_load_b32 v63, off, off offset:216 th:TH_LOAD_LU ; 4-byte Folded Reload
	v_add3_u32 v56, v56, v58, v61
	s_wait_loadcnt 0x0
	v_mul_i32_i24_e32 v62, v62, v63
	scratch_load_b32 v63, off, off offset:220 th:TH_LOAD_LU ; 4-byte Folded Reload
	s_wait_loadcnt 0x0
	v_mul_i32_i24_e32 v60, v60, v63
	scratch_load_b32 v63, off, off offset:224 th:TH_LOAD_LU ; 4-byte Folded Reload
	v_add3_u32 v56, v56, v62, v60
	s_wait_loadcnt 0x0
	v_mul_i32_i24_e32 v59, v59, v63
	scratch_load_b32 v63, off, off offset:228 th:TH_LOAD_LU ; 4-byte Folded Reload
	;; [unrolled: 7-line block ×3, first 2 shown]
	s_wait_loadcnt 0x0
	v_mul_i32_i24_e32 v54, v54, v63
	s_delay_alu instid0(VALU_DEP_1) | instskip(NEXT) | instid1(VALU_DEP_1)
	v_add3_u32 v54, v56, v55, v54
	v_add3_u32 v52, v54, v53, v52
	s_delay_alu instid0(VALU_DEP_1) | instskip(NEXT) | instid1(VALU_DEP_1)
	v_add3_u32 v50, v52, v51, v50
	v_add3_u32 v48, v50, v49, v48
	;; [unrolled: 3-line block ×4, first 2 shown]
	s_delay_alu instid0(VALU_DEP_1) | instskip(SKIP_2) | instid1(VALU_DEP_1)
	v_add3_u32 v38, v40, v39, v38
	scratch_load_b32 v40, off, off offset:788 th:TH_LOAD_LU ; 4-byte Folded Reload
	v_add3_u32 v36, v38, v37, v36
	v_add3_u32 v34, v36, v35, v34
	;; [unrolled: 1-line block ×3, first 2 shown]
	scratch_load_b32 v16, off, off offset:208 th:TH_LOAD_LU ; 4-byte Folded Reload
	v_mul_i32_i24_e32 v17, v14, v108
	v_mul_i32_i24_e32 v14, v10, v107
	;; [unrolled: 1-line block ×7, first 2 shown]
	v_mul_lo_u32 v34, v34, v232
	s_delay_alu instid0(VALU_DEP_1) | instskip(NEXT) | instid1(VALU_DEP_1)
	v_cvt_f32_i32_e32 v34, v34
	v_fma_mix_f32 v34, v27, v34, 0 op_sel_hi:[1,0,0]
	v_fma_mix_f32 v27, v243, v27, 0 op_sel:[0,1,0] op_sel_hi:[0,1,0]
	s_wait_loadcnt 0x0
	v_mul_i32_i24_e32 v36, v33, v16
	scratch_load_b32 v16, off, off offset:12 th:TH_LOAD_LU ; 4-byte Folded Reload
	s_wait_loadcnt 0x0
	v_mul_i32_i24_e32 v37, v32, v16
	scratch_load_b32 v16, off, off offset:212 th:TH_LOAD_LU ; 4-byte Folded Reload
	v_add3_u32 v3, v35, v36, v37
	s_wait_loadcnt 0x0
	v_mul_i32_i24_e32 v32, v26, v16
	scratch_load_b32 v16, off, off offset:16 th:TH_LOAD_LU ; 4-byte Folded Reload
	s_wait_loadcnt 0x0
	v_mul_i32_i24_e32 v33, v29, v16
	scratch_load_b32 v16, off, off offset:20 th:TH_LOAD_LU ; 4-byte Folded Reload
	v_add3_u32 v3, v3, v32, v33
	;; [unrolled: 7-line block ×4, first 2 shown]
	scratch_load_b32 v25, off, off offset:1248 ; 4-byte Folded Reload
	s_wait_loadcnt 0x1
	v_mul_i32_i24_e32 v23, v24, v16
	v_mul_i32_i24_e32 v16, v15, v102
	;; [unrolled: 1-line block ×5, first 2 shown]
	v_add3_u32 v3, v3, v23, v22
	v_mul_i32_i24_e32 v9, v5, v116
	v_mul_i32_i24_e32 v5, v6, v115
	;; [unrolled: 1-line block ×4, first 2 shown]
	v_add3_u32 v3, v3, v18, v19
	scratch_load_b32 v23, off, off offset:808 ; 4-byte Folded Reload
	v_add3_u32 v3, v3, v16, v17
	s_delay_alu instid0(VALU_DEP_1) | instskip(NEXT) | instid1(VALU_DEP_1)
	v_add3_u32 v3, v3, v14, v15
	v_add3_u32 v3, v3, v13, v12
	s_delay_alu instid0(VALU_DEP_1) | instskip(NEXT) | instid1(VALU_DEP_1)
	v_add3_u32 v3, v3, v10, v11
	;; [unrolled: 3-line block ×3, first 2 shown]
	v_add3_u32 v2, v3, v2, v4
	s_delay_alu instid0(VALU_DEP_1)
	v_add3_u32 v0, v2, v0, v1
	scratch_load_b32 v1, off, off offset:812 th:TH_LOAD_LU ; 4-byte Folded Reload
	s_wait_loadcnt 0x0
	v_mul_lo_u32 v0, v0, v1
	scratch_load_b32 v1, off, off offset:184 th:TH_LOAD_LU ; 4-byte Folded Reload
	v_cvt_f32_i32_e32 v0, v0
	s_delay_alu instid0(VALU_DEP_1)
	v_fma_mix_f32 v0, v28, v0, v34 op_sel_hi:[1,0,0]
	s_wait_loadcnt 0x0
	v_fma_mix_f32 v1, v1, v28, v27 op_sel:[0,1,0] op_sel_hi:[0,1,0]
	s_clause 0x1
	scratch_load_b32 v27, off, off offset:1252
	scratch_load_b32 v2, off, off offset:4
	s_wait_loadcnt 0x0
	v_mul_f32_e32 v1, v1, v2
	s_delay_alu instid0(VALU_DEP_1) | instskip(NEXT) | instid1(VALU_DEP_1)
	v_fma_f32 v0, v0, v199, -v1
	v_add_f32_e32 v40, v40, v0
	s_cbranch_scc1 .LBB132_8
; %bb.9:                                ;   in Loop: Header=BB132_5 Depth=1
	s_clause 0x18
	scratch_load_b32 v67, off, off offset:772
	scratch_load_b32 v65, off, off offset:768
	;; [unrolled: 1-line block ×25, first 2 shown]
	v_mov_b32_e32 v68, v23
	s_add_co_i32 s4, s4, 1
	s_wait_loadcnt 0x0
	s_wait_storecnt 0x0
	s_wait_alu 0xfffe
	s_cmp_eq_u32 s4, s15
	s_barrier_signal -1
	s_barrier_wait -1
	global_inv scope:SCOPE_SE
	s_cbranch_scc0 .LBB132_5
; %bb.10:
	s_clause 0x2
	scratch_load_b32 v1, off, off offset:1680 th:TH_LOAD_LU
	scratch_load_b32 v2, off, off offset:1684 th:TH_LOAD_LU
	scratch_load_b32 v3, off, off offset:1688
.LBB132_11:
	s_mov_b32 s0, exec_lo
	s_wait_loadcnt 0x0
	v_cmpx_gt_u32_e64 s6, v3
	s_cbranch_execz .LBB132_62
; %bb.12:
	v_add_nc_u32_e32 v0, s14, v2
	v_mul_lo_u32 v5, v3, s12
	s_delay_alu instid0(VALU_DEP_2)
	v_cmp_gt_u32_e32 vcc_lo, s12, v0
	s_and_saveexec_b32 s1, vcc_lo
	s_cbranch_execz .LBB132_14
; %bb.13:
	s_delay_alu instid0(VALU_DEP_2) | instskip(NEXT) | instid1(VALU_DEP_1)
	v_dual_mov_b32 v3, 0 :: v_dual_add_nc_u32 v2, v0, v5
	v_lshlrev_b64_e32 v[2:3], 2, v[2:3]
	s_wait_kmcnt 0x0
	s_delay_alu instid0(VALU_DEP_1) | instskip(NEXT) | instid1(VALU_DEP_1)
	v_add_co_u32 v2, s0, s8, v2
	v_add_co_ci_u32_e64 v3, null, s9, v3, s0
	global_store_b32 v[2:3], v153, off
.LBB132_14:
	s_or_b32 exec_lo, exec_lo, s1
	v_add_nc_u32_e32 v2, 32, v0
	s_delay_alu instid0(VALU_DEP_1)
	v_cmp_gt_u32_e64 s0, s12, v2
	s_and_saveexec_b32 s2, s0
	s_cbranch_execz .LBB132_16
; %bb.15:
	v_dual_mov_b32 v4, 0 :: v_dual_add_nc_u32 v3, v2, v5
	s_delay_alu instid0(VALU_DEP_1) | instskip(SKIP_1) | instid1(VALU_DEP_1)
	v_lshlrev_b64_e32 v[3:4], 2, v[3:4]
	s_wait_kmcnt 0x0
	v_add_co_u32 v3, s1, s8, v3
	s_wait_alu 0xf1ff
	s_delay_alu instid0(VALU_DEP_2)
	v_add_co_ci_u32_e64 v4, null, s9, v4, s1
	global_store_b32 v[3:4], v68, off
.LBB132_16:
	s_wait_alu 0xfffe
	s_or_b32 exec_lo, exec_lo, s2
	v_add_nc_u32_e32 v3, 64, v0
	s_delay_alu instid0(VALU_DEP_1)
	v_cmp_gt_u32_e64 s1, s12, v3
	s_and_saveexec_b32 s3, s1
	s_cbranch_execz .LBB132_18
; %bb.17:
	v_dual_mov_b32 v7, 0 :: v_dual_add_nc_u32 v6, v3, v5
	s_delay_alu instid0(VALU_DEP_1) | instskip(SKIP_1) | instid1(VALU_DEP_1)
	v_lshlrev_b64_e32 v[6:7], 2, v[6:7]
	s_wait_kmcnt 0x0
	v_add_co_u32 v6, s2, s8, v6
	s_wait_alu 0xf1ff
	s_delay_alu instid0(VALU_DEP_2)
	v_add_co_ci_u32_e64 v7, null, s9, v7, s2
	global_store_b32 v[6:7], v67, off
.LBB132_18:
	s_wait_alu 0xfffe
	;; [unrolled: 18-line block ×3, first 2 shown]
	s_or_b32 exec_lo, exec_lo, s4
	v_add3_u32 v5, v1, s13, 8
	s_delay_alu instid0(VALU_DEP_1)
	v_cmp_gt_u32_e64 s3, s6, v5
	s_and_b32 exec_lo, exec_lo, s3
	s_cbranch_execz .LBB132_62
; %bb.21:
	v_mul_lo_u32 v5, v5, s12
	s_and_saveexec_b32 s4, vcc_lo
	s_cbranch_execnz .LBB132_63
; %bb.22:
	s_wait_alu 0xfffe
	s_or_b32 exec_lo, exec_lo, s4
	s_and_saveexec_b32 s4, s0
	s_cbranch_execnz .LBB132_64
.LBB132_23:
	s_wait_alu 0xfffe
	s_or_b32 exec_lo, exec_lo, s4
	s_and_saveexec_b32 s4, s1
	s_cbranch_execnz .LBB132_65
.LBB132_24:
	s_wait_alu 0xfffe
	s_or_b32 exec_lo, exec_lo, s4
	s_and_saveexec_b32 s4, s2
	s_cbranch_execz .LBB132_26
.LBB132_25:
	v_dual_mov_b32 v6, 0 :: v_dual_add_nc_u32 v5, v5, v4
	s_delay_alu instid0(VALU_DEP_1) | instskip(SKIP_1) | instid1(VALU_DEP_1)
	v_lshlrev_b64_e32 v[5:6], 2, v[5:6]
	s_wait_kmcnt 0x0
	v_add_co_u32 v5, s3, s8, v5
	s_wait_alu 0xf1ff
	s_delay_alu instid0(VALU_DEP_2)
	v_add_co_ci_u32_e64 v6, null, s9, v6, s3
	global_store_b32 v[5:6], v60, off
.LBB132_26:
	s_wait_alu 0xfffe
	s_or_b32 exec_lo, exec_lo, s4
	v_add3_u32 v5, v1, s13, 16
	s_delay_alu instid0(VALU_DEP_1)
	v_cmp_gt_u32_e64 s3, s6, v5
	s_and_b32 exec_lo, exec_lo, s3
	s_cbranch_execz .LBB132_62
; %bb.27:
	v_mul_lo_u32 v5, v5, s12
	s_and_saveexec_b32 s4, vcc_lo
	s_cbranch_execnz .LBB132_66
; %bb.28:
	s_wait_alu 0xfffe
	s_or_b32 exec_lo, exec_lo, s4
	s_and_saveexec_b32 s4, s0
	s_cbranch_execnz .LBB132_67
.LBB132_29:
	s_wait_alu 0xfffe
	s_or_b32 exec_lo, exec_lo, s4
	s_and_saveexec_b32 s4, s1
	s_cbranch_execnz .LBB132_68
.LBB132_30:
	s_wait_alu 0xfffe
	s_or_b32 exec_lo, exec_lo, s4
	s_and_saveexec_b32 s4, s2
	s_cbranch_execz .LBB132_32
.LBB132_31:
	v_dual_mov_b32 v6, 0 :: v_dual_add_nc_u32 v5, v5, v4
	s_delay_alu instid0(VALU_DEP_1) | instskip(SKIP_1) | instid1(VALU_DEP_1)
	v_lshlrev_b64_e32 v[5:6], 2, v[5:6]
	s_wait_kmcnt 0x0
	v_add_co_u32 v5, s3, s8, v5
	s_wait_alu 0xf1ff
	s_delay_alu instid0(VALU_DEP_2)
	v_add_co_ci_u32_e64 v6, null, s9, v6, s3
	global_store_b32 v[5:6], v56, off
.LBB132_32:
	s_wait_alu 0xfffe
	s_or_b32 exec_lo, exec_lo, s4
	v_add3_u32 v5, v1, s13, 24
	s_delay_alu instid0(VALU_DEP_1)
	v_cmp_gt_u32_e64 s3, s6, v5
	s_and_b32 exec_lo, exec_lo, s3
	s_cbranch_execz .LBB132_62
; %bb.33:
	v_mul_lo_u32 v5, v5, s12
	s_and_saveexec_b32 s4, vcc_lo
	s_cbranch_execnz .LBB132_69
; %bb.34:
	s_wait_alu 0xfffe
	s_or_b32 exec_lo, exec_lo, s4
	s_and_saveexec_b32 s4, s0
	s_cbranch_execnz .LBB132_70
.LBB132_35:
	s_wait_alu 0xfffe
	s_or_b32 exec_lo, exec_lo, s4
	s_and_saveexec_b32 s4, s1
	s_cbranch_execnz .LBB132_71
.LBB132_36:
	s_wait_alu 0xfffe
	s_or_b32 exec_lo, exec_lo, s4
	s_and_saveexec_b32 s4, s2
	s_cbranch_execz .LBB132_38
.LBB132_37:
	v_dual_mov_b32 v6, 0 :: v_dual_add_nc_u32 v5, v5, v4
	s_delay_alu instid0(VALU_DEP_1) | instskip(SKIP_1) | instid1(VALU_DEP_1)
	v_lshlrev_b64_e32 v[5:6], 2, v[5:6]
	s_wait_kmcnt 0x0
	v_add_co_u32 v5, s3, s8, v5
	s_wait_alu 0xf1ff
	s_delay_alu instid0(VALU_DEP_2)
	v_add_co_ci_u32_e64 v6, null, s9, v6, s3
	global_store_b32 v[5:6], v52, off
.LBB132_38:
	s_wait_alu 0xfffe
	s_or_b32 exec_lo, exec_lo, s4
	v_add3_u32 v5, v1, s13, 32
	s_delay_alu instid0(VALU_DEP_1)
	v_cmp_gt_u32_e64 s3, s6, v5
	s_and_b32 exec_lo, exec_lo, s3
	s_cbranch_execz .LBB132_62
; %bb.39:
	v_mul_lo_u32 v5, v5, s12
	s_and_saveexec_b32 s4, vcc_lo
	s_cbranch_execnz .LBB132_72
; %bb.40:
	s_wait_alu 0xfffe
	s_or_b32 exec_lo, exec_lo, s4
	s_and_saveexec_b32 s4, s0
	s_cbranch_execnz .LBB132_73
.LBB132_41:
	s_wait_alu 0xfffe
	s_or_b32 exec_lo, exec_lo, s4
	s_and_saveexec_b32 s4, s1
	s_cbranch_execnz .LBB132_74
.LBB132_42:
	s_wait_alu 0xfffe
	s_or_b32 exec_lo, exec_lo, s4
	s_and_saveexec_b32 s4, s2
	s_cbranch_execz .LBB132_44
.LBB132_43:
	v_dual_mov_b32 v6, 0 :: v_dual_add_nc_u32 v5, v5, v4
	s_delay_alu instid0(VALU_DEP_1) | instskip(SKIP_1) | instid1(VALU_DEP_1)
	v_lshlrev_b64_e32 v[5:6], 2, v[5:6]
	s_wait_kmcnt 0x0
	v_add_co_u32 v5, s3, s8, v5
	s_wait_alu 0xf1ff
	s_delay_alu instid0(VALU_DEP_2)
	v_add_co_ci_u32_e64 v6, null, s9, v6, s3
	global_store_b32 v[5:6], v48, off
.LBB132_44:
	s_wait_alu 0xfffe
	s_or_b32 exec_lo, exec_lo, s4
	v_add3_u32 v5, v1, s13, 40
	s_delay_alu instid0(VALU_DEP_1)
	v_cmp_gt_u32_e64 s3, s6, v5
	s_and_b32 exec_lo, exec_lo, s3
	s_cbranch_execz .LBB132_62
; %bb.45:
	v_mul_lo_u32 v5, v5, s12
	s_and_saveexec_b32 s4, vcc_lo
	s_cbranch_execnz .LBB132_75
; %bb.46:
	s_wait_alu 0xfffe
	s_or_b32 exec_lo, exec_lo, s4
	s_and_saveexec_b32 s4, s0
	s_cbranch_execnz .LBB132_76
.LBB132_47:
	s_wait_alu 0xfffe
	s_or_b32 exec_lo, exec_lo, s4
	s_and_saveexec_b32 s4, s1
	s_cbranch_execnz .LBB132_77
.LBB132_48:
	s_wait_alu 0xfffe
	s_or_b32 exec_lo, exec_lo, s4
	s_and_saveexec_b32 s4, s2
	s_cbranch_execz .LBB132_50
.LBB132_49:
	v_dual_mov_b32 v6, 0 :: v_dual_add_nc_u32 v5, v5, v4
	s_delay_alu instid0(VALU_DEP_1) | instskip(SKIP_1) | instid1(VALU_DEP_1)
	v_lshlrev_b64_e32 v[5:6], 2, v[5:6]
	s_wait_kmcnt 0x0
	v_add_co_u32 v5, s3, s8, v5
	s_wait_alu 0xf1ff
	s_delay_alu instid0(VALU_DEP_2)
	v_add_co_ci_u32_e64 v6, null, s9, v6, s3
	global_store_b32 v[5:6], v11, off
.LBB132_50:
	s_wait_alu 0xfffe
	s_or_b32 exec_lo, exec_lo, s4
	v_add3_u32 v5, v1, s13, 48
	s_delay_alu instid0(VALU_DEP_1)
	v_cmp_gt_u32_e64 s3, s6, v5
	s_and_b32 exec_lo, exec_lo, s3
	s_cbranch_execz .LBB132_62
; %bb.51:
	v_mul_lo_u32 v5, v5, s12
	s_and_saveexec_b32 s4, vcc_lo
	s_cbranch_execnz .LBB132_78
; %bb.52:
	s_wait_alu 0xfffe
	s_or_b32 exec_lo, exec_lo, s4
	s_and_saveexec_b32 s4, s0
	s_cbranch_execnz .LBB132_79
.LBB132_53:
	s_wait_alu 0xfffe
	s_or_b32 exec_lo, exec_lo, s4
	s_and_saveexec_b32 s4, s1
	s_cbranch_execnz .LBB132_80
.LBB132_54:
	s_wait_alu 0xfffe
	s_or_b32 exec_lo, exec_lo, s4
	s_and_saveexec_b32 s4, s2
	s_cbranch_execz .LBB132_56
.LBB132_55:
	v_dual_mov_b32 v6, 0 :: v_dual_add_nc_u32 v5, v5, v4
	s_delay_alu instid0(VALU_DEP_1) | instskip(SKIP_1) | instid1(VALU_DEP_1)
	v_lshlrev_b64_e32 v[5:6], 2, v[5:6]
	s_wait_kmcnt 0x0
	v_add_co_u32 v5, s3, s8, v5
	s_wait_alu 0xf1ff
	s_delay_alu instid0(VALU_DEP_2)
	v_add_co_ci_u32_e64 v6, null, s9, v6, s3
	global_store_b32 v[5:6], v127, off
.LBB132_56:
	s_wait_alu 0xfffe
	s_or_b32 exec_lo, exec_lo, s4
	v_add3_u32 v1, v1, s13, 56
	s_delay_alu instid0(VALU_DEP_1)
	v_cmp_gt_u32_e64 s3, s6, v1
	s_and_b32 exec_lo, exec_lo, s3
	s_cbranch_execz .LBB132_62
; %bb.57:
	v_mul_lo_u32 v1, v1, s12
	s_and_saveexec_b32 s3, vcc_lo
	s_cbranch_execnz .LBB132_81
; %bb.58:
	s_wait_alu 0xfffe
	s_or_b32 exec_lo, exec_lo, s3
	s_and_saveexec_b32 s3, s0
	s_cbranch_execnz .LBB132_82
.LBB132_59:
	s_wait_alu 0xfffe
	s_or_b32 exec_lo, exec_lo, s3
	s_and_saveexec_b32 s0, s1
	s_cbranch_execnz .LBB132_83
.LBB132_60:
	s_wait_alu 0xfffe
	s_or_b32 exec_lo, exec_lo, s0
	s_delay_alu instid0(SALU_CYCLE_1)
	s_and_b32 exec_lo, exec_lo, s2
	s_cbranch_execz .LBB132_62
.LBB132_61:
	v_dual_mov_b32 v1, 0 :: v_dual_add_nc_u32 v0, v1, v4
	s_delay_alu instid0(VALU_DEP_1) | instskip(SKIP_1) | instid1(VALU_DEP_1)
	v_lshlrev_b64_e32 v[0:1], 2, v[0:1]
	s_wait_kmcnt 0x0
	v_add_co_u32 v0, vcc_lo, s8, v0
	s_wait_alu 0xfffd
	s_delay_alu instid0(VALU_DEP_2)
	v_add_co_ci_u32_e64 v1, null, s9, v1, vcc_lo
	global_store_b32 v[0:1], v40, off
.LBB132_62:
	s_nop 0
	s_sendmsg sendmsg(MSG_DEALLOC_VGPRS)
	s_endpgm
.LBB132_63:
	s_delay_alu instid0(VALU_DEP_1) | instskip(NEXT) | instid1(VALU_DEP_1)
	v_dual_mov_b32 v7, 0 :: v_dual_add_nc_u32 v6, v5, v0
	v_lshlrev_b64_e32 v[6:7], 2, v[6:7]
	s_wait_kmcnt 0x0
	s_delay_alu instid0(VALU_DEP_1) | instskip(SKIP_1) | instid1(VALU_DEP_2)
	v_add_co_u32 v6, s3, s8, v6
	s_wait_alu 0xf1ff
	v_add_co_ci_u32_e64 v7, null, s9, v7, s3
	global_store_b32 v[6:7], v63, off
	s_wait_alu 0xfffe
	s_or_b32 exec_lo, exec_lo, s4
	s_and_saveexec_b32 s4, s0
	s_cbranch_execz .LBB132_23
.LBB132_64:
	s_delay_alu instid0(VALU_DEP_1) | instskip(NEXT) | instid1(VALU_DEP_1)
	v_dual_mov_b32 v7, 0 :: v_dual_add_nc_u32 v6, v5, v2
	v_lshlrev_b64_e32 v[6:7], 2, v[6:7]
	s_wait_kmcnt 0x0
	s_delay_alu instid0(VALU_DEP_1) | instskip(SKIP_1) | instid1(VALU_DEP_2)
	v_add_co_u32 v6, s3, s8, v6
	s_wait_alu 0xf1ff
	v_add_co_ci_u32_e64 v7, null, s9, v7, s3
	global_store_b32 v[6:7], v62, off
	s_wait_alu 0xfffe
	s_or_b32 exec_lo, exec_lo, s4
	s_and_saveexec_b32 s4, s1
	s_cbranch_execz .LBB132_24
.LBB132_65:
	v_dual_mov_b32 v7, 0 :: v_dual_add_nc_u32 v6, v5, v3
	s_delay_alu instid0(VALU_DEP_1) | instskip(SKIP_1) | instid1(VALU_DEP_1)
	v_lshlrev_b64_e32 v[6:7], 2, v[6:7]
	s_wait_kmcnt 0x0
	v_add_co_u32 v6, s3, s8, v6
	s_wait_alu 0xf1ff
	s_delay_alu instid0(VALU_DEP_2)
	v_add_co_ci_u32_e64 v7, null, s9, v7, s3
	global_store_b32 v[6:7], v61, off
	s_wait_alu 0xfffe
	s_or_b32 exec_lo, exec_lo, s4
	s_and_saveexec_b32 s4, s2
	s_cbranch_execnz .LBB132_25
	s_branch .LBB132_26
.LBB132_66:
	s_delay_alu instid0(VALU_DEP_1) | instskip(NEXT) | instid1(VALU_DEP_1)
	v_dual_mov_b32 v7, 0 :: v_dual_add_nc_u32 v6, v5, v0
	v_lshlrev_b64_e32 v[6:7], 2, v[6:7]
	s_wait_kmcnt 0x0
	s_delay_alu instid0(VALU_DEP_1) | instskip(SKIP_1) | instid1(VALU_DEP_2)
	v_add_co_u32 v6, s3, s8, v6
	s_wait_alu 0xf1ff
	v_add_co_ci_u32_e64 v7, null, s9, v7, s3
	global_store_b32 v[6:7], v59, off
	s_wait_alu 0xfffe
	s_or_b32 exec_lo, exec_lo, s4
	s_and_saveexec_b32 s4, s0
	s_cbranch_execz .LBB132_29
.LBB132_67:
	s_delay_alu instid0(VALU_DEP_1) | instskip(NEXT) | instid1(VALU_DEP_1)
	v_dual_mov_b32 v7, 0 :: v_dual_add_nc_u32 v6, v5, v2
	v_lshlrev_b64_e32 v[6:7], 2, v[6:7]
	s_wait_kmcnt 0x0
	s_delay_alu instid0(VALU_DEP_1) | instskip(SKIP_1) | instid1(VALU_DEP_2)
	v_add_co_u32 v6, s3, s8, v6
	s_wait_alu 0xf1ff
	v_add_co_ci_u32_e64 v7, null, s9, v7, s3
	global_store_b32 v[6:7], v58, off
	s_wait_alu 0xfffe
	s_or_b32 exec_lo, exec_lo, s4
	s_and_saveexec_b32 s4, s1
	s_cbranch_execz .LBB132_30
.LBB132_68:
	v_dual_mov_b32 v7, 0 :: v_dual_add_nc_u32 v6, v5, v3
	s_delay_alu instid0(VALU_DEP_1) | instskip(SKIP_1) | instid1(VALU_DEP_1)
	v_lshlrev_b64_e32 v[6:7], 2, v[6:7]
	s_wait_kmcnt 0x0
	v_add_co_u32 v6, s3, s8, v6
	s_wait_alu 0xf1ff
	s_delay_alu instid0(VALU_DEP_2)
	v_add_co_ci_u32_e64 v7, null, s9, v7, s3
	global_store_b32 v[6:7], v57, off
	s_wait_alu 0xfffe
	s_or_b32 exec_lo, exec_lo, s4
	s_and_saveexec_b32 s4, s2
	s_cbranch_execnz .LBB132_31
	s_branch .LBB132_32
.LBB132_69:
	s_delay_alu instid0(VALU_DEP_1) | instskip(NEXT) | instid1(VALU_DEP_1)
	v_dual_mov_b32 v7, 0 :: v_dual_add_nc_u32 v6, v5, v0
	v_lshlrev_b64_e32 v[6:7], 2, v[6:7]
	s_wait_kmcnt 0x0
	s_delay_alu instid0(VALU_DEP_1) | instskip(SKIP_1) | instid1(VALU_DEP_2)
	v_add_co_u32 v6, s3, s8, v6
	s_wait_alu 0xf1ff
	v_add_co_ci_u32_e64 v7, null, s9, v7, s3
	global_store_b32 v[6:7], v55, off
	s_wait_alu 0xfffe
	s_or_b32 exec_lo, exec_lo, s4
	s_and_saveexec_b32 s4, s0
	s_cbranch_execz .LBB132_35
.LBB132_70:
	s_delay_alu instid0(VALU_DEP_1) | instskip(NEXT) | instid1(VALU_DEP_1)
	v_dual_mov_b32 v7, 0 :: v_dual_add_nc_u32 v6, v5, v2
	v_lshlrev_b64_e32 v[6:7], 2, v[6:7]
	s_wait_kmcnt 0x0
	s_delay_alu instid0(VALU_DEP_1) | instskip(SKIP_1) | instid1(VALU_DEP_2)
	v_add_co_u32 v6, s3, s8, v6
	s_wait_alu 0xf1ff
	v_add_co_ci_u32_e64 v7, null, s9, v7, s3
	global_store_b32 v[6:7], v54, off
	s_wait_alu 0xfffe
	s_or_b32 exec_lo, exec_lo, s4
	s_and_saveexec_b32 s4, s1
	s_cbranch_execz .LBB132_36
.LBB132_71:
	v_dual_mov_b32 v7, 0 :: v_dual_add_nc_u32 v6, v5, v3
	s_delay_alu instid0(VALU_DEP_1) | instskip(SKIP_1) | instid1(VALU_DEP_1)
	v_lshlrev_b64_e32 v[6:7], 2, v[6:7]
	s_wait_kmcnt 0x0
	v_add_co_u32 v6, s3, s8, v6
	s_wait_alu 0xf1ff
	s_delay_alu instid0(VALU_DEP_2)
	v_add_co_ci_u32_e64 v7, null, s9, v7, s3
	global_store_b32 v[6:7], v53, off
	s_wait_alu 0xfffe
	s_or_b32 exec_lo, exec_lo, s4
	s_and_saveexec_b32 s4, s2
	s_cbranch_execnz .LBB132_37
	s_branch .LBB132_38
.LBB132_72:
	s_delay_alu instid0(VALU_DEP_1) | instskip(NEXT) | instid1(VALU_DEP_1)
	v_dual_mov_b32 v7, 0 :: v_dual_add_nc_u32 v6, v5, v0
	v_lshlrev_b64_e32 v[6:7], 2, v[6:7]
	s_wait_kmcnt 0x0
	s_delay_alu instid0(VALU_DEP_1) | instskip(SKIP_1) | instid1(VALU_DEP_2)
	v_add_co_u32 v6, s3, s8, v6
	s_wait_alu 0xf1ff
	v_add_co_ci_u32_e64 v7, null, s9, v7, s3
	global_store_b32 v[6:7], v51, off
	s_wait_alu 0xfffe
	s_or_b32 exec_lo, exec_lo, s4
	s_and_saveexec_b32 s4, s0
	s_cbranch_execz .LBB132_41
.LBB132_73:
	s_delay_alu instid0(VALU_DEP_1) | instskip(NEXT) | instid1(VALU_DEP_1)
	v_dual_mov_b32 v7, 0 :: v_dual_add_nc_u32 v6, v5, v2
	v_lshlrev_b64_e32 v[6:7], 2, v[6:7]
	s_wait_kmcnt 0x0
	s_delay_alu instid0(VALU_DEP_1) | instskip(SKIP_1) | instid1(VALU_DEP_2)
	v_add_co_u32 v6, s3, s8, v6
	s_wait_alu 0xf1ff
	v_add_co_ci_u32_e64 v7, null, s9, v7, s3
	global_store_b32 v[6:7], v50, off
	s_wait_alu 0xfffe
	s_or_b32 exec_lo, exec_lo, s4
	s_and_saveexec_b32 s4, s1
	s_cbranch_execz .LBB132_42
.LBB132_74:
	v_dual_mov_b32 v7, 0 :: v_dual_add_nc_u32 v6, v5, v3
	s_delay_alu instid0(VALU_DEP_1) | instskip(SKIP_1) | instid1(VALU_DEP_1)
	v_lshlrev_b64_e32 v[6:7], 2, v[6:7]
	s_wait_kmcnt 0x0
	v_add_co_u32 v6, s3, s8, v6
	s_wait_alu 0xf1ff
	s_delay_alu instid0(VALU_DEP_2)
	v_add_co_ci_u32_e64 v7, null, s9, v7, s3
	global_store_b32 v[6:7], v49, off
	s_wait_alu 0xfffe
	s_or_b32 exec_lo, exec_lo, s4
	s_and_saveexec_b32 s4, s2
	s_cbranch_execnz .LBB132_43
	s_branch .LBB132_44
.LBB132_75:
	s_delay_alu instid0(VALU_DEP_1) | instskip(NEXT) | instid1(VALU_DEP_1)
	v_dual_mov_b32 v7, 0 :: v_dual_add_nc_u32 v6, v5, v0
	v_lshlrev_b64_e32 v[6:7], 2, v[6:7]
	s_wait_kmcnt 0x0
	s_delay_alu instid0(VALU_DEP_1) | instskip(SKIP_1) | instid1(VALU_DEP_2)
	v_add_co_u32 v6, s3, s8, v6
	s_wait_alu 0xf1ff
	v_add_co_ci_u32_e64 v7, null, s9, v7, s3
	global_store_b32 v[6:7], v47, off
	s_wait_alu 0xfffe
	s_or_b32 exec_lo, exec_lo, s4
	s_and_saveexec_b32 s4, s0
	s_cbranch_execz .LBB132_47
.LBB132_76:
	s_delay_alu instid0(VALU_DEP_1) | instskip(NEXT) | instid1(VALU_DEP_1)
	v_dual_mov_b32 v7, 0 :: v_dual_add_nc_u32 v6, v5, v2
	v_lshlrev_b64_e32 v[6:7], 2, v[6:7]
	s_wait_kmcnt 0x0
	s_delay_alu instid0(VALU_DEP_1) | instskip(SKIP_1) | instid1(VALU_DEP_2)
	v_add_co_u32 v6, s3, s8, v6
	s_wait_alu 0xf1ff
	v_add_co_ci_u32_e64 v7, null, s9, v7, s3
	global_store_b32 v[6:7], v13, off
	s_wait_alu 0xfffe
	s_or_b32 exec_lo, exec_lo, s4
	s_and_saveexec_b32 s4, s1
	s_cbranch_execz .LBB132_48
.LBB132_77:
	v_dual_mov_b32 v7, 0 :: v_dual_add_nc_u32 v6, v5, v3
	s_delay_alu instid0(VALU_DEP_1) | instskip(SKIP_1) | instid1(VALU_DEP_1)
	v_lshlrev_b64_e32 v[6:7], 2, v[6:7]
	s_wait_kmcnt 0x0
	v_add_co_u32 v6, s3, s8, v6
	s_wait_alu 0xf1ff
	s_delay_alu instid0(VALU_DEP_2)
	v_add_co_ci_u32_e64 v7, null, s9, v7, s3
	global_store_b32 v[6:7], v12, off
	s_wait_alu 0xfffe
	s_or_b32 exec_lo, exec_lo, s4
	s_and_saveexec_b32 s4, s2
	s_cbranch_execnz .LBB132_49
	s_branch .LBB132_50
.LBB132_78:
	s_delay_alu instid0(VALU_DEP_1) | instskip(NEXT) | instid1(VALU_DEP_1)
	v_dual_mov_b32 v7, 0 :: v_dual_add_nc_u32 v6, v5, v0
	v_lshlrev_b64_e32 v[6:7], 2, v[6:7]
	s_wait_kmcnt 0x0
	s_delay_alu instid0(VALU_DEP_1) | instskip(SKIP_1) | instid1(VALU_DEP_2)
	v_add_co_u32 v6, s3, s8, v6
	s_wait_alu 0xf1ff
	v_add_co_ci_u32_e64 v7, null, s9, v7, s3
	global_store_b32 v[6:7], v10, off
	s_wait_alu 0xfffe
	s_or_b32 exec_lo, exec_lo, s4
	s_and_saveexec_b32 s4, s0
	s_cbranch_execz .LBB132_53
.LBB132_79:
	s_delay_alu instid0(VALU_DEP_1) | instskip(NEXT) | instid1(VALU_DEP_1)
	v_dual_mov_b32 v7, 0 :: v_dual_add_nc_u32 v6, v5, v2
	v_lshlrev_b64_e32 v[6:7], 2, v[6:7]
	s_wait_kmcnt 0x0
	s_delay_alu instid0(VALU_DEP_1) | instskip(SKIP_1) | instid1(VALU_DEP_2)
	v_add_co_u32 v6, s3, s8, v6
	s_wait_alu 0xf1ff
	v_add_co_ci_u32_e64 v7, null, s9, v7, s3
	global_store_b32 v[6:7], v9, off
	s_wait_alu 0xfffe
	s_or_b32 exec_lo, exec_lo, s4
	s_and_saveexec_b32 s4, s1
	s_cbranch_execz .LBB132_54
.LBB132_80:
	v_dual_mov_b32 v7, 0 :: v_dual_add_nc_u32 v6, v5, v3
	s_delay_alu instid0(VALU_DEP_1) | instskip(SKIP_1) | instid1(VALU_DEP_1)
	v_lshlrev_b64_e32 v[6:7], 2, v[6:7]
	s_wait_kmcnt 0x0
	v_add_co_u32 v6, s3, s8, v6
	s_wait_alu 0xf1ff
	s_delay_alu instid0(VALU_DEP_2)
	v_add_co_ci_u32_e64 v7, null, s9, v7, s3
	global_store_b32 v[6:7], v8, off
	s_wait_alu 0xfffe
	s_or_b32 exec_lo, exec_lo, s4
	s_and_saveexec_b32 s4, s2
	s_cbranch_execnz .LBB132_55
	s_branch .LBB132_56
.LBB132_81:
	s_delay_alu instid0(VALU_DEP_1) | instskip(NEXT) | instid1(VALU_DEP_1)
	v_dual_mov_b32 v6, 0 :: v_dual_add_nc_u32 v5, v1, v0
	v_lshlrev_b64_e32 v[5:6], 2, v[5:6]
	s_wait_kmcnt 0x0
	s_delay_alu instid0(VALU_DEP_1) | instskip(SKIP_1) | instid1(VALU_DEP_2)
	v_add_co_u32 v5, vcc_lo, s8, v5
	s_wait_alu 0xfffd
	v_add_co_ci_u32_e64 v6, null, s9, v6, vcc_lo
	global_store_b32 v[5:6], v122, off
	s_wait_alu 0xfffe
	s_or_b32 exec_lo, exec_lo, s3
	s_and_saveexec_b32 s3, s0
	s_cbranch_execz .LBB132_59
.LBB132_82:
	s_delay_alu instid0(VALU_DEP_1) | instskip(NEXT) | instid1(VALU_DEP_1)
	v_dual_mov_b32 v6, 0 :: v_dual_add_nc_u32 v5, v1, v2
	v_lshlrev_b64_e32 v[5:6], 2, v[5:6]
	s_wait_kmcnt 0x0
	s_delay_alu instid0(VALU_DEP_1) | instskip(SKIP_1) | instid1(VALU_DEP_2)
	v_add_co_u32 v5, vcc_lo, s8, v5
	s_wait_alu 0xfffd
	v_add_co_ci_u32_e64 v6, null, s9, v6, vcc_lo
	global_store_b32 v[5:6], v97, off
	s_wait_alu 0xfffe
	s_or_b32 exec_lo, exec_lo, s3
	s_and_saveexec_b32 s0, s1
	s_cbranch_execz .LBB132_60
.LBB132_83:
	v_dual_mov_b32 v3, 0 :: v_dual_add_nc_u32 v2, v1, v3
	s_delay_alu instid0(VALU_DEP_1) | instskip(SKIP_1) | instid1(VALU_DEP_1)
	v_lshlrev_b64_e32 v[2:3], 2, v[2:3]
	s_wait_kmcnt 0x0
	v_add_co_u32 v2, vcc_lo, s8, v2
	s_wait_alu 0xfffd
	s_delay_alu instid0(VALU_DEP_2) | instskip(SKIP_3) | instid1(SALU_CYCLE_1)
	v_add_co_ci_u32_e64 v3, null, s9, v3, vcc_lo
	global_store_b32 v[2:3], v66, off
	s_wait_alu 0xfffe
	s_or_b32 exec_lo, exec_lo, s0
	s_and_b32 exec_lo, exec_lo, s2
	s_cbranch_execnz .LBB132_61
	s_branch .LBB132_62
	.section	.rodata,"a",@progbits
	.p2align	6, 0x0
	.amdhsa_kernel _ZL12mul_mat_q4_KIfLb1EEvPKvS1_PT_iiiii
		.amdhsa_group_segment_fixed_size 28752
		.amdhsa_private_segment_fixed_size 1696
		.amdhsa_kernarg_size 44
		.amdhsa_user_sgpr_count 2
		.amdhsa_user_sgpr_dispatch_ptr 0
		.amdhsa_user_sgpr_queue_ptr 0
		.amdhsa_user_sgpr_kernarg_segment_ptr 1
		.amdhsa_user_sgpr_dispatch_id 0
		.amdhsa_user_sgpr_private_segment_size 0
		.amdhsa_wavefront_size32 1
		.amdhsa_uses_dynamic_stack 0
		.amdhsa_enable_private_segment 1
		.amdhsa_system_sgpr_workgroup_id_x 1
		.amdhsa_system_sgpr_workgroup_id_y 1
		.amdhsa_system_sgpr_workgroup_id_z 0
		.amdhsa_system_sgpr_workgroup_info 0
		.amdhsa_system_vgpr_workitem_id 1
		.amdhsa_next_free_vgpr 256
		.amdhsa_next_free_sgpr 18
		.amdhsa_reserve_vcc 1
		.amdhsa_float_round_mode_32 0
		.amdhsa_float_round_mode_16_64 0
		.amdhsa_float_denorm_mode_32 3
		.amdhsa_float_denorm_mode_16_64 3
		.amdhsa_fp16_overflow 0
		.amdhsa_workgroup_processor_mode 1
		.amdhsa_memory_ordered 1
		.amdhsa_forward_progress 1
		.amdhsa_inst_pref_size 255
		.amdhsa_round_robin_scheduling 0
		.amdhsa_exception_fp_ieee_invalid_op 0
		.amdhsa_exception_fp_denorm_src 0
		.amdhsa_exception_fp_ieee_div_zero 0
		.amdhsa_exception_fp_ieee_overflow 0
		.amdhsa_exception_fp_ieee_underflow 0
		.amdhsa_exception_fp_ieee_inexact 0
		.amdhsa_exception_int_div_zero 0
	.end_amdhsa_kernel
	.section	.text._ZL12mul_mat_q4_KIfLb1EEvPKvS1_PT_iiiii,"axG",@progbits,_ZL12mul_mat_q4_KIfLb1EEvPKvS1_PT_iiiii,comdat
.Lfunc_end132:
	.size	_ZL12mul_mat_q4_KIfLb1EEvPKvS1_PT_iiiii, .Lfunc_end132-_ZL12mul_mat_q4_KIfLb1EEvPKvS1_PT_iiiii
                                        ; -- End function
	.set _ZL12mul_mat_q4_KIfLb1EEvPKvS1_PT_iiiii.num_vgpr, 256
	.set _ZL12mul_mat_q4_KIfLb1EEvPKvS1_PT_iiiii.num_agpr, 0
	.set _ZL12mul_mat_q4_KIfLb1EEvPKvS1_PT_iiiii.numbered_sgpr, 18
	.set _ZL12mul_mat_q4_KIfLb1EEvPKvS1_PT_iiiii.num_named_barrier, 0
	.set _ZL12mul_mat_q4_KIfLb1EEvPKvS1_PT_iiiii.private_seg_size, 1696
	.set _ZL12mul_mat_q4_KIfLb1EEvPKvS1_PT_iiiii.uses_vcc, 1
	.set _ZL12mul_mat_q4_KIfLb1EEvPKvS1_PT_iiiii.uses_flat_scratch, 1
	.set _ZL12mul_mat_q4_KIfLb1EEvPKvS1_PT_iiiii.has_dyn_sized_stack, 0
	.set _ZL12mul_mat_q4_KIfLb1EEvPKvS1_PT_iiiii.has_recursion, 0
	.set _ZL12mul_mat_q4_KIfLb1EEvPKvS1_PT_iiiii.has_indirect_call, 0
	.section	.AMDGPU.csdata,"",@progbits
; Kernel info:
; codeLenInByte = 104612
; TotalNumSgprs: 20
; NumVgprs: 256
; ScratchSize: 1696
; MemoryBound: 0
; FloatMode: 240
; IeeeMode: 1
; LDSByteSize: 28752 bytes/workgroup (compile time only)
; SGPRBlocks: 0
; VGPRBlocks: 31
; NumSGPRsForWavesPerEU: 20
; NumVGPRsForWavesPerEU: 256
; Occupancy: 5
; WaveLimiterHint : 0
; COMPUTE_PGM_RSRC2:SCRATCH_EN: 1
; COMPUTE_PGM_RSRC2:USER_SGPR: 2
; COMPUTE_PGM_RSRC2:TRAP_HANDLER: 0
; COMPUTE_PGM_RSRC2:TGID_X_EN: 1
; COMPUTE_PGM_RSRC2:TGID_Y_EN: 1
; COMPUTE_PGM_RSRC2:TGID_Z_EN: 0
; COMPUTE_PGM_RSRC2:TIDIG_COMP_CNT: 1
	.section	.text._ZL12mul_mat_q5_KIfLb0EEvPKvS1_PT_iiiii,"axG",@progbits,_ZL12mul_mat_q5_KIfLb0EEvPKvS1_PT_iiiii,comdat
	.globl	_ZL12mul_mat_q5_KIfLb0EEvPKvS1_PT_iiiii ; -- Begin function _ZL12mul_mat_q5_KIfLb0EEvPKvS1_PT_iiiii
	.p2align	8
	.type	_ZL12mul_mat_q5_KIfLb0EEvPKvS1_PT_iiiii,@function
_ZL12mul_mat_q5_KIfLb0EEvPKvS1_PT_iiiii: ; @_ZL12mul_mat_q5_KIfLb0EEvPKvS1_PT_iiiii
; %bb.0:
	s_clause 0x1
	s_load_b32 s10, s[0:1], 0x18
	s_load_b96 s[4:6], s[0:1], 0x20
	v_bfe_u32 v1, v0, 10, 10
	v_and_b32_e32 v32, 0x3ff, v0
	s_lshl_b32 s7, ttmp7, 6
	scratch_store_b32 off, v1, off offset:84 ; 4-byte Folded Spill
	s_wait_kmcnt 0x0
	s_cmp_gt_i32 s10, 0xff
	s_cbranch_scc1 .LBB133_2
; %bb.1:
	v_bfe_u32 v1, v0, 10, 10
	v_and_b32_e32 v2, 0x3ff, v0
	s_mov_b32 s2, 0
	s_delay_alu instid0(VALU_DEP_2)
	v_add_nc_u32_e32 v3, s7, v1
	s_branch .LBB133_3
.LBB133_2:
	s_mov_b32 s2, -1
                                        ; implicit-def: $vgpr1
                                        ; implicit-def: $vgpr2
                                        ; implicit-def: $vgpr3
.LBB133_3:
	s_load_b64 s[8:9], s[0:1], 0x10
	v_dual_mov_b32 v72, 0 :: v_dual_mov_b32 v91, 0
	v_dual_mov_b32 v76, 0 :: v_dual_mov_b32 v95, 0
	;; [unrolled: 1-line block ×13, first 2 shown]
	v_mov_b32_e32 v75, 0
	v_mov_b32_e32 v79, 0
	;; [unrolled: 1-line block ×6, first 2 shown]
	s_and_not1_b32 vcc_lo, exec_lo, s2
	s_lshl_b32 s14, ttmp9, 7
	s_cbranch_vccnz .LBB133_11
; %bb.4:
	s_ashr_i32 s11, s10, 31
	v_bfe_u32 v31, v0, 10, 10
	s_lshr_b32 s11, s11, 24
	s_add_co_i32 s16, s4, -1
	s_add_co_i32 s10, s10, s11
	s_delay_alu instid0(VALU_DEP_1) | instskip(SKIP_3) | instid1(VALU_DEP_2)
	v_dual_mov_b32 v98, 0 :: v_dual_add_nc_u32 v17, s7, v31
	s_ashr_i32 s15, s10, 8
	v_cvt_f64_i32_e32 v[1:2], s16
	s_lshl_b32 s17, s15, 3
	v_dual_mov_b32 v94, 0 :: v_dual_add_nc_u32 v7, 16, v17
	s_wait_alu 0xfffe
	v_mad_i32_i24 v6, s15, v31, s17
	v_add_nc_u32_e32 v5, 8, v17
	v_cvt_f64_u32_e32 v[3:4], v17
	v_mov_b32_e32 v107, 0
	v_dual_mov_b32 v88, 0 :: v_dual_add_nc_u32 v9, 24, v17
	v_add_nc_u32_e32 v10, s17, v6
	scratch_store_b32 off, v6, off offset:88 ; 4-byte Folded Spill
	v_mov_b32_e32 v99, 0
	v_cvt_f64_u32_e32 v[5:6], v5
	v_dual_mov_b32 v82, 0 :: v_dual_add_nc_u32 v11, 32, v17
	v_dual_mov_b32 v89, 0 :: v_dual_add_nc_u32 v14, s17, v10
	v_cvt_f64_u32_e32 v[7:8], v7
	v_dual_mov_b32 v78, 0 :: v_dual_add_nc_u32 v13, 40, v17
	s_delay_alu instid0(VALU_DEP_3)
	v_add_nc_u32_e32 v18, s17, v14
	s_clause 0x1
	scratch_store_b32 off, v10, off offset:92
	scratch_store_b32 off, v14, off offset:96
	v_cvt_f64_u32_e32 v[9:10], v9
	v_dual_mov_b32 v74, 0 :: v_dual_add_nc_u32 v15, 48, v17
	v_dual_mov_b32 v92, 0 :: v_dual_add_nc_u32 v19, s17, v18
	v_cvt_f64_u32_e32 v[11:12], v11
	scratch_store_b32 off, v18, off offset:100 ; 4-byte Folded Spill
	v_cvt_f64_u32_e32 v[13:14], v13
	v_add_nc_u32_e32 v21, s17, v19
	scratch_store_b32 off, v19, off offset:104 ; 4-byte Folded Spill
	v_mov_b32_e32 v79, 0
	v_cvt_f64_u32_e32 v[15:16], v15
	v_dual_mov_b32 v83, 0 :: v_dual_and_b32 v20, 7, v0
	v_add_nc_u32_e32 v22, s17, v21
	v_mov_b32_e32 v80, 0
	v_mov_b32_e32 v96, 0
	s_delay_alu instid0(VALU_DEP_4) | instskip(NEXT) | instid1(VALU_DEP_4)
	v_dual_mov_b32 v75, 0 :: v_dual_lshlrev_b32 v20, 2, v20
	v_add_nc_u32_e32 v23, s17, v22
	s_clause 0x1
	scratch_store_b32 off, v21, off offset:112
	scratch_store_b32 off, v17, off offset:208
	v_add_nc_u32_e32 v17, 56, v17
	v_dual_mov_b32 v86, 0 :: v_dual_lshlrev_b32 v21, 3, v32
	v_min_num_f64_e32 v[3:4], v[3:4], v[1:2]
	scratch_store_b32 off, v23, off offset:120 ; 4-byte Folded Spill
	v_cvt_f64_u32_e32 v[17:18], v17
	v_and_or_b32 v20, 0xc0, v21, v20
	v_dual_mov_b32 v76, 0 :: v_dual_add_nc_u32 v21, s17, v23
	v_min_num_f64_e32 v[5:6], v[5:6], v[1:2]
	v_min_num_f64_e32 v[7:8], v[7:8], v[1:2]
	v_lshlrev_b32_e32 v123, 5, v31
	s_delay_alu instid0(VALU_DEP_4) | instskip(SKIP_3) | instid1(VALU_DEP_4)
	v_dual_mov_b32 v72, 0 :: v_dual_add_nc_u32 v23, s17, v21
	v_mov_b32_e32 v125, 0
	v_mov_b32_e32 v103, 0
	v_min_num_f64_e32 v[9:10], v[9:10], v[1:2]
	v_add_nc_u32_e32 v24, s17, v23
	v_add_nc_u32_e32 v25, v123, v32
	v_mov_b32_e32 v77, 0
	v_dual_mov_b32 v118, 0 :: v_dual_lshlrev_b32 v111, 2, v32
	v_min_num_f64_e32 v[11:12], v[11:12], v[1:2]
	v_add_nc_u32_e32 v26, s17, v24
	v_min_num_f64_e32 v[13:14], v[13:14], v[1:2]
	v_mov_b32_e32 v101, 0
	v_bfe_u32 v19, v0, 2, 8
	v_min_num_f64_e32 v[15:16], v[15:16], v[1:2]
	v_add_nc_u32_e32 v28, s17, v26
	scratch_store_b32 off, v26, off offset:136 ; 4-byte Folded Spill
	v_lshrrev_b32_e32 v26, 3, v25
	v_and_b32_e32 v25, 0x7f, v25
	v_dual_mov_b32 v95, 0 :: v_dual_lshlrev_b32 v30, 3, v31
	v_add_nc_u32_e32 v35, s17, v28
	s_delay_alu instid0(VALU_DEP_4) | instskip(NEXT) | instid1(VALU_DEP_4)
	v_and_b32_e32 v26, 12, v26
	v_lshlrev_b32_e32 v29, 2, v25
	v_mul_i32_i24_e32 v25, s15, v25
	scratch_store_b32 off, v28, off offset:140 ; 4-byte Folded Spill
	v_dual_mov_b32 v73, 0 :: v_dual_and_b32 v114, 6, v19
	v_mov_b32_e32 v131, 0
	scratch_store_b32 off, v25, off offset:152 ; 4-byte Folded Spill
	v_min_num_f64_e32 v[1:2], v[17:18], v[1:2]
	v_and_b32_e32 v17, 3, v0
	v_add3_u32 v25, v29, v26, 0xae40
	v_mov_b32_e32 v91, 0
	v_cvt_i32_f64_e32 v3, v[3:4]
	v_cvt_i32_f64_e32 v4, v[5:6]
	v_add_nc_u32_e32 v28, 0xfe, v17
	v_cmp_gt_u32_e32 vcc_lo, 2, v17
	v_cvt_i32_f64_e32 v6, v[7:8]
	s_ashr_i32 s12, s5, 31
	v_dual_mov_b32 v81, 0 :: v_dual_add_nc_u32 v18, 48, v31
	v_and_b32_e32 v28, 0xff, v28
	v_cvt_i32_f64_e32 v7, v[9:10]
	s_lshr_b32 s11, s12, 27
	v_bfe_u32 v33, v0, 5, 5
	s_add_co_i32 s5, s5, s11
	v_cndmask_b32_e32 v26, v28, v17, vcc_lo
	v_cmp_ne_u32_e32 vcc_lo, 0, v17
	v_and_b32_e32 v28, 4, v111
	v_cvt_i32_f64_e32 v10, v[13:14]
	v_lshlrev_b32_e32 v14, 2, v17
	s_ashr_i32 s5, s5, 5
	s_wait_alu 0xfffd
	v_add_co_ci_u32_e64 v5, null, 0, v26, vcc_lo
	v_cmp_lt_u32_e32 vcc_lo, 1, v17
	s_load_b128 s[0:3], s[0:1], 0x0
	v_add_nc_u32_e32 v27, 56, v31
	v_dual_mov_b32 v105, 0 :: v_dual_and_b32 v34, 28, v111
	v_cndmask_b32_e32 v8, 0, v28, vcc_lo
	scratch_store_b32 off, v25, off offset:156 ; 4-byte Folded Spill
	v_add_nc_u32_e32 v25, v19, v30
	v_cndmask_b32_e64 v13, 0, 1, vcc_lo
	s_mul_i32 s10, s15, s14
	scratch_store_b32 off, v8, off offset:160 ; 4-byte Folded Spill
	v_cvt_i32_f64_e32 v8, v[11:12]
	v_and_b32_e32 v9, 0x7f, v25
	v_add_nc_u16 v11, v19, v30
	v_cvt_i32_f64_e32 v12, v[15:16]
	v_cvt_i32_f64_e32 v16, v[1:2]
	v_lshlrev_b32_e32 v1, 1, v26
	v_xor_b32_e32 v15, 64, v9
	v_lshrrev_b16 v11, 1, v11
	v_and_b32_e32 v19, 63, v25
	s_ashr_i32 s11, s10, 31
	scratch_store_b32 off, v1, off offset:164 ; 4-byte Folded Spill
	v_lshl_or_b32 v1, v9, 4, v14
	v_lshrrev_b32_e32 v2, 1, v15
	v_and_b32_e32 v11, 60, v11
	v_mul_i32_i24_e32 v9, s15, v9
	v_or_b32_e32 v25, s7, v19
	v_lshlrev_b32_e32 v159, 5, v18
	v_and_b32_e32 v2, 60, v2
	v_add3_u32 v1, v1, v11, 0xa200
	scratch_store_b32 off, v9, off offset:168 ; 4-byte Folded Spill
	v_lshl_or_b32 v9, v15, 4, v14
	v_mul_i32_i24_e32 v11, s15, v15
	v_lshlrev_b32_e32 v15, 7, v27
	scratch_store_b32 off, v1, off offset:172 ; 4-byte Folded Spill
	v_and_b32_e32 v1, 31, v0
	v_add3_u32 v2, v9, v2, 0xa200
	scratch_store_b32 off, v11, off offset:176 ; 4-byte Folded Spill
	v_lshl_or_b32 v9, v19, 4, v14
	v_lshlrev_b32_e32 v14, 7, v18
	v_lshl_or_b32 v11, v1, 2, 0x8200
	scratch_store_b32 off, v2, off offset:180 ; 4-byte Folded Spill
	v_min_i32_e32 v2, s16, v25
	v_add_nc_u32_e32 v255, 0xaa40, v9
	v_lshlrev_b32_e32 v9, 7, v31
	v_bfe_u32 v0, v0, 3, 7
	v_lshlrev_b32_e32 v160, 5, v27
	v_mad_co_u64_u32 v[1:2], null, v2, s5, v[17:18]
	v_mul_u32_u24_e32 v161, 0x104, v32
	v_mov_b32_e32 v97, 0
	v_mov_b32_e32 v93, 0
	s_mul_u64 s[12:13], s[10:11], 0xb0
	s_mov_b32 s11, 0
	s_wait_kmcnt 0x0
	s_add_nc_u64 s[0:1], s[0:1], s[12:13]
	scratch_store_b64 off, v[1:2], off offset:184 ; 8-byte Folded Spill
	v_mul_lo_u32 v1, s5, v3
	v_add_nc_u32_e32 v2, 32, v32
	v_add_nc_u32_e32 v3, 64, v32
	s_mov_b32 s10, s11
	v_mov_b32_e32 v87, 0
	scratch_store_b32 off, v32, off offset:204 ; 4-byte Folded Spill
	v_lshrrev_b32_e32 v147, 3, v2
	v_lshrrev_b32_e32 v148, 3, v3
	scratch_store_b32 off, v1, off          ; 4-byte Folded Spill
	v_mul_lo_u32 v1, s5, v4
	scratch_store_b32 off, v22, off offset:116 ; 4-byte Folded Spill
	v_and_b32_e32 v17, 60, v147
	v_and_b32_e32 v19, 60, v148
	v_mul_u32_u24_e32 v22, 0x41, v31
	v_lshlrev_b32_e32 v162, 4, v2
	v_lshlrev_b32_e32 v164, 4, v3
	s_clause 0x1
	scratch_store_b32 off, v255, off offset:192
	scratch_store_b32 off, v1, off offset:4
	v_mul_lo_u32 v1, s5, v6
	scratch_store_b32 off, v21, off offset:124 ; 4-byte Folded Spill
	v_lshl_add_u32 v120, v22, 2, v20
	v_add_nc_u32_e32 v20, 8, v31
	v_add_nc_u32_e32 v21, 16, v31
	;; [unrolled: 1-line block ×3, first 2 shown]
	scratch_store_b32 off, v1, off offset:8 ; 4-byte Folded Spill
	v_mul_lo_u32 v1, s5, v7
	scratch_store_b32 off, v23, off offset:128 ; 4-byte Folded Spill
	v_lshlrev_b32_e32 v4, 7, v20
	v_lshlrev_b32_e32 v6, 7, v21
	v_add_nc_u32_e32 v23, 32, v31
	v_lshlrev_b32_e32 v7, 7, v22
	v_lshlrev_b32_e32 v154, 5, v20
	;; [unrolled: 1-line block ×3, first 2 shown]
	scratch_store_b32 off, v1, off offset:12 ; 4-byte Folded Spill
	v_mul_lo_u32 v1, s5, v8
	scratch_store_b32 off, v24, off offset:132 ; 4-byte Folded Spill
	v_add_nc_u32_e32 v24, 40, v31
	v_lshlrev_b32_e32 v8, 7, v23
	v_lshlrev_b32_e32 v156, 5, v22
	;; [unrolled: 1-line block ×3, first 2 shown]
	s_delay_alu instid0(VALU_DEP_4)
	v_lshlrev_b32_e32 v158, 5, v24
	scratch_store_b32 off, v1, off offset:16 ; 4-byte Folded Spill
	v_mul_lo_u32 v1, s5, v10
	scratch_store_b32 off, v35, off offset:144 ; 4-byte Folded Spill
	v_add_nc_u32_e32 v35, s17, v35
	v_lshlrev_b32_e32 v10, 7, v24
	scratch_store_b32 off, v1, off offset:20 ; 4-byte Folded Spill
	v_mul_lo_u32 v1, s5, v12
	scratch_store_b32 off, v35, off offset:148 ; 4-byte Folded Spill
	v_add_nc_u32_e32 v12, 0x60, v32
	s_delay_alu instid0(VALU_DEP_1)
	v_lshrrev_b32_e32 v149, 3, v12
	scratch_store_b32 off, v1, off offset:24 ; 4-byte Folded Spill
	v_mul_lo_u32 v1, s5, v16
	v_lshlrev_b32_e32 v16, 2, v33
	s_movk_i32 s5, 0x2080
	v_and_b32_e32 v25, 60, v149
	s_wait_alu 0xfffe
	v_mad_u32_u24 v163, 0x104, v32, s5
	s_movk_i32 s5, 0x4100
	v_lshlrev_b32_e32 v166, 4, v12
	s_wait_alu 0xfffe
	v_mad_u32_u24 v165, 0x104, v32, s5
	scratch_store_b32 off, v1, off offset:28 ; 4-byte Folded Spill
	v_add3_u32 v1, v16, v111, 0xae40
	s_movk_i32 s5, 0x6180
	s_wait_alu 0xfffe
	v_mad_u32_u24 v167, 0x104, v32, s5
	v_add_co_u32 v2, s5, s2, v34
	scratch_store_b32 off, v1, off offset:32 ; 4-byte Folded Spill
	v_add3_u32 v1, v111, v17, 0xae40
	s_wait_alu 0xf1ff
	v_add_co_ci_u32_e64 v3, null, s3, 0, s5
	scratch_store_b32 off, v1, off offset:36 ; 4-byte Folded Spill
	v_add3_u32 v1, v111, v19, 0xae40
	scratch_store_b32 off, v1, off offset:40 ; 4-byte Folded Spill
	v_add3_u32 v1, v111, v25, 0xae40
	scratch_store_b32 off, v1, off offset:44 ; 4-byte Folded Spill
	v_lshlrev_b32_e32 v1, 2, v5
	s_clause 0x1
	scratch_store_b32 off, v33, off offset:108
	scratch_store_b32 off, v1, off offset:196
	v_lshlrev_b32_e32 v1, 2, v13
	scratch_store_b32 off, v1, off offset:200 ; 4-byte Folded Spill
	v_add_nc_u32_e32 v1, v11, v9
	scratch_store_b32 off, v1, off offset:48 ; 4-byte Folded Spill
	v_add_nc_u32_e32 v1, v11, v4
	;; [unrolled: 2-line block ×8, first 2 shown]
	scratch_store_b32 off, v1, off offset:76 ; 4-byte Folded Spill
.LBB133_5:                              ; =>This Loop Header: Depth=1
                                        ;     Child Loop BB133_6 Depth 2
                                        ;     Child Loop BB133_8 Depth 2
	scratch_load_b32 v1, off, off offset:108 ; 4-byte Folded Reload
	s_mul_u64 s[12:13], s[10:11], 0xb0
	v_and_b32_e32 v48, 0x7c, v111
	s_wait_alu 0xfffe
	s_add_nc_u64 s[12:13], s[0:1], s[12:13]
	v_and_b32_e32 v49, 28, v111
	s_lshl_b32 s5, s10, 3
	s_mov_b32 s16, 0
	s_wait_loadcnt 0x0
	s_wait_alu 0xfffe
	v_mad_co_u64_u32 v[12:13], null, 0xb0, v1, s[12:13]
	scratch_load_b32 v1, off, off offset:84 ; 4-byte Folded Reload
	s_wait_loadcnt 0x0
	v_mul_i32_i24_e32 v4, s15, v1
	scratch_load_b32 v1, off, off offset:88 ; 4-byte Folded Reload
	v_mad_co_u64_u32 v[4:5], null, 0xb0, v4, v[12:13]
	s_delay_alu instid0(VALU_DEP_1) | instskip(SKIP_1) | instid1(VALU_DEP_2)
	v_add_co_u32 v10, vcc_lo, v4, v48
	s_wait_alu 0xfffd
	v_add_co_ci_u32_e64 v11, null, 0, v5, vcc_lo
	v_add_co_u32 v4, vcc_lo, v4, v49
	s_wait_alu 0xfffd
	v_add_co_ci_u32_e64 v5, null, 0, v5, vcc_lo
	s_wait_loadcnt 0x0
	v_mad_co_u64_u32 v[6:7], null, 0xb0, v1, v[12:13]
	scratch_load_b32 v1, off, off offset:92 ; 4-byte Folded Reload
	v_add_co_u32 v14, vcc_lo, v6, v48
	s_wait_alu 0xfffd
	v_add_co_ci_u32_e64 v15, null, 0, v7, vcc_lo
	v_add_co_u32 v6, vcc_lo, v6, v49
	s_wait_alu 0xfffd
	v_add_co_ci_u32_e64 v7, null, 0, v7, vcc_lo
	s_wait_loadcnt 0x0
	v_mad_co_u64_u32 v[8:9], null, 0xb0, v1, v[12:13]
	scratch_load_b32 v1, off, off offset:96 ; 4-byte Folded Reload
	;; [unrolled: 9-line block ×3, first 2 shown]
	v_add_co_u32 v22, vcc_lo, v16, v48
	s_wait_alu 0xfffd
	v_add_co_ci_u32_e64 v23, null, 0, v17, vcc_lo
	v_add_co_u32 v16, vcc_lo, v16, v49
	s_wait_alu 0xfffd
	v_add_co_ci_u32_e64 v17, null, 0, v17, vcc_lo
	s_wait_loadcnt 0x0
	v_mad_co_u64_u32 v[24:25], null, 0xb0, v1, v[12:13]
	s_clause 0x7
	global_load_b32 v11, v[10:11], off offset:48
	global_load_b32 v10, v[4:5], off offset:16
	;; [unrolled: 1-line block ×8, first 2 shown]
	scratch_load_b32 v1, off, off offset:104 ; 4-byte Folded Reload
	v_add_co_u32 v16, vcc_lo, v24, v48
	s_wait_alu 0xfffd
	v_add_co_ci_u32_e64 v17, null, 0, v25, vcc_lo
	v_add_co_u32 v18, vcc_lo, v24, v49
	s_wait_alu 0xfffd
	v_add_co_ci_u32_e64 v19, null, 0, v25, vcc_lo
	s_wait_loadcnt 0x2
	v_and_b32_e32 v60, 0xf0f0f0f, v5
	v_lshrrev_b32_e32 v5, 4, v5
	s_wait_loadcnt 0x0
	v_mad_co_u64_u32 v[14:15], null, 0xb0, v1, v[12:13]
	scratch_load_b32 v1, off, off offset:112 ; 4-byte Folded Reload
	v_ashrrev_i32_e32 v61, v114, v4
	v_and_b32_e32 v5, 0xf0f0f0f, v5
	v_add_co_u32 v20, vcc_lo, v14, v48
	s_wait_alu 0xfffd
	v_add_co_ci_u32_e64 v21, null, 0, v15, vcc_lo
	v_add_co_u32 v14, vcc_lo, v14, v49
	s_wait_alu 0xfffd
	v_add_co_ci_u32_e64 v15, null, 0, v15, vcc_lo
	v_lshlrev_b32_e32 v61, 4, v61
	s_wait_loadcnt 0x0
	v_mad_co_u64_u32 v[22:23], null, 0xb0, v1, v[12:13]
	scratch_load_b32 v1, off, off offset:116 ; 4-byte Folded Reload
	v_add_co_u32 v26, vcc_lo, v22, v48
	s_wait_alu 0xfffd
	v_add_co_ci_u32_e64 v27, null, 0, v23, vcc_lo
	v_add_co_u32 v22, vcc_lo, v22, v49
	s_wait_alu 0xfffd
	v_add_co_ci_u32_e64 v23, null, 0, v23, vcc_lo
	s_wait_loadcnt 0x0
	v_mad_co_u64_u32 v[24:25], null, 0xb0, v1, v[12:13]
	scratch_load_b32 v1, off, off offset:120 ; 4-byte Folded Reload
	v_add_co_u32 v28, vcc_lo, v24, v48
	s_wait_alu 0xfffd
	v_add_co_ci_u32_e64 v29, null, 0, v25, vcc_lo
	v_add_co_u32 v24, vcc_lo, v24, v49
	s_wait_alu 0xfffd
	v_add_co_ci_u32_e64 v25, null, 0, v25, vcc_lo
	s_wait_loadcnt 0x0
	v_mad_co_u64_u32 v[30:31], null, 0xb0, v1, v[12:13]
	s_clause 0x7
	global_load_b32 v32, v[16:17], off offset:48
	global_load_b32 v33, v[18:19], off offset:16
	;; [unrolled: 1-line block ×8, first 2 shown]
	scratch_load_b32 v1, off, off offset:124 ; 4-byte Folded Reload
	v_add_co_u32 v16, vcc_lo, v30, v48
	s_wait_alu 0xfffd
	v_add_co_ci_u32_e64 v17, null, 0, v31, vcc_lo
	v_add_co_u32 v18, vcc_lo, v30, v49
	s_wait_alu 0xfffd
	v_add_co_ci_u32_e64 v19, null, 0, v31, vcc_lo
	s_wait_loadcnt 0x8
	v_and_b32_e32 v62, 0xf0f0f0f, v32
	v_lshrrev_b32_e32 v32, 4, v32
	s_wait_loadcnt 0x7
	v_ashrrev_i32_e32 v63, v114, v33
	s_wait_loadcnt 0x6
	v_and_b32_e32 v64, 0xf0f0f0f, v34
	v_lshrrev_b32_e32 v34, 4, v34
	s_wait_loadcnt 0x5
	v_ashrrev_i32_e32 v65, v114, v35
	s_wait_loadcnt 0x4
	v_and_b32_e32 v66, 0xf0f0f0f, v36
	v_lshrrev_b32_e32 v36, 4, v36
	s_wait_loadcnt 0x0
	v_mad_co_u64_u32 v[14:15], null, 0xb0, v1, v[12:13]
	scratch_load_b32 v1, off, off offset:128 ; 4-byte Folded Reload
	v_ashrrev_i32_e32 v67, v114, v37
	v_and_b32_e32 v68, 0xf0f0f0f, v38
	v_lshrrev_b32_e32 v38, 4, v38
	v_ashrrev_i32_e32 v69, v114, v39
	v_and_b32_e32 v32, 0xf0f0f0f, v32
	v_add_co_u32 v20, vcc_lo, v14, v48
	s_wait_alu 0xfffd
	v_add_co_ci_u32_e64 v21, null, 0, v15, vcc_lo
	v_add_co_u32 v14, vcc_lo, v14, v49
	s_clause 0x2
	global_load_b32 v40, v[16:17], off offset:48
	global_load_b32 v41, v[18:19], off offset:16
	global_load_b32 v42, v[20:21], off offset:48
	s_wait_alu 0xfffd
	v_add_co_ci_u32_e64 v15, null, 0, v15, vcc_lo
	v_lshlrev_b32_e32 v63, 4, v63
	v_and_b32_e32 v34, 0xf0f0f0f, v34
	v_lshlrev_b32_e32 v65, 4, v65
	v_and_b32_e32 v36, 0xf0f0f0f, v36
	;; [unrolled: 2-line block ×3, first 2 shown]
	v_lshlrev_b32_e32 v69, 4, v69
	s_wait_loadcnt 0x3
	v_mad_co_u64_u32 v[22:23], null, 0xb0, v1, v[12:13]
	s_delay_alu instid0(VALU_DEP_1) | instskip(SKIP_1) | instid1(VALU_DEP_2)
	v_add_co_u32 v16, vcc_lo, v22, v48
	s_wait_alu 0xfffd
	v_add_co_ci_u32_e64 v17, null, 0, v23, vcc_lo
	v_add_co_u32 v18, vcc_lo, v22, v49
	s_wait_alu 0xfffd
	v_add_co_ci_u32_e64 v19, null, 0, v23, vcc_lo
	s_clause 0x2
	global_load_b32 v43, v[14:15], off offset:16
	global_load_b32 v44, v[16:17], off offset:48
	;; [unrolled: 1-line block ×3, first 2 shown]
	scratch_load_b32 v1, off, off offset:132 ; 4-byte Folded Reload
	s_wait_loadcnt 0x6
	v_and_b32_e32 v70, 0xf0f0f0f, v40
	v_lshrrev_b32_e32 v40, 4, v40
	s_wait_loadcnt 0x5
	v_ashrrev_i32_e32 v71, v114, v41
	s_wait_loadcnt 0x4
	v_and_b32_e32 v178, 0xf0f0f0f, v42
	v_lshrrev_b32_e32 v42, 4, v42
	v_and_b32_e32 v40, 0xf0f0f0f, v40
	v_lshlrev_b32_e32 v71, 4, v71
	s_delay_alu instid0(VALU_DEP_3)
	v_and_b32_e32 v42, 0xf0f0f0f, v42
	s_wait_loadcnt 0x3
	v_ashrrev_i32_e32 v179, v114, v43
	s_wait_loadcnt 0x2
	v_and_b32_e32 v180, 0xf0f0f0f, v44
	v_lshrrev_b32_e32 v44, 4, v44
	s_wait_loadcnt 0x0
	v_mad_co_u64_u32 v[14:15], null, 0xb0, v1, v[12:13]
	scratch_load_b32 v1, off, off offset:136 ; 4-byte Folded Reload
	v_ashrrev_i32_e32 v181, v114, v45
	v_lshlrev_b32_e32 v179, 4, v179
	v_add_co_u32 v16, vcc_lo, v14, v48
	s_wait_alu 0xfffd
	v_add_co_ci_u32_e64 v17, null, 0, v15, vcc_lo
	v_add_co_u32 v14, vcc_lo, v14, v49
	s_wait_alu 0xfffd
	v_add_co_ci_u32_e64 v15, null, 0, v15, vcc_lo
	v_lshlrev_b32_e32 v181, 4, v181
	s_wait_loadcnt 0x0
	v_mad_co_u64_u32 v[18:19], null, 0xb0, v1, v[12:13]
	s_clause 0x1
	global_load_b32 v46, v[16:17], off offset:48
	global_load_b32 v47, v[14:15], off offset:16
	scratch_load_b32 v1, off, off offset:140 ; 4-byte Folded Reload
	v_add_co_u32 v16, vcc_lo, v18, v48
	s_wait_alu 0xfffd
	v_add_co_ci_u32_e64 v17, null, 0, v19, vcc_lo
	v_add_co_u32 v18, vcc_lo, v18, v49
	s_wait_alu 0xfffd
	v_add_co_ci_u32_e64 v19, null, 0, v19, vcc_lo
	s_wait_loadcnt 0x0
	v_mad_co_u64_u32 v[14:15], null, 0xb0, v1, v[12:13]
	scratch_load_b32 v1, off, off offset:144 ; 4-byte Folded Reload
	v_add_co_u32 v20, vcc_lo, v14, v48
	s_wait_alu 0xfffd
	v_add_co_ci_u32_e64 v21, null, 0, v15, vcc_lo
	v_add_co_u32 v14, vcc_lo, v14, v49
	s_wait_alu 0xfffd
	v_add_co_ci_u32_e64 v15, null, 0, v15, vcc_lo
	s_wait_loadcnt 0x0
	v_mad_co_u64_u32 v[22:23], null, 0xb0, v1, v[12:13]
	;; [unrolled: 9-line block ×4, first 2 shown]
	s_clause 0x7
	global_load_b32 v48, v[16:17], off offset:48
	global_load_b32 v49, v[18:19], off offset:16
	;; [unrolled: 1-line block ×8, first 2 shown]
	scratch_load_b32 v1, off, off offset:152 ; 4-byte Folded Reload
	v_add_nc_u32_e32 v24, s5, v0
	scratch_load_b32 v22, off, off offset:200 ; 4-byte Folded Reload
	s_wait_loadcnt 0x1
	v_mad_co_u64_u32 v[12:13], null, 0xb0, v1, s[12:13]
	scratch_load_b32 v1, off, off offset:176 ; 4-byte Folded Reload
	s_wait_loadcnt 0x0
	v_mad_co_u64_u32 v[14:15], null, 0xb0, v1, s[12:13]
	scratch_load_b32 v1, off, off offset:196 ; 4-byte Folded Reload
	s_mov_b32 s12, -1
	s_wait_loadcnt 0x0
	v_add_co_u32 v16, vcc_lo, v28, v1
	s_wait_alu 0xfffd
	v_add_co_ci_u32_e64 v17, null, 0, v29, vcc_lo
	v_add_co_u32 v18, vcc_lo, v28, v22
	s_wait_alu 0xfffd
	v_add_co_ci_u32_e64 v19, null, 0, v29, vcc_lo
	v_add_co_u32 v20, vcc_lo, v14, v1
	scratch_load_b32 v1, off, off           ; 4-byte Folded Reload
	s_wait_alu 0xfffd
	v_add_co_ci_u32_e64 v21, null, 0, v15, vcc_lo
	v_add_co_u32 v14, vcc_lo, v14, v22
	s_wait_alu 0xfffd
	v_add_co_ci_u32_e64 v15, null, 0, v15, vcc_lo
	s_clause 0x3
	global_load_b32 v56, v[16:17], off offset:4
	global_load_b32 v57, v[18:19], off offset:4
	;; [unrolled: 1-line block ×4, first 2 shown]
	scratch_load_b64 v[14:15], off, off offset:184 ; 8-byte Folded Reload
	s_wait_loadcnt 0x5
	v_add_nc_u32_e32 v22, v24, v1
	scratch_load_b32 v1, off, off offset:4  ; 4-byte Folded Reload
	s_wait_loadcnt 0x1
	v_add_nc_u32_e32 v30, s5, v14
	v_mad_co_i64_i32 v[14:15], null, v22, 36, v[2:3]
	scratch_store_b32 off, v30, off offset:80 ; 4-byte Folded Spill
	v_mad_co_u64_u32 v[30:31], null, v30, 36, s[2:3]
	s_wait_loadcnt 0x0
	v_add_nc_u32_e32 v16, v24, v1
	scratch_load_b32 v1, off, off offset:8  ; 4-byte Folded Reload
	v_mad_co_i64_i32 v[16:17], null, v16, 36, v[2:3]
	s_wait_loadcnt 0x0
	v_add_nc_u32_e32 v18, v24, v1
	scratch_load_b32 v1, off, off offset:12 ; 4-byte Folded Reload
	v_mad_co_i64_i32 v[18:19], null, v18, 36, v[2:3]
	s_wait_loadcnt 0x0
	v_add_nc_u32_e32 v20, v24, v1
	scratch_load_b32 v1, off, off offset:16 ; 4-byte Folded Reload
	;; [unrolled: 4-line block ×4, first 2 shown]
	s_wait_loadcnt 0x0
	v_add_nc_u32_e32 v26, v24, v1
	scratch_load_b32 v1, off, off offset:28 ; 4-byte Folded Reload
	v_mad_co_i64_i32 v[26:27], null, v26, 36, v[2:3]
	s_wait_loadcnt 0x0
	v_add_nc_u32_e32 v28, v24, v1
	v_or_b32_e32 v1, 1, v114
	v_mad_co_i64_i32 v[24:25], null, v25, 36, v[2:3]
	s_delay_alu instid0(VALU_DEP_3)
	v_mad_co_i64_i32 v[28:29], null, v28, 36, v[2:3]
	global_load_b32 v12, v[12:13], off
	s_clause 0x8
	global_load_b32 v13, v[14:15], off offset:4
	global_load_b32 v14, v[18:19], off offset:4
	;; [unrolled: 1-line block ×8, first 2 shown]
	global_load_b32 v17, v[30:31], off
	v_and_b32_e32 v26, 0xf0f0f0f, v11
	v_lshrrev_b32_e32 v11, 4, v11
	v_ashrrev_i32_e32 v27, v114, v10
	v_ashrrev_i32_e32 v10, v1, v10
	v_and_b32_e32 v28, 0xf0f0f0f, v9
	v_lshrrev_b32_e32 v9, 4, v9
	v_ashrrev_i32_e32 v29, v114, v8
	v_ashrrev_i32_e32 v8, v1, v8
	;; [unrolled: 4-line block ×3, first 2 shown]
	v_ashrrev_i32_e32 v4, v1, v4
	v_ashrrev_i32_e32 v33, v1, v33
	;; [unrolled: 1-line block ×3, first 2 shown]
	v_and_b32_e32 v11, 0xf0f0f0f, v11
	v_lshlrev_b32_e32 v27, 4, v27
	v_lshlrev_b32_e32 v10, 4, v10
	v_ashrrev_i32_e32 v37, v1, v37
	v_and_b32_e32 v9, 0xf0f0f0f, v9
	v_lshlrev_b32_e32 v29, 4, v29
	v_lshlrev_b32_e32 v8, 4, v8
	v_ashrrev_i32_e32 v39, v1, v39
	;; [unrolled: 4-line block ×3, first 2 shown]
	v_lshlrev_b32_e32 v4, 4, v4
	v_lshlrev_b32_e32 v33, 4, v33
	;; [unrolled: 1-line block ×3, first 2 shown]
	v_and_or_b32 v26, 0x10101010, v27, v26
	v_and_or_b32 v10, 0x10101010, v10, v11
	v_add_nc_u32_e32 v21, 0x800, v120
	v_lshlrev_b32_e32 v37, 4, v37
	v_and_or_b32 v11, 0x10101010, v29, v28
	v_and_or_b32 v8, 0x10101010, v8, v9
	v_add_nc_u32_e32 v23, 0x1000, v120
	v_lshlrev_b32_e32 v39, 4, v39
	v_and_or_b32 v9, 0x10101010, v31, v30
	v_and_or_b32 v6, 0x10101010, v6, v7
	v_add_nc_u32_e32 v24, 0x1800, v120
	v_ashrrev_i32_e32 v43, v1, v43
	v_lshlrev_b32_e32 v41, 4, v41
	v_and_or_b32 v7, 0x10101010, v61, v60
	v_and_or_b32 v4, 0x10101010, v4, v5
	v_add_nc_u32_e32 v25, 0x2000, v120
	v_ashrrev_i32_e32 v45, v1, v45
	v_and_or_b32 v5, 0x10101010, v63, v62
	v_and_or_b32 v27, 0x10101010, v33, v32
	;; [unrolled: 1-line block ×4, first 2 shown]
	ds_store_2addr_b32 v120, v26, v10 offset1:8
	ds_store_2addr_b32 v21, v11, v8 offset0:8 offset1:16
	ds_store_2addr_b32 v23, v9, v6 offset0:16 offset1:24
	;; [unrolled: 1-line block ×3, first 2 shown]
	v_add_nc_u32_e32 v4, 0x2800, v120
	v_and_or_b32 v30, 0x10101010, v67, v66
	v_and_or_b32 v31, 0x10101010, v37, v36
	v_add_nc_u32_e32 v6, 0x3000, v120
	v_and_or_b32 v32, 0x10101010, v69, v68
	v_and_or_b32 v33, 0x10101010, v39, v38
	v_add_nc_u32_e32 v7, 0x3800, v120
	v_lshlrev_b32_e32 v43, 4, v43
	v_and_or_b32 v34, 0x10101010, v71, v70
	v_and_or_b32 v35, 0x10101010, v41, v40
	v_add_nc_u32_e32 v8, 0x4000, v120
	ds_store_2addr_b32 v25, v5, v27 offset0:32 offset1:40
	ds_store_2addr_b32 v4, v28, v29 offset0:40 offset1:48
	;; [unrolled: 1-line block ×5, first 2 shown]
	v_and_b32_e32 v4, 0xf0f0f0f, v44
	v_lshlrev_b32_e32 v5, 4, v45
	v_lshrrev_b32_e32 v7, 4, v46
	v_ashrrev_i32_e32 v9, v114, v47
	v_ashrrev_i32_e32 v10, v1, v47
	v_lshrrev_b32_e32 v11, 4, v48
	v_ashrrev_i32_e32 v21, v114, v49
	v_ashrrev_i32_e32 v23, v1, v49
	v_and_or_b32 v36, 0x10101010, v179, v178
	v_and_or_b32 v6, 0x10101010, v43, v42
	v_add_nc_u32_e32 v25, 0x4800, v120
	v_and_or_b32 v4, 0x10101010, v5, v4
	v_and_b32_e32 v5, 0xf0f0f0f, v46
	v_and_b32_e32 v7, 0xf0f0f0f, v7
	v_lshlrev_b32_e32 v9, 4, v9
	v_lshlrev_b32_e32 v10, 4, v10
	v_and_b32_e32 v24, 0xf0f0f0f, v48
	v_and_b32_e32 v11, 0xf0f0f0f, v11
	v_lshlrev_b32_e32 v21, 4, v21
	v_lshlrev_b32_e32 v23, 4, v23
	v_and_or_b32 v8, 0x10101010, v181, v180
	ds_store_2addr_b32 v25, v36, v6 offset0:72 offset1:80
	v_add_nc_u32_e32 v6, 0x5000, v120
	v_and_or_b32 v5, 0x10101010, v9, v5
	v_and_or_b32 v7, 0x10101010, v10, v7
	v_add_nc_u32_e32 v9, 0x5800, v120
	v_and_or_b32 v10, 0x10101010, v21, v24
	v_and_or_b32 v11, 0x10101010, v23, v11
	v_add_nc_u32_e32 v21, 0x6000, v120
	ds_store_2addr_b32 v6, v8, v4 offset0:80 offset1:88
	ds_store_2addr_b32 v9, v5, v7 offset0:88 offset1:96
	v_ashrrev_i32_e32 v6, v1, v51
	v_ashrrev_i32_e32 v5, v114, v51
	;; [unrolled: 1-line block ×3, first 2 shown]
	ds_store_2addr_b32 v21, v10, v11 offset0:96 offset1:104
	v_ashrrev_i32_e32 v11, v1, v53
	v_ashrrev_i32_e32 v21, v1, v55
	scratch_load_b32 v1, off, off offset:160 ; 4-byte Folded Reload
	v_lshrrev_b32_e32 v4, 4, v50
	v_and_b32_e32 v7, 0xf0f0f0f, v50
	v_lshlrev_b32_e32 v5, 4, v5
	v_and_b32_e32 v9, 0xf0f0f0f, v52
	v_lshlrev_b32_e32 v8, 4, v8
	;; [unrolled: 2-line block ×3, first 2 shown]
	v_lshrrev_b32_e32 v10, 4, v52
	v_and_or_b32 v5, 0x10101010, v5, v7
	v_lshlrev_b32_e32 v7, 4, v11
	v_ashrrev_i32_e32 v11, v114, v55
	v_and_or_b32 v8, 0x10101010, v8, v9
	v_lshrrev_b32_e32 v9, 4, v54
	v_and_or_b32 v4, 0x10101010, v6, v4
	v_and_b32_e32 v6, 0xf0f0f0f, v10
	v_and_b32_e32 v10, 0xf0f0f0f, v54
	v_lshlrev_b32_e32 v11, 4, v11
	v_and_b32_e32 v9, 0xf0f0f0f, v9
	v_lshlrev_b32_e32 v21, 4, v21
	v_and_or_b32 v6, 0x10101010, v7, v6
	s_delay_alu instid0(VALU_DEP_4)
	v_and_or_b32 v7, 0x10101010, v11, v10
	v_add_nc_u32_e32 v10, 0x6800, v120
	v_add_nc_u32_e32 v11, 0x7000, v120
	v_and_or_b32 v9, 0x10101010, v21, v9
	v_add_nc_u32_e32 v21, 0x7800, v120
	s_wait_loadcnt 0x0
	v_ashrrev_i32_e32 v23, v1, v56
	v_ashrrev_i32_e32 v24, v1, v58
	scratch_load_b32 v1, off, off offset:164 ; 4-byte Folded Reload
	ds_store_2addr_b32 v10, v5, v4 offset0:104 offset1:112
	ds_store_2addr_b32 v11, v8, v6 offset0:112 offset1:120
	;; [unrolled: 1-line block ×3, first 2 shown]
	v_and_b32_e32 v23, 0xf0f0f0f, v23
	v_and_b32_e32 v24, 0xf0f0f0f, v24
	s_wait_loadcnt 0x0
	v_ashrrev_i32_e32 v25, v1, v57
	v_ashrrev_i32_e32 v26, v1, v59
	scratch_load_b32 v1, off, off offset:172 ; 4-byte Folded Reload
	v_and_or_b32 v23, 0x30303030, v25, v23
	v_and_or_b32 v24, 0x30303030, v26, v24
	s_wait_loadcnt 0x0
	ds_store_b32 v1, v23
	scratch_load_b32 v1, off, off offset:180 ; 4-byte Folded Reload
	s_wait_loadcnt 0x0
	ds_store_b32 v1, v24
	scratch_load_b32 v1, off, off offset:48 ; 4-byte Folded Reload
	;; [unrolled: 3-line block ×10, first 2 shown]
	s_wait_loadcnt 0x0
	ds_store_b32 v1, v19
	ds_store_b32 v255, v17
	s_wait_storecnt_dscnt 0x0
	s_barrier_signal -1
	s_barrier_wait -1
	global_inv scope:SCOPE_SE
	scratch_load_b32 v1, off, off offset:32 ; 4-byte Folded Reload
	s_wait_loadcnt 0x0
	ds_load_b32 v4, v1
	scratch_load_b32 v1, off, off offset:36 ; 4-byte Folded Reload
	s_wait_dscnt 0x0
	v_lshrrev_b32_e32 v8, 16, v4
	v_cvt_f32_f16_e64 v185, v4
	s_delay_alu instid0(VALU_DEP_2)
	v_cvt_f32_f16_e64 v184, v8
	s_wait_loadcnt 0x0
	ds_load_b32 v5, v1 offset:128
	scratch_load_b32 v1, off, off offset:40 ; 4-byte Folded Reload
	s_wait_dscnt 0x0
	v_lshrrev_b32_e32 v8, 16, v5
	v_cvt_f32_f16_e64 v186, v5
	s_delay_alu instid0(VALU_DEP_2)
	v_cvt_f32_f16_e64 v187, v8
	s_wait_loadcnt 0x0
	ds_load_b32 v6, v1 offset:256
	;; [unrolled: 8-line block ×3, first 2 shown]
	s_wait_dscnt 0x0
	v_lshrrev_b32_e32 v5, 16, v7
	v_cvt_f32_f16_e64 v190, v7
	s_delay_alu instid0(VALU_DEP_2)
	v_cvt_f32_f16_e64 v191, v5
.LBB133_6:                              ;   Parent Loop BB133_5 Depth=1
                                        ; =>  This Inner Loop Header: Depth=2
	v_lshlrev_b32_e32 v178, 2, v0
	v_lshlrev_b32_e32 v179, 2, v111
	;; [unrolled: 1-line block ×3, first 2 shown]
	s_lshl_b32 s13, s16, 1
	s_lshr_b32 s18, s16, 2
	v_lshlrev_b32_e32 v180, 2, v147
	v_lshlrev_b32_e32 v182, 2, v149
	s_lshl_b32 s17, s16, 3
	s_add_co_i32 s16, s18, 0xa200
	s_wait_alu 0xfffe
	v_or_b32_e32 v199, s13, v154
	v_add_nc_u32_e32 v10, s17, v167
	v_add3_u32 v192, s16, v178, v179
	v_add_nc_u32_e32 v201, s17, v163
	v_add3_u32 v246, s16, v181, v164
	v_add_nc_u32_e32 v14, s17, v161
	v_add_nc_u32_e32 v24, s17, v165
	v_add3_u32 v12, s16, v180, v162
	v_add3_u32 v25, s16, v182, v166
	v_lshlrev_b32_e32 v200, 2, v199
	ds_load_u16 v193, v192 offset:8
	ds_load_2addr_b32 v[4:5], v14 offset1:1
	ds_load_2addr_b32 v[22:23], v10 offset0:14 offset1:15
	ds_load_b128 v[6:9], v200 offset:33280
	ds_load_2addr_b32 v[34:35], v201 offset0:2 offset1:3
	ds_load_2addr_b32 v[26:27], v201 offset0:4 offset1:5
	ds_load_u16 v194, v12 offset:8
	ds_load_2addr_b32 v[48:49], v201 offset1:1
	ds_load_u16 v195, v246 offset:8
	ds_load_2addr_b32 v[58:59], v24 offset1:1
	ds_load_2addr_b32 v[54:55], v10 offset0:2 offset1:3
	ds_load_2addr_b32 v[32:33], v10 offset0:4 offset1:5
	ds_load_u16 v196, v25 offset:8
	ds_load_2addr_b32 v[62:63], v10 offset1:1
	ds_load_2addr_b32 v[16:17], v14 offset0:2 offset1:3
	ds_load_2addr_b32 v[18:19], v14 offset0:4 offset1:5
	;; [unrolled: 1-line block ×6, first 2 shown]
	v_or_b32_e32 v136, s13, v156
	v_or_b32_e32 v84, s13, v158
	;; [unrolled: 1-line block ×3, first 2 shown]
	v_lshrrev_b32_e32 v199, 1, v199
	s_mov_b32 s16, 8
	v_lshlrev_b32_e32 v137, 2, v136
	v_lshlrev_b32_e32 v132, 2, v84
	;; [unrolled: 1-line block ×3, first 2 shown]
	v_lshrrev_b32_e32 v136, 1, v136
	v_lshrrev_b32_e32 v84, 1, v84
	;; [unrolled: 1-line block ×3, first 2 shown]
	s_and_b32 vcc_lo, exec_lo, s12
	s_mov_b32 s12, 0
	s_wait_dscnt 0x10
	v_dot4_i32_iu8 v11, v4, v6, 0 neg_lo:[1,1,0]
	s_wait_dscnt 0xc
	v_dot4_i32_iu8 v13, v6, v48, 0 neg_lo:[1,1,0]
	;; [unrolled: 2-line block ×4, first 2 shown]
	v_dot4_i32_iu8 v11, v5, v7, v11 neg_lo:[1,1,0]
	v_dot4_i32_iu8 v13, v7, v49, v13 neg_lo:[1,1,0]
	v_dot4_i32_iu8 v15, v7, v59, v15 neg_lo:[1,1,0]
	s_delay_alu instid0(VALU_DEP_4)
	v_dot4_i32_iu8 v6, v7, v63, v6 neg_lo:[1,1,0]
	s_wait_dscnt 0x5
	v_dot4_i32_iu8 v7, v16, v8, v11 neg_lo:[1,1,0]
	v_dot4_i32_iu8 v11, v8, v34, v13 neg_lo:[1,1,0]
	s_wait_dscnt 0x2
	v_dot4_i32_iu8 v13, v8, v64, v15 neg_lo:[1,1,0]
	v_dot4_i32_iu8 v6, v8, v54, v6 neg_lo:[1,1,0]
	;; [unrolled: 1-line block ×4, first 2 shown]
	s_delay_alu instid0(VALU_DEP_4) | instskip(NEXT) | instid1(VALU_DEP_4)
	v_dot4_i32_iu8 v249, v9, v65, v13 neg_lo:[1,1,0]
	v_dot4_i32_iu8 v250, v9, v55, v6 neg_lo:[1,1,0]
	ds_load_u16 v198, v12
	ds_load_u16 v197, v25
	ds_load_2addr_b32 v[8:9], v14 offset0:8 offset1:9
	ds_load_b128 v[202:205], v200 offset:33312
	ds_load_b128 v[206:209], v200 offset:33296
	ds_load_2addr_b32 v[42:43], v201 offset0:8 offset1:9
	ds_load_2addr_b32 v[38:39], v201 offset0:10 offset1:11
	;; [unrolled: 1-line block ×9, first 2 shown]
	s_wait_dscnt 0xa
	v_dot4_i32_iu8 v6, v8, v202, 0 neg_lo:[1,1,0]
	s_wait_dscnt 0x3
	v_dot4_i32_iu8 v10, v202, v56, 0 neg_lo:[1,1,0]
	v_dot4_i32_iu8 v7, v202, v42, 0 neg_lo:[1,1,0]
	;; [unrolled: 1-line block ×4, first 2 shown]
	s_delay_alu instid0(VALU_DEP_4) | instskip(NEXT) | instid1(VALU_DEP_4)
	v_dot4_i32_iu8 v70, v203, v57, v10 neg_lo:[1,1,0]
	v_dot4_i32_iu8 v7, v203, v43, v7 neg_lo:[1,1,0]
	s_delay_alu instid0(VALU_DEP_4)
	v_dot4_i32_iu8 v25, v203, v51, v11 neg_lo:[1,1,0]
	ds_load_2addr_b32 v[10:11], v14 offset0:10 offset1:11
	ds_load_2addr_b32 v[12:13], v14 offset0:12 offset1:13
	;; [unrolled: 1-line block ×6, first 2 shown]
	v_dot4_i32_iu8 v7, v204, v38, v7 neg_lo:[1,1,0]
	s_delay_alu instid0(VALU_DEP_1)
	v_dot4_i32_iu8 v252, v205, v39, v7 neg_lo:[1,1,0]
	s_wait_dscnt 0x5
	v_dot4_i32_iu8 v6, v10, v204, v6 neg_lo:[1,1,0]
	s_wait_dscnt 0x2
	v_dot4_i32_iu8 v24, v204, v60, v25 neg_lo:[1,1,0]
	v_dot4_i32_iu8 v25, v204, v46, v70 neg_lo:[1,1,0]
	s_delay_alu instid0(VALU_DEP_3) | instskip(SKIP_1) | instid1(VALU_DEP_4)
	v_dot4_i32_iu8 v251, v11, v205, v6 neg_lo:[1,1,0]
	v_or_b32_e32 v6, s13, v155
	v_dot4_i32_iu8 v253, v205, v61, v24 neg_lo:[1,1,0]
	s_delay_alu instid0(VALU_DEP_4) | instskip(NEXT) | instid1(VALU_DEP_3)
	v_dot4_i32_iu8 v254, v205, v47, v25 neg_lo:[1,1,0]
	v_lshlrev_b32_e32 v7, 2, v6
	ds_load_b128 v[202:205], v7 offset:33280
	ds_load_b128 v[210:213], v7 offset:33296
	v_lshrrev_b32_e32 v6, 1, v6
	s_wait_dscnt 0x1
	v_dot4_i32_iu8 v24, v4, v202, 0 neg_lo:[1,1,0]
	v_dot4_i32_iu8 v25, v202, v48, 0 neg_lo:[1,1,0]
	;; [unrolled: 1-line block ×4, first 2 shown]
	s_delay_alu instid0(VALU_DEP_4) | instskip(NEXT) | instid1(VALU_DEP_4)
	v_dot4_i32_iu8 v24, v5, v203, v24 neg_lo:[1,1,0]
	v_dot4_i32_iu8 v25, v203, v49, v25 neg_lo:[1,1,0]
	s_delay_alu instid0(VALU_DEP_4) | instskip(NEXT) | instid1(VALU_DEP_4)
	v_dot4_i32_iu8 v70, v203, v59, v70 neg_lo:[1,1,0]
	v_dot4_i32_iu8 v71, v203, v63, v71 neg_lo:[1,1,0]
	;; [unrolled: 3-line block ×6, first 2 shown]
	ds_load_b128 v[202:205], v7 offset:33312
	ds_load_b128 v[214:217], v7 offset:33328
	s_wait_dscnt 0x2
	v_dot4_i32_iu8 v90, v210, v26, v90 neg_lo:[1,1,0]
	v_dot4_i32_iu8 v85, v210, v52, v85 neg_lo:[1,1,0]
	;; [unrolled: 1-line block ×3, first 2 shown]
	s_delay_alu instid0(VALU_DEP_3) | instskip(NEXT) | instid1(VALU_DEP_3)
	v_dot4_i32_iu8 v90, v211, v27, v90 neg_lo:[1,1,0]
	v_dot4_i32_iu8 v85, v211, v53, v85 neg_lo:[1,1,0]
	s_delay_alu instid0(VALU_DEP_3) | instskip(NEXT) | instid1(VALU_DEP_3)
	v_dot4_i32_iu8 v128, v211, v33, v128 neg_lo:[1,1,0]
	v_dot4_i32_iu8 v90, v212, v66, v90 neg_lo:[1,1,0]
	;; [unrolled: 3-line block ×4, first 2 shown]
	s_wait_dscnt 0x1
	v_dot4_i32_iu8 v7, v8, v202, 0 neg_lo:[1,1,0]
	v_dot4_i32_iu8 v24, v202, v42, 0 neg_lo:[1,1,0]
	;; [unrolled: 1-line block ×9, first 2 shown]
	s_delay_alu instid0(VALU_DEP_4) | instskip(NEXT) | instid1(VALU_DEP_4)
	v_dot4_i32_iu8 v7, v10, v204, v7 neg_lo:[1,1,0]
	v_dot4_i32_iu8 v24, v204, v38, v24 neg_lo:[1,1,0]
	s_delay_alu instid0(VALU_DEP_4) | instskip(NEXT) | instid1(VALU_DEP_4)
	v_dot4_i32_iu8 v25, v204, v60, v25 neg_lo:[1,1,0]
	v_dot4_i32_iu8 v70, v204, v46, v70 neg_lo:[1,1,0]
	;; [unrolled: 3-line block ×4, first 2 shown]
	ds_load_b64 v[6:7], v6 offset:43584
	ds_load_b128 v[202:205], v137 offset:33280
	s_wait_dscnt 0x2
	v_dot4_i32_iu8 v129, v12, v214, v129 neg_lo:[1,1,0]
	v_dot4_i32_iu8 v130, v214, v28, v130 neg_lo:[1,1,0]
	;; [unrolled: 1-line block ×4, first 2 shown]
	s_delay_alu instid0(VALU_DEP_4) | instskip(NEXT) | instid1(VALU_DEP_4)
	v_dot4_i32_iu8 v129, v13, v215, v129 neg_lo:[1,1,0]
	v_dot4_i32_iu8 v130, v215, v29, v130 neg_lo:[1,1,0]
	s_delay_alu instid0(VALU_DEP_4) | instskip(NEXT) | instid1(VALU_DEP_4)
	v_dot4_i32_iu8 v134, v215, v41, v134 neg_lo:[1,1,0]
	v_dot4_i32_iu8 v135, v215, v31, v135 neg_lo:[1,1,0]
	s_delay_alu instid0(VALU_DEP_4) | instskip(NEXT) | instid1(VALU_DEP_3)
	v_dot4_i32_iu8 v129, v14, v216, v129 neg_lo:[1,1,0]
	v_dot4_i32_iu8 v134, v216, v36, v134 neg_lo:[1,1,0]
	s_delay_alu instid0(VALU_DEP_3) | instskip(NEXT) | instid1(VALU_DEP_3)
	v_dot4_i32_iu8 v135, v216, v22, v135 neg_lo:[1,1,0]
	v_dot4_i32_iu8 v129, v15, v217, v129 neg_lo:[1,1,0]
	s_delay_alu instid0(VALU_DEP_3) | instskip(NEXT) | instid1(VALU_DEP_3)
	v_dot4_i32_iu8 v134, v217, v37, v134 neg_lo:[1,1,0]
	v_dot4_i32_iu8 v135, v217, v23, v135 neg_lo:[1,1,0]
	s_wait_dscnt 0x0
	v_dot4_i32_iu8 v24, v4, v202, 0 neg_lo:[1,1,0]
	v_dot4_i32_iu8 v25, v202, v48, 0 neg_lo:[1,1,0]
	;; [unrolled: 1-line block ×4, first 2 shown]
	s_delay_alu instid0(VALU_DEP_4) | instskip(NEXT) | instid1(VALU_DEP_4)
	v_dot4_i32_iu8 v24, v5, v203, v24 neg_lo:[1,1,0]
	v_dot4_i32_iu8 v25, v203, v49, v25 neg_lo:[1,1,0]
	s_delay_alu instid0(VALU_DEP_4) | instskip(NEXT) | instid1(VALU_DEP_4)
	v_dot4_i32_iu8 v70, v203, v59, v70 neg_lo:[1,1,0]
	v_dot4_i32_iu8 v71, v203, v63, v71 neg_lo:[1,1,0]
	s_delay_alu instid0(VALU_DEP_4) | instskip(NEXT) | instid1(VALU_DEP_4)
	v_dot4_i32_iu8 v24, v16, v204, v24 neg_lo:[1,1,0]
	v_dot4_i32_iu8 v25, v204, v34, v25 neg_lo:[1,1,0]
	s_delay_alu instid0(VALU_DEP_4) | instskip(NEXT) | instid1(VALU_DEP_4)
	v_dot4_i32_iu8 v70, v204, v64, v70 neg_lo:[1,1,0]
	v_dot4_i32_iu8 v71, v204, v54, v71 neg_lo:[1,1,0]
	s_delay_alu instid0(VALU_DEP_4) | instskip(NEXT) | instid1(VALU_DEP_4)
	v_dot4_i32_iu8 v1, v17, v205, v24 neg_lo:[1,1,0]
	v_dot4_i32_iu8 v100, v205, v35, v25 neg_lo:[1,1,0]
	s_delay_alu instid0(VALU_DEP_4) | instskip(NEXT) | instid1(VALU_DEP_4)
	v_dot4_i32_iu8 v102, v205, v65, v70 neg_lo:[1,1,0]
	v_dot4_i32_iu8 v104, v205, v55, v71 neg_lo:[1,1,0]
	ds_load_b128 v[202:205], v137 offset:33312
	ds_load_b128 v[218:221], v137 offset:33296
	s_wait_dscnt 0x1
	v_dot4_i32_iu8 v24, v8, v202, 0 neg_lo:[1,1,0]
	v_dot4_i32_iu8 v25, v202, v42, 0 neg_lo:[1,1,0]
	;; [unrolled: 1-line block ×4, first 2 shown]
	s_wait_dscnt 0x0
	v_dot4_i32_iu8 v100, v218, v26, v100 neg_lo:[1,1,0]
	v_dot4_i32_iu8 v24, v9, v203, v24 neg_lo:[1,1,0]
	;; [unrolled: 1-line block ×12, first 2 shown]
	v_or_b32_e32 v24, s13, v157
	v_dot4_i32_iu8 v108, v205, v39, v25 neg_lo:[1,1,0]
	v_dot4_i32_iu8 v109, v205, v61, v70 neg_lo:[1,1,0]
	;; [unrolled: 1-line block ×4, first 2 shown]
	v_lshlrev_b32_e32 v25, 2, v24
	ds_load_b128 v[202:205], v25 offset:33280
	ds_load_b128 v[222:225], v25 offset:33296
	v_lshrrev_b32_e32 v24, 1, v24
	v_dot4_i32_iu8 v102, v219, v53, v102 neg_lo:[1,1,0]
	v_dot4_i32_iu8 v104, v219, v33, v104 neg_lo:[1,1,0]
	v_dot4_i32_iu8 v100, v220, v66, v100 neg_lo:[1,1,0]
	v_dot4_i32_iu8 v1, v18, v218, v1 neg_lo:[1,1,0]
	s_delay_alu instid0(VALU_DEP_4) | instskip(NEXT) | instid1(VALU_DEP_4)
	v_dot4_i32_iu8 v102, v220, v44, v102 neg_lo:[1,1,0]
	v_dot4_i32_iu8 v104, v220, v68, v104 neg_lo:[1,1,0]
	s_delay_alu instid0(VALU_DEP_4) | instskip(NEXT) | instid1(VALU_DEP_4)
	v_dot4_i32_iu8 v100, v221, v67, v100 neg_lo:[1,1,0]
	v_dot4_i32_iu8 v1, v19, v219, v1 neg_lo:[1,1,0]
	;; [unrolled: 3-line block ×3, first 2 shown]
	s_delay_alu instid0(VALU_DEP_3)
	v_dot4_i32_iu8 v1, v20, v220, v1 neg_lo:[1,1,0]
	s_wait_dscnt 0x1
	v_dot4_i32_iu8 v70, v4, v202, 0 neg_lo:[1,1,0]
	v_dot4_i32_iu8 v71, v202, v48, 0 neg_lo:[1,1,0]
	;; [unrolled: 1-line block ×9, first 2 shown]
	s_delay_alu instid0(VALU_DEP_4) | instskip(NEXT) | instid1(VALU_DEP_4)
	v_dot4_i32_iu8 v70, v16, v204, v70 neg_lo:[1,1,0]
	v_dot4_i32_iu8 v71, v204, v34, v71 neg_lo:[1,1,0]
	s_delay_alu instid0(VALU_DEP_4) | instskip(NEXT) | instid1(VALU_DEP_4)
	v_dot4_i32_iu8 v203, v204, v64, v226 neg_lo:[1,1,0]
	v_dot4_i32_iu8 v202, v204, v54, v202 neg_lo:[1,1,0]
	;; [unrolled: 3-line block ×4, first 2 shown]
	ds_load_b128 v[202:205], v25 offset:33312
	ds_load_b128 v[226:229], v25 offset:33328
	s_wait_dscnt 0x2
	v_dot4_i32_iu8 v112, v18, v222, v112 neg_lo:[1,1,0]
	v_dot4_i32_iu8 v115, v222, v26, v115 neg_lo:[1,1,0]
	;; [unrolled: 1-line block ×4, first 2 shown]
	s_delay_alu instid0(VALU_DEP_4) | instskip(NEXT) | instid1(VALU_DEP_4)
	v_dot4_i32_iu8 v112, v19, v223, v112 neg_lo:[1,1,0]
	v_dot4_i32_iu8 v115, v223, v27, v115 neg_lo:[1,1,0]
	s_delay_alu instid0(VALU_DEP_4) | instskip(NEXT) | instid1(VALU_DEP_4)
	v_dot4_i32_iu8 v119, v223, v53, v119 neg_lo:[1,1,0]
	v_dot4_i32_iu8 v121, v223, v33, v121 neg_lo:[1,1,0]
	;; [unrolled: 3-line block ×5, first 2 shown]
	s_delay_alu instid0(VALU_DEP_4)
	v_dot4_i32_iu8 v119, v225, v45, v119 neg_lo:[1,1,0]
	s_wait_dscnt 0x1
	v_dot4_i32_iu8 v25, v8, v202, 0 neg_lo:[1,1,0]
	v_dot4_i32_iu8 v70, v202, v42, 0 neg_lo:[1,1,0]
	;; [unrolled: 1-line block ×9, first 2 shown]
	s_delay_alu instid0(VALU_DEP_4) | instskip(NEXT) | instid1(VALU_DEP_4)
	v_dot4_i32_iu8 v25, v10, v204, v25 neg_lo:[1,1,0]
	v_dot4_i32_iu8 v70, v204, v38, v70 neg_lo:[1,1,0]
	s_delay_alu instid0(VALU_DEP_4) | instskip(NEXT) | instid1(VALU_DEP_4)
	v_dot4_i32_iu8 v71, v204, v60, v71 neg_lo:[1,1,0]
	v_dot4_i32_iu8 v202, v204, v46, v202 neg_lo:[1,1,0]
	;; [unrolled: 3-line block ×4, first 2 shown]
	ds_load_b64 v[24:25], v24 offset:43584
	ds_load_b128 v[202:205], v132 offset:33280
	s_wait_dscnt 0x2
	v_dot4_i32_iu8 v122, v12, v226, v122 neg_lo:[1,1,0]
	v_dot4_i32_iu8 v124, v226, v28, v124 neg_lo:[1,1,0]
	;; [unrolled: 1-line block ×4, first 2 shown]
	s_delay_alu instid0(VALU_DEP_4) | instskip(NEXT) | instid1(VALU_DEP_4)
	v_dot4_i32_iu8 v122, v13, v227, v122 neg_lo:[1,1,0]
	v_dot4_i32_iu8 v124, v227, v29, v124 neg_lo:[1,1,0]
	s_delay_alu instid0(VALU_DEP_4) | instskip(NEXT) | instid1(VALU_DEP_4)
	v_dot4_i32_iu8 v126, v227, v41, v126 neg_lo:[1,1,0]
	v_dot4_i32_iu8 v127, v227, v31, v127 neg_lo:[1,1,0]
	s_delay_alu instid0(VALU_DEP_4) | instskip(NEXT) | instid1(VALU_DEP_3)
	v_dot4_i32_iu8 v122, v14, v228, v122 neg_lo:[1,1,0]
	v_dot4_i32_iu8 v126, v228, v36, v126 neg_lo:[1,1,0]
	s_delay_alu instid0(VALU_DEP_3) | instskip(NEXT) | instid1(VALU_DEP_3)
	v_dot4_i32_iu8 v127, v228, v22, v127 neg_lo:[1,1,0]
	v_dot4_i32_iu8 v122, v15, v229, v122 neg_lo:[1,1,0]
	s_delay_alu instid0(VALU_DEP_3) | instskip(NEXT) | instid1(VALU_DEP_3)
	v_dot4_i32_iu8 v126, v229, v37, v126 neg_lo:[1,1,0]
	v_dot4_i32_iu8 v127, v229, v23, v127 neg_lo:[1,1,0]
	s_wait_dscnt 0x0
	v_dot4_i32_iu8 v70, v4, v202, 0 neg_lo:[1,1,0]
	v_dot4_i32_iu8 v71, v202, v48, 0 neg_lo:[1,1,0]
	;; [unrolled: 1-line block ×4, first 2 shown]
	s_delay_alu instid0(VALU_DEP_4) | instskip(NEXT) | instid1(VALU_DEP_4)
	v_dot4_i32_iu8 v70, v5, v203, v70 neg_lo:[1,1,0]
	v_dot4_i32_iu8 v71, v203, v49, v71 neg_lo:[1,1,0]
	s_delay_alu instid0(VALU_DEP_4) | instskip(NEXT) | instid1(VALU_DEP_4)
	v_dot4_i32_iu8 v230, v203, v59, v230 neg_lo:[1,1,0]
	v_dot4_i32_iu8 v202, v203, v63, v202 neg_lo:[1,1,0]
	;; [unrolled: 3-line block ×6, first 2 shown]
	ds_load_b128 v[202:205], v132 offset:33312
	ds_load_b128 v[230:233], v132 offset:33296
	s_wait_dscnt 0x1
	v_dot4_i32_iu8 v70, v8, v202, 0 neg_lo:[1,1,0]
	v_dot4_i32_iu8 v71, v202, v42, 0 neg_lo:[1,1,0]
	;; [unrolled: 1-line block ×4, first 2 shown]
	s_wait_dscnt 0x0
	v_dot4_i32_iu8 v133, v18, v230, v133 neg_lo:[1,1,0]
	v_dot4_i32_iu8 v70, v9, v203, v70 neg_lo:[1,1,0]
	;; [unrolled: 1-line block ×12, first 2 shown]
	v_or_b32_e32 v70, s13, v159
	v_dot4_i32_iu8 v142, v205, v39, v71 neg_lo:[1,1,0]
	v_dot4_i32_iu8 v143, v205, v61, v203 neg_lo:[1,1,0]
	;; [unrolled: 1-line block ×4, first 2 shown]
	v_lshlrev_b32_e32 v71, 2, v70
	ds_load_b128 v[202:205], v71 offset:33280
	ds_load_b128 v[234:237], v71 offset:33296
	v_lshrrev_b32_e32 v70, 1, v70
	s_wait_dscnt 0x1
	v_dot4_i32_iu8 v238, v4, v202, 0 neg_lo:[1,1,0]
	v_dot4_i32_iu8 v239, v202, v48, 0 neg_lo:[1,1,0]
	;; [unrolled: 1-line block ×4, first 2 shown]
	s_delay_alu instid0(VALU_DEP_4) | instskip(NEXT) | instid1(VALU_DEP_4)
	v_dot4_i32_iu8 v238, v5, v203, v238 neg_lo:[1,1,0]
	v_dot4_i32_iu8 v239, v203, v49, v239 neg_lo:[1,1,0]
	s_delay_alu instid0(VALU_DEP_4) | instskip(NEXT) | instid1(VALU_DEP_4)
	v_dot4_i32_iu8 v240, v203, v59, v240 neg_lo:[1,1,0]
	v_dot4_i32_iu8 v202, v203, v63, v202 neg_lo:[1,1,0]
	s_delay_alu instid0(VALU_DEP_4) | instskip(NEXT) | instid1(VALU_DEP_4)
	v_dot4_i32_iu8 v203, v16, v204, v238 neg_lo:[1,1,0]
	v_dot4_i32_iu8 v238, v204, v34, v239 neg_lo:[1,1,0]
	s_delay_alu instid0(VALU_DEP_4) | instskip(NEXT) | instid1(VALU_DEP_4)
	v_dot4_i32_iu8 v239, v204, v64, v240 neg_lo:[1,1,0]
	v_dot4_i32_iu8 v202, v204, v54, v202 neg_lo:[1,1,0]
	s_delay_alu instid0(VALU_DEP_4) | instskip(NEXT) | instid1(VALU_DEP_4)
	v_dot4_i32_iu8 v145, v17, v205, v203 neg_lo:[1,1,0]
	v_dot4_i32_iu8 v146, v205, v35, v238 neg_lo:[1,1,0]
	s_delay_alu instid0(VALU_DEP_4) | instskip(NEXT) | instid1(VALU_DEP_4)
	v_dot4_i32_iu8 v150, v205, v65, v239 neg_lo:[1,1,0]
	v_dot4_i32_iu8 v151, v205, v55, v202 neg_lo:[1,1,0]
	ds_load_b128 v[202:205], v71 offset:33312
	ds_load_b128 v[238:241], v71 offset:33328
	s_wait_dscnt 0x1
	v_dot4_i32_iu8 v71, v8, v202, 0 neg_lo:[1,1,0]
	v_dot4_i32_iu8 v242, v202, v42, 0 neg_lo:[1,1,0]
	;; [unrolled: 1-line block ×4, first 2 shown]
	s_delay_alu instid0(VALU_DEP_4) | instskip(NEXT) | instid1(VALU_DEP_4)
	v_dot4_i32_iu8 v71, v9, v203, v71 neg_lo:[1,1,0]
	v_dot4_i32_iu8 v242, v203, v43, v242 neg_lo:[1,1,0]
	s_delay_alu instid0(VALU_DEP_4) | instskip(NEXT) | instid1(VALU_DEP_4)
	v_dot4_i32_iu8 v243, v203, v51, v243 neg_lo:[1,1,0]
	v_dot4_i32_iu8 v202, v203, v57, v202 neg_lo:[1,1,0]
	;; [unrolled: 3-line block ×6, first 2 shown]
	ds_load_b64 v[70:71], v70 offset:43584
	ds_load_b128 v[202:205], v171 offset:33280
	s_wait_dscnt 0x0
	v_dot4_i32_iu8 v242, v202, v48, 0 neg_lo:[1,1,0]
	v_dot4_i32_iu8 v243, v202, v58, 0 neg_lo:[1,1,0]
	;; [unrolled: 1-line block ×4, first 2 shown]
	s_delay_alu instid0(VALU_DEP_4) | instskip(NEXT) | instid1(VALU_DEP_4)
	v_dot4_i32_iu8 v242, v203, v49, v242 neg_lo:[1,1,0]
	v_dot4_i32_iu8 v243, v203, v59, v243 neg_lo:[1,1,0]
	s_delay_alu instid0(VALU_DEP_4) | instskip(NEXT) | instid1(VALU_DEP_4)
	v_dot4_i32_iu8 v244, v203, v63, v244 neg_lo:[1,1,0]
	v_dot4_i32_iu8 v202, v5, v203, v202 neg_lo:[1,1,0]
	;; [unrolled: 3-line block ×6, first 2 shown]
	ds_load_b128 v[202:205], v171 offset:33312
	ds_load_b128 v[242:245], v171 offset:33296
	s_wait_dscnt 0x1
	v_dot4_i32_iu8 v176, v8, v202, 0 neg_lo:[1,1,0]
	v_dot4_i32_iu8 v177, v202, v42, 0 neg_lo:[1,1,0]
	;; [unrolled: 1-line block ×4, first 2 shown]
	s_delay_alu instid0(VALU_DEP_4) | instskip(NEXT) | instid1(VALU_DEP_4)
	v_dot4_i32_iu8 v176, v9, v203, v176 neg_lo:[1,1,0]
	v_dot4_i32_iu8 v177, v203, v43, v177 neg_lo:[1,1,0]
	s_delay_alu instid0(VALU_DEP_4) | instskip(NEXT) | instid1(VALU_DEP_4)
	v_dot4_i32_iu8 v183, v203, v51, v183 neg_lo:[1,1,0]
	v_dot4_i32_iu8 v202, v203, v57, v202 neg_lo:[1,1,0]
	;; [unrolled: 1-line block ×16, first 2 shown]
	s_delay_alu instid0(VALU_DEP_4) | instskip(NEXT) | instid1(VALU_DEP_4)
	v_dot4_i32_iu8 v202, v19, v207, v202 neg_lo:[1,1,0]
	v_dot4_i32_iu8 v205, v207, v33, v205 neg_lo:[1,1,0]
	s_delay_alu instid0(VALU_DEP_4) | instskip(NEXT) | instid1(VALU_DEP_4)
	v_dot4_i32_iu8 v203, v208, v66, v203 neg_lo:[1,1,0]
	v_dot4_i32_iu8 v204, v208, v44, v204 neg_lo:[1,1,0]
	;; [unrolled: 3-line block ×5, first 2 shown]
	ds_load_u16 v116, v246
	ds_load_b64 v[207:208], v199 offset:43584
	ds_load_b128 v[202:205], v200 offset:33328
	ds_load_2addr_b32 v[246:247], v201 offset0:14 offset1:15
	s_wait_dscnt 0x1
	v_dot4_i32_iu8 v199, v12, v202, v251 neg_lo:[1,1,0]
	v_dot4_i32_iu8 v200, v202, v28, v252 neg_lo:[1,1,0]
	;; [unrolled: 1-line block ×4, first 2 shown]
	s_wait_dscnt 0x0
	v_dot4_i32_iu8 v130, v216, v246, v130 neg_lo:[1,1,0]
	v_dot4_i32_iu8 v199, v13, v203, v199 neg_lo:[1,1,0]
	;; [unrolled: 1-line block ×18, first 2 shown]
	s_delay_alu instid0(VALU_DEP_1) | instskip(NEXT) | instid1(VALU_DEP_1)
	v_dot4_i32_iu8 v199, v20, v212, v199 neg_lo:[1,1,0]
	v_dot4_i32_iu8 v255, v21, v213, v199 neg_lo:[1,1,0]
	ds_load_b64 v[209:210], v136 offset:43584
	ds_load_b128 v[199:202], v137 offset:33328
	v_dot4_i32_iu8 v136, v230, v26, v138 neg_lo:[1,1,0]
	v_dot4_i32_iu8 v137, v230, v52, v139 neg_lo:[1,1,0]
	;; [unrolled: 1-line block ×3, first 2 shown]
	s_delay_alu instid0(VALU_DEP_3) | instskip(NEXT) | instid1(VALU_DEP_3)
	v_dot4_i32_iu8 v136, v231, v27, v136 neg_lo:[1,1,0]
	v_dot4_i32_iu8 v137, v231, v53, v137 neg_lo:[1,1,0]
	s_delay_alu instid0(VALU_DEP_3) | instskip(NEXT) | instid1(VALU_DEP_3)
	v_dot4_i32_iu8 v138, v231, v33, v138 neg_lo:[1,1,0]
	v_dot4_i32_iu8 v136, v232, v66, v136 neg_lo:[1,1,0]
	;; [unrolled: 3-line block ×4, first 2 shown]
	s_delay_alu instid0(VALU_DEP_3)
	v_dot4_i32_iu8 v138, v233, v69, v138 neg_lo:[1,1,0]
	s_wait_dscnt 0x0
	v_dot4_i32_iu8 v106, v12, v199, v106 neg_lo:[1,1,0]
	v_dot4_i32_iu8 v108, v199, v28, v108 neg_lo:[1,1,0]
	;; [unrolled: 1-line block ×4, first 2 shown]
	s_delay_alu instid0(VALU_DEP_4) | instskip(NEXT) | instid1(VALU_DEP_4)
	v_dot4_i32_iu8 v106, v13, v200, v106 neg_lo:[1,1,0]
	v_dot4_i32_iu8 v108, v200, v29, v108 neg_lo:[1,1,0]
	s_delay_alu instid0(VALU_DEP_4) | instskip(NEXT) | instid1(VALU_DEP_4)
	v_dot4_i32_iu8 v109, v200, v41, v109 neg_lo:[1,1,0]
	v_dot4_i32_iu8 v110, v200, v31, v110 neg_lo:[1,1,0]
	;; [unrolled: 3-line block ×6, first 2 shown]
	ds_load_b64 v[211:212], v84 offset:43584
	ds_load_b128 v[199:202], v132 offset:33328
	s_wait_dscnt 0x0
	v_dot4_i32_iu8 v84, v12, v199, v141 neg_lo:[1,1,0]
	v_dot4_i32_iu8 v132, v199, v28, v142 neg_lo:[1,1,0]
	;; [unrolled: 1-line block ×19, first 2 shown]
	ds_load_b64 v[213:214], v170 offset:43584
	ds_load_b128 v[199:202], v171 offset:33328
	v_dot4_i32_iu8 v143, v234, v52, v150 neg_lo:[1,1,0]
	v_dot4_i32_iu8 v150, v238, v40, v168 neg_lo:[1,1,0]
	;; [unrolled: 1-line block ×3, first 2 shown]
	v_or_b32_e32 v173, s13, v123
	v_dot4_i32_iu8 v144, v234, v32, v151 neg_lo:[1,1,0]
	v_dot4_i32_iu8 v151, v238, v30, v169 neg_lo:[1,1,0]
	;; [unrolled: 1-line block ×4, first 2 shown]
	v_lshlrev_b32_e32 v174, 2, v173
	v_dot4_i32_iu8 v153, v243, v27, v153 neg_lo:[1,1,0]
	v_dot4_i32_iu8 v143, v235, v53, v143 neg_lo:[1,1,0]
	;; [unrolled: 1-line block ×10, first 2 shown]
	s_wait_dscnt 0x0
	v_dot4_i32_iu8 v170, v12, v199, v176 neg_lo:[1,1,0]
	v_dot4_i32_iu8 v171, v199, v28, v177 neg_lo:[1,1,0]
	;; [unrolled: 1-line block ×19, first 2 shown]
	ds_load_b128 v[199:202], v174 offset:33280
	ds_load_b128 v[203:206], v174 offset:33296
	v_dot4_i32_iu8 v168, v245, v45, v168 neg_lo:[1,1,0]
	v_dot4_i32_iu8 v142, v236, v66, v142 neg_lo:[1,1,0]
	;; [unrolled: 1-line block ×18, first 2 shown]
	s_wait_dscnt 0x1
	v_dot4_i32_iu8 v48, v199, v48, 0 neg_lo:[1,1,0]
	v_perm_b32 v175, v202, v201, 0x6020c0c
	s_wait_dscnt 0x0
	v_perm_b32 v176, v204, v203, 0xc0c0501
	v_perm_b32 v177, v206, v205, 0x5010c0c
	v_dot4_i32_iu8 v145, v13, v239, v145 neg_lo:[1,1,0]
	v_dot4_i32_iu8 v48, v200, v49, v48 neg_lo:[1,1,0]
	;; [unrolled: 1-line block ×4, first 2 shown]
	v_perm_b32 v62, v202, v201, 0x7030c0c
	v_dot4_i32_iu8 v145, v14, v240, v145 neg_lo:[1,1,0]
	v_dot4_i32_iu8 v34, v201, v34, v48 neg_lo:[1,1,0]
	;; [unrolled: 1-line block ×4, first 2 shown]
	v_perm_b32 v63, v199, v200, 0xc0c0400
	v_perm_b32 v59, v199, v200, 0xc0c0703
	v_dot4_i32_iu8 v34, v202, v35, v34 neg_lo:[1,1,0]
	v_dot4_i32_iu8 v35, v201, v64, v49 neg_lo:[1,1,0]
	v_dot4_i32_iu8 v48, v201, v54, v58 neg_lo:[1,1,0]
	v_perm_b32 v64, v202, v201, 0x4000c0c
	v_perm_b32 v49, v199, v200, 0xc0c0501
	v_dot4_i32_iu8 v26, v203, v26, v34 neg_lo:[1,1,0]
	v_dot4_i32_iu8 v35, v202, v65, v35 neg_lo:[1,1,0]
	v_dot4_i32_iu8 v48, v202, v55, v48 neg_lo:[1,1,0]
	;; [unrolled: 5-line block ×3, first 2 shown]
	v_perm_b32 v48, v206, v205, 0x6020c0c
	v_dot4_i32_iu8 v145, v15, v241, v145 neg_lo:[1,1,0]
	v_dot4_i32_iu8 v26, v205, v66, v26 neg_lo:[1,1,0]
	;; [unrolled: 1-line block ×4, first 2 shown]
	v_perm_b32 v66, v204, v203, 0xc0c0400
	v_dot4_i32_iu8 v141, v21, v237, v141 neg_lo:[1,1,0]
	v_dot4_i32_iu8 v26, v206, v67, v26 neg_lo:[1,1,0]
	;; [unrolled: 1-line block ×4, first 2 shown]
	v_perm_b32 v67, v206, v205, 0x4000c0c
	v_perm_b32 v68, v204, v203, 0xc0c0703
	v_dot4_i32_iu8 v152, v21, v245, v152 neg_lo:[1,1,0]
	v_dot4_i32_iu8 v27, v206, v45, v27 neg_lo:[1,1,0]
	;; [unrolled: 1-line block ×3, first 2 shown]
	ds_load_b128 v[32:35], v174 offset:33312
	ds_load_b128 v[52:55], v174 offset:33328
	v_perm_b32 v45, v204, v203, 0xc0c0602
	v_perm_b32 v69, v206, v205, 0x7030c0c
	v_dot4_i32_iu8 v146, v240, v246, v146 neg_lo:[1,1,0]
	s_delay_alu instid0(VALU_DEP_1) | instskip(SKIP_2) | instid1(VALU_DEP_1)
	v_dot4_i32_iu8 v146, v241, v247, v146 neg_lo:[1,1,0]
	s_wait_dscnt 0x1
	v_dot4_i32_iu8 v42, v32, v42, 0 neg_lo:[1,1,0]
	v_dot4_i32_iu8 v42, v33, v43, v42 neg_lo:[1,1,0]
	;; [unrolled: 1-line block ×4, first 2 shown]
	v_perm_b32 v56, v35, v34, 0x4000c0c
	s_delay_alu instid0(VALU_DEP_4) | instskip(NEXT) | instid1(VALU_DEP_4)
	v_dot4_i32_iu8 v38, v34, v38, v42 neg_lo:[1,1,0]
	v_dot4_i32_iu8 v43, v33, v51, v43 neg_lo:[1,1,0]
	s_delay_alu instid0(VALU_DEP_4) | instskip(SKIP_1) | instid1(VALU_DEP_4)
	v_dot4_i32_iu8 v50, v33, v57, v50 neg_lo:[1,1,0]
	v_perm_b32 v51, v32, v33, 0xc0c0400
	v_dot4_i32_iu8 v38, v35, v39, v38 neg_lo:[1,1,0]
	s_delay_alu instid0(VALU_DEP_4) | instskip(NEXT) | instid1(VALU_DEP_4)
	v_dot4_i32_iu8 v39, v34, v60, v43 neg_lo:[1,1,0]
	v_dot4_i32_iu8 v42, v34, v46, v50 neg_lo:[1,1,0]
	v_perm_b32 v43, v32, v33, 0xc0c0501
	v_perm_b32 v46, v35, v34, 0x5010c0c
	s_wait_dscnt 0x0
	v_dot4_i32_iu8 v28, v52, v28, v38 neg_lo:[1,1,0]
	v_dot4_i32_iu8 v39, v35, v61, v39 neg_lo:[1,1,0]
	v_dot4_i32_iu8 v42, v35, v47, v42 neg_lo:[1,1,0]
	v_perm_b32 v47, v32, v33, 0xc0c0703
	v_perm_b32 v32, v32, v33, 0xc0c0602
	v_dot4_i32_iu8 v28, v53, v29, v28 neg_lo:[1,1,0]
	v_dot4_i32_iu8 v29, v52, v40, v39 neg_lo:[1,1,0]
	v_perm_b32 v39, v4, v5, 0xc0c0602
	v_perm_b32 v40, v17, v16, 0x6020c0c
	v_dot4_i32_iu8 v30, v52, v30, v42 neg_lo:[1,1,0]
	v_or_b32_e32 v42, v48, v45
	v_dot4_i32_iu8 v29, v53, v41, v29 neg_lo:[1,1,0]
	v_perm_b32 v41, v21, v20, 0x6020c0c
	v_or_b32_e32 v39, v40, v39
	v_perm_b32 v40, v19, v18, 0xc0c0602
	v_or_b32_e32 v45, v67, v66
	v_dot4_i32_iu8 v30, v53, v31, v30 neg_lo:[1,1,0]
	v_perm_b32 v33, v35, v34, 0x6020c0c
	v_perm_b32 v50, v35, v34, 0x7030c0c
	v_or_b32_e32 v40, v41, v40
	v_or_b32_e32 v41, v175, v65
	v_dot4_i32_iu8 v22, v54, v22, v30 neg_lo:[1,1,0]
	v_perm_b32 v30, v55, v54, 0x6020c0c
	v_perm_b32 v31, v53, v52, 0xc0c0400
	;; [unrolled: 1-line block ×3, first 2 shown]
	v_dot4_i32_iu8 v39, v39, v41, 0 neg_lo:[1,1,0]
	v_perm_b32 v41, v17, v16, 0x4000c0c
	v_dot4_i32_iu8 v22, v55, v23, v22 neg_lo:[1,1,0]
	v_perm_b32 v23, v53, v52, 0xc0c0602
	v_dot4_i32_iu8 v29, v54, v36, v29 neg_lo:[1,1,0]
	v_dot4_i32_iu8 v39, v40, v42, v39 neg_lo:[1,1,0]
	v_perm_b32 v40, v4, v5, 0xc0c0400
	v_perm_b32 v42, v21, v20, 0x4000c0c
	;; [unrolled: 1-line block ×3, first 2 shown]
	v_dot4_i32_iu8 v29, v55, v37, v29 neg_lo:[1,1,0]
	v_perm_b32 v36, v55, v54, 0x7030c0c
	v_or_b32_e32 v40, v41, v40
	v_perm_b32 v41, v19, v18, 0xc0c0400
	v_perm_b32 v37, v53, v52, 0xc0c0501
	;; [unrolled: 1-line block ×3, first 2 shown]
	v_or_b32_e32 v48, v69, v68
	v_dot4_i32_iu8 v28, v54, v246, v28 neg_lo:[1,1,0]
	v_or_b32_e32 v41, v42, v41
	v_or_b32_e32 v42, v64, v63
	s_delay_alu instid0(VALU_DEP_3) | instskip(NEXT) | instid1(VALU_DEP_2)
	v_dot4_i32_iu8 v28, v55, v247, v28 neg_lo:[1,1,0]
	v_dot4_i32_iu8 v40, v40, v42, 0 neg_lo:[1,1,0]
	v_perm_b32 v42, v17, v16, 0x7030c0c
	s_delay_alu instid0(VALU_DEP_2)
	v_dot4_i32_iu8 v40, v41, v45, v40 neg_lo:[1,1,0]
	v_perm_b32 v41, v4, v5, 0xc0c0703
	v_perm_b32 v4, v4, v5, 0xc0c0501
	;; [unrolled: 1-line block ×5, first 2 shown]
	v_or_b32_e32 v41, v42, v41
	v_perm_b32 v42, v19, v18, 0xc0c0703
	v_or_b32_e32 v4, v5, v4
	v_or_b32_e32 v18, v30, v23
	;; [unrolled: 1-line block ×6, first 2 shown]
	v_perm_b32 v45, v21, v20, 0x7030c0c
	v_or_b32_e32 v20, v36, v35
	v_dot4_i32_iu8 v4, v4, v16, 0 neg_lo:[1,1,0]
	v_perm_b32 v16, v11, v10, 0x6020c0c
	v_cvt_f32_ubyte1_e32 v21, v193
	v_or_b32_e32 v42, v45, v42
	v_or_b32_e32 v45, v62, v59
	v_dot4_i32_iu8 v4, v5, v17, v4 neg_lo:[1,1,0]
	v_perm_b32 v5, v8, v9, 0xc0c0602
	v_perm_b32 v17, v15, v14, 0x6020c0c
	v_cvt_f32_ubyte1_e32 v23, v194
	v_dot4_i32_iu8 v41, v41, v45, 0 neg_lo:[1,1,0]
	s_delay_alu instid0(VALU_DEP_4) | instskip(SKIP_1) | instid1(VALU_DEP_3)
	v_or_b32_e32 v5, v16, v5
	v_perm_b32 v16, v13, v12, 0xc0c0602
	v_dot4_i32_iu8 v41, v42, v48, v41 neg_lo:[1,1,0]
	s_delay_alu instid0(VALU_DEP_2) | instskip(SKIP_1) | instid1(VALU_DEP_3)
	v_or_b32_e32 v16, v17, v16
	v_or_b32_e32 v17, v33, v32
	v_add_nc_u32_e32 v4, v4, v41
	s_delay_alu instid0(VALU_DEP_2) | instskip(SKIP_1) | instid1(VALU_DEP_2)
	v_dot4_i32_iu8 v5, v5, v17, 0 neg_lo:[1,1,0]
	v_perm_b32 v17, v11, v10, 0x4000c0c
	v_dot4_i32_iu8 v5, v16, v18, v5 neg_lo:[1,1,0]
	v_perm_b32 v16, v8, v9, 0xc0c0400
	v_perm_b32 v18, v15, v14, 0x4000c0c
	s_delay_alu instid0(VALU_DEP_2) | instskip(SKIP_1) | instid1(VALU_DEP_1)
	v_or_b32_e32 v16, v17, v16
	v_perm_b32 v17, v13, v12, 0xc0c0400
	v_or_b32_e32 v17, v18, v17
	v_or_b32_e32 v18, v56, v51
	s_delay_alu instid0(VALU_DEP_1) | instskip(SKIP_1) | instid1(VALU_DEP_2)
	v_dot4_i32_iu8 v16, v16, v18, 0 neg_lo:[1,1,0]
	v_perm_b32 v18, v11, v10, 0x7030c0c
	v_dot4_i32_iu8 v16, v17, v19, v16 neg_lo:[1,1,0]
	v_perm_b32 v17, v8, v9, 0xc0c0703
	v_perm_b32 v19, v15, v14, 0x7030c0c
	;; [unrolled: 1-line block ×5, first 2 shown]
	v_or_b32_e32 v17, v18, v17
	v_perm_b32 v18, v13, v12, 0xc0c0703
	v_perm_b32 v11, v15, v14, 0x5010c0c
	v_or_b32_e32 v8, v9, v8
	v_and_b32_e32 v12, 0xff, v198
	v_and_b32_e32 v15, 0xff, v116
	v_or_b32_e32 v18, v19, v18
	v_or_b32_e32 v19, v50, v47
	;; [unrolled: 1-line block ×5, first 2 shown]
	v_mul_lo_u32 v13, v26, v12
	v_dot4_i32_iu8 v17, v17, v19, 0 neg_lo:[1,1,0]
	v_cvt_f32_ubyte0_e32 v26, v195
	v_dot4_i32_iu8 v8, v8, v10, 0 neg_lo:[1,1,0]
	s_delay_alu instid0(VALU_DEP_3) | instskip(SKIP_1) | instid1(VALU_DEP_3)
	v_dot4_i32_iu8 v17, v18, v20, v17 neg_lo:[1,1,0]
	v_and_b32_e32 v18, 0xff, v197
	v_dot4_i32_iu8 v8, v9, v11, v8 neg_lo:[1,1,0]
	v_add3_u32 v9, v40, v39, v4
	v_cvt_f32_i32_e32 v13, v13
	v_fma_mix_f32 v46, v26, v6, 0 op_sel:[0,1,0] op_sel_hi:[0,1,0]
	v_mul_lo_u32 v19, v44, v18
	v_add_nc_u32_e32 v4, v8, v17
	v_fma_mix_f32 v59, v26, v24, 0 op_sel:[0,1,0] op_sel_hi:[0,1,0]
	v_fma_mix_f32 v38, v26, v207, 0 op_sel:[0,1,0] op_sel_hi:[0,1,0]
	;; [unrolled: 1-line block ×4, first 2 shown]
	v_add3_u32 v8, v16, v5, v4
	v_lshrrev_b32_e32 v4, 1, v173
	ds_load_u16 v10, v192
	ds_load_b64 v[4:5], v4 offset:43584
	v_mul_lo_u32 v16, v27, v15
	v_cvt_f32_i32_e32 v19, v19
	v_cvt_f32_ubyte1_e32 v27, v195
	s_delay_alu instid0(VALU_DEP_1) | instskip(NEXT) | instid1(VALU_DEP_4)
	v_fma_mix_f32 v46, v27, v7, v46 op_sel:[0,1,0] op_sel_hi:[0,1,0]
	v_cvt_f32_i32_e32 v16, v16
	v_fma_mix_f32 v59, v27, v25, v59 op_sel:[0,1,0] op_sel_hi:[0,1,0]
	v_fma_mix_f32 v38, v27, v208, v38 op_sel:[0,1,0] op_sel_hi:[0,1,0]
	;; [unrolled: 1-line block ×4, first 2 shown]
	s_wait_dscnt 0x1
	v_lshrrev_b16 v11, 8, v10
	v_and_b32_e32 v10, 0xff, v10
	s_wait_dscnt 0x0
	v_fma_mix_f32 v13, v4, v13, 0 op_sel_hi:[1,0,0]
	v_fma_mix_f32 v16, v4, v16, 0 op_sel_hi:[1,0,0]
	;; [unrolled: 1-line block ×3, first 2 shown]
	v_and_b32_e32 v11, 0xffff, v11
	v_mul_lo_u32 v9, v9, v10
	v_mul_lo_u32 v40, v255, v10
	;; [unrolled: 1-line block ×3, first 2 shown]
	v_fma_mix_f32 v32, v4, v26, 0 op_sel:[1,0,0] op_sel_hi:[1,0,0]
	v_mul_lo_u32 v8, v8, v11
	v_mul_lo_u32 v41, v129, v11
	;; [unrolled: 1-line block ×4, first 2 shown]
	v_cvt_f32_i32_e32 v9, v9
	v_cvt_f32_i32_e32 v40, v40
	;; [unrolled: 1-line block ×3, first 2 shown]
	v_fma_mix_f32 v32, v5, v27, v32 op_sel:[1,0,0] op_sel_hi:[1,0,0]
	v_cvt_f32_i32_e32 v8, v8
	v_fma_mix_f32 v9, v9, v4, 0 op_sel_hi:[0,1,0]
	v_cvt_f32_i32_e32 v41, v41
	v_fma_mix_f32 v40, v6, v40, 0 op_sel_hi:[1,0,0]
	;; [unrolled: 2-line block ×3, first 2 shown]
	v_fma_mix_f32 v8, v8, v5, v9 op_sel_hi:[0,1,0]
	v_lshrrev_b16 v9, 8, v198
	v_fma_mix_f32 v40, v7, v41, v40 op_sel_hi:[1,0,0]
	v_mul_lo_u32 v41, v90, v12
	v_fma_mix_f32 v53, v25, v54, v53 op_sel_hi:[1,0,0]
	v_mul_lo_u32 v54, v115, v12
	v_and_b32_e32 v9, 0xffff, v9
	v_mul_lo_u32 v67, v141, v10
	v_cvt_f32_i32_e32 v1, v1
	v_mul_lo_u32 v33, v251, v11
	v_mul_lo_u32 v60, v84, v11
	;; [unrolled: 1-line block ×4, first 2 shown]
	v_cvt_f32_i32_e32 v41, v41
	v_cvt_f32_ubyte0_e32 v28, v196
	v_cvt_f32_i32_e32 v54, v54
	v_mul_lo_u32 v68, v145, v11
	v_fma_mix_f32 v1, v209, v1, 0 op_sel_hi:[1,0,0]
	v_fma_mix_f32 v41, v6, v41, 0 op_sel_hi:[1,0,0]
	v_cvt_f32_i32_e32 v14, v14
	v_cvt_f32_i32_e32 v42, v42
	v_fma_mix_f32 v54, v24, v54, 0 op_sel_hi:[1,0,0]
	v_cvt_f32_i32_e32 v67, v67
	v_cvt_f32_i32_e32 v33, v33
	v_fma_mix_f32 v13, v5, v14, v13 op_sel_hi:[1,0,0]
	v_lshrrev_b16 v14, 8, v116
	v_fma_mix_f32 v41, v7, v42, v41 op_sel_hi:[1,0,0]
	v_mul_lo_u32 v42, v85, v15
	v_cvt_f32_i32_e32 v60, v60
	v_cvt_f32_i32_e32 v68, v68
	v_and_b32_e32 v14, 0xffff, v14
	v_fma_mix_f32 v67, v70, v67, 0 op_sel_hi:[1,0,0]
	v_fma_mix_f32 v39, v28, v207, 0 op_sel:[0,1,0] op_sel_hi:[0,1,0]
	v_fma_mix_f32 v52, v28, v209, 0 op_sel:[0,1,0] op_sel_hi:[0,1,0]
	;; [unrolled: 1-line block ×3, first 2 shown]
	v_mul_lo_u32 v17, v29, v14
	v_mul_lo_u32 v43, v134, v14
	v_cvt_f32_i32_e32 v42, v42
	v_cvt_f32_ubyte1_e32 v29, v196
	v_mul_lo_u32 v56, v126, v14
	v_fma_mix_f32 v67, v71, v68, v67 op_sel_hi:[1,0,0]
	v_mul_lo_u32 v68, v142, v12
	v_fma_mix_f32 v42, v6, v42, 0 op_sel_hi:[1,0,0]
	v_cvt_f32_i32_e32 v17, v17
	v_cvt_f32_i32_e32 v43, v43
	v_mul_lo_u32 v48, v109, v14
	v_mul_lo_u32 v35, v253, v14
	v_cvt_f32_i32_e32 v56, v56
	v_fma_mix_f32 v16, v5, v17, v16 op_sel_hi:[1,0,0]
	v_lshrrev_b16 v17, 8, v197
	v_fma_mix_f32 v42, v7, v43, v42 op_sel_hi:[1,0,0]
	v_mul_lo_u32 v43, v128, v18
	v_cvt_f32_i32_e32 v68, v68
	v_mul_lo_u32 v62, v139, v14
	v_and_b32_e32 v17, 0xffff, v17
	v_mul_lo_u32 v84, v150, v14
	v_cvt_f32_i32_e32 v48, v48
	v_fma_mix_f32 v68, v70, v68, 0 op_sel_hi:[1,0,0]
	v_cvt_f32_i32_e32 v35, v35
	v_mul_lo_u32 v20, v22, v17
	v_mul_lo_u32 v44, v135, v17
	v_cvt_f32_i32_e32 v43, v43
	v_cvt_f32_ubyte0_e32 v22, v194
	v_mul_lo_u32 v57, v127, v17
	v_cvt_f32_i32_e32 v62, v62
	v_cvt_f32_i32_e32 v84, v84
	v_fma_mix_f32 v43, v6, v43, 0 op_sel_hi:[1,0,0]
	v_cvt_f32_i32_e32 v20, v20
	v_cvt_f32_i32_e32 v44, v44
	v_fma_mix_f32 v45, v22, v6, 0 op_sel:[0,1,0] op_sel_hi:[0,1,0]
	v_fma_mix_f32 v31, v4, v22, 0 op_sel:[1,0,0] op_sel_hi:[1,0,0]
	v_cvt_f32_i32_e32 v57, v57
	v_fma_mix_f32 v19, v5, v20, v19 op_sel_hi:[1,0,0]
	v_cvt_f32_ubyte0_e32 v20, v193
	v_fma_mix_f32 v43, v7, v44, v43 op_sel_hi:[1,0,0]
	v_fma_mix_f32 v58, v22, v24, 0 op_sel:[0,1,0] op_sel_hi:[0,1,0]
	v_fma_mix_f32 v31, v5, v23, v31 op_sel:[1,0,0] op_sel_hi:[1,0,0]
	;; [unrolled: 1-line block ×12, first 2 shown]
	v_mul_lo_u32 v5, v248, v10
	v_mul_lo_u32 v7, v106, v11
	v_mul_f32_e32 v6, v6, v191
	v_mul_lo_u32 v55, v124, v9
	v_mul_lo_u32 v47, v108, v9
	;; [unrolled: 1-line block ×5, first 2 shown]
	v_cvt_f32_i32_e32 v5, v5
	v_cvt_f32_i32_e32 v7, v7
	v_mul_lo_u32 v49, v110, v17
	v_cvt_f32_i32_e32 v55, v55
	v_cvt_f32_i32_e32 v47, v47
	v_fma_mix_f32 v5, v207, v5, 0 op_sel_hi:[1,0,0]
	v_fma_mix_f32 v1, v210, v7, v1 op_sel_hi:[1,0,0]
	v_mul_lo_u32 v7, v100, v12
	v_fma_mix_f32 v54, v25, v55, v54 op_sel_hi:[1,0,0]
	v_mul_lo_u32 v55, v119, v15
	;; [unrolled: 2-line block ×3, first 2 shown]
	v_cvt_f32_i32_e32 v34, v34
	v_cvt_f32_i32_e32 v61, v61
	;; [unrolled: 1-line block ×4, first 2 shown]
	v_mul_lo_u32 v36, v254, v17
	v_cvt_f32_i32_e32 v55, v55
	v_mul_lo_u32 v63, v140, v17
	v_cvt_f32_i32_e32 v33, v33
	v_fma_mix_f32 v7, v209, v7, 0 op_sel_hi:[1,0,0]
	v_fma_mix_f32 v68, v71, v69, v68 op_sel_hi:[1,0,0]
	;; [unrolled: 1-line block ×3, first 2 shown]
	v_mul_lo_u32 v69, v143, v15
	v_fma_mix_f32 v33, v207, v33, 0 op_sel_hi:[1,0,0]
	v_fma_mix_f32 v7, v210, v47, v7 op_sel_hi:[1,0,0]
	v_mul_lo_u32 v47, v102, v15
	v_fma_mix_f32 v55, v25, v56, v55 op_sel_hi:[1,0,0]
	v_mul_lo_u32 v56, v121, v18
	;; [unrolled: 2-line block ×3, first 2 shown]
	v_cvt_f32_i32_e32 v69, v69
	v_mul_lo_u32 v85, v151, v17
	v_cvt_f32_i32_e32 v49, v49
	v_cvt_f32_i32_e32 v47, v47
	;; [unrolled: 1-line block ×4, first 2 shown]
	v_fma_mix_f32 v69, v70, v69, 0 op_sel_hi:[1,0,0]
	v_cvt_f32_i32_e32 v34, v34
	v_fma_mix_f32 v47, v209, v47, 0 op_sel_hi:[1,0,0]
	v_cvt_f32_i32_e32 v63, v63
	v_fma_mix_f32 v56, v24, v56, 0 op_sel_hi:[1,0,0]
	v_fma_mix_f32 v69, v71, v84, v69 op_sel_hi:[1,0,0]
	;; [unrolled: 1-line block ×4, first 2 shown]
	v_mul_lo_u32 v48, v104, v18
	v_fma_mix_f32 v56, v25, v57, v56 op_sel_hi:[1,0,0]
	v_fma_mix_f32 v57, v20, v24, 0 op_sel:[0,1,0] op_sel_hi:[0,1,0]
	v_fma_mix_f32 v24, v28, v24, 0 op_sel:[0,1,0] op_sel_hi:[0,1,0]
	v_fma_mix_f32 v34, v208, v35, v34 op_sel_hi:[1,0,0]
	v_mul_lo_u32 v35, v117, v18
	v_mul_lo_u32 v84, v144, v18
	v_fma_mix_f32 v57, v21, v25, v57 op_sel:[0,1,0] op_sel_hi:[0,1,0]
	v_fma_mix_f32 v24, v29, v25, v24 op_sel:[0,1,0] op_sel_hi:[0,1,0]
	v_mul_lo_u32 v25, v133, v10
	v_cvt_f32_i32_e32 v48, v48
	v_cvt_f32_i32_e32 v85, v85
	v_mul_lo_u32 v10, v152, v10
	v_cvt_f32_i32_e32 v35, v35
	v_cvt_f32_i32_e32 v84, v84
	v_fma_mix_f32 v48, v209, v48, 0 op_sel_hi:[1,0,0]
	v_fma_mix_f32 v37, v22, v207, 0 op_sel:[0,1,0] op_sel_hi:[0,1,0]
	v_cvt_f32_i32_e32 v25, v25
	v_fma_mix_f32 v35, v207, v35, 0 op_sel_hi:[1,0,0]
	v_fma_mix_f32 v84, v70, v84, 0 op_sel_hi:[1,0,0]
	;; [unrolled: 1-line block ×3, first 2 shown]
	v_fma_mix_f32 v49, v20, v209, 0 op_sel:[0,1,0] op_sel_hi:[0,1,0]
	v_fma_mix_f32 v25, v211, v25, 0 op_sel_hi:[1,0,0]
	v_fma_mix_f32 v35, v208, v36, v35 op_sel_hi:[1,0,0]
	v_fma_mix_f32 v36, v20, v207, 0 op_sel:[0,1,0] op_sel_hi:[0,1,0]
	v_fma_mix_f32 v84, v71, v85, v84 op_sel_hi:[1,0,0]
	v_fma_mix_f32 v49, v21, v210, v49 op_sel:[0,1,0] op_sel_hi:[0,1,0]
	v_fma_mix_f32 v25, v212, v60, v25 op_sel_hi:[1,0,0]
	v_mul_lo_u32 v60, v136, v12
	v_fma_mix_f32 v85, v20, v70, 0 op_sel:[0,1,0] op_sel_hi:[0,1,0]
	v_fma_mix_f32 v36, v21, v208, v36 op_sel:[0,1,0] op_sel_hi:[0,1,0]
	;; [unrolled: 1-line block ×7, first 2 shown]
	v_cvt_f32_i32_e32 v60, v60
	v_cvt_f32_i32_e32 v10, v10
	v_mul_lo_u32 v12, v153, v12
	v_fma_mix_f32 v50, v23, v210, v50 op_sel:[0,1,0] op_sel_hi:[0,1,0]
	v_mul_lo_u32 v9, v171, v9
	v_fma_mix_f32 v60, v211, v60, 0 op_sel_hi:[1,0,0]
	v_fma_mix_f32 v10, v213, v10, 0 op_sel_hi:[1,0,0]
	v_mul_lo_u32 v14, v172, v14
	v_fma_mix_f32 v37, v23, v208, v37 op_sel:[0,1,0] op_sel_hi:[0,1,0]
	v_fma_mix_f32 v64, v23, v212, v64 op_sel:[0,1,0] op_sel_hi:[0,1,0]
	v_fma_mix_f32 v60, v212, v61, v60 op_sel_hi:[1,0,0]
	v_mul_lo_u32 v61, v137, v15
	v_cvt_f32_i32_e32 v9, v9
	v_fma_mix_f32 v90, v23, v71, v90 op_sel:[0,1,0] op_sel_hi:[0,1,0]
	v_fma_mix_f32 v70, v28, v70, 0 op_sel:[0,1,0] op_sel_hi:[0,1,0]
	;; [unrolled: 1-line block ×6, first 2 shown]
	v_cvt_f32_i32_e32 v61, v61
	v_fma_mix_f32 v70, v29, v71, v70 op_sel:[0,1,0] op_sel_hi:[0,1,0]
	v_mul_f32_e32 v4, v4, v191
	v_fma_f32 v6, v43, v190, -v6
	s_delay_alu instid0(VALU_DEP_4) | instskip(NEXT) | instid1(VALU_DEP_3)
	v_fma_mix_f32 v61, v211, v61, 0 op_sel_hi:[1,0,0]
	v_fma_f32 v4, v19, v190, -v4
	v_mul_f32_e32 v19, v46, v189
	s_delay_alu instid0(VALU_DEP_4) | instskip(NEXT) | instid1(VALU_DEP_4)
	v_add_f32_e32 v95, v95, v6
	v_fma_mix_f32 v61, v212, v62, v61 op_sel_hi:[1,0,0]
	v_mul_lo_u32 v62, v138, v18
	v_mul_lo_u32 v18, v169, v18
	v_fma_f32 v19, v42, v188, -v19
	s_delay_alu instid0(VALU_DEP_3) | instskip(NEXT) | instid1(VALU_DEP_1)
	v_cvt_f32_i32_e32 v62, v62
	v_fma_mix_f32 v62, v211, v62, 0 op_sel_hi:[1,0,0]
	s_delay_alu instid0(VALU_DEP_1) | instskip(SKIP_2) | instid1(VALU_DEP_2)
	v_fma_mix_f32 v62, v212, v63, v62 op_sel_hi:[1,0,0]
	v_fma_mix_f32 v63, v20, v211, 0 op_sel:[0,1,0] op_sel_hi:[0,1,0]
	v_fma_mix_f32 v20, v20, v213, 0 op_sel:[0,1,0] op_sel_hi:[0,1,0]
	;; [unrolled: 1-line block ×3, first 2 shown]
	s_delay_alu instid0(VALU_DEP_2) | instskip(SKIP_4) | instid1(VALU_DEP_4)
	v_fma_mix_f32 v20, v21, v214, v20 op_sel:[0,1,0] op_sel_hi:[0,1,0]
	v_fma_mix_f32 v21, v22, v213, 0 op_sel:[0,1,0] op_sel_hi:[0,1,0]
	;; [unrolled: 1-line block ×3, first 2 shown]
	v_mul_f32_e32 v26, v49, v184
	v_mul_lo_u32 v11, v170, v11
	v_fma_mix_f32 v21, v23, v214, v21 op_sel:[0,1,0] op_sel_hi:[0,1,0]
	v_fma_mix_f32 v23, v28, v213, 0 op_sel:[0,1,0] op_sel_hi:[0,1,0]
	s_delay_alu instid0(VALU_DEP_4)
	v_fma_f32 v1, v1, v185, -v26
	v_mul_f32_e32 v26, v50, v187
	v_mul_lo_u32 v15, v168, v15
	v_mul_f32_e32 v28, v57, v184
	v_cvt_f32_i32_e32 v11, v11
	v_mul_lo_u32 v17, v113, v17
	v_fma_mix_f32 v22, v27, v214, v22 op_sel:[0,1,0] op_sel_hi:[0,1,0]
	v_mul_f32_e32 v27, v52, v191
	v_fma_mix_f32 v23, v29, v214, v23 op_sel:[0,1,0] op_sel_hi:[0,1,0]
	v_fma_mix_f32 v10, v214, v11, v10 op_sel_hi:[1,0,0]
	v_cvt_f32_i32_e32 v11, v12
	v_cvt_f32_i32_e32 v12, v14
	v_fma_f32 v27, v48, v190, -v27
	v_cvt_f32_i32_e32 v14, v17
	v_mul_f32_e32 v20, v20, v184
	v_fma_mix_f32 v11, v213, v11, 0 op_sel_hi:[1,0,0]
	v_mul_f32_e32 v17, v44, v184
	v_add_f32_e32 v91, v91, v27
	v_fma_f32 v28, v53, v185, -v28
	v_fma_f32 v10, v10, v185, -v20
	v_fma_mix_f32 v9, v214, v9, v11 op_sel_hi:[1,0,0]
	v_cvt_f32_i32_e32 v11, v15
	v_mul_f32_e32 v15, v38, v189
	v_fma_f32 v17, v40, v185, -v17
	v_fma_f32 v7, v7, v186, -v26
	v_mul_f32_e32 v29, v58, v187
	v_fma_mix_f32 v11, v213, v11, 0 op_sel_hi:[1,0,0]
	v_fma_f32 v15, v34, v188, -v15
	v_dual_mul_f32 v24, v24, v191 :: v_dual_add_f32 v99, v99, v17
	v_mul_f32_e32 v34, v85, v184
	s_delay_alu instid0(VALU_DEP_4)
	v_fma_mix_f32 v11, v214, v12, v11 op_sel_hi:[1,0,0]
	v_cvt_f32_i32_e32 v12, v18
	v_mul_f32_e32 v18, v45, v187
	v_add_f32_e32 v103, v103, v15
	v_add_f32_e32 v89, v89, v28
	v_fma_f32 v29, v54, v186, -v29
	v_fma_mix_f32 v12, v213, v12, 0 op_sel_hi:[1,0,0]
	v_fma_f32 v18, v41, v186, -v18
	v_fma_f32 v24, v56, v190, -v24
	;; [unrolled: 1-line block ×3, first 2 shown]
	v_add_f32_e32 v93, v93, v7
	v_fma_mix_f32 v12, v214, v14, v12 op_sel_hi:[1,0,0]
	v_mul_f32_e32 v14, v30, v184
	v_dual_mul_f32 v30, v59, v189 :: v_dual_add_f32 v97, v97, v18
	v_dual_add_f32 v96, v96, v19 :: v_dual_add_f32 v79, v79, v34
	s_delay_alu instid0(VALU_DEP_3) | instskip(SKIP_1) | instid1(VALU_DEP_4)
	v_fma_f32 v8, v8, v185, -v14
	v_mul_f32_e32 v14, v36, v184
	v_fma_f32 v30, v55, v188, -v30
	v_mul_f32_e32 v20, v21, v187
	v_mul_f32_e32 v36, v100, v189
	v_add_f32_e32 v98, v98, v8
	v_mul_f32_e32 v8, v31, v187
	v_fma_f32 v5, v5, v185, -v14
	v_dual_mul_f32 v14, v37, v187 :: v_dual_mul_f32 v31, v63, v184
	v_add_f32_e32 v87, v87, v30
	s_delay_alu instid0(VALU_DEP_4)
	v_fma_f32 v8, v13, v186, -v8
	v_mul_f32_e32 v13, v32, v189
	v_mul_f32_e32 v32, v65, v189
	v_fma_f32 v9, v9, v186, -v20
	v_mul_f32_e32 v20, v22, v189
	v_fma_f32 v14, v33, v186, -v14
	v_fma_f32 v13, v16, v188, -v13
	v_mul_f32_e32 v16, v39, v191
	v_fma_f32 v25, v25, v185, -v31
	v_mul_f32_e32 v31, v64, v187
	;; [unrolled: 2-line block ×3, first 2 shown]
	v_fma_f32 v16, v35, v190, -v16
	v_dual_mul_f32 v26, v51, v189 :: v_dual_mul_f32 v35, v90, v187
	v_mul_f32_e32 v37, v70, v191
	v_fma_f32 v11, v11, v188, -v20
	v_dual_mul_f32 v20, v23, v191 :: v_dual_add_f32 v81, v81, v32
	v_fma_f32 v31, v60, v186, -v31
	v_fma_f32 v33, v62, v190, -v33
	;; [unrolled: 1-line block ×6, first 2 shown]
	v_add_f32_e32 v101, v101, v16
	v_fma_f32 v26, v47, v188, -v26
	v_add_f32_e32 v131, v131, v8
	v_dual_add_f32 v125, v125, v13 :: v_dual_add_f32 v118, v118, v4
	v_add_f32_e32 v83, v83, v25
	v_add_f32_e32 v107, v107, v5
	v_dual_add_f32 v105, v105, v14 :: v_dual_add_f32 v94, v94, v1
	v_dual_add_f32 v77, v77, v36 :: v_dual_add_f32 v92, v92, v26
	;; [unrolled: 1-line block ×4, first 2 shown]
	v_add_f32_e32 v82, v82, v31
	v_add_f32_e32 v80, v80, v33
	;; [unrolled: 1-line block ×6, first 2 shown]
	s_wait_alu 0xfffe
	s_cbranch_vccnz .LBB133_6
; %bb.7:                                ;   in Loop: Header=BB133_5 Depth=1
	s_barrier_signal -1
	s_barrier_wait -1
	scratch_load_b32 v4, off, off           ; 4-byte Folded Reload
	s_wait_loadcnt 0x0
	global_inv scope:SCOPE_SE
	s_clause 0x3
	scratch_load_b32 v5, off, off offset:4
	scratch_load_b32 v9, off, off offset:12
	;; [unrolled: 1-line block ×4, first 2 shown]
	v_add_nc_u32_e32 v1, s5, v147
	s_mov_b32 s5, 16
	s_clause 0x1
	scratch_load_b32 v11, off, off offset:16
	scratch_load_b32 v17, off, off offset:80 th:TH_LOAD_LU
	v_add_nc_u32_e32 v4, v1, v4
	s_wait_loadcnt 0x5
	v_add_nc_u32_e32 v6, v1, v5
	scratch_load_b32 v5, off, off offset:8  ; 4-byte Folded Reload
	s_wait_loadcnt 0x4
	v_add_nc_u32_e32 v14, v1, v13
	s_wait_loadcnt 0x3
	v_add_nc_u32_e32 v16, v1, v15
	scratch_load_b32 v15, off, off offset:24 ; 4-byte Folded Reload
	v_add_nc_u32_e32 v10, v1, v9
	v_mad_co_i64_i32 v[6:7], null, v6, 36, v[2:3]
	s_wait_loadcnt 0x3
	v_add_nc_u32_e32 v12, v1, v11
	s_wait_loadcnt 0x2
	v_add_nc_u32_e32 v20, 4, v17
	v_mad_co_i64_i32 v[10:11], null, v10, 36, v[2:3]
	v_mad_co_i64_i32 v[16:17], null, v16, 36, v[2:3]
	;; [unrolled: 1-line block ×3, first 2 shown]
	s_delay_alu instid0(VALU_DEP_4)
	v_mad_co_u64_u32 v[20:21], null, v20, 36, s[2:3]
	s_wait_loadcnt 0x1
	v_add_nc_u32_e32 v8, v1, v5
	v_mad_co_i64_i32 v[4:5], null, v4, 36, v[2:3]
	s_wait_loadcnt 0x0
	v_add_nc_u32_e32 v1, v1, v15
	v_mad_co_i64_i32 v[14:15], null, v14, 36, v[2:3]
	v_mad_co_i64_i32 v[8:9], null, v8, 36, v[2:3]
	s_delay_alu instid0(VALU_DEP_3)
	v_mad_co_i64_i32 v[18:19], null, v1, 36, v[2:3]
	s_clause 0x8
	global_load_b32 v1, v[14:15], off offset:4
	global_load_b32 v4, v[4:5], off offset:4
	;; [unrolled: 1-line block ×8, first 2 shown]
	global_load_b32 v11, v[20:21], off
	s_clause 0x1
	scratch_load_b32 v12, off, off offset:76
	scratch_load_b32 v255, off, off offset:192
	s_wait_loadcnt 0x1
	ds_store_b32 v12, v1
	scratch_load_b32 v1, off, off offset:48 ; 4-byte Folded Reload
	s_wait_loadcnt 0x1
	ds_store_b32 v255, v11
	s_wait_loadcnt 0x0
	ds_store_b32 v1, v4
	scratch_load_b32 v1, off, off offset:52 ; 4-byte Folded Reload
	s_wait_loadcnt 0x0
	ds_store_b32 v1, v5
	scratch_load_b32 v1, off, off offset:56 ; 4-byte Folded Reload
	;; [unrolled: 3-line block ×6, first 2 shown]
	s_wait_loadcnt 0x0
	ds_store_b32 v1, v10
	s_wait_dscnt 0x0
	s_barrier_signal -1
	s_barrier_wait -1
	global_inv scope:SCOPE_SE
	s_clause 0x3
	scratch_load_b32 v1, off, off offset:32
	scratch_load_b32 v4, off, off offset:36
	;; [unrolled: 1-line block ×4, first 2 shown]
	s_wait_loadcnt 0x3
	ds_load_b32 v1, v1
	s_wait_loadcnt 0x2
	ds_load_b32 v4, v4 offset:128
	s_wait_loadcnt 0x1
	ds_load_b32 v5, v5 offset:256
	;; [unrolled: 2-line block ×3, first 2 shown]
	s_wait_dscnt 0x3
	v_lshrrev_b32_e32 v7, 16, v1
	v_cvt_f32_f16_e64 v183, v1
	s_wait_dscnt 0x2
	v_cvt_f32_f16_e64 v184, v4
	v_lshrrev_b32_e32 v1, 16, v4
	s_wait_dscnt 0x1
	v_cvt_f32_f16_e64 v185, v5
	v_lshrrev_b32_e32 v4, 16, v5
	s_wait_dscnt 0x0
	v_lshrrev_b32_e32 v5, 16, v6
	v_cvt_f32_f16_e64 v186, v6
	v_cvt_f32_f16_e64 v187, v7
	;; [unrolled: 1-line block ×5, first 2 shown]
.LBB133_8:                              ;   Parent Loop BB133_5 Depth=1
                                        ; =>  This Inner Loop Header: Depth=2
	s_wait_alu 0xfffe
	s_lshl_b32 s12, s5, 1
	s_lshr_b32 s13, s5, 2
	s_wait_alu 0xfffe
	s_and_b32 s12, s12, 16
	s_and_b32 s13, s13, 0x3ffffffe
	s_lshl_b32 s16, s5, 3
	s_wait_alu 0xfffe
	s_add_co_i32 s13, s13, 0xa200
	v_or_b32_e32 v198, s12, v154
	v_add_nc_u32_e32 v4, s16, v167
	s_wait_alu 0xfffe
	v_add3_u32 v191, s13, v178, v179
	v_add_nc_u32_e32 v200, s16, v163
	v_add3_u32 v84, s13, v181, v164
	v_add_nc_u32_e32 v1, s16, v161
	v_add_nc_u32_e32 v26, s16, v165
	v_add3_u32 v12, s13, v180, v162
	v_add3_u32 v15, s13, v182, v166
	v_lshlrev_b32_e32 v199, 2, v198
	ds_load_u16 v192, v191 offset:8
	ds_load_2addr_b32 v[6:7], v1 offset1:1
	ds_load_2addr_b32 v[22:23], v4 offset0:14 offset1:15
	ds_load_b128 v[8:11], v199 offset:33280
	ds_load_2addr_b32 v[40:41], v200 offset0:2 offset1:3
	ds_load_2addr_b32 v[24:25], v200 offset0:4 offset1:5
	ds_load_u16 v193, v12 offset:8
	ds_load_2addr_b32 v[48:49], v200 offset1:1
	ds_load_u16 v194, v84 offset:8
	ds_load_2addr_b32 v[52:53], v26 offset1:1
	ds_load_2addr_b32 v[50:51], v4 offset0:2 offset1:3
	ds_load_2addr_b32 v[28:29], v4 offset0:4 offset1:5
	ds_load_u16 v195, v15 offset:8
	ds_load_2addr_b32 v[54:55], v4 offset1:1
	ds_load_2addr_b32 v[16:17], v1 offset0:2 offset1:3
	ds_load_2addr_b32 v[18:19], v1 offset0:4 offset1:5
	;; [unrolled: 1-line block ×6, first 2 shown]
	v_or_b32_e32 v121, s12, v156
	v_or_b32_e32 v142, s12, v158
	;; [unrolled: 1-line block ×3, first 2 shown]
	v_lshrrev_b32_e32 v198, 1, v198
	s_delay_alu instid0(VALU_DEP_4) | instskip(NEXT) | instid1(VALU_DEP_4)
	v_lshlrev_b32_e32 v122, 2, v121
	v_lshlrev_b32_e32 v143, 2, v142
	s_delay_alu instid0(VALU_DEP_4)
	v_lshlrev_b32_e32 v247, 2, v177
	v_lshrrev_b32_e32 v121, 1, v121
	v_lshrrev_b32_e32 v142, 1, v142
	;; [unrolled: 1-line block ×3, first 2 shown]
	s_wait_dscnt 0x10
	v_dot4_i32_iu8 v5, v6, v8, 0 neg_lo:[1,1,0]
	s_wait_dscnt 0xc
	v_dot4_i32_iu8 v13, v8, v48, 0 neg_lo:[1,1,0]
	;; [unrolled: 2-line block ×4, first 2 shown]
	v_dot4_i32_iu8 v5, v7, v9, v5 neg_lo:[1,1,0]
	v_dot4_i32_iu8 v13, v9, v49, v13 neg_lo:[1,1,0]
	;; [unrolled: 1-line block ×3, first 2 shown]
	s_delay_alu instid0(VALU_DEP_4)
	v_dot4_i32_iu8 v8, v9, v55, v8 neg_lo:[1,1,0]
	s_wait_dscnt 0x5
	v_dot4_i32_iu8 v5, v16, v10, v5 neg_lo:[1,1,0]
	v_dot4_i32_iu8 v9, v10, v40, v13 neg_lo:[1,1,0]
	s_wait_dscnt 0x2
	v_dot4_i32_iu8 v13, v10, v58, v14 neg_lo:[1,1,0]
	v_dot4_i32_iu8 v8, v10, v50, v8 neg_lo:[1,1,0]
	v_dot4_i32_iu8 v85, v17, v11, v5 neg_lo:[1,1,0]
	v_dot4_i32_iu8 v90, v11, v41, v9 neg_lo:[1,1,0]
	s_delay_alu instid0(VALU_DEP_4) | instskip(NEXT) | instid1(VALU_DEP_4)
	v_dot4_i32_iu8 v100, v11, v59, v13 neg_lo:[1,1,0]
	v_dot4_i32_iu8 v102, v11, v51, v8 neg_lo:[1,1,0]
	ds_load_u16 v197, v12
	ds_load_u16 v196, v15
	ds_load_2addr_b32 v[8:9], v1 offset0:8 offset1:9
	ds_load_b128 v[68:71], v199 offset:33312
	ds_load_b128 v[201:204], v199 offset:33296
	ds_load_2addr_b32 v[60:61], v200 offset0:8 offset1:9
	ds_load_2addr_b32 v[56:57], v200 offset0:10 offset1:11
	;; [unrolled: 1-line block ×9, first 2 shown]
	s_wait_dscnt 0x8
	v_dot4_i32_iu8 v10, v68, v60, 0 neg_lo:[1,1,0]
	v_dot4_i32_iu8 v5, v8, v68, 0 neg_lo:[1,1,0]
	s_wait_dscnt 0x3
	v_dot4_i32_iu8 v4, v68, v66, 0 neg_lo:[1,1,0]
	v_dot4_i32_iu8 v85, v18, v201, v85 neg_lo:[1,1,0]
	v_dot4_i32_iu8 v90, v201, v24, v90 neg_lo:[1,1,0]
	v_dot4_i32_iu8 v27, v69, v61, v10 neg_lo:[1,1,0]
	v_dot4_i32_iu8 v10, v68, v64, 0 neg_lo:[1,1,0]
	v_dot4_i32_iu8 v5, v9, v69, v5 neg_lo:[1,1,0]
	v_dot4_i32_iu8 v4, v69, v67, v4 neg_lo:[1,1,0]
	v_dot4_i32_iu8 v100, v201, v34, v100 neg_lo:[1,1,0]
	v_dot4_i32_iu8 v102, v201, v28, v102 neg_lo:[1,1,0]
	v_dot4_i32_iu8 v104, v69, v65, v10 neg_lo:[1,1,0]
	ds_load_2addr_b32 v[10:11], v1 offset0:10 offset1:11
	ds_load_2addr_b32 v[12:13], v1 offset0:12 offset1:13
	;; [unrolled: 1-line block ×6, first 2 shown]
	s_wait_dscnt 0x8
	v_dot4_i32_iu8 v4, v70, v62, v4 neg_lo:[1,1,0]
	v_dot4_i32_iu8 v85, v19, v202, v85 neg_lo:[1,1,0]
	;; [unrolled: 1-line block ×6, first 2 shown]
	v_or_b32_e32 v4, s12, v155
	v_dot4_i32_iu8 v85, v20, v203, v85 neg_lo:[1,1,0]
	v_dot4_i32_iu8 v90, v203, v42, v90 neg_lo:[1,1,0]
	;; [unrolled: 1-line block ×3, first 2 shown]
	s_wait_dscnt 0x6
	v_dot4_i32_iu8 v102, v203, v46, v102 neg_lo:[1,1,0]
	v_dot4_i32_iu8 v85, v21, v204, v85 neg_lo:[1,1,0]
	v_dot4_i32_iu8 v90, v204, v43, v90 neg_lo:[1,1,0]
	v_dot4_i32_iu8 v100, v204, v31, v100 neg_lo:[1,1,0]
	s_delay_alu instid0(VALU_DEP_4)
	v_dot4_i32_iu8 v102, v204, v47, v102 neg_lo:[1,1,0]
	s_wait_dscnt 0x5
	v_dot4_i32_iu8 v1, v10, v70, v5 neg_lo:[1,1,0]
	v_dot4_i32_iu8 v5, v70, v56, v27 neg_lo:[1,1,0]
	s_wait_dscnt 0x2
	v_dot4_i32_iu8 v26, v70, v68, v104 neg_lo:[1,1,0]
	s_delay_alu instid0(VALU_DEP_3) | instskip(NEXT) | instid1(VALU_DEP_3)
	v_dot4_i32_iu8 v1, v11, v71, v1 neg_lo:[1,1,0]
	v_dot4_i32_iu8 v104, v71, v57, v5 neg_lo:[1,1,0]
	v_lshlrev_b32_e32 v5, 2, v4
	ds_load_b128 v[205:208], v5 offset:33280
	ds_load_b128 v[209:212], v5 offset:33296
	v_dot4_i32_iu8 v106, v71, v69, v26 neg_lo:[1,1,0]
	v_lshrrev_b32_e32 v4, 1, v4
	s_wait_dscnt 0x1
	v_dot4_i32_iu8 v26, v6, v205, 0 neg_lo:[1,1,0]
	v_dot4_i32_iu8 v27, v205, v48, 0 neg_lo:[1,1,0]
	;; [unrolled: 1-line block ×4, first 2 shown]
	s_delay_alu instid0(VALU_DEP_4) | instskip(NEXT) | instid1(VALU_DEP_4)
	v_dot4_i32_iu8 v26, v7, v206, v26 neg_lo:[1,1,0]
	v_dot4_i32_iu8 v27, v206, v49, v27 neg_lo:[1,1,0]
	s_delay_alu instid0(VALU_DEP_4) | instskip(NEXT) | instid1(VALU_DEP_4)
	v_dot4_i32_iu8 v70, v206, v53, v70 neg_lo:[1,1,0]
	v_dot4_i32_iu8 v71, v206, v55, v71 neg_lo:[1,1,0]
	;; [unrolled: 3-line block ×6, first 2 shown]
	ds_load_b128 v[205:208], v5 offset:33312
	ds_load_b128 v[213:216], v5 offset:33328
	s_wait_dscnt 0x2
	v_dot4_i32_iu8 v109, v18, v209, v109 neg_lo:[1,1,0]
	v_dot4_i32_iu8 v110, v209, v24, v110 neg_lo:[1,1,0]
	v_dot4_i32_iu8 v112, v209, v34, v112 neg_lo:[1,1,0]
	v_dot4_i32_iu8 v113, v209, v28, v113 neg_lo:[1,1,0]
	s_delay_alu instid0(VALU_DEP_4) | instskip(NEXT) | instid1(VALU_DEP_4)
	v_dot4_i32_iu8 v109, v19, v210, v109 neg_lo:[1,1,0]
	v_dot4_i32_iu8 v110, v210, v25, v110 neg_lo:[1,1,0]
	s_delay_alu instid0(VALU_DEP_4) | instskip(NEXT) | instid1(VALU_DEP_4)
	v_dot4_i32_iu8 v112, v210, v35, v112 neg_lo:[1,1,0]
	v_dot4_i32_iu8 v113, v210, v29, v113 neg_lo:[1,1,0]
	;; [unrolled: 3-line block ×5, first 2 shown]
	s_delay_alu instid0(VALU_DEP_4)
	v_dot4_i32_iu8 v112, v212, v31, v112 neg_lo:[1,1,0]
	s_wait_dscnt 0x1
	v_dot4_i32_iu8 v5, v8, v205, 0 neg_lo:[1,1,0]
	v_dot4_i32_iu8 v26, v205, v60, 0 neg_lo:[1,1,0]
	v_dot4_i32_iu8 v27, v205, v64, 0 neg_lo:[1,1,0]
	v_dot4_i32_iu8 v70, v205, v66, 0 neg_lo:[1,1,0]
	v_dot4_i32_iu8 v113, v212, v47, v113 neg_lo:[1,1,0]
	v_dot4_i32_iu8 v5, v9, v206, v5 neg_lo:[1,1,0]
	v_dot4_i32_iu8 v26, v206, v61, v26 neg_lo:[1,1,0]
	v_dot4_i32_iu8 v27, v206, v65, v27 neg_lo:[1,1,0]
	v_dot4_i32_iu8 v70, v206, v67, v70 neg_lo:[1,1,0]
	s_delay_alu instid0(VALU_DEP_4) | instskip(NEXT) | instid1(VALU_DEP_4)
	v_dot4_i32_iu8 v5, v10, v207, v5 neg_lo:[1,1,0]
	v_dot4_i32_iu8 v26, v207, v56, v26 neg_lo:[1,1,0]
	s_delay_alu instid0(VALU_DEP_4) | instskip(NEXT) | instid1(VALU_DEP_4)
	v_dot4_i32_iu8 v27, v207, v68, v27 neg_lo:[1,1,0]
	v_dot4_i32_iu8 v70, v207, v62, v70 neg_lo:[1,1,0]
	;; [unrolled: 3-line block ×4, first 2 shown]
	ds_load_b64 v[4:5], v4 offset:43584
	ds_load_b128 v[205:208], v122 offset:33280
	s_wait_dscnt 0x2
	v_dot4_i32_iu8 v115, v12, v213, v115 neg_lo:[1,1,0]
	v_dot4_i32_iu8 v116, v213, v32, v116 neg_lo:[1,1,0]
	;; [unrolled: 1-line block ×4, first 2 shown]
	s_delay_alu instid0(VALU_DEP_4) | instskip(NEXT) | instid1(VALU_DEP_4)
	v_dot4_i32_iu8 v115, v13, v214, v115 neg_lo:[1,1,0]
	v_dot4_i32_iu8 v116, v214, v33, v116 neg_lo:[1,1,0]
	s_delay_alu instid0(VALU_DEP_4) | instskip(NEXT) | instid1(VALU_DEP_4)
	v_dot4_i32_iu8 v117, v214, v45, v117 neg_lo:[1,1,0]
	v_dot4_i32_iu8 v119, v214, v37, v119 neg_lo:[1,1,0]
	s_delay_alu instid0(VALU_DEP_4) | instskip(NEXT) | instid1(VALU_DEP_3)
	v_dot4_i32_iu8 v115, v14, v215, v115 neg_lo:[1,1,0]
	v_dot4_i32_iu8 v117, v215, v38, v117 neg_lo:[1,1,0]
	s_delay_alu instid0(VALU_DEP_3) | instskip(NEXT) | instid1(VALU_DEP_3)
	v_dot4_i32_iu8 v119, v215, v22, v119 neg_lo:[1,1,0]
	v_dot4_i32_iu8 v115, v15, v216, v115 neg_lo:[1,1,0]
	s_delay_alu instid0(VALU_DEP_3) | instskip(NEXT) | instid1(VALU_DEP_3)
	v_dot4_i32_iu8 v117, v216, v39, v117 neg_lo:[1,1,0]
	v_dot4_i32_iu8 v119, v216, v23, v119 neg_lo:[1,1,0]
	s_wait_dscnt 0x0
	v_dot4_i32_iu8 v26, v6, v205, 0 neg_lo:[1,1,0]
	v_dot4_i32_iu8 v27, v205, v48, 0 neg_lo:[1,1,0]
	;; [unrolled: 1-line block ×4, first 2 shown]
	s_delay_alu instid0(VALU_DEP_4) | instskip(NEXT) | instid1(VALU_DEP_4)
	v_dot4_i32_iu8 v26, v7, v206, v26 neg_lo:[1,1,0]
	v_dot4_i32_iu8 v27, v206, v49, v27 neg_lo:[1,1,0]
	s_delay_alu instid0(VALU_DEP_4) | instskip(NEXT) | instid1(VALU_DEP_4)
	v_dot4_i32_iu8 v70, v206, v53, v70 neg_lo:[1,1,0]
	v_dot4_i32_iu8 v71, v206, v55, v71 neg_lo:[1,1,0]
	;; [unrolled: 3-line block ×6, first 2 shown]
	ds_load_b128 v[205:208], v122 offset:33312
	ds_load_b128 v[217:220], v122 offset:33296
	s_wait_dscnt 0x1
	v_dot4_i32_iu8 v26, v8, v205, 0 neg_lo:[1,1,0]
	v_dot4_i32_iu8 v27, v205, v60, 0 neg_lo:[1,1,0]
	;; [unrolled: 1-line block ×4, first 2 shown]
	s_wait_dscnt 0x0
	v_dot4_i32_iu8 v124, v18, v217, v124 neg_lo:[1,1,0]
	v_dot4_i32_iu8 v26, v9, v206, v26 neg_lo:[1,1,0]
	;; [unrolled: 1-line block ×12, first 2 shown]
	v_or_b32_e32 v26, s12, v157
	v_dot4_i32_iu8 v130, v208, v57, v27 neg_lo:[1,1,0]
	v_dot4_i32_iu8 v132, v208, v69, v70 neg_lo:[1,1,0]
	v_dot4_i32_iu8 v133, v208, v63, v71 neg_lo:[1,1,0]
	v_dot4_i32_iu8 v128, v217, v28, v128 neg_lo:[1,1,0]
	v_lshlrev_b32_e32 v27, 2, v26
	ds_load_b128 v[205:208], v27 offset:33280
	ds_load_b128 v[221:224], v27 offset:33296
	v_lshrrev_b32_e32 v26, 1, v26
	v_or_b32_e32 v217, s12, v123
	v_dot4_i32_iu8 v124, v19, v218, v124 neg_lo:[1,1,0]
	v_dot4_i32_iu8 v126, v218, v25, v126 neg_lo:[1,1,0]
	;; [unrolled: 1-line block ×4, first 2 shown]
	v_lshlrev_b32_e32 v218, 2, v217
	v_dot4_i32_iu8 v124, v20, v219, v124 neg_lo:[1,1,0]
	v_dot4_i32_iu8 v126, v219, v42, v126 neg_lo:[1,1,0]
	;; [unrolled: 1-line block ×4, first 2 shown]
	s_delay_alu instid0(VALU_DEP_4) | instskip(NEXT) | instid1(VALU_DEP_4)
	v_dot4_i32_iu8 v124, v21, v220, v124 neg_lo:[1,1,0]
	v_dot4_i32_iu8 v126, v220, v43, v126 neg_lo:[1,1,0]
	s_delay_alu instid0(VALU_DEP_4) | instskip(NEXT) | instid1(VALU_DEP_4)
	v_dot4_i32_iu8 v127, v220, v31, v127 neg_lo:[1,1,0]
	v_dot4_i32_iu8 v128, v220, v47, v128 neg_lo:[1,1,0]
	s_wait_dscnt 0x1
	v_dot4_i32_iu8 v70, v6, v205, 0 neg_lo:[1,1,0]
	v_dot4_i32_iu8 v71, v205, v48, 0 neg_lo:[1,1,0]
	;; [unrolled: 1-line block ×4, first 2 shown]
	s_delay_alu instid0(VALU_DEP_4) | instskip(NEXT) | instid1(VALU_DEP_4)
	v_dot4_i32_iu8 v70, v7, v206, v70 neg_lo:[1,1,0]
	v_dot4_i32_iu8 v71, v206, v49, v71 neg_lo:[1,1,0]
	s_delay_alu instid0(VALU_DEP_4) | instskip(NEXT) | instid1(VALU_DEP_4)
	v_dot4_i32_iu8 v134, v206, v53, v134 neg_lo:[1,1,0]
	v_dot4_i32_iu8 v135, v206, v55, v135 neg_lo:[1,1,0]
	;; [unrolled: 3-line block ×6, first 2 shown]
	ds_load_b128 v[205:208], v27 offset:33312
	ds_load_b128 v[225:228], v27 offset:33328
	s_wait_dscnt 0x2
	v_dot4_i32_iu8 v134, v221, v34, v134 neg_lo:[1,1,0]
	v_dot4_i32_iu8 v135, v221, v28, v135 neg_lo:[1,1,0]
	s_delay_alu instid0(VALU_DEP_2) | instskip(NEXT) | instid1(VALU_DEP_2)
	v_dot4_i32_iu8 v134, v222, v35, v134 neg_lo:[1,1,0]
	v_dot4_i32_iu8 v135, v222, v29, v135 neg_lo:[1,1,0]
	s_delay_alu instid0(VALU_DEP_2) | instskip(NEXT) | instid1(VALU_DEP_2)
	v_dot4_i32_iu8 v134, v223, v30, v134 neg_lo:[1,1,0]
	v_dot4_i32_iu8 v135, v223, v46, v135 neg_lo:[1,1,0]
	s_delay_alu instid0(VALU_DEP_2)
	v_dot4_i32_iu8 v134, v224, v31, v134 neg_lo:[1,1,0]
	s_wait_dscnt 0x1
	v_dot4_i32_iu8 v27, v8, v205, 0 neg_lo:[1,1,0]
	v_dot4_i32_iu8 v70, v205, v60, 0 neg_lo:[1,1,0]
	;; [unrolled: 1-line block ×9, first 2 shown]
	s_delay_alu instid0(VALU_DEP_4) | instskip(NEXT) | instid1(VALU_DEP_4)
	v_dot4_i32_iu8 v27, v10, v207, v27 neg_lo:[1,1,0]
	v_dot4_i32_iu8 v70, v207, v56, v70 neg_lo:[1,1,0]
	s_delay_alu instid0(VALU_DEP_4) | instskip(NEXT) | instid1(VALU_DEP_4)
	v_dot4_i32_iu8 v71, v207, v68, v71 neg_lo:[1,1,0]
	v_dot4_i32_iu8 v138, v207, v62, v138 neg_lo:[1,1,0]
	;; [unrolled: 3-line block ×4, first 2 shown]
	ds_load_b64 v[26:27], v26 offset:43584
	ds_load_b128 v[205:208], v143 offset:33280
	s_wait_dscnt 0x2
	v_dot4_i32_iu8 v138, v225, v36, v138 neg_lo:[1,1,0]
	s_delay_alu instid0(VALU_DEP_1) | instskip(NEXT) | instid1(VALU_DEP_1)
	v_dot4_i32_iu8 v138, v226, v37, v138 neg_lo:[1,1,0]
	v_dot4_i32_iu8 v138, v227, v22, v138 neg_lo:[1,1,0]
	s_delay_alu instid0(VALU_DEP_1)
	v_dot4_i32_iu8 v138, v228, v23, v138 neg_lo:[1,1,0]
	s_wait_dscnt 0x0
	v_dot4_i32_iu8 v70, v6, v205, 0 neg_lo:[1,1,0]
	v_dot4_i32_iu8 v71, v205, v48, 0 neg_lo:[1,1,0]
	;; [unrolled: 1-line block ×4, first 2 shown]
	s_delay_alu instid0(VALU_DEP_4) | instskip(NEXT) | instid1(VALU_DEP_4)
	v_dot4_i32_iu8 v70, v7, v206, v70 neg_lo:[1,1,0]
	v_dot4_i32_iu8 v71, v206, v49, v71 neg_lo:[1,1,0]
	s_delay_alu instid0(VALU_DEP_4) | instskip(NEXT) | instid1(VALU_DEP_4)
	v_dot4_i32_iu8 v144, v206, v53, v144 neg_lo:[1,1,0]
	v_dot4_i32_iu8 v145, v206, v55, v145 neg_lo:[1,1,0]
	s_delay_alu instid0(VALU_DEP_4) | instskip(NEXT) | instid1(VALU_DEP_4)
	v_dot4_i32_iu8 v70, v16, v207, v70 neg_lo:[1,1,0]
	v_dot4_i32_iu8 v71, v207, v40, v71 neg_lo:[1,1,0]
	s_delay_alu instid0(VALU_DEP_4) | instskip(NEXT) | instid1(VALU_DEP_4)
	v_dot4_i32_iu8 v144, v207, v58, v144 neg_lo:[1,1,0]
	v_dot4_i32_iu8 v145, v207, v50, v145 neg_lo:[1,1,0]
	s_delay_alu instid0(VALU_DEP_4) | instskip(NEXT) | instid1(VALU_DEP_4)
	v_dot4_i32_iu8 v146, v17, v208, v70 neg_lo:[1,1,0]
	v_dot4_i32_iu8 v150, v208, v41, v71 neg_lo:[1,1,0]
	s_delay_alu instid0(VALU_DEP_4) | instskip(NEXT) | instid1(VALU_DEP_4)
	v_dot4_i32_iu8 v144, v208, v59, v144 neg_lo:[1,1,0]
	v_dot4_i32_iu8 v145, v208, v51, v145 neg_lo:[1,1,0]
	ds_load_b128 v[205:208], v143 offset:33312
	ds_load_b128 v[229:232], v143 offset:33296
	s_wait_dscnt 0x1
	v_dot4_i32_iu8 v70, v8, v205, 0 neg_lo:[1,1,0]
	v_dot4_i32_iu8 v71, v205, v60, 0 neg_lo:[1,1,0]
	;; [unrolled: 1-line block ×4, first 2 shown]
	s_wait_dscnt 0x0
	v_dot4_i32_iu8 v145, v229, v28, v145 neg_lo:[1,1,0]
	v_dot4_i32_iu8 v70, v9, v206, v70 neg_lo:[1,1,0]
	;; [unrolled: 1-line block ×12, first 2 shown]
	v_or_b32_e32 v70, s12, v159
	v_dot4_i32_iu8 v168, v208, v57, v71 neg_lo:[1,1,0]
	v_dot4_i32_iu8 v151, v208, v69, v151 neg_lo:[1,1,0]
	;; [unrolled: 1-line block ×4, first 2 shown]
	v_lshlrev_b32_e32 v71, 2, v70
	ds_load_b128 v[205:208], v71 offset:33280
	ds_load_b128 v[233:236], v71 offset:33296
	v_lshrrev_b32_e32 v70, 1, v70
	v_dot4_i32_iu8 v145, v232, v47, v145 neg_lo:[1,1,0]
	v_dot4_i32_iu8 v144, v230, v35, v144 neg_lo:[1,1,0]
	s_add_co_i32 s12, s5, 8
	s_cmp_lt_u32 s5, 24
	s_wait_alu 0xfffe
	s_mov_b32 s5, s12
	v_dot4_i32_iu8 v144, v231, v30, v144 neg_lo:[1,1,0]
	s_delay_alu instid0(VALU_DEP_1)
	v_dot4_i32_iu8 v144, v232, v31, v144 neg_lo:[1,1,0]
	s_wait_dscnt 0x1
	v_dot4_i32_iu8 v169, v6, v205, 0 neg_lo:[1,1,0]
	v_dot4_i32_iu8 v170, v205, v48, 0 neg_lo:[1,1,0]
	;; [unrolled: 1-line block ×4, first 2 shown]
	s_delay_alu instid0(VALU_DEP_4) | instskip(NEXT) | instid1(VALU_DEP_4)
	v_dot4_i32_iu8 v169, v7, v206, v169 neg_lo:[1,1,0]
	v_dot4_i32_iu8 v170, v206, v49, v170 neg_lo:[1,1,0]
	s_delay_alu instid0(VALU_DEP_4) | instskip(NEXT) | instid1(VALU_DEP_4)
	v_dot4_i32_iu8 v171, v206, v53, v171 neg_lo:[1,1,0]
	v_dot4_i32_iu8 v172, v206, v55, v172 neg_lo:[1,1,0]
	;; [unrolled: 3-line block ×6, first 2 shown]
	ds_load_b128 v[205:208], v71 offset:33312
	ds_load_b128 v[237:240], v71 offset:33328
	s_wait_dscnt 0x1
	v_dot4_i32_iu8 v71, v8, v205, 0 neg_lo:[1,1,0]
	v_dot4_i32_iu8 v173, v205, v60, 0 neg_lo:[1,1,0]
	;; [unrolled: 1-line block ×4, first 2 shown]
	s_delay_alu instid0(VALU_DEP_4) | instskip(NEXT) | instid1(VALU_DEP_4)
	v_dot4_i32_iu8 v71, v9, v206, v71 neg_lo:[1,1,0]
	v_dot4_i32_iu8 v173, v206, v61, v173 neg_lo:[1,1,0]
	s_delay_alu instid0(VALU_DEP_4) | instskip(NEXT) | instid1(VALU_DEP_4)
	v_dot4_i32_iu8 v174, v206, v65, v174 neg_lo:[1,1,0]
	v_dot4_i32_iu8 v175, v206, v67, v175 neg_lo:[1,1,0]
	;; [unrolled: 3-line block ×6, first 2 shown]
	ds_load_b64 v[70:71], v70 offset:43584
	ds_load_b128 v[205:208], v247 offset:33280
	s_wait_dscnt 0x0
	v_dot4_i32_iu8 v241, v205, v48, 0 neg_lo:[1,1,0]
	v_dot4_i32_iu8 v242, v205, v52, 0 neg_lo:[1,1,0]
	;; [unrolled: 1-line block ×4, first 2 shown]
	s_delay_alu instid0(VALU_DEP_4) | instskip(NEXT) | instid1(VALU_DEP_4)
	v_dot4_i32_iu8 v241, v206, v49, v241 neg_lo:[1,1,0]
	v_dot4_i32_iu8 v242, v206, v53, v242 neg_lo:[1,1,0]
	s_delay_alu instid0(VALU_DEP_4) | instskip(NEXT) | instid1(VALU_DEP_4)
	v_dot4_i32_iu8 v243, v206, v55, v243 neg_lo:[1,1,0]
	v_dot4_i32_iu8 v205, v7, v206, v205 neg_lo:[1,1,0]
	;; [unrolled: 3-line block ×6, first 2 shown]
	ds_load_b128 v[205:208], v247 offset:33312
	ds_load_b128 v[241:244], v247 offset:33296
	s_wait_dscnt 0x1
	v_dot4_i32_iu8 v245, v8, v205, 0 neg_lo:[1,1,0]
	v_dot4_i32_iu8 v246, v205, v60, 0 neg_lo:[1,1,0]
	;; [unrolled: 1-line block ×4, first 2 shown]
	s_delay_alu instid0(VALU_DEP_4) | instskip(NEXT) | instid1(VALU_DEP_4)
	v_dot4_i32_iu8 v245, v9, v206, v245 neg_lo:[1,1,0]
	v_dot4_i32_iu8 v246, v206, v61, v246 neg_lo:[1,1,0]
	s_delay_alu instid0(VALU_DEP_4) | instskip(NEXT) | instid1(VALU_DEP_4)
	v_dot4_i32_iu8 v252, v206, v65, v252 neg_lo:[1,1,0]
	v_dot4_i32_iu8 v205, v206, v67, v205 neg_lo:[1,1,0]
	;; [unrolled: 3-line block ×4, first 2 shown]
	s_delay_alu instid0(VALU_DEP_4)
	v_dot4_i32_iu8 v252, v11, v208, v206 neg_lo:[1,1,0]
	ds_load_u16 v84, v84
	ds_load_b64 v[206:207], v198 offset:43584
	ds_load_b128 v[201:204], v199 offset:33328
	v_dot4_i32_iu8 v253, v208, v57, v245 neg_lo:[1,1,0]
	v_dot4_i32_iu8 v254, v208, v69, v246 neg_lo:[1,1,0]
	;; [unrolled: 1-line block ×3, first 2 shown]
	ds_load_2addr_b32 v[245:246], v200 offset0:14 offset1:15
	s_wait_dscnt 0x1
	v_dot4_i32_iu8 v1, v12, v201, v1 neg_lo:[1,1,0]
	v_dot4_i32_iu8 v104, v201, v32, v104 neg_lo:[1,1,0]
	;; [unrolled: 1-line block ×4, first 2 shown]
	ds_load_b64 v[208:209], v121 offset:43584
	ds_load_b128 v[198:201], v122 offset:33328
	v_dot4_i32_iu8 v1, v13, v202, v1 neg_lo:[1,1,0]
	v_dot4_i32_iu8 v104, v202, v33, v104 neg_lo:[1,1,0]
	;; [unrolled: 1-line block ×4, first 2 shown]
	s_wait_dscnt 0x2
	v_dot4_i32_iu8 v116, v215, v245, v116 neg_lo:[1,1,0]
	v_dot4_i32_iu8 v1, v14, v203, v1 neg_lo:[1,1,0]
	;; [unrolled: 1-line block ×10, first 2 shown]
	s_wait_dscnt 0x0
	v_dot4_i32_iu8 v121, v12, v198, v129 neg_lo:[1,1,0]
	v_dot4_i32_iu8 v122, v198, v32, v130 neg_lo:[1,1,0]
	;; [unrolled: 1-line block ×19, first 2 shown]
	ds_load_b64 v[210:211], v142 offset:43584
	ds_load_b128 v[198:201], v143 offset:33328
	v_dot4_i32_iu8 v137, v225, v32, v140 neg_lo:[1,1,0]
	v_dot4_i32_iu8 v139, v225, v44, v141 neg_lo:[1,1,0]
	;; [unrolled: 1-line block ×19, first 2 shown]
	s_wait_dscnt 0x0
	v_dot4_i32_iu8 v142, v12, v198, v153 neg_lo:[1,1,0]
	v_dot4_i32_iu8 v143, v198, v32, v168 neg_lo:[1,1,0]
	;; [unrolled: 1-line block ×19, first 2 shown]
	ds_load_b64 v[212:213], v177 offset:43584
	ds_load_b128 v[198:201], v247 offset:33328
	v_dot4_i32_iu8 v176, v241, v28, v250 neg_lo:[1,1,0]
	v_dot4_i32_iu8 v168, v234, v29, v168 neg_lo:[1,1,0]
	;; [unrolled: 1-line block ×19, first 2 shown]
	s_wait_dscnt 0x0
	v_dot4_i32_iu8 v177, v12, v198, v252 neg_lo:[1,1,0]
	v_dot4_i32_iu8 v202, v198, v32, v253 neg_lo:[1,1,0]
	;; [unrolled: 1-line block ×19, first 2 shown]
	ds_load_b128 v[198:201], v218 offset:33280
	ds_load_b128 v[202:205], v218 offset:33296
	v_dot4_i32_iu8 v175, v244, v31, v175 neg_lo:[1,1,0]
	v_dot4_i32_iu8 v172, v238, v37, v172 neg_lo:[1,1,0]
	;; [unrolled: 1-line block ×18, first 2 shown]
	s_wait_dscnt 0x1
	v_dot4_i32_iu8 v48, v198, v48, 0 neg_lo:[1,1,0]
	v_perm_b32 v220, v198, v199, 0xc0c0703
	v_perm_b32 v222, v198, v199, 0xc0c0400
	;; [unrolled: 1-line block ×4, first 2 shown]
	v_dot4_i32_iu8 v48, v199, v49, v48 neg_lo:[1,1,0]
	v_dot4_i32_iu8 v49, v198, v52, 0 neg_lo:[1,1,0]
	;; [unrolled: 1-line block ×3, first 2 shown]
	v_perm_b32 v221, v201, v200, 0x7030c0c
	v_dot4_i32_iu8 v169, v14, v239, v169 neg_lo:[1,1,0]
	v_dot4_i32_iu8 v40, v200, v40, v48 neg_lo:[1,1,0]
	;; [unrolled: 1-line block ×11, first 2 shown]
	s_wait_dscnt 0x0
	v_dot4_i32_iu8 v24, v202, v24, v40 neg_lo:[1,1,0]
	v_dot4_i32_iu8 v41, v201, v59, v41 neg_lo:[1,1,0]
	;; [unrolled: 1-line block ×3, first 2 shown]
	ds_load_b128 v[48:51], v218 offset:33312
	ds_load_b128 v[52:55], v218 offset:33328
	v_perm_b32 v59, v198, v199, 0xc0c0501
	v_dot4_i32_iu8 v24, v203, v25, v24 neg_lo:[1,1,0]
	v_dot4_i32_iu8 v25, v202, v34, v41 neg_lo:[1,1,0]
	;; [unrolled: 1-line block ×3, first 2 shown]
	v_perm_b32 v198, v198, v199, 0xc0c0602
	v_perm_b32 v199, v201, v200, 0x6020c0c
	;; [unrolled: 1-line block ×3, first 2 shown]
	v_dot4_i32_iu8 v25, v203, v35, v25 neg_lo:[1,1,0]
	v_dot4_i32_iu8 v28, v203, v29, v28 neg_lo:[1,1,0]
	v_perm_b32 v29, v203, v202, 0xc0c0602
	v_dot4_i32_iu8 v24, v204, v42, v24 neg_lo:[1,1,0]
	v_perm_b32 v41, v203, v202, 0xc0c0501
	v_dot4_i32_iu8 v25, v204, v30, v25 neg_lo:[1,1,0]
	v_dot4_i32_iu8 v28, v204, v46, v28 neg_lo:[1,1,0]
	v_perm_b32 v46, v6, v7, 0xc0c0602
	v_perm_b32 v30, v205, v204, 0x6020c0c
	;; [unrolled: 1-line block ×3, first 2 shown]
	v_dot4_i32_iu8 v25, v205, v31, v25 neg_lo:[1,1,0]
	s_wait_dscnt 0x1
	v_dot4_i32_iu8 v60, v48, v60, 0 neg_lo:[1,1,0]
	v_dot4_i32_iu8 v28, v205, v47, v28 neg_lo:[1,1,0]
	v_perm_b32 v47, v17, v16, 0x6020c0c
	v_or_b32_e32 v29, v30, v29
	v_perm_b32 v31, v203, v202, 0xc0c0400
	v_dot4_i32_iu8 v60, v49, v61, v60 neg_lo:[1,1,0]
	v_dot4_i32_iu8 v61, v48, v64, 0 neg_lo:[1,1,0]
	;; [unrolled: 1-line block ×3, first 2 shown]
	v_perm_b32 v66, v51, v50, 0x4000c0c
	v_or_b32_e32 v46, v47, v46
	v_dot4_i32_iu8 v56, v50, v56, v60 neg_lo:[1,1,0]
	v_dot4_i32_iu8 v61, v49, v65, v61 neg_lo:[1,1,0]
	;; [unrolled: 1-line block ×3, first 2 shown]
	v_perm_b32 v65, v48, v49, 0xc0c0400
	v_perm_b32 v47, v19, v18, 0xc0c0602
	v_dot4_i32_iu8 v56, v51, v57, v56 neg_lo:[1,1,0]
	v_dot4_i32_iu8 v57, v50, v68, v61 neg_lo:[1,1,0]
	v_dot4_i32_iu8 v60, v50, v62, v64 neg_lo:[1,1,0]
	v_perm_b32 v61, v48, v49, 0xc0c0501
	v_perm_b32 v62, v51, v50, 0x5010c0c
	;; [unrolled: 1-line block ×3, first 2 shown]
	v_or_b32_e32 v31, v34, v31
	v_dot4_i32_iu8 v60, v51, v63, v60 neg_lo:[1,1,0]
	v_perm_b32 v63, v48, v49, 0xc0c0703
	v_perm_b32 v48, v48, v49, 0xc0c0602
	;; [unrolled: 1-line block ×5, first 2 shown]
	s_wait_dscnt 0x0
	v_dot4_i32_iu8 v36, v52, v36, v60 neg_lo:[1,1,0]
	v_dot4_i32_iu8 v57, v51, v69, v57 neg_lo:[1,1,0]
	;; [unrolled: 1-line block ×3, first 2 shown]
	v_or_b32_e32 v47, v50, v47
	v_or_b32_e32 v50, v199, v198
	v_dot4_i32_iu8 v36, v53, v37, v36 neg_lo:[1,1,0]
	v_perm_b32 v37, v53, v52, 0xc0c0400
	v_dot4_i32_iu8 v32, v53, v33, v32 neg_lo:[1,1,0]
	v_dot4_i32_iu8 v33, v52, v44, v57 neg_lo:[1,1,0]
	;; [unrolled: 1-line block ×3, first 2 shown]
	v_perm_b32 v46, v17, v16, 0x4000c0c
	v_dot4_i32_iu8 v22, v54, v22, v36 neg_lo:[1,1,0]
	v_perm_b32 v36, v55, v54, 0x6020c0c
	v_dot4_i32_iu8 v33, v53, v45, v33 neg_lo:[1,1,0]
	v_dot4_i32_iu8 v29, v47, v29, v30 neg_lo:[1,1,0]
	v_perm_b32 v30, v6, v7, 0xc0c0400
	v_perm_b32 v47, v21, v20, 0x4000c0c
	v_dot4_i32_iu8 v22, v55, v23, v22 neg_lo:[1,1,0]
	v_perm_b32 v23, v53, v52, 0xc0c0602
	v_dot4_i32_iu8 v33, v54, v38, v33 neg_lo:[1,1,0]
	v_or_b32_e32 v30, v46, v30
	v_perm_b32 v46, v19, v18, 0xc0c0400
	v_perm_b32 v38, v55, v54, 0x4000c0c
	;; [unrolled: 1-line block ×4, first 2 shown]
	v_dot4_i32_iu8 v24, v205, v43, v24 neg_lo:[1,1,0]
	v_or_b32_e32 v46, v47, v46
	v_or_b32_e32 v47, v223, v222
	v_dot4_i32_iu8 v33, v55, v39, v33 neg_lo:[1,1,0]
	v_perm_b32 v39, v53, v52, 0xc0c0703
	v_perm_b32 v43, v55, v54, 0x7030c0c
	;; [unrolled: 1-line block ×3, first 2 shown]
	v_dot4_i32_iu8 v30, v30, v47, 0 neg_lo:[1,1,0]
	v_perm_b32 v45, v55, v54, 0x5010c0c
	v_or_b32_e32 v35, v40, v35
	v_dot4_i32_iu8 v32, v54, v245, v32 neg_lo:[1,1,0]
	v_dot4_i32_iu8 v137, v228, v246, v137 neg_lo:[1,1,0]
	;; [unrolled: 1-line block ×3, first 2 shown]
	v_perm_b32 v31, v6, v7, 0xc0c0703
	v_perm_b32 v6, v6, v7, 0xc0c0501
	;; [unrolled: 1-line block ×5, first 2 shown]
	v_or_b32_e32 v31, v34, v31
	v_perm_b32 v34, v19, v18, 0xc0c0703
	v_or_b32_e32 v6, v7, v6
	v_or_b32_e32 v18, v36, v23
	;; [unrolled: 1-line block ×6, first 2 shown]
	v_perm_b32 v46, v21, v20, 0x7030c0c
	v_or_b32_e32 v20, v43, v39
	v_dot4_i32_iu8 v6, v6, v16, 0 neg_lo:[1,1,0]
	v_perm_b32 v16, v11, v10, 0x6020c0c
	v_dot4_i32_iu8 v32, v55, v246, v32 neg_lo:[1,1,0]
	v_or_b32_e32 v34, v46, v34
	v_or_b32_e32 v46, v221, v220
	v_dot4_i32_iu8 v6, v7, v17, v6 neg_lo:[1,1,0]
	v_perm_b32 v7, v8, v9, 0xc0c0602
	v_perm_b32 v17, v15, v14, 0x6020c0c
	v_dot4_i32_iu8 v140, v21, v232, v140 neg_lo:[1,1,0]
	v_dot4_i32_iu8 v31, v31, v46, 0 neg_lo:[1,1,0]
	;; [unrolled: 1-line block ×3, first 2 shown]
	v_or_b32_e32 v7, v16, v7
	v_perm_b32 v16, v13, v12, 0xc0c0602
	v_dot4_i32_iu8 v173, v21, v244, v173 neg_lo:[1,1,0]
	v_dot4_i32_iu8 v31, v34, v35, v31 neg_lo:[1,1,0]
	v_cvt_f32_ubyte1_e32 v21, v192
	v_cvt_f32_ubyte1_e32 v23, v193
	v_or_b32_e32 v16, v17, v16
	v_or_b32_e32 v17, v49, v48
	v_add_nc_u32_e32 v6, v6, v31
	v_dot4_i32_iu8 v170, v239, v245, v170 neg_lo:[1,1,0]
	s_delay_alu instid0(VALU_DEP_3) | instskip(SKIP_1) | instid1(VALU_DEP_3)
	v_dot4_i32_iu8 v7, v7, v17, 0 neg_lo:[1,1,0]
	v_perm_b32 v17, v11, v10, 0x4000c0c
	v_dot4_i32_iu8 v170, v240, v246, v170 neg_lo:[1,1,0]
	s_delay_alu instid0(VALU_DEP_3) | instskip(SKIP_2) | instid1(VALU_DEP_2)
	v_dot4_i32_iu8 v7, v16, v18, v7 neg_lo:[1,1,0]
	v_perm_b32 v16, v8, v9, 0xc0c0400
	v_perm_b32 v18, v15, v14, 0x4000c0c
	v_or_b32_e32 v16, v17, v16
	v_perm_b32 v17, v13, v12, 0xc0c0400
	s_delay_alu instid0(VALU_DEP_1) | instskip(SKIP_1) | instid1(VALU_DEP_1)
	v_or_b32_e32 v17, v18, v17
	v_or_b32_e32 v18, v66, v65
	v_dot4_i32_iu8 v16, v16, v18, 0 neg_lo:[1,1,0]
	v_perm_b32 v18, v11, v10, 0x7030c0c
	s_delay_alu instid0(VALU_DEP_2)
	v_dot4_i32_iu8 v16, v17, v19, v16 neg_lo:[1,1,0]
	v_perm_b32 v17, v8, v9, 0xc0c0703
	v_perm_b32 v19, v15, v14, 0x7030c0c
	v_perm_b32 v8, v8, v9, 0xc0c0501
	v_perm_b32 v9, v11, v10, 0x5010c0c
	v_perm_b32 v10, v13, v12, 0xc0c0501
	v_or_b32_e32 v17, v18, v17
	v_perm_b32 v18, v13, v12, 0xc0c0703
	v_perm_b32 v11, v15, v14, 0x5010c0c
	v_or_b32_e32 v8, v9, v8
	v_and_b32_e32 v12, 0xff, v197
	v_and_b32_e32 v15, 0xff, v84
	v_or_b32_e32 v18, v19, v18
	v_or_b32_e32 v19, v64, v63
	;; [unrolled: 1-line block ×5, first 2 shown]
	v_mul_lo_u32 v13, v24, v12
	v_dot4_i32_iu8 v17, v17, v19, 0 neg_lo:[1,1,0]
	v_cvt_f32_ubyte0_e32 v24, v194
	v_dot4_i32_iu8 v8, v8, v10, 0 neg_lo:[1,1,0]
	s_delay_alu instid0(VALU_DEP_3) | instskip(NEXT) | instid1(VALU_DEP_3)
	v_dot4_i32_iu8 v17, v18, v20, v17 neg_lo:[1,1,0]
	v_fma_mix_f32 v37, v24, v206, 0 op_sel:[0,1,0] op_sel_hi:[0,1,0]
	s_delay_alu instid0(VALU_DEP_3)
	v_dot4_i32_iu8 v8, v9, v11, v8 neg_lo:[1,1,0]
	v_add3_u32 v9, v30, v29, v6
	v_cvt_f32_i32_e32 v13, v13
	v_and_b32_e32 v18, 0xff, v196
	v_cvt_f32_ubyte1_e32 v29, v195
	v_add_nc_u32_e32 v6, v8, v17
	v_fma_mix_f32 v45, v24, v4, 0 op_sel:[0,1,0] op_sel_hi:[0,1,0]
	v_fma_mix_f32 v59, v24, v26, 0 op_sel:[0,1,0] op_sel_hi:[0,1,0]
	v_mul_lo_u32 v19, v28, v18
	v_cvt_f32_ubyte0_e32 v28, v195
	v_add3_u32 v8, v16, v7, v6
	v_lshrrev_b32_e32 v6, 1, v217
	ds_load_u16 v10, v191
	ds_load_b64 v[6:7], v6 offset:43584
	v_mul_lo_u32 v16, v25, v15
	v_cvt_f32_ubyte1_e32 v25, v194
	v_cvt_f32_i32_e32 v19, v19
	v_fma_mix_f32 v38, v28, v206, 0 op_sel:[0,1,0] op_sel_hi:[0,1,0]
	v_fma_mix_f32 v52, v28, v208, 0 op_sel:[0,1,0] op_sel_hi:[0,1,0]
	;; [unrolled: 1-line block ×5, first 2 shown]
	v_cvt_f32_i32_e32 v16, v16
	v_fma_mix_f32 v59, v25, v27, v59 op_sel:[0,1,0] op_sel_hi:[0,1,0]
	v_fma_mix_f32 v51, v24, v208, 0 op_sel:[0,1,0] op_sel_hi:[0,1,0]
	;; [unrolled: 1-line block ×7, first 2 shown]
	s_delay_alu instid0(VALU_DEP_4)
	v_fma_mix_f32 v65, v25, v211, v65 op_sel:[0,1,0] op_sel_hi:[0,1,0]
	s_wait_dscnt 0x1
	v_lshrrev_b16 v11, 8, v10
	v_and_b32_e32 v10, 0xff, v10
	s_wait_dscnt 0x0
	v_fma_mix_f32 v13, v6, v13, 0 op_sel_hi:[1,0,0]
	v_fma_mix_f32 v16, v6, v16, 0 op_sel_hi:[1,0,0]
	;; [unrolled: 1-line block ×3, first 2 shown]
	v_and_b32_e32 v11, 0xffff, v11
	v_mul_lo_u32 v9, v9, v10
	v_mul_lo_u32 v39, v109, v10
	v_mul_lo_u32 v53, v132, v10
	v_mul_lo_u32 v67, v151, v10
	v_mul_lo_u32 v8, v8, v11
	v_mul_lo_u32 v40, v115, v11
	v_mul_lo_u32 v54, v136, v11
	v_mul_lo_u32 v1, v1, v11
	v_cvt_f32_i32_e32 v9, v9
	v_cvt_f32_i32_e32 v39, v39
	;; [unrolled: 1-line block ×3, first 2 shown]
	v_mul_lo_u32 v46, v121, v11
	v_cvt_f32_i32_e32 v8, v8
	v_fma_mix_f32 v9, v9, v6, 0 op_sel_hi:[0,1,0]
	v_cvt_f32_i32_e32 v40, v40
	v_fma_mix_f32 v39, v4, v39, 0 op_sel_hi:[1,0,0]
	;; [unrolled: 2-line block ×3, first 2 shown]
	v_fma_mix_f32 v8, v8, v7, v9 op_sel_hi:[0,1,0]
	v_lshrrev_b16 v9, 8, v197
	v_fma_mix_f32 v39, v5, v40, v39 op_sel_hi:[1,0,0]
	v_mul_lo_u32 v40, v110, v12
	v_fma_mix_f32 v53, v27, v54, v53 op_sel_hi:[1,0,0]
	v_mul_lo_u32 v54, v133, v12
	v_and_b32_e32 v9, 0xffff, v9
	v_mul_lo_u32 v60, v142, v11
	v_mul_lo_u32 v68, v169, v11
	v_cvt_f32_i32_e32 v67, v67
	v_cvt_f32_i32_e32 v1, v1
	v_mul_lo_u32 v14, v32, v9
	v_mul_lo_u32 v41, v116, v9
	v_cvt_f32_i32_e32 v40, v40
	v_cvt_f32_i32_e32 v54, v54
	v_fma_mix_f32 v32, v6, v24, 0 op_sel:[1,0,0] op_sel_hi:[1,0,0]
	v_cvt_f32_i32_e32 v46, v46
	v_cvt_f32_i32_e32 v60, v60
	v_fma_mix_f32 v40, v4, v40, 0 op_sel_hi:[1,0,0]
	v_cvt_f32_i32_e32 v14, v14
	v_cvt_f32_i32_e32 v41, v41
	v_fma_mix_f32 v54, v26, v54, 0 op_sel_hi:[1,0,0]
	v_fma_mix_f32 v32, v7, v25, v32 op_sel:[1,0,0] op_sel_hi:[1,0,0]
	v_cvt_f32_i32_e32 v68, v68
	v_fma_mix_f32 v13, v7, v14, v13 op_sel_hi:[1,0,0]
	v_lshrrev_b16 v14, 8, v84
	v_fma_mix_f32 v40, v5, v41, v40 op_sel_hi:[1,0,0]
	v_mul_lo_u32 v41, v112, v15
	v_fma_mix_f32 v67, v70, v67, 0 op_sel_hi:[1,0,0]
	v_mul_lo_u32 v11, v177, v11
	v_and_b32_e32 v14, 0xffff, v14
	s_delay_alu instid0(VALU_DEP_3) | instskip(SKIP_1) | instid1(VALU_DEP_3)
	v_fma_mix_f32 v67, v71, v68, v67 op_sel_hi:[1,0,0]
	v_mul_lo_u32 v68, v152, v12
	v_mul_lo_u32 v17, v33, v14
	;; [unrolled: 1-line block ×3, first 2 shown]
	v_cvt_f32_i32_e32 v41, v41
	v_mul_lo_u32 v56, v139, v14
	v_mul_lo_u32 v34, v106, v14
	;; [unrolled: 1-line block ×4, first 2 shown]
	v_fma_mix_f32 v41, v4, v41, 0 op_sel_hi:[1,0,0]
	v_cvt_f32_i32_e32 v17, v17
	v_cvt_f32_i32_e32 v42, v42
	;; [unrolled: 1-line block ×4, first 2 shown]
	v_mul_lo_u32 v84, v171, v14
	v_fma_mix_f32 v16, v7, v17, v16 op_sel_hi:[1,0,0]
	v_lshrrev_b16 v17, 8, v196
	v_fma_mix_f32 v41, v5, v42, v41 op_sel_hi:[1,0,0]
	v_mul_lo_u32 v42, v113, v18
	v_fma_mix_f32 v68, v70, v68, 0 op_sel_hi:[1,0,0]
	v_cvt_f32_i32_e32 v34, v34
	v_and_b32_e32 v17, 0xffff, v17
	v_cvt_f32_i32_e32 v48, v48
	v_cvt_f32_i32_e32 v62, v62
	;; [unrolled: 1-line block ×4, first 2 shown]
	v_mul_lo_u32 v20, v22, v17
	v_mul_lo_u32 v43, v119, v17
	v_cvt_f32_i32_e32 v42, v42
	v_cvt_f32_ubyte0_e32 v22, v193
	v_mul_lo_u32 v57, v138, v17
	v_mul_lo_u32 v35, v108, v17
	;; [unrolled: 1-line block ×3, first 2 shown]
	v_fma_mix_f32 v42, v4, v42, 0 op_sel_hi:[1,0,0]
	v_cvt_f32_i32_e32 v20, v20
	v_cvt_f32_i32_e32 v43, v43
	v_fma_mix_f32 v44, v22, v4, 0 op_sel:[0,1,0] op_sel_hi:[0,1,0]
	v_fma_mix_f32 v31, v6, v22, 0 op_sel:[1,0,0] op_sel_hi:[1,0,0]
	v_cvt_f32_i32_e32 v57, v57
	v_fma_mix_f32 v19, v7, v20, v19 op_sel_hi:[1,0,0]
	v_cvt_f32_ubyte0_e32 v20, v192
	v_fma_mix_f32 v42, v5, v43, v42 op_sel_hi:[1,0,0]
	v_fma_mix_f32 v58, v22, v26, 0 op_sel:[0,1,0] op_sel_hi:[0,1,0]
	v_fma_mix_f32 v31, v7, v23, v31 op_sel:[1,0,0] op_sel_hi:[1,0,0]
	;; [unrolled: 1-line block ×12, first 2 shown]
	v_mul_lo_u32 v7, v85, v10
	v_mul_lo_u32 v5, v124, v10
	v_mul_f32_e32 v4, v4, v190
	v_mul_lo_u32 v55, v137, v9
	v_mul_lo_u32 v33, v104, v9
	;; [unrolled: 1-line block ×5, first 2 shown]
	v_cvt_f32_i32_e32 v7, v7
	v_cvt_f32_i32_e32 v5, v5
	v_mul_lo_u32 v63, v150, v17
	v_cvt_f32_i32_e32 v55, v55
	v_cvt_f32_i32_e32 v33, v33
	v_fma_mix_f32 v7, v206, v7, 0 op_sel_hi:[1,0,0]
	v_fma_mix_f32 v5, v208, v5, 0 op_sel_hi:[1,0,0]
	v_cvt_f32_i32_e32 v47, v47
	v_fma_mix_f32 v54, v27, v55, v54 op_sel_hi:[1,0,0]
	v_mul_lo_u32 v55, v134, v15
	v_fma_mix_f32 v1, v207, v1, v7 op_sel_hi:[1,0,0]
	v_mul_lo_u32 v7, v90, v12
	;; [unrolled: 2-line block ×3, first 2 shown]
	v_cvt_f32_i32_e32 v61, v61
	v_cvt_f32_i32_e32 v69, v69
	v_mul_lo_u32 v85, v172, v17
	v_cvt_f32_i32_e32 v55, v55
	v_mul_lo_u32 v9, v214, v9
	v_cvt_f32_i32_e32 v7, v7
	v_fma_mix_f32 v68, v71, v69, v68 op_sel_hi:[1,0,0]
	v_cvt_f32_i32_e32 v46, v46
	v_fma_mix_f32 v55, v26, v55, 0 op_sel_hi:[1,0,0]
	v_mul_lo_u32 v69, v153, v15
	v_fma_mix_f32 v7, v206, v7, 0 op_sel_hi:[1,0,0]
	v_cvt_f32_i32_e32 v35, v35
	v_fma_mix_f32 v46, v208, v46, 0 op_sel_hi:[1,0,0]
	v_fma_mix_f32 v55, v27, v56, v55 op_sel_hi:[1,0,0]
	v_mul_lo_u32 v56, v135, v18
	v_fma_mix_f32 v7, v207, v33, v7 op_sel_hi:[1,0,0]
	v_mul_lo_u32 v33, v100, v15
	;; [unrolled: 2-line block ×3, first 2 shown]
	v_cvt_f32_i32_e32 v69, v69
	v_cvt_f32_i32_e32 v49, v49
	;; [unrolled: 1-line block ×6, first 2 shown]
	v_fma_mix_f32 v69, v70, v69, 0 op_sel_hi:[1,0,0]
	v_cvt_f32_i32_e32 v47, v47
	v_fma_mix_f32 v56, v26, v56, 0 op_sel_hi:[1,0,0]
	v_cvt_f32_i32_e32 v9, v9
	v_fma_mix_f32 v33, v206, v33, 0 op_sel_hi:[1,0,0]
	v_fma_mix_f32 v69, v71, v84, v69 op_sel_hi:[1,0,0]
	;; [unrolled: 1-line block ×4, first 2 shown]
	v_fma_mix_f32 v57, v20, v26, 0 op_sel:[0,1,0] op_sel_hi:[0,1,0]
	v_fma_mix_f32 v26, v28, v26, 0 op_sel:[0,1,0] op_sel_hi:[0,1,0]
	v_fma_mix_f32 v33, v207, v34, v33 op_sel_hi:[1,0,0]
	v_mul_lo_u32 v34, v102, v18
	v_fma_mix_f32 v47, v209, v48, v47 op_sel_hi:[1,0,0]
	v_fma_mix_f32 v57, v21, v27, v57 op_sel:[0,1,0] op_sel_hi:[0,1,0]
	v_fma_mix_f32 v26, v29, v27, v26 op_sel:[0,1,0] op_sel_hi:[0,1,0]
	v_mul_lo_u32 v27, v140, v10
	v_mul_lo_u32 v10, v173, v10
	;; [unrolled: 1-line block ×4, first 2 shown]
	v_cvt_f32_i32_e32 v34, v34
	v_mul_lo_u32 v14, v215, v14
	v_fma_mix_f32 v36, v22, v206, 0 op_sel:[0,1,0] op_sel_hi:[0,1,0]
	v_fma_mix_f32 v50, v22, v208, 0 op_sel:[0,1,0] op_sel_hi:[0,1,0]
	v_cvt_f32_i32_e32 v27, v27
	v_cvt_f32_i32_e32 v10, v10
	v_cvt_f32_i32_e32 v48, v48
	v_cvt_f32_i32_e32 v84, v84
	v_fma_mix_f32 v34, v206, v34, 0 op_sel_hi:[1,0,0]
	v_fma_mix_f32 v27, v210, v27, 0 op_sel_hi:[1,0,0]
	;; [unrolled: 1-line block ×7, first 2 shown]
	v_mul_lo_u32 v60, v141, v12
	v_mul_lo_u32 v12, v174, v12
	v_fma_mix_f32 v10, v213, v11, v10 op_sel_hi:[1,0,0]
	v_fma_mix_f32 v35, v20, v206, 0 op_sel:[0,1,0] op_sel_hi:[0,1,0]
	v_fma_mix_f32 v48, v209, v49, v48 op_sel_hi:[1,0,0]
	v_fma_mix_f32 v49, v20, v208, 0 op_sel:[0,1,0] op_sel_hi:[0,1,0]
	;; [unrolled: 2-line block ×3, first 2 shown]
	v_cvt_f32_i32_e32 v60, v60
	v_cvt_f32_i32_e32 v11, v12
	v_fma_mix_f32 v35, v21, v207, v35 op_sel:[0,1,0] op_sel_hi:[0,1,0]
	v_fma_mix_f32 v49, v21, v209, v49 op_sel:[0,1,0] op_sel_hi:[0,1,0]
	v_fma_mix_f32 v64, v22, v210, 0 op_sel:[0,1,0] op_sel_hi:[0,1,0]
	v_fma_mix_f32 v60, v210, v60, 0 op_sel_hi:[1,0,0]
	v_fma_mix_f32 v11, v212, v11, 0 op_sel_hi:[1,0,0]
	v_fma_mix_f32 v85, v21, v71, v85 op_sel:[0,1,0] op_sel_hi:[0,1,0]
	v_fma_mix_f32 v90, v22, v70, 0 op_sel:[0,1,0] op_sel_hi:[0,1,0]
	v_cvt_f32_i32_e32 v12, v14
	v_fma_mix_f32 v60, v211, v61, v60 op_sel_hi:[1,0,0]
	v_mul_lo_u32 v61, v144, v15
	v_mul_lo_u32 v15, v175, v15
	v_fma_mix_f32 v9, v213, v9, v11 op_sel_hi:[1,0,0]
	v_fma_mix_f32 v36, v23, v207, v36 op_sel:[0,1,0] op_sel_hi:[0,1,0]
	v_fma_mix_f32 v50, v23, v209, v50 op_sel:[0,1,0] op_sel_hi:[0,1,0]
	v_fma_mix_f32 v64, v23, v211, v64 op_sel:[0,1,0] op_sel_hi:[0,1,0]
	v_fma_mix_f32 v90, v23, v71, v90 op_sel:[0,1,0] op_sel_hi:[0,1,0]
	v_fma_mix_f32 v100, v24, v70, 0 op_sel:[0,1,0] op_sel_hi:[0,1,0]
	v_cvt_f32_i32_e32 v61, v61
	v_cvt_f32_i32_e32 v11, v15
	v_fma_mix_f32 v70, v28, v70, 0 op_sel:[0,1,0] op_sel_hi:[0,1,0]
	v_mul_f32_e32 v6, v6, v190
	v_fma_mix_f32 v100, v25, v71, v100 op_sel:[0,1,0] op_sel_hi:[0,1,0]
	v_fma_mix_f32 v61, v210, v61, 0 op_sel_hi:[1,0,0]
	v_fma_mix_f32 v11, v212, v11, 0 op_sel_hi:[1,0,0]
	v_fma_mix_f32 v70, v29, v71, v70 op_sel:[0,1,0] op_sel_hi:[0,1,0]
	v_fma_f32 v6, v19, v186, -v6
	v_mul_f32_e32 v15, v38, v190
	v_fma_mix_f32 v61, v211, v62, v61 op_sel_hi:[1,0,0]
	v_mul_lo_u32 v62, v145, v18
	v_mul_lo_u32 v18, v176, v18
	v_fma_mix_f32 v11, v213, v12, v11 op_sel_hi:[1,0,0]
	v_mul_f32_e32 v19, v49, v187
	v_fma_f32 v15, v34, v186, -v15
	v_fma_f32 v4, v42, v186, -v4
	v_add_f32_e32 v118, v118, v6
	v_cvt_f32_i32_e32 v62, v62
	v_cvt_f32_i32_e32 v12, v18
	v_mul_f32_e32 v18, v45, v189
	v_fma_f32 v5, v5, v183, -v19
	v_mul_f32_e32 v19, v50, v188
	v_fma_mix_f32 v62, v210, v62, 0 op_sel_hi:[1,0,0]
	v_fma_mix_f32 v12, v212, v12, 0 op_sel_hi:[1,0,0]
	v_fma_f32 v18, v41, v185, -v18
	v_add_f32_e32 v101, v101, v15
	v_fma_f32 v19, v46, v184, -v19
	v_fma_mix_f32 v62, v211, v63, v62 op_sel_hi:[1,0,0]
	v_fma_mix_f32 v63, v20, v210, 0 op_sel:[0,1,0] op_sel_hi:[0,1,0]
	v_fma_mix_f32 v20, v20, v212, 0 op_sel:[0,1,0] op_sel_hi:[0,1,0]
	s_delay_alu instid0(VALU_DEP_4) | instskip(SKIP_1) | instid1(VALU_DEP_4)
	v_dual_add_f32 v96, v96, v18 :: v_dual_add_f32 v93, v93, v19
	v_add_f32_e32 v95, v95, v4
	v_fma_mix_f32 v63, v21, v211, v63 op_sel:[0,1,0] op_sel_hi:[0,1,0]
	s_delay_alu instid0(VALU_DEP_4) | instskip(SKIP_3) | instid1(VALU_DEP_3)
	v_fma_mix_f32 v20, v21, v213, v20 op_sel:[0,1,0] op_sel_hi:[0,1,0]
	v_fma_mix_f32 v21, v22, v212, 0 op_sel:[0,1,0] op_sel_hi:[0,1,0]
	;; [unrolled: 1-line block ×3, first 2 shown]
	v_mul_f32_e32 v24, v51, v189
	v_fma_mix_f32 v21, v23, v213, v21 op_sel:[0,1,0] op_sel_hi:[0,1,0]
	v_fma_mix_f32 v23, v28, v212, 0 op_sel:[0,1,0] op_sel_hi:[0,1,0]
	v_mul_f32_e32 v28, v57, v187
	v_mul_lo_u32 v17, v216, v17
	v_fma_mix_f32 v22, v25, v213, v22 op_sel:[0,1,0] op_sel_hi:[0,1,0]
	v_mul_f32_e32 v25, v52, v190
	v_fma_mix_f32 v23, v29, v213, v23 op_sel:[0,1,0] op_sel_hi:[0,1,0]
	v_mul_f32_e32 v29, v58, v188
	v_fma_f32 v28, v53, v183, -v28
	v_add_f32_e32 v94, v94, v5
	v_fma_f32 v25, v48, v186, -v25
	v_cvt_f32_i32_e32 v14, v17
	v_mul_f32_e32 v17, v44, v188
	v_fma_f32 v29, v54, v184, -v29
	v_add_f32_e32 v89, v89, v28
	v_add_f32_e32 v91, v91, v25
	v_fma_mix_f32 v12, v213, v14, v12 op_sel_hi:[1,0,0]
	v_mul_f32_e32 v14, v30, v187
	v_fma_f32 v17, v40, v184, -v17
	s_delay_alu instid0(VALU_DEP_2) | instskip(SKIP_1) | instid1(VALU_DEP_2)
	v_fma_f32 v8, v8, v183, -v14
	v_dual_mul_f32 v14, v35, v187 :: v_dual_mul_f32 v35, v90, v188
	v_dual_add_f32 v97, v97, v17 :: v_dual_add_f32 v98, v98, v8
	v_mul_f32_e32 v8, v31, v188
	s_delay_alu instid0(VALU_DEP_3) | instskip(SKIP_2) | instid1(VALU_DEP_4)
	v_fma_f32 v1, v1, v183, -v14
	v_dual_mul_f32 v14, v36, v188 :: v_dual_mul_f32 v31, v63, v187
	v_mul_f32_e32 v34, v85, v187
	v_fma_f32 v8, v13, v184, -v8
	v_mul_f32_e32 v13, v32, v189
	s_delay_alu instid0(VALU_DEP_4)
	v_fma_f32 v7, v7, v184, -v14
	v_mul_f32_e32 v14, v37, v189
	v_mul_f32_e32 v30, v59, v189
	v_dual_mul_f32 v26, v26, v190 :: v_dual_add_f32 v131, v131, v8
	v_fma_f32 v13, v16, v185, -v13
	v_mul_f32_e32 v20, v20, v187
	v_mul_f32_e32 v16, v43, v187
	v_fma_f32 v14, v33, v185, -v14
	v_fma_f32 v27, v27, v183, -v31
	v_add_f32_e32 v125, v125, v13
	v_fma_f32 v10, v10, v183, -v20
	v_mul_f32_e32 v20, v21, v188
	v_fma_f32 v16, v39, v183, -v16
	v_dual_mul_f32 v31, v64, v188 :: v_dual_mul_f32 v32, v65, v189
	v_add_f32_e32 v103, v103, v14
	s_delay_alu instid0(VALU_DEP_4) | instskip(NEXT) | instid1(VALU_DEP_4)
	v_fma_f32 v9, v9, v184, -v20
	v_dual_mul_f32 v20, v22, v189 :: v_dual_add_f32 v99, v99, v16
	v_dual_mul_f32 v33, v66, v190 :: v_dual_mul_f32 v36, v100, v189
	v_mul_f32_e32 v37, v70, v190
	s_delay_alu instid0(VALU_DEP_3)
	v_fma_f32 v11, v11, v185, -v20
	v_mul_f32_e32 v20, v23, v190
	v_fma_f32 v24, v47, v185, -v24
	v_fma_f32 v26, v56, v186, -v26
	;; [unrolled: 1-line block ×9, first 2 shown]
	v_add_f32_e32 v107, v107, v1
	v_fma_f32 v34, v67, v183, -v34
	v_add_f32_e32 v105, v105, v7
	v_fma_f32 v30, v55, v185, -v30
	v_add_f32_e32 v92, v92, v24
	v_dual_add_f32 v88, v88, v29 :: v_dual_add_f32 v83, v83, v27
	v_dual_add_f32 v86, v86, v26 :: v_dual_add_f32 v81, v81, v32
	s_delay_alu instid0(VALU_DEP_4)
	v_dual_add_f32 v87, v87, v30 :: v_dual_add_f32 v82, v82, v31
	v_dual_add_f32 v79, v79, v34 :: v_dual_add_f32 v80, v80, v33
	;; [unrolled: 1-line block ×5, first 2 shown]
	v_add_f32_e32 v72, v72, v12
	s_cbranch_scc1 .LBB133_8
; %bb.9:                                ;   in Loop: Header=BB133_5 Depth=1
	s_add_co_i32 s10, s10, 1
	s_delay_alu instid0(SALU_CYCLE_1)
	s_cmp_eq_u32 s10, s15
	s_barrier_signal -1
	s_barrier_wait -1
	global_inv scope:SCOPE_SE
	s_cbranch_scc0 .LBB133_5
; %bb.10:
	s_clause 0x2
	scratch_load_b32 v1, off, off offset:84 th:TH_LOAD_LU
	scratch_load_b32 v2, off, off offset:204 th:TH_LOAD_LU
	scratch_load_b32 v3, off, off offset:208
.LBB133_11:
	s_mov_b32 s0, exec_lo
	s_wait_loadcnt 0x0
	v_cmpx_gt_u32_e64 s4, v3
	s_cbranch_execz .LBB133_62
; %bb.12:
	v_add_nc_u32_e32 v0, s14, v2
	v_mul_lo_u32 v5, v3, s6
	s_delay_alu instid0(VALU_DEP_2)
	v_cmp_gt_u32_e32 vcc_lo, s6, v0
	s_and_saveexec_b32 s1, vcc_lo
	s_cbranch_execz .LBB133_14
; %bb.13:
	s_delay_alu instid0(VALU_DEP_2) | instskip(NEXT) | instid1(VALU_DEP_1)
	v_dual_mov_b32 v3, 0 :: v_dual_add_nc_u32 v2, v0, v5
	v_lshlrev_b64_e32 v[2:3], 2, v[2:3]
	s_wait_kmcnt 0x0
	s_delay_alu instid0(VALU_DEP_1) | instskip(NEXT) | instid1(VALU_DEP_1)
	v_add_co_u32 v2, s0, s8, v2
	v_add_co_ci_u32_e64 v3, null, s9, v3, s0
	global_store_b32 v[2:3], v98, off
.LBB133_14:
	s_or_b32 exec_lo, exec_lo, s1
	v_add_nc_u32_e32 v2, 32, v0
	s_delay_alu instid0(VALU_DEP_1)
	v_cmp_gt_u32_e64 s0, s6, v2
	s_and_saveexec_b32 s2, s0
	s_cbranch_execz .LBB133_16
; %bb.15:
	v_dual_mov_b32 v4, 0 :: v_dual_add_nc_u32 v3, v2, v5
	s_delay_alu instid0(VALU_DEP_1) | instskip(SKIP_1) | instid1(VALU_DEP_1)
	v_lshlrev_b64_e32 v[3:4], 2, v[3:4]
	s_wait_kmcnt 0x0
	v_add_co_u32 v3, s1, s8, v3
	s_wait_alu 0xf1ff
	s_delay_alu instid0(VALU_DEP_2)
	v_add_co_ci_u32_e64 v4, null, s9, v4, s1
	global_store_b32 v[3:4], v131, off
.LBB133_16:
	s_wait_alu 0xfffe
	s_or_b32 exec_lo, exec_lo, s2
	v_add_nc_u32_e32 v3, 64, v0
	s_delay_alu instid0(VALU_DEP_1)
	v_cmp_gt_u32_e64 s1, s6, v3
	s_and_saveexec_b32 s3, s1
	s_cbranch_execz .LBB133_18
; %bb.17:
	v_dual_mov_b32 v7, 0 :: v_dual_add_nc_u32 v6, v3, v5
	s_delay_alu instid0(VALU_DEP_1) | instskip(SKIP_1) | instid1(VALU_DEP_1)
	v_lshlrev_b64_e32 v[6:7], 2, v[6:7]
	s_wait_kmcnt 0x0
	v_add_co_u32 v6, s2, s8, v6
	s_wait_alu 0xf1ff
	s_delay_alu instid0(VALU_DEP_2)
	v_add_co_ci_u32_e64 v7, null, s9, v7, s2
	global_store_b32 v[6:7], v125, off
.LBB133_18:
	s_wait_alu 0xfffe
	;; [unrolled: 18-line block ×3, first 2 shown]
	s_or_b32 exec_lo, exec_lo, s5
	v_add3_u32 v5, v1, s7, 8
	s_delay_alu instid0(VALU_DEP_1)
	v_cmp_gt_u32_e64 s3, s4, v5
	s_and_b32 exec_lo, exec_lo, s3
	s_cbranch_execz .LBB133_62
; %bb.21:
	v_mul_lo_u32 v5, v5, s6
	s_and_saveexec_b32 s5, vcc_lo
	s_cbranch_execnz .LBB133_63
; %bb.22:
	s_wait_alu 0xfffe
	s_or_b32 exec_lo, exec_lo, s5
	s_and_saveexec_b32 s5, s0
	s_cbranch_execnz .LBB133_64
.LBB133_23:
	s_wait_alu 0xfffe
	s_or_b32 exec_lo, exec_lo, s5
	s_and_saveexec_b32 s5, s1
	s_cbranch_execnz .LBB133_65
.LBB133_24:
	s_wait_alu 0xfffe
	s_or_b32 exec_lo, exec_lo, s5
	s_and_saveexec_b32 s5, s2
	s_cbranch_execz .LBB133_26
.LBB133_25:
	v_dual_mov_b32 v6, 0 :: v_dual_add_nc_u32 v5, v5, v4
	s_delay_alu instid0(VALU_DEP_1) | instskip(SKIP_1) | instid1(VALU_DEP_1)
	v_lshlrev_b64_e32 v[5:6], 2, v[5:6]
	s_wait_kmcnt 0x0
	v_add_co_u32 v5, s3, s8, v5
	s_wait_alu 0xf1ff
	s_delay_alu instid0(VALU_DEP_2)
	v_add_co_ci_u32_e64 v6, null, s9, v6, s3
	global_store_b32 v[5:6], v101, off
.LBB133_26:
	s_wait_alu 0xfffe
	s_or_b32 exec_lo, exec_lo, s5
	v_add3_u32 v5, v1, s7, 16
	s_delay_alu instid0(VALU_DEP_1)
	v_cmp_gt_u32_e64 s3, s4, v5
	s_and_b32 exec_lo, exec_lo, s3
	s_cbranch_execz .LBB133_62
; %bb.27:
	v_mul_lo_u32 v5, v5, s6
	s_and_saveexec_b32 s5, vcc_lo
	s_cbranch_execnz .LBB133_66
; %bb.28:
	s_wait_alu 0xfffe
	s_or_b32 exec_lo, exec_lo, s5
	s_and_saveexec_b32 s5, s0
	s_cbranch_execnz .LBB133_67
.LBB133_29:
	s_wait_alu 0xfffe
	s_or_b32 exec_lo, exec_lo, s5
	s_and_saveexec_b32 s5, s1
	s_cbranch_execnz .LBB133_68
.LBB133_30:
	s_wait_alu 0xfffe
	s_or_b32 exec_lo, exec_lo, s5
	s_and_saveexec_b32 s5, s2
	s_cbranch_execz .LBB133_32
.LBB133_31:
	v_dual_mov_b32 v6, 0 :: v_dual_add_nc_u32 v5, v5, v4
	s_delay_alu instid0(VALU_DEP_1) | instskip(SKIP_1) | instid1(VALU_DEP_1)
	v_lshlrev_b64_e32 v[5:6], 2, v[5:6]
	s_wait_kmcnt 0x0
	v_add_co_u32 v5, s3, s8, v5
	s_wait_alu 0xf1ff
	s_delay_alu instid0(VALU_DEP_2)
	v_add_co_ci_u32_e64 v6, null, s9, v6, s3
	global_store_b32 v[5:6], v95, off
.LBB133_32:
	s_wait_alu 0xfffe
	s_or_b32 exec_lo, exec_lo, s5
	v_add3_u32 v5, v1, s7, 24
	s_delay_alu instid0(VALU_DEP_1)
	v_cmp_gt_u32_e64 s3, s4, v5
	s_and_b32 exec_lo, exec_lo, s3
	s_cbranch_execz .LBB133_62
; %bb.33:
	v_mul_lo_u32 v5, v5, s6
	s_and_saveexec_b32 s5, vcc_lo
	s_cbranch_execnz .LBB133_69
; %bb.34:
	s_wait_alu 0xfffe
	s_or_b32 exec_lo, exec_lo, s5
	s_and_saveexec_b32 s5, s0
	s_cbranch_execnz .LBB133_70
.LBB133_35:
	s_wait_alu 0xfffe
	s_or_b32 exec_lo, exec_lo, s5
	s_and_saveexec_b32 s5, s1
	s_cbranch_execnz .LBB133_71
.LBB133_36:
	s_wait_alu 0xfffe
	s_or_b32 exec_lo, exec_lo, s5
	s_and_saveexec_b32 s5, s2
	s_cbranch_execz .LBB133_38
.LBB133_37:
	v_dual_mov_b32 v6, 0 :: v_dual_add_nc_u32 v5, v5, v4
	s_delay_alu instid0(VALU_DEP_1) | instskip(SKIP_1) | instid1(VALU_DEP_1)
	v_lshlrev_b64_e32 v[5:6], 2, v[5:6]
	s_wait_kmcnt 0x0
	v_add_co_u32 v5, s3, s8, v5
	s_wait_alu 0xf1ff
	s_delay_alu instid0(VALU_DEP_2)
	v_add_co_ci_u32_e64 v6, null, s9, v6, s3
	global_store_b32 v[5:6], v91, off
.LBB133_38:
	s_wait_alu 0xfffe
	s_or_b32 exec_lo, exec_lo, s5
	v_add3_u32 v5, v1, s7, 32
	s_delay_alu instid0(VALU_DEP_1)
	v_cmp_gt_u32_e64 s3, s4, v5
	s_and_b32 exec_lo, exec_lo, s3
	s_cbranch_execz .LBB133_62
; %bb.39:
	v_mul_lo_u32 v5, v5, s6
	s_and_saveexec_b32 s5, vcc_lo
	s_cbranch_execnz .LBB133_72
; %bb.40:
	s_wait_alu 0xfffe
	s_or_b32 exec_lo, exec_lo, s5
	s_and_saveexec_b32 s5, s0
	s_cbranch_execnz .LBB133_73
.LBB133_41:
	s_wait_alu 0xfffe
	s_or_b32 exec_lo, exec_lo, s5
	s_and_saveexec_b32 s5, s1
	s_cbranch_execnz .LBB133_74
.LBB133_42:
	s_wait_alu 0xfffe
	s_or_b32 exec_lo, exec_lo, s5
	s_and_saveexec_b32 s5, s2
	s_cbranch_execz .LBB133_44
.LBB133_43:
	v_dual_mov_b32 v6, 0 :: v_dual_add_nc_u32 v5, v5, v4
	s_delay_alu instid0(VALU_DEP_1) | instskip(SKIP_1) | instid1(VALU_DEP_1)
	v_lshlrev_b64_e32 v[5:6], 2, v[5:6]
	s_wait_kmcnt 0x0
	v_add_co_u32 v5, s3, s8, v5
	s_wait_alu 0xf1ff
	s_delay_alu instid0(VALU_DEP_2)
	v_add_co_ci_u32_e64 v6, null, s9, v6, s3
	global_store_b32 v[5:6], v86, off
.LBB133_44:
	s_wait_alu 0xfffe
	s_or_b32 exec_lo, exec_lo, s5
	v_add3_u32 v5, v1, s7, 40
	s_delay_alu instid0(VALU_DEP_1)
	v_cmp_gt_u32_e64 s3, s4, v5
	s_and_b32 exec_lo, exec_lo, s3
	s_cbranch_execz .LBB133_62
; %bb.45:
	v_mul_lo_u32 v5, v5, s6
	s_and_saveexec_b32 s5, vcc_lo
	s_cbranch_execnz .LBB133_75
; %bb.46:
	s_wait_alu 0xfffe
	s_or_b32 exec_lo, exec_lo, s5
	s_and_saveexec_b32 s5, s0
	s_cbranch_execnz .LBB133_76
.LBB133_47:
	s_wait_alu 0xfffe
	s_or_b32 exec_lo, exec_lo, s5
	s_and_saveexec_b32 s5, s1
	s_cbranch_execnz .LBB133_77
.LBB133_48:
	s_wait_alu 0xfffe
	s_or_b32 exec_lo, exec_lo, s5
	s_and_saveexec_b32 s5, s2
	s_cbranch_execz .LBB133_50
.LBB133_49:
	v_dual_mov_b32 v6, 0 :: v_dual_add_nc_u32 v5, v5, v4
	s_delay_alu instid0(VALU_DEP_1) | instskip(SKIP_1) | instid1(VALU_DEP_1)
	v_lshlrev_b64_e32 v[5:6], 2, v[5:6]
	s_wait_kmcnt 0x0
	v_add_co_u32 v5, s3, s8, v5
	s_wait_alu 0xf1ff
	s_delay_alu instid0(VALU_DEP_2)
	v_add_co_ci_u32_e64 v6, null, s9, v6, s3
	global_store_b32 v[5:6], v80, off
.LBB133_50:
	s_wait_alu 0xfffe
	s_or_b32 exec_lo, exec_lo, s5
	v_add3_u32 v5, v1, s7, 48
	s_delay_alu instid0(VALU_DEP_1)
	v_cmp_gt_u32_e64 s3, s4, v5
	s_and_b32 exec_lo, exec_lo, s3
	s_cbranch_execz .LBB133_62
; %bb.51:
	v_mul_lo_u32 v5, v5, s6
	s_and_saveexec_b32 s5, vcc_lo
	s_cbranch_execnz .LBB133_78
; %bb.52:
	s_wait_alu 0xfffe
	s_or_b32 exec_lo, exec_lo, s5
	s_and_saveexec_b32 s5, s0
	s_cbranch_execnz .LBB133_79
.LBB133_53:
	s_wait_alu 0xfffe
	s_or_b32 exec_lo, exec_lo, s5
	s_and_saveexec_b32 s5, s1
	s_cbranch_execnz .LBB133_80
.LBB133_54:
	s_wait_alu 0xfffe
	s_or_b32 exec_lo, exec_lo, s5
	s_and_saveexec_b32 s5, s2
	s_cbranch_execz .LBB133_56
.LBB133_55:
	v_dual_mov_b32 v6, 0 :: v_dual_add_nc_u32 v5, v5, v4
	s_delay_alu instid0(VALU_DEP_1) | instskip(SKIP_1) | instid1(VALU_DEP_1)
	v_lshlrev_b64_e32 v[5:6], 2, v[5:6]
	s_wait_kmcnt 0x0
	v_add_co_u32 v5, s3, s8, v5
	s_wait_alu 0xf1ff
	s_delay_alu instid0(VALU_DEP_2)
	v_add_co_ci_u32_e64 v6, null, s9, v6, s3
	global_store_b32 v[5:6], v76, off
.LBB133_56:
	s_wait_alu 0xfffe
	s_or_b32 exec_lo, exec_lo, s5
	v_add3_u32 v1, v1, s7, 56
	s_delay_alu instid0(VALU_DEP_1)
	v_cmp_gt_u32_e64 s3, s4, v1
	s_and_b32 exec_lo, exec_lo, s3
	s_cbranch_execz .LBB133_62
; %bb.57:
	v_mul_lo_u32 v1, v1, s6
	s_and_saveexec_b32 s3, vcc_lo
	s_cbranch_execnz .LBB133_81
; %bb.58:
	s_wait_alu 0xfffe
	s_or_b32 exec_lo, exec_lo, s3
	s_and_saveexec_b32 s3, s0
	s_cbranch_execnz .LBB133_82
.LBB133_59:
	s_wait_alu 0xfffe
	s_or_b32 exec_lo, exec_lo, s3
	s_and_saveexec_b32 s0, s1
	s_cbranch_execnz .LBB133_83
.LBB133_60:
	s_wait_alu 0xfffe
	s_or_b32 exec_lo, exec_lo, s0
	s_delay_alu instid0(SALU_CYCLE_1)
	s_and_b32 exec_lo, exec_lo, s2
	s_cbranch_execz .LBB133_62
.LBB133_61:
	v_dual_mov_b32 v1, 0 :: v_dual_add_nc_u32 v0, v1, v4
	s_delay_alu instid0(VALU_DEP_1) | instskip(SKIP_1) | instid1(VALU_DEP_1)
	v_lshlrev_b64_e32 v[0:1], 2, v[0:1]
	s_wait_kmcnt 0x0
	v_add_co_u32 v0, vcc_lo, s8, v0
	s_wait_alu 0xfffd
	s_delay_alu instid0(VALU_DEP_2)
	v_add_co_ci_u32_e64 v1, null, s9, v1, vcc_lo
	global_store_b32 v[0:1], v72, off
.LBB133_62:
	s_nop 0
	s_sendmsg sendmsg(MSG_DEALLOC_VGPRS)
	s_endpgm
.LBB133_63:
	s_delay_alu instid0(VALU_DEP_1) | instskip(NEXT) | instid1(VALU_DEP_1)
	v_dual_mov_b32 v7, 0 :: v_dual_add_nc_u32 v6, v5, v0
	v_lshlrev_b64_e32 v[6:7], 2, v[6:7]
	s_wait_kmcnt 0x0
	s_delay_alu instid0(VALU_DEP_1) | instskip(SKIP_1) | instid1(VALU_DEP_2)
	v_add_co_u32 v6, s3, s8, v6
	s_wait_alu 0xf1ff
	v_add_co_ci_u32_e64 v7, null, s9, v7, s3
	global_store_b32 v[6:7], v107, off
	s_wait_alu 0xfffe
	s_or_b32 exec_lo, exec_lo, s5
	s_and_saveexec_b32 s5, s0
	s_cbranch_execz .LBB133_23
.LBB133_64:
	s_delay_alu instid0(VALU_DEP_1) | instskip(NEXT) | instid1(VALU_DEP_1)
	v_dual_mov_b32 v7, 0 :: v_dual_add_nc_u32 v6, v5, v2
	v_lshlrev_b64_e32 v[6:7], 2, v[6:7]
	s_wait_kmcnt 0x0
	s_delay_alu instid0(VALU_DEP_1) | instskip(SKIP_1) | instid1(VALU_DEP_2)
	v_add_co_u32 v6, s3, s8, v6
	s_wait_alu 0xf1ff
	v_add_co_ci_u32_e64 v7, null, s9, v7, s3
	global_store_b32 v[6:7], v105, off
	s_wait_alu 0xfffe
	s_or_b32 exec_lo, exec_lo, s5
	s_and_saveexec_b32 s5, s1
	s_cbranch_execz .LBB133_24
.LBB133_65:
	v_dual_mov_b32 v7, 0 :: v_dual_add_nc_u32 v6, v5, v3
	s_delay_alu instid0(VALU_DEP_1) | instskip(SKIP_1) | instid1(VALU_DEP_1)
	v_lshlrev_b64_e32 v[6:7], 2, v[6:7]
	s_wait_kmcnt 0x0
	v_add_co_u32 v6, s3, s8, v6
	s_wait_alu 0xf1ff
	s_delay_alu instid0(VALU_DEP_2)
	v_add_co_ci_u32_e64 v7, null, s9, v7, s3
	global_store_b32 v[6:7], v103, off
	s_wait_alu 0xfffe
	s_or_b32 exec_lo, exec_lo, s5
	s_and_saveexec_b32 s5, s2
	s_cbranch_execnz .LBB133_25
	s_branch .LBB133_26
.LBB133_66:
	s_delay_alu instid0(VALU_DEP_1) | instskip(NEXT) | instid1(VALU_DEP_1)
	v_dual_mov_b32 v7, 0 :: v_dual_add_nc_u32 v6, v5, v0
	v_lshlrev_b64_e32 v[6:7], 2, v[6:7]
	s_wait_kmcnt 0x0
	s_delay_alu instid0(VALU_DEP_1) | instskip(SKIP_1) | instid1(VALU_DEP_2)
	v_add_co_u32 v6, s3, s8, v6
	s_wait_alu 0xf1ff
	v_add_co_ci_u32_e64 v7, null, s9, v7, s3
	global_store_b32 v[6:7], v99, off
	s_wait_alu 0xfffe
	s_or_b32 exec_lo, exec_lo, s5
	s_and_saveexec_b32 s5, s0
	s_cbranch_execz .LBB133_29
.LBB133_67:
	s_delay_alu instid0(VALU_DEP_1) | instskip(NEXT) | instid1(VALU_DEP_1)
	v_dual_mov_b32 v7, 0 :: v_dual_add_nc_u32 v6, v5, v2
	v_lshlrev_b64_e32 v[6:7], 2, v[6:7]
	s_wait_kmcnt 0x0
	s_delay_alu instid0(VALU_DEP_1) | instskip(SKIP_1) | instid1(VALU_DEP_2)
	v_add_co_u32 v6, s3, s8, v6
	s_wait_alu 0xf1ff
	v_add_co_ci_u32_e64 v7, null, s9, v7, s3
	global_store_b32 v[6:7], v97, off
	s_wait_alu 0xfffe
	s_or_b32 exec_lo, exec_lo, s5
	s_and_saveexec_b32 s5, s1
	s_cbranch_execz .LBB133_30
.LBB133_68:
	v_dual_mov_b32 v7, 0 :: v_dual_add_nc_u32 v6, v5, v3
	s_delay_alu instid0(VALU_DEP_1) | instskip(SKIP_1) | instid1(VALU_DEP_1)
	v_lshlrev_b64_e32 v[6:7], 2, v[6:7]
	s_wait_kmcnt 0x0
	v_add_co_u32 v6, s3, s8, v6
	s_wait_alu 0xf1ff
	s_delay_alu instid0(VALU_DEP_2)
	v_add_co_ci_u32_e64 v7, null, s9, v7, s3
	global_store_b32 v[6:7], v96, off
	s_wait_alu 0xfffe
	s_or_b32 exec_lo, exec_lo, s5
	s_and_saveexec_b32 s5, s2
	s_cbranch_execnz .LBB133_31
	s_branch .LBB133_32
.LBB133_69:
	s_delay_alu instid0(VALU_DEP_1) | instskip(NEXT) | instid1(VALU_DEP_1)
	v_dual_mov_b32 v7, 0 :: v_dual_add_nc_u32 v6, v5, v0
	v_lshlrev_b64_e32 v[6:7], 2, v[6:7]
	s_wait_kmcnt 0x0
	s_delay_alu instid0(VALU_DEP_1) | instskip(SKIP_1) | instid1(VALU_DEP_2)
	v_add_co_u32 v6, s3, s8, v6
	s_wait_alu 0xf1ff
	v_add_co_ci_u32_e64 v7, null, s9, v7, s3
	global_store_b32 v[6:7], v94, off
	s_wait_alu 0xfffe
	s_or_b32 exec_lo, exec_lo, s5
	s_and_saveexec_b32 s5, s0
	s_cbranch_execz .LBB133_35
.LBB133_70:
	s_delay_alu instid0(VALU_DEP_1) | instskip(NEXT) | instid1(VALU_DEP_1)
	v_dual_mov_b32 v7, 0 :: v_dual_add_nc_u32 v6, v5, v2
	v_lshlrev_b64_e32 v[6:7], 2, v[6:7]
	s_wait_kmcnt 0x0
	s_delay_alu instid0(VALU_DEP_1) | instskip(SKIP_1) | instid1(VALU_DEP_2)
	v_add_co_u32 v6, s3, s8, v6
	s_wait_alu 0xf1ff
	v_add_co_ci_u32_e64 v7, null, s9, v7, s3
	global_store_b32 v[6:7], v93, off
	s_wait_alu 0xfffe
	s_or_b32 exec_lo, exec_lo, s5
	s_and_saveexec_b32 s5, s1
	s_cbranch_execz .LBB133_36
.LBB133_71:
	v_dual_mov_b32 v7, 0 :: v_dual_add_nc_u32 v6, v5, v3
	s_delay_alu instid0(VALU_DEP_1) | instskip(SKIP_1) | instid1(VALU_DEP_1)
	v_lshlrev_b64_e32 v[6:7], 2, v[6:7]
	s_wait_kmcnt 0x0
	v_add_co_u32 v6, s3, s8, v6
	s_wait_alu 0xf1ff
	s_delay_alu instid0(VALU_DEP_2)
	v_add_co_ci_u32_e64 v7, null, s9, v7, s3
	global_store_b32 v[6:7], v92, off
	s_wait_alu 0xfffe
	s_or_b32 exec_lo, exec_lo, s5
	s_and_saveexec_b32 s5, s2
	s_cbranch_execnz .LBB133_37
	s_branch .LBB133_38
.LBB133_72:
	s_delay_alu instid0(VALU_DEP_1) | instskip(NEXT) | instid1(VALU_DEP_1)
	v_dual_mov_b32 v7, 0 :: v_dual_add_nc_u32 v6, v5, v0
	v_lshlrev_b64_e32 v[6:7], 2, v[6:7]
	s_wait_kmcnt 0x0
	s_delay_alu instid0(VALU_DEP_1) | instskip(SKIP_1) | instid1(VALU_DEP_2)
	v_add_co_u32 v6, s3, s8, v6
	s_wait_alu 0xf1ff
	v_add_co_ci_u32_e64 v7, null, s9, v7, s3
	global_store_b32 v[6:7], v89, off
	s_wait_alu 0xfffe
	s_or_b32 exec_lo, exec_lo, s5
	s_and_saveexec_b32 s5, s0
	s_cbranch_execz .LBB133_41
.LBB133_73:
	s_delay_alu instid0(VALU_DEP_1) | instskip(NEXT) | instid1(VALU_DEP_1)
	v_dual_mov_b32 v7, 0 :: v_dual_add_nc_u32 v6, v5, v2
	v_lshlrev_b64_e32 v[6:7], 2, v[6:7]
	s_wait_kmcnt 0x0
	s_delay_alu instid0(VALU_DEP_1) | instskip(SKIP_1) | instid1(VALU_DEP_2)
	v_add_co_u32 v6, s3, s8, v6
	s_wait_alu 0xf1ff
	v_add_co_ci_u32_e64 v7, null, s9, v7, s3
	global_store_b32 v[6:7], v88, off
	s_wait_alu 0xfffe
	s_or_b32 exec_lo, exec_lo, s5
	s_and_saveexec_b32 s5, s1
	s_cbranch_execz .LBB133_42
.LBB133_74:
	v_dual_mov_b32 v7, 0 :: v_dual_add_nc_u32 v6, v5, v3
	s_delay_alu instid0(VALU_DEP_1) | instskip(SKIP_1) | instid1(VALU_DEP_1)
	v_lshlrev_b64_e32 v[6:7], 2, v[6:7]
	s_wait_kmcnt 0x0
	v_add_co_u32 v6, s3, s8, v6
	s_wait_alu 0xf1ff
	s_delay_alu instid0(VALU_DEP_2)
	v_add_co_ci_u32_e64 v7, null, s9, v7, s3
	global_store_b32 v[6:7], v87, off
	s_wait_alu 0xfffe
	s_or_b32 exec_lo, exec_lo, s5
	s_and_saveexec_b32 s5, s2
	s_cbranch_execnz .LBB133_43
	s_branch .LBB133_44
.LBB133_75:
	s_delay_alu instid0(VALU_DEP_1) | instskip(NEXT) | instid1(VALU_DEP_1)
	v_dual_mov_b32 v7, 0 :: v_dual_add_nc_u32 v6, v5, v0
	v_lshlrev_b64_e32 v[6:7], 2, v[6:7]
	s_wait_kmcnt 0x0
	s_delay_alu instid0(VALU_DEP_1) | instskip(SKIP_1) | instid1(VALU_DEP_2)
	v_add_co_u32 v6, s3, s8, v6
	s_wait_alu 0xf1ff
	v_add_co_ci_u32_e64 v7, null, s9, v7, s3
	global_store_b32 v[6:7], v83, off
	s_wait_alu 0xfffe
	s_or_b32 exec_lo, exec_lo, s5
	s_and_saveexec_b32 s5, s0
	s_cbranch_execz .LBB133_47
.LBB133_76:
	s_delay_alu instid0(VALU_DEP_1) | instskip(NEXT) | instid1(VALU_DEP_1)
	v_dual_mov_b32 v7, 0 :: v_dual_add_nc_u32 v6, v5, v2
	v_lshlrev_b64_e32 v[6:7], 2, v[6:7]
	s_wait_kmcnt 0x0
	s_delay_alu instid0(VALU_DEP_1) | instskip(SKIP_1) | instid1(VALU_DEP_2)
	v_add_co_u32 v6, s3, s8, v6
	s_wait_alu 0xf1ff
	v_add_co_ci_u32_e64 v7, null, s9, v7, s3
	global_store_b32 v[6:7], v82, off
	s_wait_alu 0xfffe
	s_or_b32 exec_lo, exec_lo, s5
	s_and_saveexec_b32 s5, s1
	s_cbranch_execz .LBB133_48
.LBB133_77:
	v_dual_mov_b32 v7, 0 :: v_dual_add_nc_u32 v6, v5, v3
	s_delay_alu instid0(VALU_DEP_1) | instskip(SKIP_1) | instid1(VALU_DEP_1)
	v_lshlrev_b64_e32 v[6:7], 2, v[6:7]
	s_wait_kmcnt 0x0
	v_add_co_u32 v6, s3, s8, v6
	s_wait_alu 0xf1ff
	s_delay_alu instid0(VALU_DEP_2)
	v_add_co_ci_u32_e64 v7, null, s9, v7, s3
	global_store_b32 v[6:7], v81, off
	s_wait_alu 0xfffe
	s_or_b32 exec_lo, exec_lo, s5
	s_and_saveexec_b32 s5, s2
	s_cbranch_execnz .LBB133_49
	s_branch .LBB133_50
.LBB133_78:
	s_delay_alu instid0(VALU_DEP_1) | instskip(NEXT) | instid1(VALU_DEP_1)
	v_dual_mov_b32 v7, 0 :: v_dual_add_nc_u32 v6, v5, v0
	v_lshlrev_b64_e32 v[6:7], 2, v[6:7]
	s_wait_kmcnt 0x0
	s_delay_alu instid0(VALU_DEP_1) | instskip(SKIP_1) | instid1(VALU_DEP_2)
	v_add_co_u32 v6, s3, s8, v6
	s_wait_alu 0xf1ff
	v_add_co_ci_u32_e64 v7, null, s9, v7, s3
	global_store_b32 v[6:7], v79, off
	s_wait_alu 0xfffe
	s_or_b32 exec_lo, exec_lo, s5
	s_and_saveexec_b32 s5, s0
	s_cbranch_execz .LBB133_53
.LBB133_79:
	s_delay_alu instid0(VALU_DEP_1) | instskip(NEXT) | instid1(VALU_DEP_1)
	v_dual_mov_b32 v7, 0 :: v_dual_add_nc_u32 v6, v5, v2
	v_lshlrev_b64_e32 v[6:7], 2, v[6:7]
	s_wait_kmcnt 0x0
	s_delay_alu instid0(VALU_DEP_1) | instskip(SKIP_1) | instid1(VALU_DEP_2)
	v_add_co_u32 v6, s3, s8, v6
	s_wait_alu 0xf1ff
	v_add_co_ci_u32_e64 v7, null, s9, v7, s3
	global_store_b32 v[6:7], v78, off
	s_wait_alu 0xfffe
	s_or_b32 exec_lo, exec_lo, s5
	s_and_saveexec_b32 s5, s1
	s_cbranch_execz .LBB133_54
.LBB133_80:
	v_dual_mov_b32 v7, 0 :: v_dual_add_nc_u32 v6, v5, v3
	s_delay_alu instid0(VALU_DEP_1) | instskip(SKIP_1) | instid1(VALU_DEP_1)
	v_lshlrev_b64_e32 v[6:7], 2, v[6:7]
	s_wait_kmcnt 0x0
	v_add_co_u32 v6, s3, s8, v6
	s_wait_alu 0xf1ff
	s_delay_alu instid0(VALU_DEP_2)
	v_add_co_ci_u32_e64 v7, null, s9, v7, s3
	global_store_b32 v[6:7], v77, off
	s_wait_alu 0xfffe
	s_or_b32 exec_lo, exec_lo, s5
	s_and_saveexec_b32 s5, s2
	s_cbranch_execnz .LBB133_55
	s_branch .LBB133_56
.LBB133_81:
	s_delay_alu instid0(VALU_DEP_1) | instskip(NEXT) | instid1(VALU_DEP_1)
	v_dual_mov_b32 v6, 0 :: v_dual_add_nc_u32 v5, v1, v0
	v_lshlrev_b64_e32 v[5:6], 2, v[5:6]
	s_wait_kmcnt 0x0
	s_delay_alu instid0(VALU_DEP_1) | instskip(SKIP_1) | instid1(VALU_DEP_2)
	v_add_co_u32 v5, vcc_lo, s8, v5
	s_wait_alu 0xfffd
	v_add_co_ci_u32_e64 v6, null, s9, v6, vcc_lo
	global_store_b32 v[5:6], v75, off
	s_wait_alu 0xfffe
	s_or_b32 exec_lo, exec_lo, s3
	s_and_saveexec_b32 s3, s0
	s_cbranch_execz .LBB133_59
.LBB133_82:
	s_delay_alu instid0(VALU_DEP_1) | instskip(NEXT) | instid1(VALU_DEP_1)
	v_dual_mov_b32 v6, 0 :: v_dual_add_nc_u32 v5, v1, v2
	v_lshlrev_b64_e32 v[5:6], 2, v[5:6]
	s_wait_kmcnt 0x0
	s_delay_alu instid0(VALU_DEP_1) | instskip(SKIP_1) | instid1(VALU_DEP_2)
	v_add_co_u32 v5, vcc_lo, s8, v5
	s_wait_alu 0xfffd
	v_add_co_ci_u32_e64 v6, null, s9, v6, vcc_lo
	global_store_b32 v[5:6], v74, off
	s_wait_alu 0xfffe
	s_or_b32 exec_lo, exec_lo, s3
	s_and_saveexec_b32 s0, s1
	s_cbranch_execz .LBB133_60
.LBB133_83:
	v_dual_mov_b32 v3, 0 :: v_dual_add_nc_u32 v2, v1, v3
	s_delay_alu instid0(VALU_DEP_1) | instskip(SKIP_1) | instid1(VALU_DEP_1)
	v_lshlrev_b64_e32 v[2:3], 2, v[2:3]
	s_wait_kmcnt 0x0
	v_add_co_u32 v2, vcc_lo, s8, v2
	s_wait_alu 0xfffd
	s_delay_alu instid0(VALU_DEP_2) | instskip(SKIP_3) | instid1(SALU_CYCLE_1)
	v_add_co_ci_u32_e64 v3, null, s9, v3, vcc_lo
	global_store_b32 v[2:3], v73, off
	s_wait_alu 0xfffe
	s_or_b32 exec_lo, exec_lo, s0
	s_and_b32 exec_lo, exec_lo, s2
	s_cbranch_execnz .LBB133_61
	s_branch .LBB133_62
	.section	.rodata,"a",@progbits
	.p2align	6, 0x0
	.amdhsa_kernel _ZL12mul_mat_q5_KIfLb0EEvPKvS1_PT_iiiii
		.amdhsa_group_segment_fixed_size 45136
		.amdhsa_private_segment_fixed_size 216
		.amdhsa_kernarg_size 44
		.amdhsa_user_sgpr_count 2
		.amdhsa_user_sgpr_dispatch_ptr 0
		.amdhsa_user_sgpr_queue_ptr 0
		.amdhsa_user_sgpr_kernarg_segment_ptr 1
		.amdhsa_user_sgpr_dispatch_id 0
		.amdhsa_user_sgpr_private_segment_size 0
		.amdhsa_wavefront_size32 1
		.amdhsa_uses_dynamic_stack 0
		.amdhsa_enable_private_segment 1
		.amdhsa_system_sgpr_workgroup_id_x 1
		.amdhsa_system_sgpr_workgroup_id_y 1
		.amdhsa_system_sgpr_workgroup_id_z 0
		.amdhsa_system_sgpr_workgroup_info 0
		.amdhsa_system_vgpr_workitem_id 1
		.amdhsa_next_free_vgpr 256
		.amdhsa_next_free_sgpr 19
		.amdhsa_reserve_vcc 1
		.amdhsa_float_round_mode_32 0
		.amdhsa_float_round_mode_16_64 0
		.amdhsa_float_denorm_mode_32 3
		.amdhsa_float_denorm_mode_16_64 3
		.amdhsa_fp16_overflow 0
		.amdhsa_workgroup_processor_mode 1
		.amdhsa_memory_ordered 1
		.amdhsa_forward_progress 1
		.amdhsa_inst_pref_size 218
		.amdhsa_round_robin_scheduling 0
		.amdhsa_exception_fp_ieee_invalid_op 0
		.amdhsa_exception_fp_denorm_src 0
		.amdhsa_exception_fp_ieee_div_zero 0
		.amdhsa_exception_fp_ieee_overflow 0
		.amdhsa_exception_fp_ieee_underflow 0
		.amdhsa_exception_fp_ieee_inexact 0
		.amdhsa_exception_int_div_zero 0
	.end_amdhsa_kernel
	.section	.text._ZL12mul_mat_q5_KIfLb0EEvPKvS1_PT_iiiii,"axG",@progbits,_ZL12mul_mat_q5_KIfLb0EEvPKvS1_PT_iiiii,comdat
.Lfunc_end133:
	.size	_ZL12mul_mat_q5_KIfLb0EEvPKvS1_PT_iiiii, .Lfunc_end133-_ZL12mul_mat_q5_KIfLb0EEvPKvS1_PT_iiiii
                                        ; -- End function
	.set _ZL12mul_mat_q5_KIfLb0EEvPKvS1_PT_iiiii.num_vgpr, 256
	.set _ZL12mul_mat_q5_KIfLb0EEvPKvS1_PT_iiiii.num_agpr, 0
	.set _ZL12mul_mat_q5_KIfLb0EEvPKvS1_PT_iiiii.numbered_sgpr, 19
	.set _ZL12mul_mat_q5_KIfLb0EEvPKvS1_PT_iiiii.num_named_barrier, 0
	.set _ZL12mul_mat_q5_KIfLb0EEvPKvS1_PT_iiiii.private_seg_size, 216
	.set _ZL12mul_mat_q5_KIfLb0EEvPKvS1_PT_iiiii.uses_vcc, 1
	.set _ZL12mul_mat_q5_KIfLb0EEvPKvS1_PT_iiiii.uses_flat_scratch, 1
	.set _ZL12mul_mat_q5_KIfLb0EEvPKvS1_PT_iiiii.has_dyn_sized_stack, 0
	.set _ZL12mul_mat_q5_KIfLb0EEvPKvS1_PT_iiiii.has_recursion, 0
	.set _ZL12mul_mat_q5_KIfLb0EEvPKvS1_PT_iiiii.has_indirect_call, 0
	.section	.AMDGPU.csdata,"",@progbits
; Kernel info:
; codeLenInByte = 27824
; TotalNumSgprs: 21
; NumVgprs: 256
; ScratchSize: 216
; MemoryBound: 0
; FloatMode: 240
; IeeeMode: 1
; LDSByteSize: 45136 bytes/workgroup (compile time only)
; SGPRBlocks: 0
; VGPRBlocks: 31
; NumSGPRsForWavesPerEU: 21
; NumVGPRsForWavesPerEU: 256
; Occupancy: 4
; WaveLimiterHint : 0
; COMPUTE_PGM_RSRC2:SCRATCH_EN: 1
; COMPUTE_PGM_RSRC2:USER_SGPR: 2
; COMPUTE_PGM_RSRC2:TRAP_HANDLER: 0
; COMPUTE_PGM_RSRC2:TGID_X_EN: 1
; COMPUTE_PGM_RSRC2:TGID_Y_EN: 1
; COMPUTE_PGM_RSRC2:TGID_Z_EN: 0
; COMPUTE_PGM_RSRC2:TIDIG_COMP_CNT: 1
	.section	.text._ZL12mul_mat_q5_KIfLb1EEvPKvS1_PT_iiiii,"axG",@progbits,_ZL12mul_mat_q5_KIfLb1EEvPKvS1_PT_iiiii,comdat
	.globl	_ZL12mul_mat_q5_KIfLb1EEvPKvS1_PT_iiiii ; -- Begin function _ZL12mul_mat_q5_KIfLb1EEvPKvS1_PT_iiiii
	.p2align	8
	.type	_ZL12mul_mat_q5_KIfLb1EEvPKvS1_PT_iiiii,@function
_ZL12mul_mat_q5_KIfLb1EEvPKvS1_PT_iiiii: ; @_ZL12mul_mat_q5_KIfLb1EEvPKvS1_PT_iiiii
; %bb.0:
	s_clause 0x1
	s_load_b128 s[4:7], s[0:1], 0x18
	s_load_b32 s12, s[0:1], 0x28
	v_bfe_u32 v34, v0, 10, 10
	v_and_b32_e32 v35, 0x3ff, v0
	s_lshl_b32 s13, ttmp7, 6
	s_wait_kmcnt 0x0
	s_cmp_gt_i32 s4, 0xff
	s_cbranch_scc1 .LBB134_2
; %bb.1:
	v_bfe_u32 v1, v0, 10, 10
	v_and_b32_e32 v2, 0x3ff, v0
	s_mov_b32 s2, 0
	s_delay_alu instid0(VALU_DEP_2)
	v_add_nc_u32_e32 v3, s13, v1
	s_branch .LBB134_3
.LBB134_2:
	s_mov_b32 s2, -1
                                        ; implicit-def: $vgpr1
                                        ; implicit-def: $vgpr2
                                        ; implicit-def: $vgpr3
.LBB134_3:
	s_load_b64 s[8:9], s[0:1], 0x10
	v_dual_mov_b32 v84, 0 :: v_dual_mov_b32 v99, 0
	v_dual_mov_b32 v88, 0 :: v_dual_mov_b32 v121, 0
	;; [unrolled: 1-line block ×16, first 2 shown]
	s_and_not1_b32 vcc_lo, exec_lo, s2
	s_lshl_b32 s14, ttmp9, 7
	s_cbranch_vccnz .LBB134_11
; %bb.4:
	s_not_b32 s16, s14
	s_ashr_i32 s10, s4, 31
	s_add_co_i32 s5, s5, s16
	s_lshr_b32 s10, s10, 24
	v_dual_mov_b32 v102, 0 :: v_dual_lshlrev_b32 v1, 1, v0
	v_and_b32_e32 v2, 7, v0
	v_min_i32_e32 v3, s5, v34
	s_add_co_i32 s4, s4, s10
	v_dual_mov_b32 v87, 0 :: v_dual_add_nc_u32 v12, 0x50, v34
	s_wait_alu 0xfffe
	s_ashr_i32 s15, s4, 8
	v_and_or_b32 v1, v1, 48, v2
	v_mul_lo_u32 v2, v3, s15
	v_dual_mov_b32 v131, 0 :: v_dual_add_nc_u32 v14, 8, v34
	v_min_i32_e32 v12, s5, v12
	s_delay_alu instid0(VALU_DEP_4) | instskip(SKIP_1) | instid1(VALU_DEP_3)
	v_dual_mov_b32 v126, 0 :: v_dual_lshlrev_b32 v1, 2, v1
	v_dual_mov_b32 v96, 0 :: v_dual_add_nc_u32 v15, 16, v34
	v_mul_lo_u32 v24, v12, s15
	scratch_store_b32 off, v2, off          ; 4-byte Folded Spill
	v_min_i32_e32 v2, s5, v14
	v_dual_mov_b32 v127, 0 :: v_dual_add_nc_u32 v26, 24, v34
	v_dual_mov_b32 v110, 0 :: v_dual_add_nc_u32 v23, s13, v34
	s_delay_alu instid0(VALU_DEP_3)
	v_mad_co_u64_u32 v[3:4], null, 0x104, v3, v[1:2]
	v_dual_mov_b32 v90, 0 :: v_dual_add_nc_u32 v27, 32, v34
	v_dual_mov_b32 v117, 0 :: v_dual_add_nc_u32 v28, 40, v34
	;; [unrolled: 1-line block ×3, first 2 shown]
	s_clause 0x1
	scratch_store_b64 off, v[3:4], off offset:4
	scratch_store_b32 off, v34, off offset:224
	v_mul_lo_u32 v4, v2, s15
	v_min_i32_e32 v3, s5, v15
	v_dual_mov_b32 v97, 0 :: v_dual_add_nc_u32 v30, 56, v34
	s_ashr_i32 s11, s7, 31
	v_dual_mov_b32 v89, 0 :: v_dual_add_nc_u32 v22, 0x58, v34
	s_lshr_b32 s4, s11, 27
	s_clause 0x1
	scratch_store_b32 off, v4, off offset:12
	scratch_store_b32 off, v35, off offset:228
	v_mad_co_u64_u32 v[4:5], null, 0x104, v2, v[1:2]
	v_min_i32_e32 v2, s5, v26
	s_wait_alu 0xfffe
	s_add_co_i32 s4, s7, s4
	s_add_co_i32 s7, s6, -1
	v_dual_mov_b32 v113, 0 :: v_dual_add_nc_u32 v8, 16, v23
	v_dual_mov_b32 v101, 0 :: v_dual_add_nc_u32 v10, 24, v23
	s_clause 0x1
	scratch_store_b64 off, v[4:5], off offset:16
	scratch_store_b32 off, v23, off offset:232
	v_mul_lo_u32 v4, v3, s15
	v_dual_mov_b32 v129, 0 :: v_dual_add_nc_u32 v16, 32, v23
	v_dual_mov_b32 v125, 0 :: v_dual_add_nc_u32 v18, 40, v23
	;; [unrolled: 1-line block ×4, first 2 shown]
	scratch_store_b32 off, v4, off offset:24 ; 4-byte Folded Spill
	v_mad_co_u64_u32 v[3:4], null, 0x104, v3, v[1:2]
	v_cvt_f64_u32_e32 v[8:9], v8
	v_cvt_f64_u32_e32 v[10:11], v10
	;; [unrolled: 1-line block ×5, first 2 shown]
	v_dual_mov_b32 v85, 0 :: v_dual_lshlrev_b32 v132, 5, v34
	scratch_store_b64 off, v[3:4], off offset:28 ; 8-byte Folded Spill
	v_mul_lo_u32 v3, v2, s15
	v_mad_co_u64_u32 v[4:5], null, 0x104, v2, v[1:2]
	v_min_i32_e32 v2, s5, v28
	v_dual_mov_b32 v128, 0 :: v_dual_add_nc_u32 v31, v132, v35
	v_mov_b32_e32 v92, 0
	v_bfe_u32 v13, v0, 2, 8
	s_clause 0x1
	scratch_store_b32 off, v3, off offset:36
	scratch_store_b64 off, v[4:5], off offset:40
	v_min_i32_e32 v3, s5, v27
	v_and_b32_e32 v31, 0x7f, v31
	v_dual_mov_b32 v98, 0 :: v_dual_lshlrev_b32 v105, 2, v35
	s_wait_alu 0xfffe
	s_ashr_i32 s4, s4, 5
	v_mul_lo_u32 v4, v3, s15
	v_min_i32_e32 v31, s5, v31
	s_load_b128 s[0:3], s[0:1], 0x0
	v_bfe_u32 v36, v0, 5, 5
	v_and_b32_e32 v108, 28, v105
	s_mul_i32 s10, s15, s14
	v_dual_mov_b32 v130, 0 :: v_dual_and_b32 v107, 0x7c, v105
	scratch_store_b32 off, v4, off offset:48 ; 4-byte Folded Spill
	v_mad_co_u64_u32 v[3:4], null, 0x104, v3, v[1:2]
	v_mov_b32_e32 v137, v36
	s_ashr_i32 s11, s10, 31
	v_dual_mov_b32 v91, 0 :: v_dual_mov_b32 v138, 0
	v_lshlrev_b32_e32 v164, 5, v14
	v_lshlrev_b32_e32 v165, 5, v15
	scratch_store_b64 off, v[3:4], off offset:52 ; 8-byte Folded Spill
	v_mul_lo_u32 v4, v2, s15
	v_min_i32_e32 v3, s5, v29
	v_lshlrev_b32_e32 v166, 5, v26
	v_lshlrev_b32_e32 v167, 5, v27
	;; [unrolled: 1-line block ×5, first 2 shown]
	v_mul_u32_u24_e32 v171, 0x104, v35
	scratch_store_b32 off, v4, off offset:60 ; 4-byte Folded Spill
	v_mad_co_u64_u32 v[4:5], null, 0x104, v2, v[1:2]
	v_mul_lo_u32 v2, v3, s15
	v_mov_b32_e32 v141, 0
	s_mul_u64 s[10:11], s[10:11], 0xb0
	v_mov_b32_e32 v100, 0
	s_wait_kmcnt 0x0
	s_add_nc_u64 s[0:1], s[0:1], s[10:11]
	v_mov_b32_e32 v104, 0
	scratch_store_b64 off, v[4:5], off offset:64 ; 8-byte Folded Spill
	v_min_i32_e32 v4, s5, v30
	scratch_store_b32 off, v2, off offset:72 ; 4-byte Folded Spill
	v_add_nc_u32_e32 v2, 64, v34
	v_dual_mov_b32 v88, 0 :: v_dual_add_nc_u32 v5, 0x48, v34
	v_dual_mov_b32 v84, 0 :: v_dual_mov_b32 v121, 0
	s_delay_alu instid0(VALU_DEP_3)
	v_mad_co_u64_u32 v[6:7], null, 0x104, v3, v[1:2]
	v_mul_lo_u32 v3, v4, s15
	v_min_i32_e32 v2, s5, v2
	v_mov_b32_e32 v99, 0
	scratch_store_b64 off, v[6:7], off offset:76 ; 8-byte Folded Spill
	v_add_nc_u32_e32 v6, 8, v23
	scratch_store_b32 off, v3, off offset:84 ; 4-byte Folded Spill
	v_min_i32_e32 v3, s5, v5
	v_mad_co_u64_u32 v[4:5], null, 0x104, v4, v[1:2]
	v_cvt_f64_u32_e32 v[6:7], v6
	scratch_store_b64 off, v[4:5], off offset:88 ; 8-byte Folded Spill
	v_mul_lo_u32 v4, v2, s15
	scratch_store_b32 off, v4, off offset:96 ; 4-byte Folded Spill
	v_mad_co_u64_u32 v[4:5], null, 0x104, v2, v[1:2]
	v_mul_lo_u32 v2, v3, s15
	scratch_store_b64 off, v[4:5], off offset:100 ; 8-byte Folded Spill
	v_cvt_f64_u32_e32 v[4:5], v23
	scratch_store_b32 off, v2, off offset:108 ; 4-byte Folded Spill
	v_mad_co_u64_u32 v[2:3], null, 0x104, v3, v[1:2]
	v_add_nc_u32_e32 v23, 56, v23
	scratch_store_b64 off, v[2:3], off offset:112 ; 8-byte Folded Spill
	v_cvt_f64_i32_e32 v[2:3], s7
	s_delay_alu instid0(VALU_DEP_1)
	v_mad_co_u64_u32 v[32:33], null, 0x104, v12, v[1:2]
	scratch_store_b32 off, v24, off offset:120 ; 4-byte Folded Spill
	v_min_i32_e32 v24, s5, v22
	v_cvt_f64_u32_e32 v[22:23], v23
	v_min_num_f64_e32 v[4:5], v[4:5], v[2:3]
	v_min_num_f64_e32 v[6:7], v[6:7], v[2:3]
	;; [unrolled: 1-line block ×3, first 2 shown]
	v_mul_lo_u32 v12, v24, s15
	scratch_store_b64 off, v[32:33], off offset:124 ; 8-byte Folded Spill
	v_mad_co_u64_u32 v[32:33], null, 0x104, v24, v[1:2]
	v_min_num_f64_e32 v[10:11], v[10:11], v[2:3]
	v_min_num_f64_e32 v[18:19], v[18:19], v[2:3]
	;; [unrolled: 1-line block ×3, first 2 shown]
	scratch_store_b32 off, v12, off offset:132 ; 4-byte Folded Spill
	v_min_i32_e32 v12, s5, v25
	v_add_nc_u32_e32 v25, 0x68, v34
	s_delay_alu instid0(VALU_DEP_2)
	v_mul_lo_u32 v24, v12, s15
	scratch_store_b64 off, v[32:33], off offset:136 ; 8-byte Folded Spill
	v_mad_co_u64_u32 v[32:33], null, 0x104, v12, v[1:2]
	scratch_store_b32 off, v24, off offset:144 ; 4-byte Folded Spill
	v_min_i32_e32 v24, s5, v25
	v_add_nc_u32_e32 v25, 0x70, v34
	s_delay_alu instid0(VALU_DEP_2)
	v_mul_lo_u32 v12, v24, s15
	scratch_store_b64 off, v[32:33], off offset:148 ; 8-byte Folded Spill
	v_min_i32_e32 v32, s5, v25
	v_mad_co_u64_u32 v[24:25], null, 0x104, v24, v[1:2]
	v_add_nc_u32_e32 v33, 0x78, v34
	v_cvt_i32_f64_e32 v4, v[4:5]
	scratch_store_b32 off, v12, off offset:156 ; 4-byte Folded Spill
	v_ashrrev_i32_e32 v12, 31, v31
	v_cvt_i32_f64_e32 v6, v[6:7]
	scratch_store_b64 off, v[24:25], off offset:160 ; 8-byte Folded Spill
	v_mul_lo_u32 v24, v32, s15
	v_cvt_i32_f64_e32 v8, v[8:9]
	v_lshrrev_b32_e32 v12, 27, v12
	v_cvt_i32_f64_e32 v18, v[18:19]
	v_cvt_i32_f64_e32 v10, v[10:11]
	;; [unrolled: 1-line block ×3, first 2 shown]
	v_and_b32_e32 v5, 4, v105
	v_add_nc_u32_e32 v12, v31, v12
	scratch_store_b32 off, v24, off offset:168 ; 4-byte Folded Spill
	v_min_num_f64_e32 v[24:25], v[16:17], v[2:3]
	v_mad_co_u64_u32 v[16:17], null, 0x104, v32, v[1:2]
	v_min_num_f64_e32 v[2:3], v[22:23], v[2:3]
	v_lshlrev_b32_e32 v23, 2, v31
	scratch_store_b64 off, v[16:17], off offset:172 ; 8-byte Folded Spill
	v_min_i32_e32 v16, s5, v33
	v_ashrrev_i32_e32 v17, 5, v12
	v_and_b32_e32 v12, 3, v0
	s_delay_alu instid0(VALU_DEP_3) | instskip(NEXT) | instid1(VALU_DEP_3)
	v_mul_lo_u32 v22, v16, s15
	v_lshlrev_b32_e32 v17, 2, v17
	s_delay_alu instid0(VALU_DEP_3) | instskip(NEXT) | instid1(VALU_DEP_2)
	v_cmp_gt_u32_e32 vcc_lo, 2, v12
	v_add3_u32 v17, v17, v23, 0xae40
	v_mul_lo_u32 v103, s4, v4
	v_lshlrev_b32_e32 v4, 7, v14
	v_mul_lo_u32 v150, s4, v6
	v_lshlrev_b32_e32 v6, 7, v15
	;; [unrolled: 2-line block ×3, first 2 shown]
	v_mul_lo_u32 v154, s4, v18
	v_add_nc_u32_e32 v18, 0x60, v35
	v_mul_lo_u32 v152, s4, v10
	v_mul_lo_u32 v155, s4, v19
	v_lshlrev_b32_e32 v10, 7, v27
	v_lshlrev_b32_e32 v19, 2, v36
	v_cvt_i32_f64_e32 v11, v[24:25]
	v_lshrrev_b32_e32 v159, 3, v18
	v_lshlrev_b32_e32 v176, 4, v18
	v_mad_co_u64_u32 v[37:38], null, 0x104, v16, v[1:2]
	scratch_store_b32 off, v22, off offset:180 ; 4-byte Folded Spill
	v_add_nc_u32_e32 v22, 0xfe, v12
	v_mul_lo_u32 v16, v31, s15
	v_cvt_i32_f64_e32 v2, v[2:3]
	v_lshlrev_b32_e32 v3, 2, v12
	v_and_b32_e32 v25, 60, v159
	v_and_b32_e32 v1, 0xff, v22
	;; [unrolled: 1-line block ×3, first 2 shown]
	v_lshl_add_u32 v13, v34, 3, v13
	s_clause 0x1
	scratch_store_b64 off, v[37:38], off offset:184
	scratch_store_b32 off, v16, off offset:192
	v_cndmask_b32_e32 v1, v1, v12, vcc_lo
	v_cmp_ne_u32_e32 vcc_lo, 0, v12
	v_and_b32_e32 v32, 0x7f, v13
	v_or_b32_e32 v109, 1, v106
	v_add3_u32 v160, v19, v105, 0xae40
	v_lshlrev_b32_e32 v124, 1, v1
	s_wait_alu 0xfffd
	v_add_co_ci_u32_e64 v23, null, 0, v1, vcc_lo
	v_min_i32_e32 v16, s5, v32
	v_and_b32_e32 v1, 63, v13
	v_cmp_lt_u32_e32 vcc_lo, 1, v12
	v_add3_u32 v163, v105, v25, 0xae40
	v_lshlrev_b32_e32 v178, 2, v23
	v_ashrrev_i32_e32 v22, 31, v16
	v_mul_lo_u32 v13, v16, s15
	scratch_store_b32 off, v17, off offset:196 ; 4-byte Folded Spill
	v_xor_b32_e32 v17, 64, v32
	s_wait_alu 0xfffd
	v_cndmask_b32_e32 v133, 0, v5, vcc_lo
	v_lshrrev_b32_e32 v22, 29, v22
	s_delay_alu instid0(VALU_DEP_3) | instskip(SKIP_1) | instid1(VALU_DEP_3)
	v_min_i32_e32 v17, s5, v17
	v_mul_lo_u32 v153, s4, v11
	v_add_nc_u32_e32 v9, v16, v22
	v_lshlrev_b32_e32 v11, 7, v28
	s_mov_b32 s5, 0
	v_ashrrev_i32_e32 v7, 31, v17
	v_mul_lo_u32 v20, v17, s15
	scratch_store_b32 off, v13, off offset:200 ; 4-byte Folded Spill
	v_lshlrev_b32_e32 v13, 4, v16
	v_or_b32_e32 v16, s13, v1
	v_ashrrev_i32_e32 v9, 3, v9
	v_lshrrev_b32_e32 v7, 29, v7
	v_lshlrev_b32_e32 v21, 4, v17
	v_lshl_or_b32 v1, v1, 4, v3
	v_min_i32_e32 v16, s7, v16
	v_lshlrev_b32_e32 v9, 2, v9
	v_add_nc_u32_e32 v5, v17, v7
	v_cndmask_b32_e64 v7, 0, 1, vcc_lo
	scratch_store_b32 off, v20, off offset:204 ; 4-byte Folded Spill
	v_mad_co_u64_u32 v[16:17], null, v16, s4, v[12:13]
	v_add3_u32 v9, v9, v3, 0xa200
	v_ashrrev_i32_e32 v5, 3, v5
	v_add_nc_u32_e32 v12, 32, v35
	v_lshlrev_b32_e32 v179, 2, v7
	v_and_b32_e32 v20, 31, v0
	v_add_nc_u32_e32 v7, v9, v13
	scratch_store_b64 off, v[16:17], off offset:208 ; 8-byte Folded Spill
	v_add_nc_u32_e32 v16, 64, v35
	v_lshlrev_b32_e32 v5, 2, v5
	v_lshrrev_b32_e32 v157, 3, v12
	v_mul_lo_u32 v156, s4, v2
	s_movk_i32 s4, 0x2080
	v_lshrrev_b32_e32 v158, 3, v16
	s_wait_alu 0xfffe
	v_mad_u32_u24 v173, 0x104, v35, s4
	s_movk_i32 s4, 0x4100
	v_add3_u32 v5, v5, v3, 0xa200
	v_lshl_or_b32 v3, v20, 2, 0x8200
	v_add_nc_u32_e32 v17, 0xaa40, v1
	v_lshlrev_b32_e32 v1, 7, v34
	v_lshlrev_b32_e32 v20, 7, v29
	;; [unrolled: 1-line block ×3, first 2 shown]
	v_and_b32_e32 v22, 60, v157
	v_and_b32_e32 v24, 60, v158
	s_wait_alu 0xfffe
	v_mad_u32_u24 v175, 0x104, v35, s4
	s_movk_i32 s4, 0x6180
	v_bfe_u32 v0, v0, 3, 7
	s_wait_alu 0xfffe
	v_mad_u32_u24 v177, 0x104, v35, s4
	v_add_co_u32 v18, s4, s2, v108
	v_add3_u32 v161, v105, v22, 0xae40
	v_add3_u32 v162, v105, v24, 0xae40
	v_lshlrev_b32_e32 v172, 4, v12
	v_lshlrev_b32_e32 v174, 4, v16
	s_wait_alu 0xf1ff
	v_add_co_ci_u32_e64 v19, null, s3, 0, s4
	v_add_nc_u32_e32 v5, v5, v21
	v_add_nc_u32_e32 v182, v3, v1
	;; [unrolled: 1-line block ×9, first 2 shown]
	s_mov_b32 s4, s5
	s_clause 0x1
	scratch_store_b32 off, v7, off offset:216
	scratch_store_b32 off, v5, off offset:220
.LBB134_5:                              ; =>This Loop Header: Depth=1
                                        ;     Child Loop BB134_6 Depth 2
                                        ;     Child Loop BB134_8 Depth 2
	s_clause 0x3
	scratch_load_b32 v3, off, off
	scratch_load_b32 v5, off, off offset:12
	scratch_load_b32 v7, off, off offset:24
	;; [unrolled: 1-line block ×3, first 2 shown]
	s_wait_alu 0xfffe
	s_mul_u64 s[10:11], s[4:5], 0xb0
	s_lshl_b32 s7, s4, 3
	s_wait_alu 0xfffe
	s_add_nc_u64 s[10:11], s[0:1], s[10:11]
	s_wait_alu 0xfffe
	v_mad_co_u64_u32 v[1:2], null, 0xb0, v137, s[10:11]
	s_wait_loadcnt 0x3
	s_delay_alu instid0(VALU_DEP_1)
	v_mad_co_i64_i32 v[3:4], null, 0xb0, v3, v[1:2]
	s_wait_loadcnt 0x2
	v_mad_co_i64_i32 v[5:6], null, 0xb0, v5, v[1:2]
	s_wait_loadcnt 0x0
	v_mad_co_i64_i32 v[20:21], null, 0xb0, v13, v[1:2]
	scratch_load_b32 v13, off, off offset:48 ; 4-byte Folded Reload
	v_mad_co_i64_i32 v[7:8], null, 0xb0, v7, v[1:2]
	v_add_co_u32 v9, vcc_lo, v3, v107
	s_wait_alu 0xfffd
	v_add_co_ci_u32_e64 v10, null, 0, v4, vcc_lo
	v_add_co_u32 v3, vcc_lo, v3, v108
	s_wait_alu 0xfffd
	v_add_co_ci_u32_e64 v4, null, 0, v4, vcc_lo
	;; [unrolled: 3-line block ×8, first 2 shown]
	s_wait_loadcnt 0x0
	v_mad_co_i64_i32 v[26:27], null, 0xb0, v13, v[1:2]
	s_clause 0x7
	global_load_b32 v13, v[9:10], off offset:48
	global_load_b32 v14, v[3:4], off offset:16
	;; [unrolled: 1-line block ×8, first 2 shown]
	s_clause 0x2
	scratch_load_b32 v3, off, off offset:60
	scratch_load_b32 v11, off, off offset:72
	scratch_load_b32 v20, off, off offset:84
	v_add_co_u32 v5, vcc_lo, v26, v107
	s_wait_alu 0xfffd
	v_add_co_ci_u32_e64 v6, null, 0, v27, vcc_lo
	v_add_co_u32 v7, vcc_lo, v26, v108
	scratch_load_b32 v26, off, off offset:96 ; 4-byte Folded Reload
	s_wait_alu 0xfffd
	v_add_co_ci_u32_e64 v8, null, 0, v27, vcc_lo
	s_wait_loadcnt 0x3
	v_mad_co_i64_i32 v[3:4], null, 0xb0, v3, v[1:2]
	s_wait_loadcnt 0x2
	v_mad_co_i64_i32 v[11:12], null, 0xb0, v11, v[1:2]
	;; [unrolled: 2-line block ×3, first 2 shown]
	s_delay_alu instid0(VALU_DEP_3) | instskip(SKIP_1) | instid1(VALU_DEP_4)
	v_add_co_u32 v9, vcc_lo, v3, v107
	s_wait_alu 0xfffd
	v_add_co_ci_u32_e64 v10, null, 0, v4, vcc_lo
	v_add_co_u32 v3, vcc_lo, v3, v108
	s_wait_alu 0xfffd
	v_add_co_ci_u32_e64 v4, null, 0, v4, vcc_lo
	;; [unrolled: 3-line block ×6, first 2 shown]
	s_clause 0x7
	global_load_b32 v32, v[5:6], off offset:48
	global_load_b32 v33, v[7:8], off offset:16
	;; [unrolled: 1-line block ×8, first 2 shown]
	s_clause 0x1
	scratch_load_b32 v3, off, off offset:108
	scratch_load_b32 v11, off, off offset:120
	s_wait_loadcnt 0xa
	v_mad_co_i64_i32 v[26:27], null, 0xb0, v26, v[1:2]
	s_delay_alu instid0(VALU_DEP_1) | instskip(SKIP_1) | instid1(VALU_DEP_2)
	v_add_co_u32 v5, vcc_lo, v26, v107
	s_wait_alu 0xfffd
	v_add_co_ci_u32_e64 v6, null, 0, v27, vcc_lo
	v_add_co_u32 v7, vcc_lo, v26, v108
	s_wait_alu 0xfffd
	v_add_co_ci_u32_e64 v8, null, 0, v27, vcc_lo
	s_wait_loadcnt 0x8
	v_ashrrev_i32_e32 v59, v106, v33
	v_ashrrev_i32_e32 v33, v109, v33
	s_wait_loadcnt 0x7
	v_and_b32_e32 v60, 0xf0f0f0f, v34
	v_lshrrev_b32_e32 v34, 4, v34
	s_wait_loadcnt 0x6
	v_ashrrev_i32_e32 v61, v106, v35
	v_lshlrev_b32_e32 v59, 4, v59
	v_lshlrev_b32_e32 v33, 4, v33
	s_wait_loadcnt 0x1
	v_mad_co_i64_i32 v[3:4], null, 0xb0, v3, v[1:2]
	s_wait_loadcnt 0x0
	v_mad_co_i64_i32 v[11:12], null, 0xb0, v11, v[1:2]
	v_ashrrev_i32_e32 v35, v109, v35
	v_and_b32_e32 v34, 0xf0f0f0f, v34
	v_lshlrev_b32_e32 v61, 4, v61
	v_and_b32_e32 v62, 0xf0f0f0f, v36
	v_add_co_u32 v9, vcc_lo, v3, v107
	s_wait_alu 0xfffd
	v_add_co_ci_u32_e64 v10, null, 0, v4, vcc_lo
	v_add_co_u32 v3, vcc_lo, v3, v108
	s_clause 0x2
	global_load_b32 v26, v[5:6], off offset:48
	global_load_b32 v27, v[7:8], off offset:16
	;; [unrolled: 1-line block ×3, first 2 shown]
	s_wait_alu 0xfffd
	v_add_co_ci_u32_e64 v4, null, 0, v4, vcc_lo
	v_add_co_u32 v5, vcc_lo, v11, v107
	s_wait_alu 0xfffd
	v_add_co_ci_u32_e64 v6, null, 0, v12, vcc_lo
	v_add_co_u32 v7, vcc_lo, v11, v108
	s_wait_alu 0xfffd
	v_add_co_ci_u32_e64 v8, null, 0, v12, vcc_lo
	s_clause 0x2
	global_load_b32 v41, v[3:4], off offset:16
	global_load_b32 v42, v[5:6], off offset:48
	;; [unrolled: 1-line block ×3, first 2 shown]
	s_clause 0x1
	scratch_load_b32 v3, off, off offset:132
	scratch_load_b32 v7, off, off offset:144
	v_lshlrev_b32_e32 v35, 4, v35
	v_lshrrev_b32_e32 v36, 4, v36
	v_ashrrev_i32_e32 v63, v106, v37
	v_ashrrev_i32_e32 v37, v109, v37
	v_and_b32_e32 v64, 0xf0f0f0f, v38
	v_lshrrev_b32_e32 v38, 4, v38
	v_and_b32_e32 v36, 0xf0f0f0f, v36
	v_lshlrev_b32_e32 v63, 4, v63
	v_lshlrev_b32_e32 v37, 4, v37
	v_ashrrev_i32_e32 v65, v106, v39
	v_ashrrev_i32_e32 v39, v109, v39
	v_and_b32_e32 v38, 0xf0f0f0f, v38
	s_delay_alu instid0(VALU_DEP_3) | instskip(NEXT) | instid1(VALU_DEP_3)
	v_lshlrev_b32_e32 v65, 4, v65
	v_lshlrev_b32_e32 v39, 4, v39
	s_wait_loadcnt 0x7
	v_and_b32_e32 v66, 0xf0f0f0f, v26
	v_lshrrev_b32_e32 v26, 4, v26
	s_wait_loadcnt 0x6
	v_ashrrev_i32_e32 v67, v106, v27
	v_ashrrev_i32_e32 v27, v109, v27
	s_wait_loadcnt 0x5
	v_and_b32_e32 v68, 0xf0f0f0f, v40
	v_lshrrev_b32_e32 v40, 4, v40
	v_and_b32_e32 v26, 0xf0f0f0f, v26
	v_lshlrev_b32_e32 v67, 4, v67
	v_lshlrev_b32_e32 v27, 4, v27
	s_delay_alu instid0(VALU_DEP_4)
	v_and_b32_e32 v40, 0xf0f0f0f, v40
	s_wait_loadcnt 0x4
	v_ashrrev_i32_e32 v69, v106, v41
	v_ashrrev_i32_e32 v41, v109, v41
	v_and_or_b32 v26, 0x10101010, v27, v26
	s_wait_loadcnt 0x1
	v_mad_co_i64_i32 v[3:4], null, 0xb0, v3, v[1:2]
	s_wait_loadcnt 0x0
	v_mad_co_i64_i32 v[7:8], null, 0xb0, v7, v[1:2]
	v_lshlrev_b32_e32 v69, 4, v69
	v_lshlrev_b32_e32 v41, 4, v41
	v_and_b32_e32 v70, 0xf0f0f0f, v42
	v_lshrrev_b32_e32 v42, 4, v42
	v_add_co_u32 v5, vcc_lo, v3, v107
	s_wait_alu 0xfffd
	v_add_co_ci_u32_e64 v6, null, 0, v4, vcc_lo
	v_add_co_u32 v3, vcc_lo, v3, v108
	s_wait_alu 0xfffd
	v_add_co_ci_u32_e64 v4, null, 0, v4, vcc_lo
	s_clause 0x1
	global_load_b32 v44, v[5:6], off offset:48
	global_load_b32 v45, v[3:4], off offset:16
	s_clause 0x3
	scratch_load_b32 v3, off, off offset:156
	scratch_load_b32 v11, off, off offset:168
	;; [unrolled: 1-line block ×4, first 2 shown]
	v_add_co_u32 v5, vcc_lo, v7, v107
	s_wait_alu 0xfffd
	v_add_co_ci_u32_e64 v6, null, 0, v8, vcc_lo
	v_add_co_u32 v7, vcc_lo, v7, v108
	s_wait_alu 0xfffd
	v_add_co_ci_u32_e64 v8, null, 0, v8, vcc_lo
	v_ashrrev_i32_e32 v71, v106, v43
	v_ashrrev_i32_e32 v43, v109, v43
	v_and_b32_e32 v42, 0xf0f0f0f, v42
	s_delay_alu instid0(VALU_DEP_3)
	v_lshlrev_b32_e32 v71, 4, v71
	s_wait_loadcnt 0x3
	v_mad_co_i64_i32 v[3:4], null, 0xb0, v3, v[1:2]
	s_wait_loadcnt 0x2
	v_mad_co_i64_i32 v[11:12], null, 0xb0, v11, v[1:2]
	;; [unrolled: 2-line block ×4, first 2 shown]
	s_delay_alu instid0(VALU_DEP_4)
	v_add_co_u32 v9, vcc_lo, v3, v107
	s_wait_alu 0xfffd
	v_add_co_ci_u32_e64 v10, null, 0, v4, vcc_lo
	v_add_co_u32 v3, vcc_lo, v3, v108
	s_wait_alu 0xfffd
	v_add_co_ci_u32_e64 v4, null, 0, v4, vcc_lo
	;; [unrolled: 3-line block ×6, first 2 shown]
	s_clause 0x7
	global_load_b32 v46, v[5:6], off offset:48
	global_load_b32 v47, v[7:8], off offset:16
	;; [unrolled: 1-line block ×8, first 2 shown]
	s_clause 0x1
	scratch_load_b32 v1, off, off offset:192
	scratch_load_b32 v3, off, off offset:204
	v_add_co_u32 v5, vcc_lo, v24, v178
	s_wait_alu 0xfffd
	v_add_co_ci_u32_e64 v6, null, 0, v25, vcc_lo
	v_add_co_u32 v7, vcc_lo, v24, v179
	s_wait_alu 0xfffd
	v_add_co_ci_u32_e64 v8, null, 0, v25, vcc_lo
	v_add_nc_u32_e32 v11, s7, v0
	s_delay_alu instid0(VALU_DEP_1) | instskip(SKIP_2) | instid1(VALU_DEP_2)
	v_add_nc_u32_e32 v12, v11, v103
	v_add_nc_u32_e32 v20, v11, v156
	;; [unrolled: 1-line block ×3, first 2 shown]
	v_mad_co_i64_i32 v[20:21], null, v20, 36, v[18:19]
	s_delay_alu instid0(VALU_DEP_2)
	v_mad_co_i64_i32 v[22:23], null, v22, 36, v[18:19]
	s_wait_loadcnt 0x1
	v_mad_co_i64_i32 v[1:2], null, 0xb0, v1, s[10:11]
	s_wait_loadcnt 0x0
	v_mad_co_i64_i32 v[3:4], null, 0xb0, v3, s[10:11]
	s_mov_b32 s10, -1
	s_mov_b32 s11, 0
	v_add_co_u32 v9, vcc_lo, v3, v178
	s_wait_alu 0xfffd
	v_add_co_ci_u32_e64 v10, null, 0, v4, vcc_lo
	v_add_co_u32 v3, vcc_lo, v3, v179
	s_wait_alu 0xfffd
	v_add_co_ci_u32_e64 v4, null, 0, v4, vcc_lo
	s_clause 0x4
	global_load_b32 v54, v[1:2], off
	global_load_b32 v55, v[5:6], off offset:4
	global_load_b32 v56, v[7:8], off offset:4
	;; [unrolled: 1-line block ×4, first 2 shown]
	scratch_load_b64 v[1:2], off, off offset:208 ; 8-byte Folded Reload
	v_add_nc_u32_e32 v3, v11, v150
	v_add_nc_u32_e32 v7, v11, v152
	;; [unrolled: 1-line block ×4, first 2 shown]
	s_delay_alu instid0(VALU_DEP_4) | instskip(NEXT) | instid1(VALU_DEP_4)
	v_mad_co_i64_i32 v[3:4], null, v3, 36, v[18:19]
	v_mad_co_i64_i32 v[7:8], null, v7, 36, v[18:19]
	s_delay_alu instid0(VALU_DEP_4) | instskip(NEXT) | instid1(VALU_DEP_4)
	v_mad_co_i64_i32 v[5:6], null, v5, 36, v[18:19]
	v_mad_co_i64_i32 v[9:10], null, v9, 36, v[18:19]
	s_wait_loadcnt 0x0
	v_add_nc_u32_e32 v190, s7, v1
	v_mad_co_i64_i32 v[1:2], null, v12, 36, v[18:19]
	v_add_nc_u32_e32 v12, v11, v154
	s_delay_alu instid0(VALU_DEP_3) | instskip(NEXT) | instid1(VALU_DEP_2)
	v_mad_co_u64_u32 v[24:25], null, v190, 36, s[2:3]
	v_mad_co_i64_i32 v[11:12], null, v12, 36, v[18:19]
	s_clause 0x8
	global_load_b32 v3, v[3:4], off offset:4
	global_load_b32 v4, v[7:8], off offset:4
	;; [unrolled: 1-line block ×8, first 2 shown]
	global_load_b32 v9, v[24:25], off
	v_and_b32_e32 v10, 0xf0f0f0f, v13
	v_lshrrev_b32_e32 v11, 4, v13
	v_ashrrev_i32_e32 v12, v106, v14
	v_ashrrev_i32_e32 v13, v109, v14
	v_and_b32_e32 v14, 0xf0f0f0f, v15
	v_lshrrev_b32_e32 v15, 4, v15
	v_ashrrev_i32_e32 v20, v106, v16
	v_ashrrev_i32_e32 v16, v109, v16
	;; [unrolled: 4-line block ×4, first 2 shown]
	v_and_b32_e32 v31, 0xf0f0f0f, v32
	v_lshrrev_b32_e32 v32, 4, v32
	v_and_b32_e32 v11, 0xf0f0f0f, v11
	v_lshlrev_b32_e32 v13, 4, v13
	v_and_b32_e32 v15, 0xf0f0f0f, v15
	v_lshlrev_b32_e32 v16, 4, v16
	;; [unrolled: 2-line block ×3, first 2 shown]
	v_and_b32_e32 v32, 0xf0f0f0f, v32
	v_and_or_b32 v11, 0x10101010, v13, v11
	v_and_or_b32 v13, 0x10101010, v16, v15
	v_lshlrev_b32_e32 v12, 4, v12
	v_and_or_b32 v15, 0x10101010, v24, v22
	v_and_or_b32 v22, 0x10101010, v33, v32
	scratch_load_b64 v[32:33], off, off offset:4 ; 8-byte Folded Reload
	v_lshlrev_b32_e32 v20, 4, v20
	v_and_or_b32 v10, 0x10101010, v12, v10
	v_lshlrev_b32_e32 v23, 4, v23
	v_and_b32_e32 v28, 0xf0f0f0f, v28
	v_lshlrev_b32_e32 v29, 4, v29
	v_and_or_b32 v12, 0x10101010, v20, v14
	v_lshlrev_b32_e32 v30, 4, v30
	v_and_or_b32 v14, 0x10101010, v23, v21
	v_and_or_b32 v21, 0x10101010, v59, v31
	;; [unrolled: 1-line block ×11, first 2 shown]
	s_wait_loadcnt 0x0
	ds_store_2addr_b32 v32, v10, v11 offset1:8
	scratch_load_b64 v[10:11], off, off offset:16 ; 8-byte Folded Reload
	s_wait_loadcnt 0x0
	ds_store_2addr_b32 v10, v12, v13 offset1:8
	scratch_load_b64 v[10:11], off, off offset:28 ; 8-byte Folded Reload
	v_and_or_b32 v12, 0x10101010, v41, v40
	v_and_or_b32 v13, 0x10101010, v71, v70
	s_wait_loadcnt 0x0
	ds_store_2addr_b32 v10, v14, v15 offset1:8
	scratch_load_b64 v[10:11], off, off offset:40 ; 8-byte Folded Reload
	v_ashrrev_i32_e32 v14, v106, v45
	v_and_b32_e32 v15, 0xf0f0f0f, v44
	s_delay_alu instid0(VALU_DEP_2)
	v_lshlrev_b32_e32 v14, 4, v14
	s_wait_loadcnt 0x0
	ds_store_2addr_b32 v10, v16, v20 offset1:8
	scratch_load_b64 v[10:11], off, off offset:52 ; 8-byte Folded Reload
	v_ashrrev_i32_e32 v20, v109, v45
	v_lshrrev_b32_e32 v16, 4, v44
	s_wait_loadcnt 0x0
	ds_store_2addr_b32 v10, v21, v22 offset1:8
	s_clause 0x1
	scratch_load_b64 v[10:11], off, off offset:64
	scratch_load_b64 v[21:22], off, off offset:112
	s_wait_loadcnt 0x0
	v_and_b32_e32 v22, 0xf0f0f0f, v50
	ds_store_2addr_b32 v10, v23, v24 offset1:8
	s_clause 0x1
	scratch_load_b64 v[10:11], off, off offset:76
	scratch_load_b64 v[23:24], off, off offset:148
	s_wait_loadcnt 0x0
	v_ashrrev_i32_e32 v24, v124, v58
	ds_store_2addr_b32 v10, v25, v28 offset1:8
	scratch_load_b64 v[10:11], off, off offset:88 ; 8-byte Folded Reload
	s_wait_loadcnt 0x0
	ds_store_2addr_b32 v10, v29, v30 offset1:8
	scratch_load_b64 v[10:11], off, off offset:100 ; 8-byte Folded Reload
	s_wait_loadcnt 0x0
	v_and_or_b32 v11, 0x10101010, v69, v68
	ds_store_2addr_b32 v10, v31, v26 offset1:8
	ds_store_2addr_b32 v21, v11, v12 offset1:8
	s_clause 0x1
	scratch_load_b64 v[11:12], off, off offset:124
	scratch_load_b64 v[25:26], off, off offset:160
	v_lshlrev_b32_e32 v10, 4, v43
	s_wait_loadcnt 0x1
	v_and_or_b32 v12, 0x10101010, v14, v15
	v_lshrrev_b32_e32 v14, 4, v46
	v_ashrrev_i32_e32 v15, v109, v47
	v_and_or_b32 v10, 0x10101010, v10, v42
	s_delay_alu instid0(VALU_DEP_3) | instskip(NEXT) | instid1(VALU_DEP_3)
	v_and_b32_e32 v14, 0xf0f0f0f, v14
	v_lshlrev_b32_e32 v15, 4, v15
	ds_store_2addr_b32 v11, v13, v10 offset1:8
	v_lshlrev_b32_e32 v11, 4, v20
	scratch_load_b64 v[20:21], off, off offset:136 ; 8-byte Folded Reload
	v_and_b32_e32 v10, 0xf0f0f0f, v16
	v_ashrrev_i32_e32 v13, v106, v47
	v_lshrrev_b32_e32 v16, 4, v50
	s_wait_loadcnt 0x0
	v_ashrrev_i32_e32 v21, v109, v51
	v_and_or_b32 v10, 0x10101010, v11, v10
	v_and_b32_e32 v11, 0xf0f0f0f, v46
	v_lshlrev_b32_e32 v13, 4, v13
	v_and_b32_e32 v16, 0xf0f0f0f, v16
	v_lshlrev_b32_e32 v21, 4, v21
	s_delay_alu instid0(VALU_DEP_3) | instskip(SKIP_3) | instid1(VALU_DEP_1)
	v_and_or_b32 v11, 0x10101010, v13, v11
	v_and_or_b32 v13, 0x10101010, v15, v14
	v_and_b32_e32 v14, 0xf0f0f0f, v48
	v_ashrrev_i32_e32 v15, v109, v49
	v_lshlrev_b32_e32 v15, 4, v15
	ds_store_2addr_b32 v20, v12, v10 offset1:8
	v_ashrrev_i32_e32 v12, v106, v49
	v_ashrrev_i32_e32 v20, v106, v51
	v_lshrrev_b32_e32 v10, 4, v48
	ds_store_2addr_b32 v23, v11, v13 offset1:8
	v_and_or_b32 v13, 0x10101010, v21, v16
	v_lshlrev_b32_e32 v12, 4, v12
	v_lshlrev_b32_e32 v20, 4, v20
	v_and_b32_e32 v10, 0xf0f0f0f, v10
	v_ashrrev_i32_e32 v21, v133, v55
	v_ashrrev_i32_e32 v23, v124, v56
	v_and_or_b32 v11, 0x10101010, v12, v14
	v_and_or_b32 v12, 0x10101010, v20, v22
	v_lshrrev_b32_e32 v14, 4, v52
	v_ashrrev_i32_e32 v20, v109, v53
	v_and_or_b32 v10, 0x10101010, v15, v10
	v_and_b32_e32 v21, 0xf0f0f0f, v21
	v_ashrrev_i32_e32 v16, v106, v53
	v_and_b32_e32 v14, 0xf0f0f0f, v14
	v_lshlrev_b32_e32 v20, 4, v20
	ds_store_2addr_b32 v25, v11, v10 offset1:8
	v_and_or_b32 v10, 0x30303030, v23, v21
	v_and_b32_e32 v15, 0xf0f0f0f, v52
	v_lshlrev_b32_e32 v16, 4, v16
	v_and_or_b32 v14, 0x10101010, v20, v14
	scratch_load_b64 v[20:21], off, off offset:172 ; 8-byte Folded Reload
	v_ashrrev_i32_e32 v22, v133, v57
	v_and_or_b32 v15, 0x10101010, v16, v15
	s_delay_alu instid0(VALU_DEP_2) | instskip(NEXT) | instid1(VALU_DEP_1)
	v_and_b32_e32 v22, 0xf0f0f0f, v22
	v_and_or_b32 v11, 0x30303030, v24, v22
	s_wait_loadcnt 0x0
	ds_store_2addr_b32 v20, v12, v13 offset1:8
	scratch_load_b64 v[12:13], off, off offset:184 ; 8-byte Folded Reload
	s_wait_loadcnt 0x0
	ds_store_2addr_b32 v12, v15, v14 offset1:8
	scratch_load_b32 v12, off, off offset:196 ; 4-byte Folded Reload
	s_wait_loadcnt 0x0
	ds_store_b32 v12, v54
	scratch_load_b32 v12, off, off offset:216 ; 4-byte Folded Reload
	s_wait_loadcnt 0x0
	ds_store_b32 v12, v10
	;; [unrolled: 3-line block ×3, first 2 shown]
	ds_store_b32 v183, v3
	ds_store_b32 v185, v4
	;; [unrolled: 1-line block ×9, first 2 shown]
	s_wait_storecnt_dscnt 0x0
	s_barrier_signal -1
	s_barrier_wait -1
	global_inv scope:SCOPE_SE
	ds_load_b32 v1, v160
	ds_load_b32 v2, v161 offset:128
	ds_load_b32 v3, v162 offset:256
	;; [unrolled: 1-line block ×3, first 2 shown]
	s_wait_dscnt 0x3
	v_lshrrev_b32_e32 v5, 16, v1
	v_cvt_f32_f16_e64 v192, v1
	s_wait_dscnt 0x1
	v_lshrrev_b32_e32 v1, 16, v3
	v_cvt_f32_f16_e64 v193, v2
	v_cvt_f32_f16_e64 v195, v3
	;; [unrolled: 1-line block ×3, first 2 shown]
	v_lshrrev_b32_e32 v5, 16, v2
	s_wait_dscnt 0x0
	v_lshrrev_b32_e32 v2, 16, v4
	v_cvt_f32_f16_e64 v196, v1
	v_cvt_f32_f16_e64 v197, v4
	;; [unrolled: 1-line block ×3, first 2 shown]
	s_delay_alu instid0(VALU_DEP_4)
	v_cvt_f32_f16_e64 v198, v2
.LBB134_6:                              ;   Parent Loop BB134_5 Depth=1
                                        ; =>  This Inner Loop Header: Depth=2
	s_wait_alu 0xfffe
	s_lshl_b32 s16, s11, 1
	s_lshl_b32 s17, s11, 3
	s_wait_alu 0xfffe
	v_or_b32_e32 v199, s16, v164
	v_add_nc_u32_e32 v3, s17, v171
	v_add_nc_u32_e32 v11, s17, v173
	;; [unrolled: 1-line block ×4, first 2 shown]
	v_lshlrev_b32_e32 v7, 2, v199
	v_or_b32_e32 v200, s16, v165
	v_or_b32_e32 v201, s16, v166
	;; [unrolled: 1-line block ×3, first 2 shown]
	ds_load_2addr_b32 v[20:21], v3 offset1:1
	ds_load_b128 v[22:25], v7 offset:33280
	ds_load_2addr_b32 v[40:41], v11 offset1:1
	ds_load_2addr_b32 v[42:43], v12 offset1:1
	ds_load_2addr_b32 v[46:47], v11 offset0:2 offset1:3
	ds_load_2addr_b32 v[26:27], v3 offset0:2 offset1:3
	ds_load_2addr_b32 v[44:45], v13 offset1:1
	ds_load_2addr_b32 v[50:51], v13 offset0:2 offset1:3
	ds_load_2addr_b32 v[48:49], v12 offset0:2 offset1:3
	v_lshlrev_b32_e32 v214, 2, v200
	v_lshlrev_b32_e32 v215, 2, v201
	;; [unrolled: 1-line block ×3, first 2 shown]
	v_or_b32_e32 v203, s16, v168
	v_or_b32_e32 v204, s16, v169
	;; [unrolled: 1-line block ×3, first 2 shown]
	s_lshr_b32 s11, s11, 2
	s_and_b32 vcc_lo, exec_lo, s10
	v_lshlrev_b32_e32 v217, 2, v203
	v_lshlrev_b32_e32 v218, 2, v204
	;; [unrolled: 1-line block ×3, first 2 shown]
	s_wait_alu 0xfffe
	s_add_co_i32 s11, s11, 0xa200
	s_wait_dscnt 0x7
	v_dot4_i32_iu8 v1, v20, v22, 0 neg_lo:[1,1,0]
	s_wait_dscnt 0x6
	v_dot4_i32_iu8 v2, v22, v40, 0 neg_lo:[1,1,0]
	;; [unrolled: 2-line block ×3, first 2 shown]
	s_mov_b32 s10, 0
	s_wait_dscnt 0x2
	v_dot4_i32_iu8 v5, v22, v44, 0 neg_lo:[1,1,0]
	v_dot4_i32_iu8 v1, v21, v23, v1 neg_lo:[1,1,0]
	;; [unrolled: 1-line block ×4, first 2 shown]
	s_delay_alu instid0(VALU_DEP_4)
	v_dot4_i32_iu8 v5, v23, v45, v5 neg_lo:[1,1,0]
	ds_load_2addr_b32 v[22:23], v3 offset0:8 offset1:9
	ds_load_b128 v[52:55], v7 offset:33312
	ds_load_2addr_b32 v[28:29], v11 offset0:8 offset1:9
	ds_load_2addr_b32 v[30:31], v12 offset0:8 offset1:9
	;; [unrolled: 1-line block ×6, first 2 shown]
	v_dot4_i32_iu8 v1, v26, v24, v1 neg_lo:[1,1,0]
	v_dot4_i32_iu8 v2, v24, v46, v2 neg_lo:[1,1,0]
	s_wait_dscnt 0x8
	v_dot4_i32_iu8 v4, v24, v48, v4 neg_lo:[1,1,0]
	v_dot4_i32_iu8 v5, v24, v50, v5 neg_lo:[1,1,0]
	;; [unrolled: 1-line block ×4, first 2 shown]
	s_delay_alu instid0(VALU_DEP_4) | instskip(NEXT) | instid1(VALU_DEP_4)
	v_dot4_i32_iu8 v10, v25, v49, v4 neg_lo:[1,1,0]
	v_dot4_i32_iu8 v14, v25, v51, v5 neg_lo:[1,1,0]
	ds_load_2addr_b32 v[24:25], v3 offset0:10 offset1:11
	s_wait_dscnt 0x7
	v_dot4_i32_iu8 v1, v22, v52, 0 neg_lo:[1,1,0]
	s_wait_dscnt 0x6
	v_dot4_i32_iu8 v2, v52, v28, 0 neg_lo:[1,1,0]
	s_wait_dscnt 0x5
	v_dot4_i32_iu8 v4, v52, v30, 0 neg_lo:[1,1,0]
	s_wait_dscnt 0x3
	v_dot4_i32_iu8 v5, v52, v32, 0 neg_lo:[1,1,0]
	v_dot4_i32_iu8 v1, v23, v53, v1 neg_lo:[1,1,0]
	v_dot4_i32_iu8 v2, v53, v29, v2 neg_lo:[1,1,0]
	;; [unrolled: 1-line block ×3, first 2 shown]
	s_delay_alu instid0(VALU_DEP_4) | instskip(NEXT) | instid1(VALU_DEP_3)
	v_dot4_i32_iu8 v5, v53, v33, v5 neg_lo:[1,1,0]
	v_dot4_i32_iu8 v2, v54, v34, v2 neg_lo:[1,1,0]
	s_wait_dscnt 0x1
	s_delay_alu instid0(VALU_DEP_3) | instskip(NEXT) | instid1(VALU_DEP_3)
	v_dot4_i32_iu8 v4, v54, v36, v4 neg_lo:[1,1,0]
	v_dot4_i32_iu8 v5, v54, v38, v5 neg_lo:[1,1,0]
	s_wait_dscnt 0x0
	v_dot4_i32_iu8 v1, v24, v54, v1 neg_lo:[1,1,0]
	v_dot4_i32_iu8 v16, v55, v35, v2 neg_lo:[1,1,0]
	;; [unrolled: 1-line block ×4, first 2 shown]
	s_delay_alu instid0(VALU_DEP_4)
	v_dot4_i32_iu8 v15, v25, v55, v1 neg_lo:[1,1,0]
	ds_load_b128 v[52:55], v214 offset:33280
	s_wait_dscnt 0x0
	v_dot4_i32_iu8 v1, v20, v52, 0 neg_lo:[1,1,0]
	v_dot4_i32_iu8 v2, v52, v40, 0 neg_lo:[1,1,0]
	v_dot4_i32_iu8 v4, v52, v42, 0 neg_lo:[1,1,0]
	v_dot4_i32_iu8 v5, v52, v44, 0 neg_lo:[1,1,0]
	s_delay_alu instid0(VALU_DEP_4) | instskip(NEXT) | instid1(VALU_DEP_4)
	v_dot4_i32_iu8 v1, v21, v53, v1 neg_lo:[1,1,0]
	v_dot4_i32_iu8 v2, v53, v41, v2 neg_lo:[1,1,0]
	s_delay_alu instid0(VALU_DEP_4) | instskip(NEXT) | instid1(VALU_DEP_4)
	v_dot4_i32_iu8 v4, v53, v43, v4 neg_lo:[1,1,0]
	v_dot4_i32_iu8 v5, v53, v45, v5 neg_lo:[1,1,0]
	s_delay_alu instid0(VALU_DEP_4) | instskip(NEXT) | instid1(VALU_DEP_4)
	v_dot4_i32_iu8 v1, v26, v54, v1 neg_lo:[1,1,0]
	v_dot4_i32_iu8 v2, v54, v46, v2 neg_lo:[1,1,0]
	s_delay_alu instid0(VALU_DEP_4) | instskip(NEXT) | instid1(VALU_DEP_4)
	v_dot4_i32_iu8 v4, v54, v48, v4 neg_lo:[1,1,0]
	v_dot4_i32_iu8 v52, v54, v50, v5 neg_lo:[1,1,0]
	s_delay_alu instid0(VALU_DEP_4) | instskip(NEXT) | instid1(VALU_DEP_4)
	v_dot4_i32_iu8 v116, v27, v55, v1 neg_lo:[1,1,0]
	v_dot4_i32_iu8 v6, v55, v47, v2 neg_lo:[1,1,0]
	s_delay_alu instid0(VALU_DEP_4) | instskip(NEXT) | instid1(VALU_DEP_4)
	v_dot4_i32_iu8 v5, v55, v49, v4 neg_lo:[1,1,0]
	v_dot4_i32_iu8 v4, v55, v51, v52 neg_lo:[1,1,0]
	ds_load_b128 v[52:55], v214 offset:33312
	s_wait_dscnt 0x0
	v_dot4_i32_iu8 v1, v22, v52, 0 neg_lo:[1,1,0]
	v_dot4_i32_iu8 v2, v52, v28, 0 neg_lo:[1,1,0]
	v_dot4_i32_iu8 v56, v52, v30, 0 neg_lo:[1,1,0]
	v_dot4_i32_iu8 v52, v52, v32, 0 neg_lo:[1,1,0]
	s_delay_alu instid0(VALU_DEP_4) | instskip(NEXT) | instid1(VALU_DEP_4)
	v_dot4_i32_iu8 v1, v23, v53, v1 neg_lo:[1,1,0]
	v_dot4_i32_iu8 v2, v53, v29, v2 neg_lo:[1,1,0]
	s_delay_alu instid0(VALU_DEP_4) | instskip(NEXT) | instid1(VALU_DEP_4)
	v_dot4_i32_iu8 v56, v53, v31, v56 neg_lo:[1,1,0]
	v_dot4_i32_iu8 v52, v53, v33, v52 neg_lo:[1,1,0]
	s_delay_alu instid0(VALU_DEP_4) | instskip(NEXT) | instid1(VALU_DEP_4)
	v_dot4_i32_iu8 v1, v24, v54, v1 neg_lo:[1,1,0]
	v_dot4_i32_iu8 v2, v54, v34, v2 neg_lo:[1,1,0]
	s_delay_alu instid0(VALU_DEP_4) | instskip(NEXT) | instid1(VALU_DEP_4)
	v_dot4_i32_iu8 v53, v54, v36, v56 neg_lo:[1,1,0]
	v_dot4_i32_iu8 v52, v54, v38, v52 neg_lo:[1,1,0]
	s_delay_alu instid0(VALU_DEP_4) | instskip(NEXT) | instid1(VALU_DEP_4)
	v_dot4_i32_iu8 v219, v25, v55, v1 neg_lo:[1,1,0]
	v_dot4_i32_iu8 v220, v55, v35, v2 neg_lo:[1,1,0]
	s_delay_alu instid0(VALU_DEP_4) | instskip(NEXT) | instid1(VALU_DEP_4)
	v_dot4_i32_iu8 v221, v55, v37, v53 neg_lo:[1,1,0]
	;; [unrolled: 24-line block ×12, first 2 shown]
	v_dot4_i32_iu8 v2, v55, v39, v52 neg_lo:[1,1,0]
	ds_load_2addr_b32 v[52:53], v3 offset0:4 offset1:5
	ds_load_b128 v[54:57], v7 offset:33296
	ds_load_2addr_b32 v[72:73], v11 offset0:4 offset1:5
	ds_load_2addr_b32 v[74:75], v12 offset0:4 offset1:5
	ds_load_2addr_b32 v[78:79], v11 offset0:6 offset1:7
	ds_load_2addr_b32 v[58:59], v3 offset0:6 offset1:7
	ds_load_2addr_b32 v[76:77], v13 offset0:4 offset1:5
	ds_load_2addr_b32 v[82:83], v13 offset0:6 offset1:7
	ds_load_2addr_b32 v[80:81], v12 offset0:6 offset1:7
	s_wait_dscnt 0x7
	v_dot4_i32_iu8 v8, v52, v54, v8 neg_lo:[1,1,0]
	s_wait_dscnt 0x6
	v_dot4_i32_iu8 v9, v54, v72, v9 neg_lo:[1,1,0]
	;; [unrolled: 2-line block ×3, first 2 shown]
	v_dot4_i32_iu8 v8, v53, v55, v8 neg_lo:[1,1,0]
	s_delay_alu instid0(VALU_DEP_3) | instskip(NEXT) | instid1(VALU_DEP_3)
	v_dot4_i32_iu8 v9, v55, v73, v9 neg_lo:[1,1,0]
	v_dot4_i32_iu8 v10, v55, v75, v10 neg_lo:[1,1,0]
	s_wait_dscnt 0x2
	v_dot4_i32_iu8 v14, v54, v76, v14 neg_lo:[1,1,0]
	v_dot4_i32_iu8 v8, v58, v56, v8 neg_lo:[1,1,0]
	;; [unrolled: 1-line block ×3, first 2 shown]
	s_wait_dscnt 0x0
	v_dot4_i32_iu8 v10, v56, v80, v10 neg_lo:[1,1,0]
	v_dot4_i32_iu8 v14, v55, v77, v14 neg_lo:[1,1,0]
	;; [unrolled: 1-line block ×4, first 2 shown]
	s_delay_alu instid0(VALU_DEP_4)
	v_dot4_i32_iu8 v207, v57, v81, v10 neg_lo:[1,1,0]
	ds_load_2addr_b32 v[54:55], v3 offset0:12 offset1:13
	ds_load_b128 v[7:10], v7 offset:33328
	ds_load_2addr_b32 v[60:61], v11 offset0:12 offset1:13
	ds_load_2addr_b32 v[62:63], v12 offset0:12 offset1:13
	;; [unrolled: 1-line block ×3, first 2 shown]
	v_dot4_i32_iu8 v14, v56, v82, v14 neg_lo:[1,1,0]
	ds_load_2addr_b32 v[68:69], v12 offset0:14 offset1:15
	v_dot4_i32_iu8 v206, v57, v83, v14 neg_lo:[1,1,0]
	ds_load_2addr_b32 v[56:57], v3 offset0:14 offset1:15
	s_wait_dscnt 0x5
	v_dot4_i32_iu8 v14, v54, v7, v15 neg_lo:[1,1,0]
	s_wait_dscnt 0x4
	v_dot4_i32_iu8 v15, v7, v60, v16 neg_lo:[1,1,0]
	;; [unrolled: 2-line block ×3, first 2 shown]
	ds_load_2addr_b32 v[64:65], v13 offset0:12 offset1:13
	v_dot4_i32_iu8 v14, v55, v8, v14 neg_lo:[1,1,0]
	v_dot4_i32_iu8 v15, v8, v61, v15 neg_lo:[1,1,0]
	;; [unrolled: 1-line block ×3, first 2 shown]
	s_wait_dscnt 0x1
	s_delay_alu instid0(VALU_DEP_3) | instskip(NEXT) | instid1(VALU_DEP_1)
	v_dot4_i32_iu8 v3, v56, v9, v14 neg_lo:[1,1,0]
	v_dot4_i32_iu8 v213, v57, v10, v3 neg_lo:[1,1,0]
	s_wait_dscnt 0x0
	v_dot4_i32_iu8 v7, v7, v64, v66 neg_lo:[1,1,0]
	ds_load_2addr_b32 v[66:67], v11 offset0:14 offset1:15
	v_dot4_i32_iu8 v11, v9, v68, v16 neg_lo:[1,1,0]
	v_dot4_i32_iu8 v7, v8, v65, v7 neg_lo:[1,1,0]
	s_delay_alu instid0(VALU_DEP_2) | instskip(NEXT) | instid1(VALU_DEP_2)
	v_dot4_i32_iu8 v211, v10, v69, v11 neg_lo:[1,1,0]
	v_dot4_i32_iu8 v7, v9, v70, v7 neg_lo:[1,1,0]
	s_delay_alu instid0(VALU_DEP_1) | instskip(SKIP_2) | instid1(VALU_DEP_1)
	v_dot4_i32_iu8 v210, v10, v71, v7 neg_lo:[1,1,0]
	s_wait_dscnt 0x0
	v_dot4_i32_iu8 v8, v9, v66, v15 neg_lo:[1,1,0]
	v_dot4_i32_iu8 v212, v10, v67, v8 neg_lo:[1,1,0]
	ds_load_b128 v[7:10], v214 offset:33296
	s_wait_dscnt 0x0
	v_dot4_i32_iu8 v3, v52, v7, v116 neg_lo:[1,1,0]
	v_dot4_i32_iu8 v6, v7, v72, v6 neg_lo:[1,1,0]
	v_dot4_i32_iu8 v5, v7, v74, v5 neg_lo:[1,1,0]
	v_dot4_i32_iu8 v4, v7, v76, v4 neg_lo:[1,1,0]
	s_delay_alu instid0(VALU_DEP_4) | instskip(NEXT) | instid1(VALU_DEP_4)
	v_dot4_i32_iu8 v3, v53, v8, v3 neg_lo:[1,1,0]
	v_dot4_i32_iu8 v6, v8, v73, v6 neg_lo:[1,1,0]
	s_delay_alu instid0(VALU_DEP_4) | instskip(NEXT) | instid1(VALU_DEP_4)
	v_dot4_i32_iu8 v5, v8, v75, v5 neg_lo:[1,1,0]
	v_dot4_i32_iu8 v4, v8, v77, v4 neg_lo:[1,1,0]
	s_delay_alu instid0(VALU_DEP_4) | instskip(NEXT) | instid1(VALU_DEP_4)
	v_dot4_i32_iu8 v3, v58, v9, v3 neg_lo:[1,1,0]
	v_dot4_i32_iu8 v6, v9, v78, v6 neg_lo:[1,1,0]
	s_delay_alu instid0(VALU_DEP_4) | instskip(NEXT) | instid1(VALU_DEP_4)
	v_dot4_i32_iu8 v5, v9, v80, v5 neg_lo:[1,1,0]
	v_dot4_i32_iu8 v7, v9, v82, v4 neg_lo:[1,1,0]
	s_delay_alu instid0(VALU_DEP_4) | instskip(NEXT) | instid1(VALU_DEP_4)
	v_dot4_i32_iu8 v118, v59, v10, v3 neg_lo:[1,1,0]
	v_dot4_i32_iu8 v4, v10, v79, v6 neg_lo:[1,1,0]
	s_delay_alu instid0(VALU_DEP_4) | instskip(NEXT) | instid1(VALU_DEP_4)
	v_dot4_i32_iu8 v116, v10, v81, v5 neg_lo:[1,1,0]
	v_dot4_i32_iu8 v3, v10, v83, v7 neg_lo:[1,1,0]
	ds_load_b128 v[5:8], v214 offset:33328
	s_wait_dscnt 0x0
	v_dot4_i32_iu8 v9, v54, v5, v219 neg_lo:[1,1,0]
	v_dot4_i32_iu8 v10, v5, v60, v220 neg_lo:[1,1,0]
	v_dot4_i32_iu8 v11, v5, v62, v221 neg_lo:[1,1,0]
	v_dot4_i32_iu8 v5, v5, v64, v222 neg_lo:[1,1,0]
	s_delay_alu instid0(VALU_DEP_4) | instskip(NEXT) | instid1(VALU_DEP_4)
	v_dot4_i32_iu8 v9, v55, v6, v9 neg_lo:[1,1,0]
	v_dot4_i32_iu8 v10, v6, v61, v10 neg_lo:[1,1,0]
	s_delay_alu instid0(VALU_DEP_4) | instskip(NEXT) | instid1(VALU_DEP_4)
	v_dot4_i32_iu8 v11, v6, v63, v11 neg_lo:[1,1,0]
	v_dot4_i32_iu8 v5, v6, v65, v5 neg_lo:[1,1,0]
	s_delay_alu instid0(VALU_DEP_4) | instskip(NEXT) | instid1(VALU_DEP_4)
	v_dot4_i32_iu8 v6, v56, v7, v9 neg_lo:[1,1,0]
	v_dot4_i32_iu8 v9, v7, v66, v10 neg_lo:[1,1,0]
	s_delay_alu instid0(VALU_DEP_4) | instskip(NEXT) | instid1(VALU_DEP_4)
	v_dot4_i32_iu8 v10, v7, v68, v11 neg_lo:[1,1,0]
	v_dot4_i32_iu8 v5, v7, v70, v5 neg_lo:[1,1,0]
	s_delay_alu instid0(VALU_DEP_4) | instskip(NEXT) | instid1(VALU_DEP_4)
	v_dot4_i32_iu8 v122, v57, v8, v6 neg_lo:[1,1,0]
	v_dot4_i32_iu8 v120, v8, v67, v9 neg_lo:[1,1,0]
	s_delay_alu instid0(VALU_DEP_4) | instskip(NEXT) | instid1(VALU_DEP_4)
	;; [unrolled: 24-line block ×11, first 2 shown]
	v_dot4_i32_iu8 v112, v12, v81, v14 neg_lo:[1,1,0]
	v_dot4_i32_iu8 v115, v12, v83, v9 neg_lo:[1,1,0]
	ds_load_b128 v[9:12], v239 offset:33328
	s_wait_dscnt 0x0
	v_dot4_i32_iu8 v13, v54, v9, v111 neg_lo:[1,1,0]
	v_dot4_i32_iu8 v14, v9, v62, v114 neg_lo:[1,1,0]
	;; [unrolled: 1-line block ×4, first 2 shown]
	s_delay_alu instid0(VALU_DEP_4) | instskip(NEXT) | instid1(VALU_DEP_4)
	v_dot4_i32_iu8 v9, v55, v10, v13 neg_lo:[1,1,0]
	v_dot4_i32_iu8 v13, v10, v63, v14 neg_lo:[1,1,0]
	s_delay_alu instid0(VALU_DEP_4) | instskip(NEXT) | instid1(VALU_DEP_4)
	v_dot4_i32_iu8 v1, v10, v61, v1 neg_lo:[1,1,0]
	v_dot4_i32_iu8 v2, v10, v65, v2 neg_lo:[1,1,0]
	;; [unrolled: 3-line block ×3, first 2 shown]
	v_or_b32_e32 v13, s16, v132
	v_dot4_i32_iu8 v1, v11, v66, v1 neg_lo:[1,1,0]
	v_dot4_i32_iu8 v11, v11, v70, v2 neg_lo:[1,1,0]
	;; [unrolled: 1-line block ×4, first 2 shown]
	v_lshlrev_b32_e32 v14, 2, v13
	v_dot4_i32_iu8 v111, v12, v67, v1 neg_lo:[1,1,0]
	v_dot4_i32_iu8 v1, v12, v71, v11 neg_lo:[1,1,0]
	ds_load_b128 v[9:12], v14 offset:33280
	s_wait_dscnt 0x0
	v_dot4_i32_iu8 v15, v9, v40, 0 neg_lo:[1,1,0]
	v_dot4_i32_iu8 v16, v9, v42, 0 neg_lo:[1,1,0]
	v_dot4_i32_iu8 v40, v9, v44, 0 neg_lo:[1,1,0]
	v_perm_b32 v42, v12, v11, 0x5010c0c
	v_perm_b32 v44, v12, v11, 0x7030c0c
	v_dot4_i32_iu8 v15, v10, v41, v15 neg_lo:[1,1,0]
	v_dot4_i32_iu8 v16, v10, v43, v16 neg_lo:[1,1,0]
	v_dot4_i32_iu8 v40, v10, v45, v40 neg_lo:[1,1,0]
	v_perm_b32 v41, v9, v10, 0xc0c0501
	v_perm_b32 v43, v9, v10, 0xc0c0703
	;; [unrolled: 5-line block ×4, first 2 shown]
	ds_load_b128 v[9:12], v14 offset:33296
	v_or_b32_e32 v45, v46, v45
	v_or_b32_e32 v43, v44, v43
	;; [unrolled: 1-line block ×3, first 2 shown]
	s_wait_dscnt 0x0
	v_dot4_i32_iu8 v15, v9, v72, v15 neg_lo:[1,1,0]
	v_dot4_i32_iu8 v16, v9, v74, v16 neg_lo:[1,1,0]
	v_dot4_i32_iu8 v40, v9, v76, v40 neg_lo:[1,1,0]
	v_perm_b32 v49, v10, v9, 0xc0c0602
	v_perm_b32 v50, v12, v11, 0x6020c0c
	v_dot4_i32_iu8 v15, v10, v73, v15 neg_lo:[1,1,0]
	v_dot4_i32_iu8 v16, v10, v75, v16 neg_lo:[1,1,0]
	v_dot4_i32_iu8 v40, v10, v77, v40 neg_lo:[1,1,0]
	v_perm_b32 v51, v10, v9, 0xc0c0400
	v_perm_b32 v72, v12, v11, 0x4000c0c
	;; [unrolled: 5-line block ×4, first 2 shown]
	ds_load_b128 v[9:12], v14 offset:33312
	v_or_b32_e32 v48, v50, v49
	v_or_b32_e32 v46, v72, v51
	;; [unrolled: 1-line block ×3, first 2 shown]
	s_wait_dscnt 0x0
	v_dot4_i32_iu8 v28, v9, v28, 0 neg_lo:[1,1,0]
	s_delay_alu instid0(VALU_DEP_1) | instskip(SKIP_3) | instid1(VALU_DEP_4)
	v_dot4_i32_iu8 v28, v10, v29, v28 neg_lo:[1,1,0]
	v_dot4_i32_iu8 v29, v9, v30, 0 neg_lo:[1,1,0]
	;; [unrolled: 1-line block ×3, first 2 shown]
	v_perm_b32 v32, v12, v11, 0x5010c0c
	v_dot4_i32_iu8 v28, v11, v34, v28 neg_lo:[1,1,0]
	s_delay_alu instid0(VALU_DEP_4) | instskip(NEXT) | instid1(VALU_DEP_4)
	v_dot4_i32_iu8 v29, v10, v31, v29 neg_lo:[1,1,0]
	v_dot4_i32_iu8 v30, v10, v33, v30 neg_lo:[1,1,0]
	v_perm_b32 v31, v9, v10, 0xc0c0501
	v_perm_b32 v33, v9, v10, 0xc0c0703
	v_dot4_i32_iu8 v28, v12, v35, v28 neg_lo:[1,1,0]
	v_dot4_i32_iu8 v29, v11, v36, v29 neg_lo:[1,1,0]
	;; [unrolled: 1-line block ×3, first 2 shown]
	v_perm_b32 v34, v12, v11, 0x7030c0c
	v_perm_b32 v35, v9, v10, 0xc0c0400
	;; [unrolled: 1-line block ×3, first 2 shown]
	v_dot4_i32_iu8 v29, v12, v37, v29 neg_lo:[1,1,0]
	v_dot4_i32_iu8 v30, v12, v39, v30 neg_lo:[1,1,0]
	v_perm_b32 v37, v9, v10, 0xc0c0602
	v_perm_b32 v38, v12, v11, 0x6020c0c
	ds_load_b128 v[9:12], v14 offset:33328
	v_or_b32_e32 v33, v34, v33
	s_wait_dscnt 0x0
	v_dot4_i32_iu8 v14, v9, v60, v28 neg_lo:[1,1,0]
	v_dot4_i32_iu8 v28, v9, v62, v29 neg_lo:[1,1,0]
	v_dot4_i32_iu8 v29, v9, v64, v30 neg_lo:[1,1,0]
	v_perm_b32 v30, v10, v9, 0xc0c0602
	v_perm_b32 v39, v12, v11, 0x6020c0c
	v_dot4_i32_iu8 v14, v10, v61, v14 neg_lo:[1,1,0]
	v_dot4_i32_iu8 v28, v10, v63, v28 neg_lo:[1,1,0]
	v_dot4_i32_iu8 v29, v10, v65, v29 neg_lo:[1,1,0]
	v_perm_b32 v60, v10, v9, 0xc0c0400
	v_perm_b32 v61, v12, v11, 0x4000c0c
	;; [unrolled: 5-line block ×4, first 2 shown]
	v_perm_b32 v11, v20, v21, 0xc0c0602
	v_perm_b32 v12, v27, v26, 0x6020c0c
	;; [unrolled: 1-line block ×3, first 2 shown]
	v_or_b32_e32 v30, v39, v30
	v_or_b32_e32 v9, v10, v9
	;; [unrolled: 1-line block ×4, first 2 shown]
	v_perm_b32 v12, v53, v52, 0xc0c0602
	v_lshlrev_b32_e32 v62, 2, v0
	v_lshlrev_b32_e32 v63, 2, v105
	v_lshlrev_b32_e32 v65, 2, v158
	v_dot4_i32_iu8 v11, v11, v47, 0 neg_lo:[1,1,0]
	v_or_b32_e32 v12, v64, v12
	v_perm_b32 v47, v27, v26, 0x4000c0c
	v_lshlrev_b32_e32 v64, 2, v157
	v_lshlrev_b32_e32 v66, 2, v159
	s_delay_alu instid0(VALU_DEP_4) | instskip(SKIP_2) | instid1(VALU_DEP_2)
	v_dot4_i32_iu8 v11, v12, v48, v11 neg_lo:[1,1,0]
	v_perm_b32 v12, v20, v21, 0xc0c0400
	v_perm_b32 v48, v59, v58, 0x4000c0c
	v_or_b32_e32 v12, v47, v12
	v_perm_b32 v47, v53, v52, 0xc0c0400
	s_delay_alu instid0(VALU_DEP_2) | instskip(NEXT) | instid1(VALU_DEP_2)
	v_dot4_i32_iu8 v12, v12, v45, 0 neg_lo:[1,1,0]
	v_or_b32_e32 v47, v48, v47
	v_perm_b32 v45, v20, v21, 0xc0c0703
	v_perm_b32 v20, v20, v21, 0xc0c0501
	;; [unrolled: 1-line block ×3, first 2 shown]
	s_delay_alu instid0(VALU_DEP_4)
	v_dot4_i32_iu8 v12, v47, v46, v12 neg_lo:[1,1,0]
	v_perm_b32 v46, v27, v26, 0x7030c0c
	v_perm_b32 v26, v53, v52, 0xc0c0501
	;; [unrolled: 1-line block ×3, first 2 shown]
	v_or_b32_e32 v20, v21, v20
	v_perm_b32 v47, v59, v58, 0x7030c0c
	v_or_b32_e32 v45, v46, v45
	v_perm_b32 v46, v53, v52, 0xc0c0703
	v_or_b32_e32 v21, v27, v26
	v_or_b32_e32 v26, v42, v41
	;; [unrolled: 1-line block ×3, first 2 shown]
	v_dot4_i32_iu8 v43, v45, v43, 0 neg_lo:[1,1,0]
	v_or_b32_e32 v46, v47, v46
	s_delay_alu instid0(VALU_DEP_4) | instskip(SKIP_1) | instid1(VALU_DEP_3)
	v_dot4_i32_iu8 v20, v20, v26, 0 neg_lo:[1,1,0]
	v_perm_b32 v26, v25, v24, 0x6020c0c
	v_dot4_i32_iu8 v43, v46, v44, v43 neg_lo:[1,1,0]
	s_delay_alu instid0(VALU_DEP_3) | instskip(SKIP_2) | instid1(VALU_DEP_2)
	v_dot4_i32_iu8 v20, v21, v27, v20 neg_lo:[1,1,0]
	v_perm_b32 v21, v22, v23, 0xc0c0602
	v_perm_b32 v27, v57, v56, 0x6020c0c
	v_or_b32_e32 v21, v26, v21
	v_perm_b32 v26, v55, v54, 0xc0c0602
	s_delay_alu instid0(VALU_DEP_1) | instskip(SKIP_1) | instid1(VALU_DEP_1)
	v_or_b32_e32 v26, v27, v26
	v_or_b32_e32 v27, v38, v37
	v_dot4_i32_iu8 v21, v21, v27, 0 neg_lo:[1,1,0]
	v_perm_b32 v27, v25, v24, 0x4000c0c
	s_delay_alu instid0(VALU_DEP_2) | instskip(SKIP_2) | instid1(VALU_DEP_2)
	v_dot4_i32_iu8 v21, v26, v30, v21 neg_lo:[1,1,0]
	v_perm_b32 v26, v22, v23, 0xc0c0400
	v_perm_b32 v30, v57, v56, 0x4000c0c
	v_or_b32_e32 v26, v27, v26
	v_perm_b32 v27, v55, v54, 0xc0c0400
	s_delay_alu instid0(VALU_DEP_1) | instskip(SKIP_2) | instid1(VALU_DEP_2)
	v_or_b32_e32 v27, v30, v27
	v_or_b32_e32 v30, v36, v35
	;; [unrolled: 1-line block ×3, first 2 shown]
	v_dot4_i32_iu8 v26, v26, v30, 0 neg_lo:[1,1,0]
	v_perm_b32 v30, v25, v24, 0x7030c0c
	s_delay_alu instid0(VALU_DEP_2)
	v_dot4_i32_iu8 v26, v27, v35, v26 neg_lo:[1,1,0]
	v_perm_b32 v27, v22, v23, 0xc0c0703
	v_perm_b32 v22, v22, v23, 0xc0c0501
	v_perm_b32 v23, v25, v24, 0x5010c0c
	v_perm_b32 v24, v55, v54, 0xc0c0501
	v_perm_b32 v25, v57, v56, 0x5010c0c
	v_or_b32_e32 v27, v30, v27
	v_perm_b32 v30, v55, v54, 0xc0c0703
	v_or_b32_e32 v22, v23, v22
	v_perm_b32 v35, v57, v56, 0x7030c0c
	v_or_b32_e32 v23, v25, v24
	v_or_b32_e32 v24, v32, v31
	v_dot4_i32_iu8 v27, v27, v33, 0 neg_lo:[1,1,0]
	s_delay_alu instid0(VALU_DEP_4) | instskip(NEXT) | instid1(VALU_DEP_3)
	v_or_b32_e32 v30, v35, v30
	v_dot4_i32_iu8 v10, v22, v24, 0 neg_lo:[1,1,0]
	s_delay_alu instid0(VALU_DEP_2) | instskip(NEXT) | instid1(VALU_DEP_2)
	v_dot4_i32_iu8 v27, v30, v34, v27 neg_lo:[1,1,0]
	v_dot4_i32_iu8 v9, v23, v9, v10 neg_lo:[1,1,0]
	v_add_nc_u32_e32 v10, v20, v43
	s_delay_alu instid0(VALU_DEP_2) | instskip(NEXT) | instid1(VALU_DEP_2)
	v_add_nc_u32_e32 v9, v9, v27
	v_add3_u32 v10, v12, v11, v10
	s_wait_alu 0xfffe
	v_add3_u32 v12, s11, v62, v63
	v_lshrrev_b32_e32 v11, 1, v13
	v_add3_u32 v9, v26, v21, v9
	ds_load_u16 v13, v12
	s_wait_dscnt 0x0
	v_lshrrev_b16 v20, 8, v13
	v_and_b32_e32 v13, 0xff, v13
	s_delay_alu instid0(VALU_DEP_2) | instskip(NEXT) | instid1(VALU_DEP_2)
	v_and_b32_e32 v20, 0xffff, v20
	v_mul_lo_u32 v10, v10, v13
	s_delay_alu instid0(VALU_DEP_2)
	v_mul_lo_u32 v9, v9, v20
	v_mul_lo_u32 v38, v213, v20
	;; [unrolled: 1-line block ×4, first 2 shown]
	v_cvt_f32_i32_e32 v21, v10
	v_cvt_f32_i32_e32 v22, v9
	ds_load_b64 v[9:10], v11 offset:43584
	v_cvt_f32_i32_e32 v38, v38
	v_cvt_f32_i32_e32 v46, v46
	;; [unrolled: 1-line block ×3, first 2 shown]
	s_wait_dscnt 0x0
	v_fma_mix_f32 v11, v21, v9, 0 op_sel_hi:[0,1,0]
	v_add3_u32 v21, s11, v64, v172
	s_delay_alu instid0(VALU_DEP_2) | instskip(SKIP_4) | instid1(VALU_DEP_2)
	v_fma_mix_f32 v11, v22, v10, v11 op_sel_hi:[0,1,0]
	ds_load_u16 v22, v21
	s_wait_dscnt 0x0
	v_lshrrev_b16 v23, 8, v22
	v_and_b32_e32 v22, 0xff, v22
	v_and_b32_e32 v23, 0xffff, v23
	s_delay_alu instid0(VALU_DEP_2) | instskip(SKIP_1) | instid1(VALU_DEP_3)
	v_mul_lo_u32 v15, v15, v22
	v_mul_lo_u32 v4, v4, v22
	;; [unrolled: 1-line block ×6, first 2 shown]
	v_cvt_f32_i32_e32 v15, v15
	v_cvt_f32_i32_e32 v4, v4
	v_mul_lo_u32 v79, v240, v23
	v_cvt_f32_i32_e32 v14, v14
	s_delay_alu instid0(VALU_DEP_4) | instskip(SKIP_3) | instid1(VALU_DEP_4)
	v_fma_mix_f32 v15, v9, v15, 0 op_sel_hi:[1,0,0]
	v_cvt_f32_i32_e32 v7, v7
	v_cvt_f32_i32_e32 v58, v58
	;; [unrolled: 1-line block ×3, first 2 shown]
	v_fma_mix_f32 v14, v10, v14, v15 op_sel_hi:[1,0,0]
	v_add3_u32 v15, s11, v65, v174
	v_cvt_f32_i32_e32 v79, v79
	ds_load_u16 v24, v15
	s_wait_dscnt 0x0
	v_lshrrev_b16 v25, 8, v24
	v_and_b32_e32 v24, 0xff, v24
	s_delay_alu instid0(VALU_DEP_2) | instskip(NEXT) | instid1(VALU_DEP_2)
	v_and_b32_e32 v25, 0xffff, v25
	v_mul_lo_u32 v16, v16, v24
	s_delay_alu instid0(VALU_DEP_2)
	v_mul_lo_u32 v26, v28, v25
	v_mul_lo_u32 v41, v211, v25
	;; [unrolled: 1-line block ×4, first 2 shown]
	v_cvt_f32_i32_e32 v16, v16
	v_mul_lo_u32 v59, v234, v25
	v_mul_lo_u32 v72, v235, v25
	;; [unrolled: 1-line block ×3, first 2 shown]
	v_cvt_f32_i32_e32 v26, v26
	v_fma_mix_f32 v16, v9, v16, 0 op_sel_hi:[1,0,0]
	v_cvt_f32_i32_e32 v41, v41
	v_cvt_f32_i32_e32 v48, v48
	;; [unrolled: 1-line block ×4, first 2 shown]
	v_fma_mix_f32 v16, v10, v26, v16 op_sel_hi:[1,0,0]
	v_add3_u32 v26, s11, v66, v176
	v_cvt_f32_i32_e32 v72, v72
	v_cvt_f32_i32_e32 v80, v80
	v_mul_lo_u32 v2, v2, v25
	s_mov_b32 s11, 8
	ds_load_u16 v27, v26
	ds_load_u16 v12, v12 offset:8
	ds_load_u16 v21, v21 offset:8
	ds_load_u16 v15, v15 offset:8
	ds_load_u16 v26, v26 offset:8
	v_cvt_f32_i32_e32 v2, v2
	s_wait_dscnt 0x2
	v_cvt_f32_ubyte0_e32 v31, v21
	v_lshrrev_b16 v28, 8, v27
	v_and_b32_e32 v27, 0xff, v27
	s_wait_dscnt 0x1
	v_cvt_f32_ubyte0_e32 v32, v15
	s_wait_dscnt 0x0
	v_cvt_f32_ubyte0_e32 v33, v26
	v_cvt_f32_ubyte1_e32 v21, v21
	v_and_b32_e32 v28, 0xffff, v28
	v_mul_lo_u32 v30, v40, v27
	v_cvt_f32_ubyte1_e32 v15, v15
	v_cvt_f32_ubyte1_e32 v26, v26
	v_fma_mix_f32 v35, v9, v31, 0 op_sel:[1,0,0] op_sel_hi:[1,0,0]
	v_mul_lo_u32 v29, v29, v28
	v_fma_mix_f32 v36, v9, v32, 0 op_sel:[1,0,0] op_sel_hi:[1,0,0]
	v_mul_lo_u32 v40, v212, v23
	v_mul_lo_u32 v42, v210, v28
	v_cvt_f32_i32_e32 v30, v30
	v_fma_mix_f32 v35, v10, v21, v35 op_sel:[1,0,0] op_sel_hi:[1,0,0]
	v_fma_mix_f32 v36, v10, v15, v36 op_sel:[1,0,0] op_sel_hi:[1,0,0]
	v_mul_lo_u32 v3, v3, v27
	v_cvt_f32_i32_e32 v29, v29
	v_fma_mix_f32 v30, v9, v30, 0 op_sel_hi:[1,0,0]
	v_cvt_f32_i32_e32 v40, v40
	v_cvt_f32_i32_e32 v42, v42
	v_mul_lo_u32 v52, v227, v28
	v_mul_lo_u32 v60, v230, v28
	v_fma_mix_f32 v29, v10, v29, v30 op_sel_hi:[1,0,0]
	v_cvt_f32_ubyte0_e32 v30, v12
	v_cvt_f32_ubyte1_e32 v12, v12
	v_cvt_f32_i32_e32 v3, v3
	v_mul_lo_u32 v73, v232, v28
	v_mul_lo_u32 v81, v218, v28
	v_fma_mix_f32 v34, v30, v9, 0 op_sel:[0,1,0] op_sel_hi:[0,1,0]
	v_fma_mix_f32 v9, v9, v33, 0 op_sel:[1,0,0] op_sel_hi:[1,0,0]
	v_cvt_f32_i32_e32 v52, v52
	v_cvt_f32_i32_e32 v60, v60
	v_mul_lo_u32 v25, v115, v27
	v_fma_mix_f32 v34, v12, v10, v34 op_sel:[0,1,0] op_sel_hi:[0,1,0]
	v_fma_mix_f32 v37, v10, v26, v9 op_sel:[1,0,0] op_sel_hi:[1,0,0]
	v_mul_lo_u32 v10, v209, v13
	v_lshrrev_b32_e32 v9, 1, v199
	v_cvt_f32_i32_e32 v73, v73
	v_cvt_f32_i32_e32 v81, v81
	s_delay_alu instid0(VALU_DEP_4)
	v_cvt_f32_i32_e32 v39, v10
	ds_load_b64 v[9:10], v9 offset:43584
	s_wait_dscnt 0x0
	v_fma_mix_f32 v39, v9, v39, 0 op_sel_hi:[1,0,0]
	v_fma_mix_f32 v43, v31, v9, 0 op_sel:[0,1,0] op_sel_hi:[0,1,0]
	v_fma_mix_f32 v44, v32, v9, 0 op_sel:[0,1,0] op_sel_hi:[0,1,0]
	s_delay_alu instid0(VALU_DEP_3) | instskip(SKIP_1) | instid1(VALU_DEP_4)
	v_fma_mix_f32 v38, v10, v38, v39 op_sel_hi:[1,0,0]
	v_mul_lo_u32 v39, v208, v22
	v_fma_mix_f32 v43, v21, v10, v43 op_sel:[0,1,0] op_sel_hi:[0,1,0]
	s_delay_alu instid0(VALU_DEP_4) | instskip(NEXT) | instid1(VALU_DEP_3)
	v_fma_mix_f32 v44, v15, v10, v44 op_sel:[0,1,0] op_sel_hi:[0,1,0]
	v_cvt_f32_i32_e32 v39, v39
	s_delay_alu instid0(VALU_DEP_1) | instskip(NEXT) | instid1(VALU_DEP_1)
	v_fma_mix_f32 v39, v9, v39, 0 op_sel_hi:[1,0,0]
	v_fma_mix_f32 v39, v10, v40, v39 op_sel_hi:[1,0,0]
	v_mul_lo_u32 v40, v207, v24
	s_delay_alu instid0(VALU_DEP_1) | instskip(NEXT) | instid1(VALU_DEP_1)
	v_cvt_f32_i32_e32 v40, v40
	v_fma_mix_f32 v40, v9, v40, 0 op_sel_hi:[1,0,0]
	s_delay_alu instid0(VALU_DEP_1) | instskip(SKIP_1) | instid1(VALU_DEP_1)
	v_fma_mix_f32 v40, v10, v41, v40 op_sel_hi:[1,0,0]
	v_mul_lo_u32 v41, v206, v27
	v_cvt_f32_i32_e32 v41, v41
	s_delay_alu instid0(VALU_DEP_1) | instskip(NEXT) | instid1(VALU_DEP_1)
	v_fma_mix_f32 v41, v9, v41, 0 op_sel_hi:[1,0,0]
	v_fma_mix_f32 v41, v10, v42, v41 op_sel_hi:[1,0,0]
	v_fma_mix_f32 v42, v30, v9, 0 op_sel:[0,1,0] op_sel_hi:[0,1,0]
	v_fma_mix_f32 v9, v33, v9, 0 op_sel:[0,1,0] op_sel_hi:[0,1,0]
	s_delay_alu instid0(VALU_DEP_2) | instskip(NEXT) | instid1(VALU_DEP_2)
	v_fma_mix_f32 v42, v12, v10, v42 op_sel:[0,1,0] op_sel_hi:[0,1,0]
	v_fma_mix_f32 v45, v26, v10, v9 op_sel:[0,1,0] op_sel_hi:[0,1,0]
	v_mul_lo_u32 v10, v118, v13
	v_lshrrev_b32_e32 v9, 1, v200
	s_delay_alu instid0(VALU_DEP_2)
	v_cvt_f32_i32_e32 v47, v10
	ds_load_b64 v[9:10], v9 offset:43584
	s_wait_dscnt 0x0
	v_fma_mix_f32 v47, v9, v47, 0 op_sel_hi:[1,0,0]
	v_fma_mix_f32 v4, v9, v4, 0 op_sel_hi:[1,0,0]
	v_fma_mix_f32 v3, v9, v3, 0 op_sel_hi:[1,0,0]
	s_delay_alu instid0(VALU_DEP_3) | instskip(SKIP_2) | instid1(VALU_DEP_2)
	v_fma_mix_f32 v46, v10, v46, v47 op_sel_hi:[1,0,0]
	v_mul_lo_u32 v47, v120, v23
	v_mul_lo_u32 v23, v111, v23
	v_cvt_f32_i32_e32 v47, v47
	s_delay_alu instid0(VALU_DEP_1) | instskip(SKIP_1) | instid1(VALU_DEP_1)
	v_fma_mix_f32 v47, v10, v47, v4 op_sel_hi:[1,0,0]
	v_mul_lo_u32 v4, v116, v24
	v_cvt_f32_i32_e32 v4, v4
	s_delay_alu instid0(VALU_DEP_1) | instskip(NEXT) | instid1(VALU_DEP_1)
	v_fma_mix_f32 v4, v9, v4, 0 op_sel_hi:[1,0,0]
	v_fma_mix_f32 v48, v10, v48, v4 op_sel_hi:[1,0,0]
	v_mul_lo_u32 v4, v5, v28
	s_delay_alu instid0(VALU_DEP_1) | instskip(NEXT) | instid1(VALU_DEP_1)
	v_cvt_f32_i32_e32 v4, v4
	v_fma_mix_f32 v5, v10, v4, v3 op_sel_hi:[1,0,0]
	v_fma_mix_f32 v3, v30, v9, 0 op_sel:[0,1,0] op_sel_hi:[0,1,0]
	v_mul_lo_u32 v4, v224, v13
	s_delay_alu instid0(VALU_DEP_2) | instskip(SKIP_1) | instid1(VALU_DEP_1)
	v_fma_mix_f32 v49, v12, v10, v3 op_sel:[0,1,0] op_sel_hi:[0,1,0]
	v_fma_mix_f32 v3, v31, v9, 0 op_sel:[0,1,0] op_sel_hi:[0,1,0]
	;; [unrolled: 1-line block ×4, first 2 shown]
	s_delay_alu instid0(VALU_DEP_1) | instskip(SKIP_1) | instid1(VALU_DEP_1)
	v_fma_mix_f32 v51, v15, v10, v3 op_sel:[0,1,0] op_sel_hi:[0,1,0]
	v_fma_mix_f32 v3, v33, v9, 0 op_sel:[0,1,0] op_sel_hi:[0,1,0]
	;; [unrolled: 1-line block ×3, first 2 shown]
	v_lshrrev_b32_e32 v3, 1, v201
	v_cvt_f32_i32_e32 v10, v4
	s_delay_alu instid0(VALU_DEP_3)
	v_mul_f32_e32 v9, v9, v198
	ds_load_b64 v[3:4], v3 offset:43584
	v_fma_f32 v5, v5, v197, -v9
	s_wait_dscnt 0x0
	v_fma_mix_f32 v10, v3, v10, 0 op_sel_hi:[1,0,0]
	v_fma_mix_f32 v53, v31, v3, 0 op_sel:[0,1,0] op_sel_hi:[0,1,0]
	v_fma_mix_f32 v54, v32, v3, 0 op_sel:[0,1,0] op_sel_hi:[0,1,0]
	s_delay_alu instid0(VALU_DEP_3) | instskip(SKIP_1) | instid1(VALU_DEP_4)
	v_fma_mix_f32 v8, v4, v8, v10 op_sel_hi:[1,0,0]
	v_mul_lo_u32 v10, v221, v22
	v_fma_mix_f32 v53, v21, v4, v53 op_sel:[0,1,0] op_sel_hi:[0,1,0]
	s_delay_alu instid0(VALU_DEP_4) | instskip(NEXT) | instid1(VALU_DEP_3)
	v_fma_mix_f32 v54, v15, v4, v54 op_sel:[0,1,0] op_sel_hi:[0,1,0]
	v_cvt_f32_i32_e32 v10, v10
	s_delay_alu instid0(VALU_DEP_1) | instskip(NEXT) | instid1(VALU_DEP_1)
	v_fma_mix_f32 v10, v3, v10, 0 op_sel_hi:[1,0,0]
	v_fma_mix_f32 v7, v4, v7, v10 op_sel_hi:[1,0,0]
	v_mul_lo_u32 v10, v219, v24
	s_delay_alu instid0(VALU_DEP_1) | instskip(NEXT) | instid1(VALU_DEP_1)
	v_cvt_f32_i32_e32 v10, v10
	v_fma_mix_f32 v10, v3, v10, 0 op_sel_hi:[1,0,0]
	s_delay_alu instid0(VALU_DEP_1) | instskip(SKIP_1) | instid1(VALU_DEP_1)
	v_fma_mix_f32 v6, v4, v6, v10 op_sel_hi:[1,0,0]
	v_mul_lo_u32 v10, v214, v27
	v_cvt_f32_i32_e32 v10, v10
	s_delay_alu instid0(VALU_DEP_1) | instskip(NEXT) | instid1(VALU_DEP_1)
	v_fma_mix_f32 v10, v3, v10, 0 op_sel_hi:[1,0,0]
	v_fma_mix_f32 v10, v4, v52, v10 op_sel_hi:[1,0,0]
	v_fma_mix_f32 v52, v30, v3, 0 op_sel:[0,1,0] op_sel_hi:[0,1,0]
	v_fma_mix_f32 v3, v33, v3, 0 op_sel:[0,1,0] op_sel_hi:[0,1,0]
	s_delay_alu instid0(VALU_DEP_2) | instskip(NEXT) | instid1(VALU_DEP_2)
	v_fma_mix_f32 v52, v12, v4, v52 op_sel:[0,1,0] op_sel_hi:[0,1,0]
	v_fma_mix_f32 v55, v26, v4, v3 op_sel:[0,1,0] op_sel_hi:[0,1,0]
	v_mul_lo_u32 v4, v228, v13
	v_lshrrev_b32_e32 v3, 1, v202
	s_delay_alu instid0(VALU_DEP_4)
	v_mul_f32_e32 v9, v52, v191
	v_mul_lo_u32 v56, v123, v20
	v_mul_lo_u32 v69, v241, v20
	;; [unrolled: 1-line block ×4, first 2 shown]
	v_cvt_f32_i32_e32 v57, v4
	ds_load_b64 v[3:4], v3 offset:43584
	v_fma_f32 v8, v8, v192, -v9
	v_mul_f32_e32 v9, v53, v194
	v_cvt_f32_i32_e32 v56, v56
	v_cvt_f32_i32_e32 v69, v69
	;; [unrolled: 1-line block ×4, first 2 shown]
	v_fma_f32 v7, v7, v193, -v9
	v_mul_f32_e32 v9, v54, v196
	s_delay_alu instid0(VALU_DEP_1) | instskip(SKIP_1) | instid1(VALU_DEP_2)
	v_fma_f32 v6, v6, v195, -v9
	v_mul_f32_e32 v9, v55, v198
	v_add_f32_e32 v110, v110, v6
	s_delay_alu instid0(VALU_DEP_2)
	v_fma_f32 v9, v10, v197, -v9
	s_wait_dscnt 0x0
	v_fma_mix_f32 v57, v3, v57, 0 op_sel_hi:[1,0,0]
	v_fma_mix_f32 v61, v31, v3, 0 op_sel:[0,1,0] op_sel_hi:[0,1,0]
	v_fma_mix_f32 v67, v32, v3, 0 op_sel:[0,1,0] op_sel_hi:[0,1,0]
	v_add_f32_e32 v104, v104, v9
	s_delay_alu instid0(VALU_DEP_4) | instskip(SKIP_3) | instid1(VALU_DEP_3)
	v_fma_mix_f32 v56, v4, v56, v57 op_sel_hi:[1,0,0]
	v_mul_lo_u32 v57, v223, v22
	v_fma_mix_f32 v61, v21, v4, v61 op_sel:[0,1,0] op_sel_hi:[0,1,0]
	v_fma_mix_f32 v67, v15, v4, v67 op_sel:[0,1,0] op_sel_hi:[0,1,0]
	v_cvt_f32_i32_e32 v57, v57
	s_delay_alu instid0(VALU_DEP_1) | instskip(NEXT) | instid1(VALU_DEP_1)
	v_fma_mix_f32 v57, v3, v57, 0 op_sel_hi:[1,0,0]
	v_fma_mix_f32 v57, v4, v58, v57 op_sel_hi:[1,0,0]
	v_mul_lo_u32 v58, v220, v24
	s_delay_alu instid0(VALU_DEP_1) | instskip(NEXT) | instid1(VALU_DEP_1)
	v_cvt_f32_i32_e32 v58, v58
	v_fma_mix_f32 v58, v3, v58, 0 op_sel_hi:[1,0,0]
	s_delay_alu instid0(VALU_DEP_1) | instskip(SKIP_1) | instid1(VALU_DEP_1)
	v_fma_mix_f32 v58, v4, v59, v58 op_sel_hi:[1,0,0]
	v_mul_lo_u32 v59, v215, v27
	v_cvt_f32_i32_e32 v59, v59
	s_delay_alu instid0(VALU_DEP_1) | instskip(NEXT) | instid1(VALU_DEP_1)
	v_fma_mix_f32 v59, v3, v59, 0 op_sel_hi:[1,0,0]
	v_fma_mix_f32 v59, v4, v60, v59 op_sel_hi:[1,0,0]
	v_fma_mix_f32 v60, v30, v3, 0 op_sel:[0,1,0] op_sel_hi:[0,1,0]
	v_fma_mix_f32 v3, v33, v3, 0 op_sel:[0,1,0] op_sel_hi:[0,1,0]
	s_delay_alu instid0(VALU_DEP_2) | instskip(NEXT) | instid1(VALU_DEP_2)
	v_fma_mix_f32 v60, v12, v4, v60 op_sel:[0,1,0] op_sel_hi:[0,1,0]
	v_fma_mix_f32 v68, v26, v4, v3 op_sel:[0,1,0] op_sel_hi:[0,1,0]
	v_mul_lo_u32 v4, v231, v13
	v_lshrrev_b32_e32 v3, 1, v203
	s_delay_alu instid0(VALU_DEP_4) | instskip(NEXT) | instid1(VALU_DEP_3)
	v_mul_f32_e32 v10, v60, v191
	v_cvt_f32_i32_e32 v70, v4
	ds_load_b64 v[3:4], v3 offset:43584
	v_fma_f32 v10, v56, v192, -v10
	s_delay_alu instid0(VALU_DEP_1) | instskip(SKIP_4) | instid1(VALU_DEP_3)
	v_add_f32_e32 v102, v102, v10
	s_wait_dscnt 0x0
	v_fma_mix_f32 v70, v3, v70, 0 op_sel_hi:[1,0,0]
	v_fma_mix_f32 v74, v31, v3, 0 op_sel:[0,1,0] op_sel_hi:[0,1,0]
	v_fma_mix_f32 v75, v32, v3, 0 op_sel:[0,1,0] op_sel_hi:[0,1,0]
	v_fma_mix_f32 v69, v4, v69, v70 op_sel_hi:[1,0,0]
	v_mul_lo_u32 v70, v226, v22
	s_delay_alu instid0(VALU_DEP_4) | instskip(NEXT) | instid1(VALU_DEP_4)
	v_fma_mix_f32 v74, v21, v4, v74 op_sel:[0,1,0] op_sel_hi:[0,1,0]
	v_fma_mix_f32 v75, v15, v4, v75 op_sel:[0,1,0] op_sel_hi:[0,1,0]
	s_delay_alu instid0(VALU_DEP_3) | instskip(NEXT) | instid1(VALU_DEP_1)
	v_cvt_f32_i32_e32 v70, v70
	v_fma_mix_f32 v70, v3, v70, 0 op_sel_hi:[1,0,0]
	s_delay_alu instid0(VALU_DEP_1) | instskip(SKIP_1) | instid1(VALU_DEP_1)
	v_fma_mix_f32 v70, v4, v71, v70 op_sel_hi:[1,0,0]
	v_mul_lo_u32 v71, v222, v24
	v_cvt_f32_i32_e32 v71, v71
	s_delay_alu instid0(VALU_DEP_1) | instskip(NEXT) | instid1(VALU_DEP_1)
	v_fma_mix_f32 v71, v3, v71, 0 op_sel_hi:[1,0,0]
	v_fma_mix_f32 v71, v4, v72, v71 op_sel_hi:[1,0,0]
	v_mul_lo_u32 v72, v216, v27
	s_delay_alu instid0(VALU_DEP_1) | instskip(NEXT) | instid1(VALU_DEP_1)
	v_cvt_f32_i32_e32 v72, v72
	v_fma_mix_f32 v72, v3, v72, 0 op_sel_hi:[1,0,0]
	s_delay_alu instid0(VALU_DEP_1) | instskip(SKIP_2) | instid1(VALU_DEP_2)
	v_fma_mix_f32 v72, v4, v73, v72 op_sel_hi:[1,0,0]
	v_fma_mix_f32 v73, v30, v3, 0 op_sel:[0,1,0] op_sel_hi:[0,1,0]
	v_fma_mix_f32 v3, v33, v3, 0 op_sel:[0,1,0] op_sel_hi:[0,1,0]
	;; [unrolled: 1-line block ×3, first 2 shown]
	s_delay_alu instid0(VALU_DEP_2) | instskip(SKIP_2) | instid1(VALU_DEP_2)
	v_fma_mix_f32 v76, v26, v4, v3 op_sel:[0,1,0] op_sel_hi:[0,1,0]
	v_mul_lo_u32 v4, v233, v13
	v_lshrrev_b32_e32 v3, 1, v204
	v_cvt_f32_i32_e32 v78, v4
	ds_load_b64 v[3:4], v3 offset:43584
	s_wait_dscnt 0x0
	v_fma_mix_f32 v78, v3, v78, 0 op_sel_hi:[1,0,0]
	v_fma_mix_f32 v82, v31, v3, 0 op_sel:[0,1,0] op_sel_hi:[0,1,0]
	v_fma_mix_f32 v83, v32, v3, 0 op_sel:[0,1,0] op_sel_hi:[0,1,0]
	s_delay_alu instid0(VALU_DEP_3) | instskip(SKIP_1) | instid1(VALU_DEP_4)
	v_fma_mix_f32 v77, v4, v77, v78 op_sel_hi:[1,0,0]
	v_mul_lo_u32 v78, v229, v22
	v_fma_mix_f32 v82, v21, v4, v82 op_sel:[0,1,0] op_sel_hi:[0,1,0]
	s_delay_alu instid0(VALU_DEP_4) | instskip(SKIP_1) | instid1(VALU_DEP_4)
	v_fma_mix_f32 v83, v15, v4, v83 op_sel:[0,1,0] op_sel_hi:[0,1,0]
	v_mul_lo_u32 v22, v95, v22
	v_cvt_f32_i32_e32 v78, v78
	s_delay_alu instid0(VALU_DEP_1) | instskip(NEXT) | instid1(VALU_DEP_1)
	v_fma_mix_f32 v78, v3, v78, 0 op_sel_hi:[1,0,0]
	v_fma_mix_f32 v78, v4, v79, v78 op_sel_hi:[1,0,0]
	v_mul_lo_u32 v79, v225, v24
	v_mul_lo_u32 v24, v112, v24
	s_delay_alu instid0(VALU_DEP_2) | instskip(NEXT) | instid1(VALU_DEP_1)
	v_cvt_f32_i32_e32 v79, v79
	v_fma_mix_f32 v79, v3, v79, 0 op_sel_hi:[1,0,0]
	s_delay_alu instid0(VALU_DEP_1) | instskip(SKIP_2) | instid1(VALU_DEP_1)
	v_fma_mix_f32 v79, v4, v80, v79 op_sel_hi:[1,0,0]
	v_mul_lo_u32 v80, v217, v27
	v_mul_f32_e32 v27, v51, v196
	v_fma_f32 v27, v48, v195, -v27
	s_delay_alu instid0(VALU_DEP_3) | instskip(NEXT) | instid1(VALU_DEP_1)
	v_cvt_f32_i32_e32 v80, v80
	v_fma_mix_f32 v80, v3, v80, 0 op_sel_hi:[1,0,0]
	s_delay_alu instid0(VALU_DEP_1) | instskip(SKIP_2) | instid1(VALU_DEP_2)
	v_fma_mix_f32 v80, v4, v81, v80 op_sel_hi:[1,0,0]
	v_fma_mix_f32 v81, v30, v3, 0 op_sel:[0,1,0] op_sel_hi:[0,1,0]
	v_fma_mix_f32 v3, v33, v3, 0 op_sel:[0,1,0] op_sel_hi:[0,1,0]
	;; [unrolled: 1-line block ×3, first 2 shown]
	s_delay_alu instid0(VALU_DEP_2) | instskip(SKIP_4) | instid1(VALU_DEP_1)
	v_fma_mix_f32 v116, v26, v4, v3 op_sel:[0,1,0] op_sel_hi:[0,1,0]
	v_lshrrev_b32_e32 v3, 1, v205
	ds_load_b64 v[3:4], v3 offset:43584
	s_wait_dscnt 0x0
	v_fma_mix_f32 v30, v30, v3, 0 op_sel:[0,1,0] op_sel_hi:[0,1,0]
	v_fma_mix_f32 v12, v12, v4, v30 op_sel:[0,1,0] op_sel_hi:[0,1,0]
	;; [unrolled: 1-line block ×3, first 2 shown]
	v_mul_f32_e32 v31, v73, v191
	v_mul_lo_u32 v1, v1, v28
	v_mul_f32_e32 v28, v61, v194
	v_mul_f32_e32 v12, v12, v191
	v_fma_mix_f32 v21, v21, v4, v30 op_sel:[0,1,0] op_sel_hi:[0,1,0]
	v_fma_mix_f32 v30, v32, v3, 0 op_sel:[0,1,0] op_sel_hi:[0,1,0]
	v_mul_f32_e32 v32, v74, v194
	v_mul_lo_u32 v13, v94, v13
	v_fma_f32 v28, v57, v193, -v28
	v_cvt_f32_i32_e32 v1, v1
	v_fma_mix_f32 v15, v15, v4, v30 op_sel:[0,1,0] op_sel_hi:[0,1,0]
	v_fma_mix_f32 v30, v33, v3, 0 op_sel:[0,1,0] op_sel_hi:[0,1,0]
	v_fma_f32 v31, v69, v192, -v31
	v_fma_f32 v32, v70, v193, -v32
	v_cvt_f32_i32_e32 v13, v13
	s_delay_alu instid0(VALU_DEP_4) | instskip(NEXT) | instid1(VALU_DEP_4)
	v_fma_mix_f32 v26, v26, v4, v30 op_sel:[0,1,0] op_sel_hi:[0,1,0]
	v_dual_mul_f32 v30, v68, v198 :: v_dual_add_f32 v97, v97, v31
	s_delay_alu instid0(VALU_DEP_4) | instskip(NEXT) | instid1(VALU_DEP_4)
	v_add_f32_e32 v96, v96, v32
	v_fma_mix_f32 v13, v3, v13, 0 op_sel_hi:[1,0,0]
	s_delay_alu instid0(VALU_DEP_3) | instskip(NEXT) | instid1(VALU_DEP_2)
	v_fma_f32 v30, v59, v197, -v30
	v_fma_mix_f32 v13, v4, v20, v13 op_sel_hi:[1,0,0]
	v_cvt_f32_i32_e32 v20, v22
	v_cvt_f32_i32_e32 v22, v23
	v_mul_f32_e32 v23, v45, v198
	v_add_f32_e32 v99, v99, v30
	v_fma_f32 v12, v13, v192, -v12
	v_fma_mix_f32 v20, v3, v20, 0 op_sel_hi:[1,0,0]
	s_delay_alu instid0(VALU_DEP_4) | instskip(NEXT) | instid1(VALU_DEP_3)
	v_fma_f32 v23, v41, v197, -v23
	v_add_f32_e32 v87, v87, v12
	s_delay_alu instid0(VALU_DEP_3) | instskip(SKIP_3) | instid1(VALU_DEP_3)
	v_fma_mix_f32 v20, v4, v22, v20 op_sel_hi:[1,0,0]
	v_cvt_f32_i32_e32 v22, v24
	v_mul_f32_e32 v24, v49, v191
	v_add_f32_e32 v128, v128, v23
	v_fma_mix_f32 v22, v3, v22, 0 op_sel_hi:[1,0,0]
	s_delay_alu instid0(VALU_DEP_3) | instskip(NEXT) | instid1(VALU_DEP_2)
	v_fma_f32 v24, v46, v192, -v24
	v_fma_mix_f32 v2, v4, v2, v22 op_sel_hi:[1,0,0]
	v_cvt_f32_i32_e32 v22, v25
	v_mul_f32_e32 v25, v50, v194
	s_delay_alu instid0(VALU_DEP_4) | instskip(NEXT) | instid1(VALU_DEP_3)
	v_add_f32_e32 v127, v127, v24
	v_fma_mix_f32 v3, v3, v22, 0 op_sel_hi:[1,0,0]
	s_delay_alu instid0(VALU_DEP_3) | instskip(SKIP_2) | instid1(VALU_DEP_4)
	v_fma_f32 v25, v47, v193, -v25
	v_mul_f32_e32 v15, v15, v196
	v_mul_f32_e32 v22, v44, v196
	v_fma_mix_f32 v1, v4, v1, v3 op_sel_hi:[1,0,0]
	v_dual_mul_f32 v3, v34, v191 :: v_dual_mul_f32 v4, v36, v196
	v_mul_f32_e32 v34, v76, v198
	v_mul_f32_e32 v36, v82, v194
	v_add_f32_e32 v126, v126, v25
	s_delay_alu instid0(VALU_DEP_4) | instskip(SKIP_3) | instid1(VALU_DEP_4)
	v_fma_f32 v3, v11, v192, -v3
	v_fma_f32 v4, v16, v195, -v4
	v_mul_f32_e32 v11, v37, v198
	v_mul_f32_e32 v16, v43, v194
	v_dual_mul_f32 v37, v83, v196 :: v_dual_add_f32 v98, v98, v3
	v_mul_f32_e32 v3, v35, v194
	s_delay_alu instid0(VALU_DEP_4) | instskip(NEXT) | instid1(VALU_DEP_4)
	v_fma_f32 v11, v29, v197, -v11
	v_fma_f32 v16, v39, v193, -v16
	v_mul_f32_e32 v29, v67, v196
	v_mul_f32_e32 v33, v75, v196
	v_fma_f32 v3, v14, v193, -v3
	v_mul_f32_e32 v14, v42, v191
	v_dual_mul_f32 v35, v81, v191 :: v_dual_add_f32 v138, v138, v4
	v_dual_mul_f32 v13, v21, v194 :: v_dual_add_f32 v130, v130, v16
	s_delay_alu instid0(VALU_DEP_3)
	v_fma_f32 v14, v38, v192, -v14
	v_mul_f32_e32 v38, v116, v198
	v_fma_f32 v2, v2, v195, -v15
	v_mul_f32_e32 v15, v26, v198
	v_fma_f32 v22, v40, v195, -v22
	v_fma_f32 v29, v58, v195, -v29
	;; [unrolled: 1-line block ×9, first 2 shown]
	v_add_f32_e32 v134, v134, v11
	v_fma_f32 v33, v71, v195, -v33
	v_add_f32_e32 v141, v141, v3
	v_dual_add_f32 v131, v131, v14 :: v_dual_add_f32 v100, v100, v29
	v_add_f32_e32 v129, v129, v22
	v_dual_add_f32 v125, v125, v27 :: v_dual_add_f32 v92, v92, v34
	v_dual_add_f32 v121, v121, v5 :: v_dual_add_f32 v90, v90, v36
	;; [unrolled: 1-line block ×5, first 2 shown]
	v_add_f32_e32 v93, v93, v33
	v_add_f32_e32 v91, v91, v35
	;; [unrolled: 1-line block ×4, first 2 shown]
	s_cbranch_vccnz .LBB134_6
; %bb.7:                                ;   in Loop: Header=BB134_5 Depth=1
	v_add_nc_u32_e32 v11, s7, v157
	v_add_nc_u32_e32 v15, 4, v190
	s_wait_loadcnt 0x0
	s_barrier_signal -1
	s_barrier_wait -1
	v_add_nc_u32_e32 v12, v11, v156
	v_add_nc_u32_e32 v1, v11, v103
	;; [unrolled: 1-line block ×8, first 2 shown]
	v_mad_co_i64_i32 v[11:12], null, v12, 36, v[18:19]
	v_mad_co_i64_i32 v[1:2], null, v1, 36, v[18:19]
	;; [unrolled: 1-line block ×8, first 2 shown]
	global_inv scope:SCOPE_SE
	v_mad_co_u64_u32 v[24:25], null, v15, 36, s[2:3]
	s_clause 0x8
	global_load_b32 v11, v[11:12], off offset:4
	global_load_b32 v1, v[1:2], off offset:4
	;; [unrolled: 1-line block ×8, first 2 shown]
	global_load_b32 v8, v[24:25], off
	s_mov_b32 s7, 16
	s_wait_loadcnt 0x8
	ds_store_b32 v189, v11
	s_wait_loadcnt 0x7
	ds_store_b32 v182, v1
	;; [unrolled: 2-line block ×9, first 2 shown]
	s_wait_dscnt 0x0
	s_barrier_signal -1
	s_barrier_wait -1
	global_inv scope:SCOPE_SE
	ds_load_b32 v1, v160
	ds_load_b32 v2, v161 offset:128
	ds_load_b32 v3, v162 offset:256
	ds_load_b32 v4, v163 offset:384
	s_wait_dscnt 0x3
	v_lshrrev_b32_e32 v5, 16, v1
	v_cvt_f32_f16_e32 v67, v1
	s_wait_dscnt 0x2
	v_cvt_f32_f16_e32 v68, v2
	v_lshrrev_b32_e32 v1, 16, v2
	s_wait_dscnt 0x1
	v_cvt_f32_f16_e32 v69, v3
	v_lshrrev_b32_e32 v2, 16, v3
	s_wait_dscnt 0x0
	v_lshrrev_b32_e32 v3, 16, v4
	v_cvt_f32_f16_e32 v70, v4
	v_cvt_f32_f16_e32 v71, v5
	;; [unrolled: 1-line block ×5, first 2 shown]
.LBB134_8:                              ;   Parent Loop BB134_5 Depth=1
                                        ; =>  This Inner Loop Header: Depth=2
	s_wait_alu 0xfffe
	s_lshl_b32 s10, s7, 1
	s_lshl_b32 s11, s7, 3
	s_wait_alu 0xfffe
	s_and_b32 s10, s10, 16
	v_add_nc_u32_e32 v76, s11, v171
	s_wait_alu 0xfffe
	v_or_b32_e32 v75, s10, v164
	v_add_nc_u32_e32 v190, s11, v173
	v_add_nc_u32_e32 v191, s11, v175
	;; [unrolled: 1-line block ×3, first 2 shown]
	v_or_b32_e32 v77, s10, v165
	v_lshlrev_b32_e32 v83, 2, v75
	v_or_b32_e32 v78, s10, v166
	v_or_b32_e32 v79, s10, v167
	;; [unrolled: 1-line block ×3, first 2 shown]
	ds_load_2addr_b32 v[20:21], v76 offset1:1
	ds_load_b128 v[1:4], v83 offset:33280
	ds_load_2addr_b32 v[28:29], v190 offset1:1
	ds_load_2addr_b32 v[30:31], v191 offset1:1
	ds_load_2addr_b32 v[34:35], v190 offset0:2 offset1:3
	ds_load_2addr_b32 v[26:27], v76 offset0:2 offset1:3
	ds_load_2addr_b32 v[32:33], v192 offset1:1
	ds_load_2addr_b32 v[38:39], v192 offset0:2 offset1:3
	ds_load_2addr_b32 v[36:37], v191 offset0:2 offset1:3
	v_lshlrev_b32_e32 v193, 2, v77
	v_lshlrev_b32_e32 v194, 2, v78
	;; [unrolled: 1-line block ×4, first 2 shown]
	v_or_b32_e32 v81, s10, v169
	v_or_b32_e32 v82, s10, v170
	s_delay_alu instid0(VALU_DEP_2) | instskip(NEXT) | instid1(VALU_DEP_2)
	v_lshlrev_b32_e32 v197, 2, v81
	v_lshlrev_b32_e32 v238, 2, v82
	s_wait_dscnt 0x7
	v_dot4_i32_iu8 v5, v20, v1, 0 neg_lo:[1,1,0]
	s_wait_dscnt 0x6
	v_dot4_i32_iu8 v6, v1, v28, 0 neg_lo:[1,1,0]
	;; [unrolled: 2-line block ×4, first 2 shown]
	v_dot4_i32_iu8 v5, v21, v2, v5 neg_lo:[1,1,0]
	v_dot4_i32_iu8 v6, v2, v29, v6 neg_lo:[1,1,0]
	;; [unrolled: 1-line block ×3, first 2 shown]
	s_delay_alu instid0(VALU_DEP_4) | instskip(NEXT) | instid1(VALU_DEP_4)
	v_dot4_i32_iu8 v1, v2, v33, v1 neg_lo:[1,1,0]
	v_dot4_i32_iu8 v2, v26, v3, v5 neg_lo:[1,1,0]
	s_delay_alu instid0(VALU_DEP_4)
	v_dot4_i32_iu8 v5, v3, v34, v6 neg_lo:[1,1,0]
	s_wait_dscnt 0x0
	v_dot4_i32_iu8 v6, v3, v36, v7 neg_lo:[1,1,0]
	v_dot4_i32_iu8 v7, v3, v38, v1 neg_lo:[1,1,0]
	;; [unrolled: 1-line block ×4, first 2 shown]
	s_delay_alu instid0(VALU_DEP_4) | instskip(NEXT) | instid1(VALU_DEP_4)
	v_dot4_i32_iu8 v1, v4, v37, v6 neg_lo:[1,1,0]
	v_dot4_i32_iu8 v58, v4, v39, v7 neg_lo:[1,1,0]
	ds_load_2addr_b32 v[22:23], v76 offset0:8 offset1:9
	ds_load_b128 v[4:7], v83 offset:33312
	ds_load_2addr_b32 v[40:41], v190 offset0:8 offset1:9
	ds_load_2addr_b32 v[42:43], v191 offset0:8 offset1:9
	;; [unrolled: 1-line block ×7, first 2 shown]
	s_wait_dscnt 0x7
	v_dot4_i32_iu8 v8, v22, v4, 0 neg_lo:[1,1,0]
	s_wait_dscnt 0x6
	v_dot4_i32_iu8 v9, v4, v40, 0 neg_lo:[1,1,0]
	;; [unrolled: 2-line block ×4, first 2 shown]
	v_dot4_i32_iu8 v8, v23, v5, v8 neg_lo:[1,1,0]
	v_dot4_i32_iu8 v9, v5, v41, v9 neg_lo:[1,1,0]
	;; [unrolled: 1-line block ×3, first 2 shown]
	s_delay_alu instid0(VALU_DEP_4) | instskip(NEXT) | instid1(VALU_DEP_4)
	v_dot4_i32_iu8 v4, v5, v45, v4 neg_lo:[1,1,0]
	v_dot4_i32_iu8 v5, v24, v6, v8 neg_lo:[1,1,0]
	s_delay_alu instid0(VALU_DEP_4)
	v_dot4_i32_iu8 v8, v6, v46, v9 neg_lo:[1,1,0]
	s_wait_dscnt 0x0
	v_dot4_i32_iu8 v9, v6, v48, v10 neg_lo:[1,1,0]
	v_dot4_i32_iu8 v4, v6, v50, v4 neg_lo:[1,1,0]
	;; [unrolled: 1-line block ×4, first 2 shown]
	s_delay_alu instid0(VALU_DEP_4) | instskip(NEXT) | instid1(VALU_DEP_4)
	v_dot4_i32_iu8 v199, v7, v49, v9 neg_lo:[1,1,0]
	v_dot4_i32_iu8 v198, v7, v51, v4 neg_lo:[1,1,0]
	ds_load_b128 v[4:7], v193 offset:33280
	s_wait_dscnt 0x0
	v_dot4_i32_iu8 v8, v20, v4, 0 neg_lo:[1,1,0]
	v_dot4_i32_iu8 v9, v4, v28, 0 neg_lo:[1,1,0]
	v_dot4_i32_iu8 v10, v4, v30, 0 neg_lo:[1,1,0]
	v_dot4_i32_iu8 v4, v4, v32, 0 neg_lo:[1,1,0]
	s_delay_alu instid0(VALU_DEP_4) | instskip(NEXT) | instid1(VALU_DEP_4)
	v_dot4_i32_iu8 v8, v21, v5, v8 neg_lo:[1,1,0]
	v_dot4_i32_iu8 v9, v5, v29, v9 neg_lo:[1,1,0]
	s_delay_alu instid0(VALU_DEP_4) | instskip(NEXT) | instid1(VALU_DEP_4)
	v_dot4_i32_iu8 v10, v5, v31, v10 neg_lo:[1,1,0]
	v_dot4_i32_iu8 v4, v5, v33, v4 neg_lo:[1,1,0]
	s_delay_alu instid0(VALU_DEP_4) | instskip(NEXT) | instid1(VALU_DEP_4)
	v_dot4_i32_iu8 v5, v26, v6, v8 neg_lo:[1,1,0]
	v_dot4_i32_iu8 v8, v6, v34, v9 neg_lo:[1,1,0]
	s_delay_alu instid0(VALU_DEP_4) | instskip(NEXT) | instid1(VALU_DEP_4)
	v_dot4_i32_iu8 v9, v6, v36, v10 neg_lo:[1,1,0]
	v_dot4_i32_iu8 v4, v6, v38, v4 neg_lo:[1,1,0]
	s_delay_alu instid0(VALU_DEP_4) | instskip(NEXT) | instid1(VALU_DEP_4)
	v_dot4_i32_iu8 v201, v27, v7, v5 neg_lo:[1,1,0]
	v_dot4_i32_iu8 v202, v7, v35, v8 neg_lo:[1,1,0]
	s_delay_alu instid0(VALU_DEP_4) | instskip(NEXT) | instid1(VALU_DEP_4)
	v_dot4_i32_iu8 v203, v7, v37, v9 neg_lo:[1,1,0]
	v_dot4_i32_iu8 v204, v7, v39, v4 neg_lo:[1,1,0]
	ds_load_b128 v[4:7], v193 offset:33312
	s_wait_dscnt 0x0
	v_dot4_i32_iu8 v8, v22, v4, 0 neg_lo:[1,1,0]
	v_dot4_i32_iu8 v9, v4, v40, 0 neg_lo:[1,1,0]
	v_dot4_i32_iu8 v10, v4, v42, 0 neg_lo:[1,1,0]
	v_dot4_i32_iu8 v4, v4, v44, 0 neg_lo:[1,1,0]
	s_delay_alu instid0(VALU_DEP_4) | instskip(NEXT) | instid1(VALU_DEP_4)
	v_dot4_i32_iu8 v8, v23, v5, v8 neg_lo:[1,1,0]
	v_dot4_i32_iu8 v9, v5, v41, v9 neg_lo:[1,1,0]
	s_delay_alu instid0(VALU_DEP_4) | instskip(NEXT) | instid1(VALU_DEP_4)
	v_dot4_i32_iu8 v10, v5, v43, v10 neg_lo:[1,1,0]
	v_dot4_i32_iu8 v4, v5, v45, v4 neg_lo:[1,1,0]
	s_delay_alu instid0(VALU_DEP_4) | instskip(NEXT) | instid1(VALU_DEP_4)
	v_dot4_i32_iu8 v5, v24, v6, v8 neg_lo:[1,1,0]
	v_dot4_i32_iu8 v8, v6, v46, v9 neg_lo:[1,1,0]
	s_delay_alu instid0(VALU_DEP_4) | instskip(NEXT) | instid1(VALU_DEP_4)
	v_dot4_i32_iu8 v9, v6, v48, v10 neg_lo:[1,1,0]
	v_dot4_i32_iu8 v4, v6, v50, v4 neg_lo:[1,1,0]
	s_delay_alu instid0(VALU_DEP_4) | instskip(NEXT) | instid1(VALU_DEP_4)
	v_dot4_i32_iu8 v206, v25, v7, v5 neg_lo:[1,1,0]
	v_dot4_i32_iu8 v207, v7, v47, v8 neg_lo:[1,1,0]
	;; [unrolled: 24-line block ×12, first 2 shown]
	s_delay_alu instid0(VALU_DEP_4) | instskip(NEXT) | instid1(VALU_DEP_4)
	v_dot4_i32_iu8 v249, v7, v49, v9 neg_lo:[1,1,0]
	v_dot4_i32_iu8 v250, v7, v51, v4 neg_lo:[1,1,0]
	ds_load_2addr_b32 v[52:53], v76 offset0:4 offset1:5
	ds_load_b128 v[4:7], v83 offset:33296
	ds_load_2addr_b32 v[54:55], v190 offset0:4 offset1:5
	ds_load_2addr_b32 v[56:57], v191 offset0:4 offset1:5
	;; [unrolled: 1-line block ×6, first 2 shown]
	s_wait_dscnt 0x6
	v_dot4_i32_iu8 v3, v52, v4, v3 neg_lo:[1,1,0]
	s_wait_dscnt 0x5
	v_dot4_i32_iu8 v2, v4, v54, v2 neg_lo:[1,1,0]
	;; [unrolled: 2-line block ×4, first 2 shown]
	ds_load_2addr_b32 v[58:59], v76 offset0:6 offset1:7
	v_dot4_i32_iu8 v3, v53, v5, v3 neg_lo:[1,1,0]
	v_dot4_i32_iu8 v2, v5, v55, v2 neg_lo:[1,1,0]
	;; [unrolled: 1-line block ×4, first 2 shown]
	s_wait_dscnt 0x3
	s_delay_alu instid0(VALU_DEP_3)
	v_dot4_i32_iu8 v2, v6, v252, v2 neg_lo:[1,1,0]
	s_wait_dscnt 0x2
	v_dot4_i32_iu8 v1, v6, v254, v1 neg_lo:[1,1,0]
	s_wait_dscnt 0x1
	;; [unrolled: 2-line block ×3, first 2 shown]
	v_dot4_i32_iu8 v3, v58, v6, v3 neg_lo:[1,1,0]
	s_delay_alu instid0(VALU_DEP_1)
	v_dot4_i32_iu8 v94, v59, v7, v3 neg_lo:[1,1,0]
	v_dot4_i32_iu8 v3, v7, v253, v2 neg_lo:[1,1,0]
	;; [unrolled: 1-line block ×4, first 2 shown]
	ds_load_2addr_b32 v[13:14], v76 offset0:12 offset1:13
	ds_load_b128 v[4:7], v83 offset:33328
	ds_load_2addr_b32 v[139:140], v190 offset0:12 offset1:13
	ds_load_2addr_b32 v[15:16], v191 offset0:12 offset1:13
	;; [unrolled: 1-line block ×7, first 2 shown]
	s_wait_dscnt 0x7
	v_dot4_i32_iu8 v8, v13, v4, v205 neg_lo:[1,1,0]
	s_wait_dscnt 0x6
	v_dot4_i32_iu8 v9, v4, v139, v200 neg_lo:[1,1,0]
	;; [unrolled: 2-line block ×4, first 2 shown]
	v_dot4_i32_iu8 v8, v14, v5, v8 neg_lo:[1,1,0]
	v_dot4_i32_iu8 v9, v5, v140, v9 neg_lo:[1,1,0]
	v_dot4_i32_iu8 v10, v5, v16, v10 neg_lo:[1,1,0]
	s_delay_alu instid0(VALU_DEP_4) | instskip(NEXT) | instid1(VALU_DEP_4)
	v_dot4_i32_iu8 v4, v5, v143, v4 neg_lo:[1,1,0]
	v_dot4_i32_iu8 v5, v146, v6, v8 neg_lo:[1,1,0]
	s_delay_alu instid0(VALU_DEP_4)
	v_dot4_i32_iu8 v8, v6, v180, v9 neg_lo:[1,1,0]
	s_wait_dscnt 0x0
	v_dot4_i32_iu8 v9, v6, v144, v10 neg_lo:[1,1,0]
	v_dot4_i32_iu8 v4, v6, v148, v4 neg_lo:[1,1,0]
	;; [unrolled: 1-line block ×4, first 2 shown]
	s_delay_alu instid0(VALU_DEP_4) | instskip(NEXT) | instid1(VALU_DEP_4)
	v_dot4_i32_iu8 v199, v7, v145, v9 neg_lo:[1,1,0]
	v_dot4_i32_iu8 v118, v7, v149, v4 neg_lo:[1,1,0]
	ds_load_b128 v[4:7], v193 offset:33296
	s_wait_dscnt 0x0
	v_dot4_i32_iu8 v8, v52, v4, v201 neg_lo:[1,1,0]
	v_dot4_i32_iu8 v9, v4, v54, v202 neg_lo:[1,1,0]
	v_dot4_i32_iu8 v10, v4, v56, v203 neg_lo:[1,1,0]
	v_dot4_i32_iu8 v4, v4, v60, v204 neg_lo:[1,1,0]
	s_delay_alu instid0(VALU_DEP_4) | instskip(NEXT) | instid1(VALU_DEP_4)
	v_dot4_i32_iu8 v8, v53, v5, v8 neg_lo:[1,1,0]
	v_dot4_i32_iu8 v9, v5, v55, v9 neg_lo:[1,1,0]
	s_delay_alu instid0(VALU_DEP_4) | instskip(NEXT) | instid1(VALU_DEP_4)
	v_dot4_i32_iu8 v10, v5, v57, v10 neg_lo:[1,1,0]
	v_dot4_i32_iu8 v4, v5, v61, v4 neg_lo:[1,1,0]
	s_delay_alu instid0(VALU_DEP_4) | instskip(NEXT) | instid1(VALU_DEP_4)
	v_dot4_i32_iu8 v5, v58, v6, v8 neg_lo:[1,1,0]
	v_dot4_i32_iu8 v8, v6, v252, v9 neg_lo:[1,1,0]
	s_delay_alu instid0(VALU_DEP_4) | instskip(NEXT) | instid1(VALU_DEP_4)
	v_dot4_i32_iu8 v9, v6, v254, v10 neg_lo:[1,1,0]
	v_dot4_i32_iu8 v6, v6, v135, v4 neg_lo:[1,1,0]
	s_delay_alu instid0(VALU_DEP_4) | instskip(NEXT) | instid1(VALU_DEP_4)
	v_dot4_i32_iu8 v190, v59, v7, v5 neg_lo:[1,1,0]
	v_dot4_i32_iu8 v112, v7, v253, v8 neg_lo:[1,1,0]
	s_delay_alu instid0(VALU_DEP_4) | instskip(NEXT) | instid1(VALU_DEP_4)
	v_dot4_i32_iu8 v4, v7, v255, v9 neg_lo:[1,1,0]
	v_dot4_i32_iu8 v76, v7, v136, v6 neg_lo:[1,1,0]
	ds_load_b128 v[6:9], v193 offset:33328
	s_wait_dscnt 0x0
	v_dot4_i32_iu8 v5, v13, v6, v206 neg_lo:[1,1,0]
	v_dot4_i32_iu8 v10, v6, v139, v207 neg_lo:[1,1,0]
	v_dot4_i32_iu8 v11, v6, v15, v208 neg_lo:[1,1,0]
	v_dot4_i32_iu8 v6, v6, v142, v209 neg_lo:[1,1,0]
	s_delay_alu instid0(VALU_DEP_4) | instskip(NEXT) | instid1(VALU_DEP_4)
	v_dot4_i32_iu8 v5, v14, v7, v5 neg_lo:[1,1,0]
	v_dot4_i32_iu8 v10, v7, v140, v10 neg_lo:[1,1,0]
	s_delay_alu instid0(VALU_DEP_4) | instskip(NEXT) | instid1(VALU_DEP_4)
	v_dot4_i32_iu8 v11, v7, v16, v11 neg_lo:[1,1,0]
	v_dot4_i32_iu8 v6, v7, v143, v6 neg_lo:[1,1,0]
	s_delay_alu instid0(VALU_DEP_4) | instskip(NEXT) | instid1(VALU_DEP_4)
	v_dot4_i32_iu8 v5, v146, v8, v5 neg_lo:[1,1,0]
	v_dot4_i32_iu8 v7, v8, v180, v10 neg_lo:[1,1,0]
	s_delay_alu instid0(VALU_DEP_4) | instskip(NEXT) | instid1(VALU_DEP_4)
	v_dot4_i32_iu8 v10, v8, v144, v11 neg_lo:[1,1,0]
	v_dot4_i32_iu8 v6, v8, v148, v6 neg_lo:[1,1,0]
	s_delay_alu instid0(VALU_DEP_4) | instskip(NEXT) | instid1(VALU_DEP_4)
	v_dot4_i32_iu8 v8, v147, v9, v5 neg_lo:[1,1,0]
	v_dot4_i32_iu8 v208, v9, v181, v7 neg_lo:[1,1,0]
	;; [unrolled: 24-line block ×5, first 2 shown]
	s_delay_alu instid0(VALU_DEP_4) | instskip(NEXT) | instid1(VALU_DEP_4)
	v_dot4_i32_iu8 v115, v12, v255, v7 neg_lo:[1,1,0]
	v_dot4_i32_iu8 v95, v12, v136, v9 neg_lo:[1,1,0]
	ds_load_b128 v[9:12], v195 offset:33328
	s_wait_dscnt 0x0
	v_dot4_i32_iu8 v5, v13, v9, v222 neg_lo:[1,1,0]
	v_dot4_i32_iu8 v6, v9, v139, v223 neg_lo:[1,1,0]
	;; [unrolled: 1-line block ×4, first 2 shown]
	v_or_b32_e32 v223, s10, v132
	v_dot4_i32_iu8 v5, v14, v10, v5 neg_lo:[1,1,0]
	v_dot4_i32_iu8 v6, v10, v140, v6 neg_lo:[1,1,0]
	;; [unrolled: 1-line block ×4, first 2 shown]
	v_lshlrev_b32_e32 v224, 2, v223
	v_dot4_i32_iu8 v5, v146, v11, v5 neg_lo:[1,1,0]
	v_dot4_i32_iu8 v6, v11, v180, v6 neg_lo:[1,1,0]
	;; [unrolled: 1-line block ×4, first 2 shown]
	s_lshr_b32 s10, s7, 2
	v_dot4_i32_iu8 v218, v147, v12, v5 neg_lo:[1,1,0]
	v_dot4_i32_iu8 v212, v12, v181, v6 neg_lo:[1,1,0]
	;; [unrolled: 1-line block ×4, first 2 shown]
	ds_load_b128 v[9:12], v196 offset:33296
	s_wait_alu 0xfffe
	s_and_b32 s10, s10, 0x3ffffffe
	s_wait_alu 0xfffe
	s_add_co_i32 s10, s10, 0xa200
	s_wait_dscnt 0x0
	v_dot4_i32_iu8 v5, v52, v9, v226 neg_lo:[1,1,0]
	v_dot4_i32_iu8 v6, v9, v54, v227 neg_lo:[1,1,0]
	v_dot4_i32_iu8 v7, v9, v56, v228 neg_lo:[1,1,0]
	v_dot4_i32_iu8 v9, v9, v60, v229 neg_lo:[1,1,0]
	s_delay_alu instid0(VALU_DEP_4) | instskip(NEXT) | instid1(VALU_DEP_4)
	v_dot4_i32_iu8 v5, v53, v10, v5 neg_lo:[1,1,0]
	v_dot4_i32_iu8 v6, v10, v55, v6 neg_lo:[1,1,0]
	s_delay_alu instid0(VALU_DEP_4) | instskip(NEXT) | instid1(VALU_DEP_4)
	v_dot4_i32_iu8 v7, v10, v57, v7 neg_lo:[1,1,0]
	v_dot4_i32_iu8 v9, v10, v61, v9 neg_lo:[1,1,0]
	s_delay_alu instid0(VALU_DEP_4) | instskip(NEXT) | instid1(VALU_DEP_4)
	v_dot4_i32_iu8 v5, v58, v11, v5 neg_lo:[1,1,0]
	v_dot4_i32_iu8 v6, v11, v252, v6 neg_lo:[1,1,0]
	s_delay_alu instid0(VALU_DEP_4) | instskip(NEXT) | instid1(VALU_DEP_4)
	v_dot4_i32_iu8 v7, v11, v254, v7 neg_lo:[1,1,0]
	v_dot4_i32_iu8 v9, v11, v135, v9 neg_lo:[1,1,0]
	s_delay_alu instid0(VALU_DEP_4) | instskip(NEXT) | instid1(VALU_DEP_4)
	v_dot4_i32_iu8 v204, v59, v12, v5 neg_lo:[1,1,0]
	v_dot4_i32_iu8 v119, v12, v253, v6 neg_lo:[1,1,0]
	s_delay_alu instid0(VALU_DEP_4) | instskip(NEXT) | instid1(VALU_DEP_4)
	v_dot4_i32_iu8 v191, v12, v255, v7 neg_lo:[1,1,0]
	v_dot4_i32_iu8 v114, v12, v136, v9 neg_lo:[1,1,0]
	ds_load_b128 v[9:12], v196 offset:33328
	s_wait_dscnt 0x0
	v_dot4_i32_iu8 v5, v13, v9, v230 neg_lo:[1,1,0]
	v_dot4_i32_iu8 v6, v9, v139, v231 neg_lo:[1,1,0]
	v_dot4_i32_iu8 v7, v9, v15, v232 neg_lo:[1,1,0]
	v_dot4_i32_iu8 v9, v9, v142, v233 neg_lo:[1,1,0]
	s_delay_alu instid0(VALU_DEP_4) | instskip(NEXT) | instid1(VALU_DEP_4)
	v_dot4_i32_iu8 v5, v14, v10, v5 neg_lo:[1,1,0]
	v_dot4_i32_iu8 v6, v10, v140, v6 neg_lo:[1,1,0]
	s_delay_alu instid0(VALU_DEP_4) | instskip(NEXT) | instid1(VALU_DEP_4)
	v_dot4_i32_iu8 v7, v10, v16, v7 neg_lo:[1,1,0]
	v_dot4_i32_iu8 v9, v10, v143, v9 neg_lo:[1,1,0]
	s_delay_alu instid0(VALU_DEP_4) | instskip(NEXT) | instid1(VALU_DEP_4)
	v_dot4_i32_iu8 v5, v146, v11, v5 neg_lo:[1,1,0]
	v_dot4_i32_iu8 v6, v11, v180, v6 neg_lo:[1,1,0]
	s_delay_alu instid0(VALU_DEP_4) | instskip(NEXT) | instid1(VALU_DEP_4)
	v_dot4_i32_iu8 v7, v11, v144, v7 neg_lo:[1,1,0]
	v_dot4_i32_iu8 v9, v11, v148, v9 neg_lo:[1,1,0]
	s_delay_alu instid0(VALU_DEP_4) | instskip(NEXT) | instid1(VALU_DEP_4)
	v_dot4_i32_iu8 v221, v147, v12, v5 neg_lo:[1,1,0]
	v_dot4_i32_iu8 v214, v12, v181, v6 neg_lo:[1,1,0]
	s_delay_alu instid0(VALU_DEP_4) | instskip(NEXT) | instid1(VALU_DEP_4)
	v_dot4_i32_iu8 v211, v12, v145, v7 neg_lo:[1,1,0]
	v_dot4_i32_iu8 v7, v12, v149, v9 neg_lo:[1,1,0]
	ds_load_b128 v[9:12], v197 offset:33296
	;; [unrolled: 24-line block ×6, first 2 shown]
	s_wait_dscnt 0x0
	v_dot4_i32_iu8 v28, v9, v28, 0 neg_lo:[1,1,0]
	s_delay_alu instid0(VALU_DEP_1) | instskip(SKIP_3) | instid1(VALU_DEP_4)
	v_dot4_i32_iu8 v28, v10, v29, v28 neg_lo:[1,1,0]
	v_dot4_i32_iu8 v29, v9, v30, 0 neg_lo:[1,1,0]
	;; [unrolled: 1-line block ×3, first 2 shown]
	v_perm_b32 v32, v12, v11, 0x5010c0c
	v_dot4_i32_iu8 v28, v11, v34, v28 neg_lo:[1,1,0]
	s_delay_alu instid0(VALU_DEP_4) | instskip(NEXT) | instid1(VALU_DEP_4)
	v_dot4_i32_iu8 v29, v10, v31, v29 neg_lo:[1,1,0]
	v_dot4_i32_iu8 v30, v10, v33, v30 neg_lo:[1,1,0]
	v_perm_b32 v31, v9, v10, 0xc0c0501
	v_perm_b32 v33, v9, v10, 0xc0c0703
	v_dot4_i32_iu8 v28, v12, v35, v28 neg_lo:[1,1,0]
	v_dot4_i32_iu8 v29, v11, v36, v29 neg_lo:[1,1,0]
	;; [unrolled: 1-line block ×3, first 2 shown]
	v_perm_b32 v34, v12, v11, 0x7030c0c
	v_perm_b32 v35, v9, v10, 0xc0c0400
	;; [unrolled: 1-line block ×3, first 2 shown]
	v_dot4_i32_iu8 v29, v12, v37, v29 neg_lo:[1,1,0]
	v_dot4_i32_iu8 v30, v12, v39, v30 neg_lo:[1,1,0]
	v_perm_b32 v37, v9, v10, 0xc0c0602
	v_perm_b32 v38, v12, v11, 0x6020c0c
	ds_load_b128 v[9:12], v224 offset:33312
	v_or_b32_e32 v35, v36, v35
	v_or_b32_e32 v33, v34, v33
	;; [unrolled: 1-line block ×3, first 2 shown]
	s_wait_dscnt 0x0
	v_dot4_i32_iu8 v39, v9, v40, 0 neg_lo:[1,1,0]
	v_dot4_i32_iu8 v40, v9, v42, 0 neg_lo:[1,1,0]
	v_perm_b32 v42, v9, v10, 0xc0c0501
	s_delay_alu instid0(VALU_DEP_3) | instskip(SKIP_1) | instid1(VALU_DEP_4)
	v_dot4_i32_iu8 v39, v10, v41, v39 neg_lo:[1,1,0]
	v_dot4_i32_iu8 v41, v9, v44, 0 neg_lo:[1,1,0]
	v_dot4_i32_iu8 v40, v10, v43, v40 neg_lo:[1,1,0]
	v_perm_b32 v43, v12, v11, 0x5010c0c
	v_perm_b32 v44, v9, v10, 0xc0c0703
	v_dot4_i32_iu8 v39, v11, v46, v39 neg_lo:[1,1,0]
	v_dot4_i32_iu8 v41, v10, v45, v41 neg_lo:[1,1,0]
	v_dot4_i32_iu8 v40, v11, v48, v40 neg_lo:[1,1,0]
	v_perm_b32 v45, v12, v11, 0x7030c0c
	v_perm_b32 v46, v9, v10, 0xc0c0400
	;; [unrolled: 5-line block ×3, first 2 shown]
	v_perm_b32 v49, v12, v11, 0x6020c0c
	v_dot4_i32_iu8 v41, v12, v51, v41 neg_lo:[1,1,0]
	ds_load_b128 v[9:12], v224 offset:33296
	s_wait_dscnt 0x0
	v_dot4_i32_iu8 v28, v9, v54, v28 neg_lo:[1,1,0]
	v_dot4_i32_iu8 v29, v9, v56, v29 neg_lo:[1,1,0]
	v_dot4_i32_iu8 v30, v9, v60, v30 neg_lo:[1,1,0]
	v_perm_b32 v50, v10, v9, 0xc0c0602
	v_perm_b32 v51, v12, v11, 0x6020c0c
	v_dot4_i32_iu8 v28, v10, v55, v28 neg_lo:[1,1,0]
	v_dot4_i32_iu8 v29, v10, v57, v29 neg_lo:[1,1,0]
	v_dot4_i32_iu8 v30, v10, v61, v30 neg_lo:[1,1,0]
	v_perm_b32 v54, v10, v9, 0xc0c0400
	v_perm_b32 v55, v12, v11, 0x4000c0c
	;; [unrolled: 5-line block ×4, first 2 shown]
	ds_load_b128 v[9:12], v224 offset:33328
	v_or_b32_e32 v38, v51, v50
	v_or_b32_e32 v36, v55, v54
	;; [unrolled: 1-line block ×3, first 2 shown]
	s_wait_dscnt 0x0
	v_dot4_i32_iu8 v15, v9, v15, v40 neg_lo:[1,1,0]
	v_dot4_i32_iu8 v39, v9, v139, v39 neg_lo:[1,1,0]
	v_perm_b32 v40, v10, v9, 0xc0c0602
	v_perm_b32 v135, v10, v9, 0xc0c0400
	v_perm_b32 v136, v12, v11, 0x4000c0c
	v_dot4_i32_iu8 v15, v10, v16, v15 neg_lo:[1,1,0]
	v_dot4_i32_iu8 v16, v9, v142, v41 neg_lo:[1,1,0]
	v_dot4_i32_iu8 v39, v10, v140, v39 neg_lo:[1,1,0]
	v_perm_b32 v41, v12, v11, 0x6020c0c
	v_perm_b32 v139, v10, v9, 0xc0c0703
	v_dot4_i32_iu8 v15, v11, v144, v15 neg_lo:[1,1,0]
	v_dot4_i32_iu8 v16, v10, v143, v16 neg_lo:[1,1,0]
	v_dot4_i32_iu8 v39, v11, v180, v39 neg_lo:[1,1,0]
	v_perm_b32 v140, v12, v11, 0x7030c0c
	v_perm_b32 v9, v10, v9, 0xc0c0501
	;; [unrolled: 5-line block ×3, first 2 shown]
	v_perm_b32 v142, v59, v58, 0x6020c0c
	v_dot4_i32_iu8 v16, v12, v149, v16 neg_lo:[1,1,0]
	v_perm_b32 v12, v27, v26, 0x6020c0c
	v_or_b32_e32 v9, v10, v9
	s_delay_alu instid0(VALU_DEP_2) | instskip(SKIP_1) | instid1(VALU_DEP_2)
	v_or_b32_e32 v11, v12, v11
	v_perm_b32 v12, v53, v52, 0xc0c0602
	v_dot4_i32_iu8 v11, v11, v37, 0 neg_lo:[1,1,0]
	s_delay_alu instid0(VALU_DEP_2) | instskip(SKIP_1) | instid1(VALU_DEP_2)
	v_or_b32_e32 v12, v142, v12
	v_perm_b32 v37, v27, v26, 0x4000c0c
	v_dot4_i32_iu8 v11, v12, v38, v11 neg_lo:[1,1,0]
	v_perm_b32 v12, v20, v21, 0xc0c0400
	v_perm_b32 v38, v59, v58, 0x4000c0c
	s_delay_alu instid0(VALU_DEP_2) | instskip(SKIP_1) | instid1(VALU_DEP_2)
	v_or_b32_e32 v12, v37, v12
	v_perm_b32 v37, v53, v52, 0xc0c0400
	v_dot4_i32_iu8 v12, v12, v35, 0 neg_lo:[1,1,0]
	s_delay_alu instid0(VALU_DEP_2) | instskip(SKIP_3) | instid1(VALU_DEP_4)
	v_or_b32_e32 v37, v38, v37
	v_perm_b32 v35, v20, v21, 0xc0c0703
	v_perm_b32 v20, v20, v21, 0xc0c0501
	;; [unrolled: 1-line block ×3, first 2 shown]
	v_dot4_i32_iu8 v12, v37, v36, v12 neg_lo:[1,1,0]
	v_perm_b32 v36, v27, v26, 0x7030c0c
	v_perm_b32 v26, v53, v52, 0xc0c0501
	;; [unrolled: 1-line block ×3, first 2 shown]
	v_or_b32_e32 v20, v21, v20
	v_perm_b32 v37, v59, v58, 0x7030c0c
	v_or_b32_e32 v35, v36, v35
	v_perm_b32 v36, v53, v52, 0xc0c0703
	v_or_b32_e32 v21, v27, v26
	v_or_b32_e32 v26, v32, v31
	;; [unrolled: 1-line block ×6, first 2 shown]
	v_dot4_i32_iu8 v20, v20, v26, 0 neg_lo:[1,1,0]
	v_perm_b32 v26, v25, v24, 0x6020c0c
	v_dot4_i32_iu8 v33, v35, v33, 0 neg_lo:[1,1,0]
	s_delay_alu instid0(VALU_DEP_3) | instskip(SKIP_2) | instid1(VALU_DEP_4)
	v_dot4_i32_iu8 v20, v21, v27, v20 neg_lo:[1,1,0]
	v_perm_b32 v21, v22, v23, 0xc0c0602
	v_perm_b32 v27, v147, v146, 0x6020c0c
	v_dot4_i32_iu8 v33, v36, v34, v33 neg_lo:[1,1,0]
	v_or_b32_e32 v34, v140, v139
	s_delay_alu instid0(VALU_DEP_4) | instskip(SKIP_1) | instid1(VALU_DEP_1)
	v_or_b32_e32 v21, v26, v21
	v_perm_b32 v26, v14, v13, 0xc0c0602
	v_or_b32_e32 v26, v27, v26
	v_or_b32_e32 v27, v49, v48
	s_delay_alu instid0(VALU_DEP_1) | instskip(SKIP_1) | instid1(VALU_DEP_2)
	v_dot4_i32_iu8 v21, v21, v27, 0 neg_lo:[1,1,0]
	v_perm_b32 v27, v25, v24, 0x4000c0c
	v_dot4_i32_iu8 v21, v26, v31, v21 neg_lo:[1,1,0]
	v_perm_b32 v26, v22, v23, 0xc0c0400
	v_perm_b32 v31, v147, v146, 0x4000c0c
	s_delay_alu instid0(VALU_DEP_2) | instskip(SKIP_1) | instid1(VALU_DEP_1)
	v_or_b32_e32 v26, v27, v26
	v_perm_b32 v27, v14, v13, 0xc0c0400
	v_or_b32_e32 v27, v31, v27
	v_or_b32_e32 v31, v47, v46
	s_delay_alu instid0(VALU_DEP_1) | instskip(SKIP_1) | instid1(VALU_DEP_2)
	v_dot4_i32_iu8 v26, v26, v31, 0 neg_lo:[1,1,0]
	v_perm_b32 v31, v25, v24, 0x7030c0c
	v_dot4_i32_iu8 v26, v27, v32, v26 neg_lo:[1,1,0]
	v_perm_b32 v27, v22, v23, 0xc0c0703
	v_perm_b32 v22, v22, v23, 0xc0c0501
	;; [unrolled: 1-line block ×4, first 2 shown]
	s_delay_alu instid0(VALU_DEP_4) | instskip(SKIP_4) | instid1(VALU_DEP_4)
	v_or_b32_e32 v27, v31, v27
	v_perm_b32 v31, v14, v13, 0xc0c0703
	v_perm_b32 v13, v14, v13, 0xc0c0501
	;; [unrolled: 1-line block ×3, first 2 shown]
	v_or_b32_e32 v22, v23, v22
	v_or_b32_e32 v31, v32, v31
	;; [unrolled: 1-line block ×3, first 2 shown]
	s_delay_alu instid0(VALU_DEP_4) | instskip(SKIP_1) | instid1(VALU_DEP_3)
	v_or_b32_e32 v13, v14, v13
	v_or_b32_e32 v14, v43, v42
	v_dot4_i32_iu8 v27, v27, v32, 0 neg_lo:[1,1,0]
	s_delay_alu instid0(VALU_DEP_2) | instskip(NEXT) | instid1(VALU_DEP_2)
	v_dot4_i32_iu8 v10, v22, v14, 0 neg_lo:[1,1,0]
	v_dot4_i32_iu8 v27, v31, v34, v27 neg_lo:[1,1,0]
	s_delay_alu instid0(VALU_DEP_2) | instskip(SKIP_1) | instid1(VALU_DEP_2)
	v_dot4_i32_iu8 v9, v13, v9, v10 neg_lo:[1,1,0]
	v_add_nc_u32_e32 v10, v20, v33
	v_add_nc_u32_e32 v9, v9, v27
	s_delay_alu instid0(VALU_DEP_2)
	v_add3_u32 v10, v12, v11, v10
	s_wait_alu 0xfffe
	v_add3_u32 v12, s10, v62, v63
	v_lshrrev_b32_e32 v11, 1, v223
	v_add3_u32 v9, v26, v21, v9
	ds_load_u16 v13, v12
	s_wait_dscnt 0x0
	v_lshrrev_b16 v14, 8, v13
	v_and_b32_e32 v13, 0xff, v13
	s_delay_alu instid0(VALU_DEP_2) | instskip(NEXT) | instid1(VALU_DEP_2)
	v_and_b32_e32 v14, 0xffff, v14
	v_mul_lo_u32 v10, v10, v13
	s_delay_alu instid0(VALU_DEP_2)
	v_mul_lo_u32 v9, v9, v14
	v_mul_lo_u32 v38, v251, v14
	;; [unrolled: 1-line block ×4, first 2 shown]
	v_cvt_f32_i32_e32 v20, v10
	v_mul_lo_u32 v57, v218, v14
	v_cvt_f32_i32_e32 v21, v9
	ds_load_b64 v[9:10], v11 offset:43584
	v_cvt_f32_i32_e32 v38, v38
	v_cvt_f32_i32_e32 v8, v8
	;; [unrolled: 1-line block ×4, first 2 shown]
	s_wait_dscnt 0x0
	v_fma_mix_f32 v11, v20, v9, 0 op_sel_hi:[0,1,0]
	v_add3_u32 v20, s10, v64, v172
	s_delay_alu instid0(VALU_DEP_2) | instskip(SKIP_4) | instid1(VALU_DEP_2)
	v_fma_mix_f32 v11, v21, v10, v11 op_sel_hi:[0,1,0]
	ds_load_u16 v21, v20
	s_wait_dscnt 0x0
	v_lshrrev_b16 v22, 8, v21
	v_and_b32_e32 v21, 0xff, v21
	v_and_b32_e32 v22, 0xffff, v22
	s_delay_alu instid0(VALU_DEP_2) | instskip(SKIP_2) | instid1(VALU_DEP_4)
	v_mul_lo_u32 v23, v28, v21
	v_mul_lo_u32 v3, v3, v21
	;; [unrolled: 1-line block ×7, first 2 shown]
	v_cvt_f32_i32_e32 v23, v23
	v_cvt_f32_i32_e32 v3, v3
	;; [unrolled: 1-line block ×4, first 2 shown]
	s_delay_alu instid0(VALU_DEP_4) | instskip(SKIP_3) | instid1(VALU_DEP_4)
	v_fma_mix_f32 v23, v9, v23, 0 op_sel_hi:[1,0,0]
	v_cvt_f32_i32_e32 v44, v44
	v_cvt_f32_i32_e32 v51, v51
	;; [unrolled: 1-line block ×3, first 2 shown]
	v_fma_mix_f32 v23, v10, v24, v23 op_sel_hi:[1,0,0]
	v_add3_u32 v24, s10, v65, v174
	ds_load_u16 v25, v24
	s_wait_dscnt 0x0
	v_lshrrev_b16 v26, 8, v25
	v_and_b32_e32 v25, 0xff, v25
	s_delay_alu instid0(VALU_DEP_2) | instskip(NEXT) | instid1(VALU_DEP_2)
	v_and_b32_e32 v26, 0xffff, v26
	v_mul_lo_u32 v27, v29, v25
	v_mul_lo_u32 v2, v2, v25
	;; [unrolled: 1-line block ×3, first 2 shown]
	s_delay_alu instid0(VALU_DEP_4)
	v_mul_lo_u32 v15, v15, v26
	v_mul_lo_u32 v52, v206, v26
	;; [unrolled: 1-line block ×3, first 2 shown]
	v_cvt_f32_i32_e32 v27, v27
	v_cvt_f32_i32_e32 v2, v2
	;; [unrolled: 1-line block ×4, first 2 shown]
	s_delay_alu instid0(VALU_DEP_4) | instskip(SKIP_2) | instid1(VALU_DEP_3)
	v_fma_mix_f32 v27, v9, v27, 0 op_sel_hi:[1,0,0]
	v_cvt_f32_i32_e32 v52, v52
	v_cvt_f32_i32_e32 v60, v60
	v_fma_mix_f32 v15, v10, v15, v27 op_sel_hi:[1,0,0]
	v_add3_u32 v27, s10, v66, v176
	s_add_co_i32 s10, s7, 8
	s_cmp_lt_u32 s7, 24
	s_wait_alu 0xfffe
	s_mov_b32 s7, s10
	ds_load_u16 v28, v27
	ds_load_u16 v12, v12 offset:8
	ds_load_u16 v20, v20 offset:8
	;; [unrolled: 1-line block ×4, first 2 shown]
	s_wait_dscnt 0x2
	v_cvt_f32_ubyte0_e32 v31, v20
	v_lshrrev_b16 v29, 8, v28
	v_and_b32_e32 v28, 0xff, v28
	s_wait_dscnt 0x1
	v_cvt_f32_ubyte0_e32 v32, v24
	s_wait_dscnt 0x0
	v_cvt_f32_ubyte0_e32 v33, v27
	v_cvt_f32_ubyte1_e32 v20, v20
	v_and_b32_e32 v29, 0xffff, v29
	v_mul_lo_u32 v30, v30, v28
	v_cvt_f32_ubyte1_e32 v24, v24
	v_cvt_f32_ubyte1_e32 v27, v27
	v_fma_mix_f32 v35, v9, v31, 0 op_sel:[1,0,0] op_sel_hi:[1,0,0]
	v_mul_lo_u32 v16, v16, v29
	v_fma_mix_f32 v36, v9, v32, 0 op_sel:[1,0,0] op_sel_hi:[1,0,0]
	v_mul_lo_u32 v1, v1, v28
	v_mul_lo_u32 v45, v193, v29
	v_cvt_f32_i32_e32 v30, v30
	v_fma_mix_f32 v35, v10, v20, v35 op_sel:[1,0,0] op_sel_hi:[1,0,0]
	v_fma_mix_f32 v36, v10, v24, v36 op_sel:[1,0,0] op_sel_hi:[1,0,0]
	v_mul_lo_u32 v53, v200, v29
	v_cvt_f32_i32_e32 v16, v16
	v_fma_mix_f32 v30, v9, v30, 0 op_sel_hi:[1,0,0]
	v_cvt_f32_i32_e32 v1, v1
	v_cvt_f32_i32_e32 v45, v45
	v_mul_lo_u32 v61, v120, v29
	v_mul_lo_u32 v7, v7, v29
	v_fma_mix_f32 v16, v10, v16, v30 op_sel_hi:[1,0,0]
	v_cvt_f32_ubyte0_e32 v30, v12
	v_cvt_f32_ubyte1_e32 v12, v12
	v_cvt_f32_i32_e32 v53, v53
	v_mul_lo_u32 v5, v5, v28
	s_delay_alu instid0(VALU_DEP_4) | instskip(SKIP_3) | instid1(VALU_DEP_4)
	v_fma_mix_f32 v34, v30, v9, 0 op_sel:[0,1,0] op_sel_hi:[0,1,0]
	v_fma_mix_f32 v9, v9, v33, 0 op_sel:[1,0,0] op_sel_hi:[1,0,0]
	v_cvt_f32_i32_e32 v61, v61
	v_cvt_f32_i32_e32 v7, v7
	v_fma_mix_f32 v34, v12, v10, v34 op_sel:[0,1,0] op_sel_hi:[0,1,0]
	s_delay_alu instid0(VALU_DEP_4) | instskip(SKIP_3) | instid1(VALU_DEP_3)
	v_fma_mix_f32 v37, v10, v27, v9 op_sel:[1,0,0] op_sel_hi:[1,0,0]
	v_mul_lo_u32 v10, v94, v13
	v_lshrrev_b32_e32 v9, 1, v75
	v_cvt_f32_i32_e32 v5, v5
	v_cvt_f32_i32_e32 v39, v10
	ds_load_b64 v[9:10], v9 offset:43584
	s_wait_dscnt 0x0
	v_fma_mix_f32 v39, v9, v39, 0 op_sel_hi:[1,0,0]
	v_fma_mix_f32 v3, v9, v3, 0 op_sel_hi:[1,0,0]
	;; [unrolled: 1-line block ×4, first 2 shown]
	s_delay_alu instid0(VALU_DEP_4) | instskip(SKIP_1) | instid1(VALU_DEP_1)
	v_fma_mix_f32 v38, v10, v38, v39 op_sel_hi:[1,0,0]
	v_mul_lo_u32 v39, v205, v22
	v_cvt_f32_i32_e32 v39, v39
	s_delay_alu instid0(VALU_DEP_1) | instskip(SKIP_1) | instid1(VALU_DEP_1)
	v_fma_mix_f32 v3, v10, v39, v3 op_sel_hi:[1,0,0]
	v_mul_lo_u32 v39, v199, v26
	v_cvt_f32_i32_e32 v39, v39
	s_delay_alu instid0(VALU_DEP_1) | instskip(SKIP_1) | instid1(VALU_DEP_1)
	v_fma_mix_f32 v39, v10, v39, v2 op_sel_hi:[1,0,0]
	v_mul_lo_u32 v2, v118, v29
	v_cvt_f32_i32_e32 v2, v2
	s_delay_alu instid0(VALU_DEP_1) | instskip(SKIP_2) | instid1(VALU_DEP_2)
	v_fma_mix_f32 v40, v10, v2, v1 op_sel_hi:[1,0,0]
	v_fma_mix_f32 v1, v30, v9, 0 op_sel:[0,1,0] op_sel_hi:[0,1,0]
	v_mul_lo_u32 v2, v190, v13
	v_fma_mix_f32 v41, v12, v10, v1 op_sel:[0,1,0] op_sel_hi:[0,1,0]
	v_fma_mix_f32 v1, v31, v9, 0 op_sel:[0,1,0] op_sel_hi:[0,1,0]
	s_delay_alu instid0(VALU_DEP_1) | instskip(SKIP_1) | instid1(VALU_DEP_1)
	v_fma_mix_f32 v42, v20, v10, v1 op_sel:[0,1,0] op_sel_hi:[0,1,0]
	v_fma_mix_f32 v1, v32, v9, 0 op_sel:[0,1,0] op_sel_hi:[0,1,0]
	;; [unrolled: 1-line block ×4, first 2 shown]
	s_delay_alu instid0(VALU_DEP_1) | instskip(SKIP_2) | instid1(VALU_DEP_3)
	v_fma_mix_f32 v9, v27, v10, v1 op_sel:[0,1,0] op_sel_hi:[0,1,0]
	v_lshrrev_b32_e32 v1, 1, v77
	v_cvt_f32_i32_e32 v10, v2
	v_mul_f32_e32 v9, v9, v74
	ds_load_b64 v[1:2], v1 offset:43584
	v_fma_f32 v9, v40, v70, -v9
	s_wait_dscnt 0x0
	v_fma_mix_f32 v10, v1, v10, 0 op_sel_hi:[1,0,0]
	v_fma_mix_f32 v4, v1, v4, 0 op_sel_hi:[1,0,0]
	v_fma_mix_f32 v46, v31, v1, 0 op_sel:[0,1,0] op_sel_hi:[0,1,0]
	v_fma_mix_f32 v47, v32, v1, 0 op_sel:[0,1,0] op_sel_hi:[0,1,0]
	s_delay_alu instid0(VALU_DEP_4) | instskip(SKIP_1) | instid1(VALU_DEP_4)
	v_fma_mix_f32 v8, v2, v8, v10 op_sel_hi:[1,0,0]
	v_mul_lo_u32 v10, v112, v21
	v_fma_mix_f32 v46, v20, v2, v46 op_sel:[0,1,0] op_sel_hi:[0,1,0]
	s_delay_alu instid0(VALU_DEP_4) | instskip(NEXT) | instid1(VALU_DEP_3)
	v_fma_mix_f32 v47, v24, v2, v47 op_sel:[0,1,0] op_sel_hi:[0,1,0]
	v_cvt_f32_i32_e32 v10, v10
	s_delay_alu instid0(VALU_DEP_1) | instskip(NEXT) | instid1(VALU_DEP_1)
	v_fma_mix_f32 v10, v1, v10, 0 op_sel_hi:[1,0,0]
	v_fma_mix_f32 v10, v2, v44, v10 op_sel_hi:[1,0,0]
	v_mul_lo_u32 v44, v203, v26
	s_delay_alu instid0(VALU_DEP_1) | instskip(NEXT) | instid1(VALU_DEP_1)
	v_cvt_f32_i32_e32 v44, v44
	v_fma_mix_f32 v4, v2, v44, v4 op_sel_hi:[1,0,0]
	v_mul_lo_u32 v44, v76, v28
	s_delay_alu instid0(VALU_DEP_1) | instskip(NEXT) | instid1(VALU_DEP_1)
	v_cvt_f32_i32_e32 v44, v44
	v_fma_mix_f32 v44, v1, v44, 0 op_sel_hi:[1,0,0]
	s_delay_alu instid0(VALU_DEP_1) | instskip(SKIP_2) | instid1(VALU_DEP_2)
	v_fma_mix_f32 v44, v2, v45, v44 op_sel_hi:[1,0,0]
	v_fma_mix_f32 v45, v30, v1, 0 op_sel:[0,1,0] op_sel_hi:[0,1,0]
	v_fma_mix_f32 v1, v33, v1, 0 op_sel:[0,1,0] op_sel_hi:[0,1,0]
	;; [unrolled: 1-line block ×3, first 2 shown]
	s_delay_alu instid0(VALU_DEP_2) | instskip(SKIP_3) | instid1(VALU_DEP_3)
	v_fma_mix_f32 v48, v27, v2, v1 op_sel:[0,1,0] op_sel_hi:[0,1,0]
	v_mul_lo_u32 v2, v198, v13
	v_lshrrev_b32_e32 v1, 1, v78
	v_mul_lo_u32 v78, v221, v14
	v_cvt_f32_i32_e32 v50, v2
	ds_load_b64 v[1:2], v1 offset:43584
	v_cvt_f32_i32_e32 v78, v78
	s_wait_dscnt 0x0
	v_fma_mix_f32 v50, v1, v50, 0 op_sel_hi:[1,0,0]
	v_fma_mix_f32 v54, v31, v1, 0 op_sel:[0,1,0] op_sel_hi:[0,1,0]
	v_fma_mix_f32 v55, v32, v1, 0 op_sel:[0,1,0] op_sel_hi:[0,1,0]
	s_delay_alu instid0(VALU_DEP_3) | instskip(SKIP_1) | instid1(VALU_DEP_4)
	v_fma_mix_f32 v49, v2, v49, v50 op_sel_hi:[1,0,0]
	v_mul_lo_u32 v50, v116, v21
	v_fma_mix_f32 v54, v20, v2, v54 op_sel:[0,1,0] op_sel_hi:[0,1,0]
	s_delay_alu instid0(VALU_DEP_4) | instskip(NEXT) | instid1(VALU_DEP_3)
	v_fma_mix_f32 v55, v24, v2, v55 op_sel:[0,1,0] op_sel_hi:[0,1,0]
	v_cvt_f32_i32_e32 v50, v50
	s_delay_alu instid0(VALU_DEP_1) | instskip(NEXT) | instid1(VALU_DEP_1)
	v_fma_mix_f32 v50, v1, v50, 0 op_sel_hi:[1,0,0]
	v_fma_mix_f32 v50, v2, v51, v50 op_sel_hi:[1,0,0]
	v_mul_lo_u32 v51, v111, v25
	s_delay_alu instid0(VALU_DEP_1) | instskip(NEXT) | instid1(VALU_DEP_1)
	v_cvt_f32_i32_e32 v51, v51
	v_fma_mix_f32 v51, v1, v51, 0 op_sel_hi:[1,0,0]
	s_delay_alu instid0(VALU_DEP_1) | instskip(SKIP_2) | instid1(VALU_DEP_2)
	v_fma_mix_f32 v51, v2, v52, v51 op_sel_hi:[1,0,0]
	v_mul_lo_u32 v52, v83, v28
	v_mul_lo_u32 v83, v211, v26
	v_cvt_f32_i32_e32 v52, v52
	s_delay_alu instid0(VALU_DEP_2) | instskip(NEXT) | instid1(VALU_DEP_2)
	v_cvt_f32_i32_e32 v83, v83
	v_fma_mix_f32 v52, v1, v52, 0 op_sel_hi:[1,0,0]
	s_delay_alu instid0(VALU_DEP_1) | instskip(SKIP_2) | instid1(VALU_DEP_2)
	v_fma_mix_f32 v52, v2, v53, v52 op_sel_hi:[1,0,0]
	v_fma_mix_f32 v53, v30, v1, 0 op_sel:[0,1,0] op_sel_hi:[0,1,0]
	v_fma_mix_f32 v1, v33, v1, 0 op_sel:[0,1,0] op_sel_hi:[0,1,0]
	;; [unrolled: 1-line block ×3, first 2 shown]
	s_delay_alu instid0(VALU_DEP_2) | instskip(SKIP_2) | instid1(VALU_DEP_2)
	v_fma_mix_f32 v56, v27, v2, v1 op_sel:[0,1,0] op_sel_hi:[0,1,0]
	v_mul_lo_u32 v2, v201, v13
	v_lshrrev_b32_e32 v1, 1, v79
	v_cvt_f32_i32_e32 v58, v2
	ds_load_b64 v[1:2], v1 offset:43584
	s_wait_dscnt 0x0
	v_fma_mix_f32 v58, v1, v58, 0 op_sel_hi:[1,0,0]
	v_fma_mix_f32 v75, v31, v1, 0 op_sel:[0,1,0] op_sel_hi:[0,1,0]
	v_fma_mix_f32 v76, v32, v1, 0 op_sel:[0,1,0] op_sel_hi:[0,1,0]
	s_delay_alu instid0(VALU_DEP_3) | instskip(SKIP_1) | instid1(VALU_DEP_4)
	v_fma_mix_f32 v57, v2, v57, v58 op_sel_hi:[1,0,0]
	v_mul_lo_u32 v58, v192, v21
	v_fma_mix_f32 v75, v20, v2, v75 op_sel:[0,1,0] op_sel_hi:[0,1,0]
	s_delay_alu instid0(VALU_DEP_4) | instskip(NEXT) | instid1(VALU_DEP_3)
	v_fma_mix_f32 v76, v24, v2, v76 op_sel:[0,1,0] op_sel_hi:[0,1,0]
	v_cvt_f32_i32_e32 v58, v58
	s_delay_alu instid0(VALU_DEP_1) | instskip(NEXT) | instid1(VALU_DEP_1)
	v_fma_mix_f32 v58, v1, v58, 0 op_sel_hi:[1,0,0]
	v_fma_mix_f32 v58, v2, v59, v58 op_sel_hi:[1,0,0]
	v_mul_lo_u32 v59, v115, v25
	s_delay_alu instid0(VALU_DEP_1) | instskip(NEXT) | instid1(VALU_DEP_1)
	v_cvt_f32_i32_e32 v59, v59
	v_fma_mix_f32 v59, v1, v59, 0 op_sel_hi:[1,0,0]
	s_delay_alu instid0(VALU_DEP_1) | instskip(SKIP_1) | instid1(VALU_DEP_1)
	v_fma_mix_f32 v59, v2, v60, v59 op_sel_hi:[1,0,0]
	v_mul_lo_u32 v60, v95, v28
	v_cvt_f32_i32_e32 v60, v60
	s_delay_alu instid0(VALU_DEP_1) | instskip(NEXT) | instid1(VALU_DEP_1)
	v_fma_mix_f32 v60, v1, v60, 0 op_sel_hi:[1,0,0]
	v_fma_mix_f32 v60, v2, v61, v60 op_sel_hi:[1,0,0]
	v_fma_mix_f32 v61, v30, v1, 0 op_sel:[0,1,0] op_sel_hi:[0,1,0]
	v_fma_mix_f32 v1, v33, v1, 0 op_sel:[0,1,0] op_sel_hi:[0,1,0]
	s_delay_alu instid0(VALU_DEP_2) | instskip(NEXT) | instid1(VALU_DEP_2)
	v_fma_mix_f32 v61, v12, v2, v61 op_sel:[0,1,0] op_sel_hi:[0,1,0]
	v_fma_mix_f32 v77, v27, v2, v1 op_sel:[0,1,0] op_sel_hi:[0,1,0]
	v_mul_lo_u32 v2, v204, v13
	v_lshrrev_b32_e32 v1, 1, v80
	v_mul_lo_u32 v80, v214, v22
	s_delay_alu instid0(VALU_DEP_3)
	v_cvt_f32_i32_e32 v79, v2
	ds_load_b64 v[1:2], v1 offset:43584
	v_cvt_f32_i32_e32 v80, v80
	s_wait_dscnt 0x0
	v_fma_mix_f32 v79, v1, v79, 0 op_sel_hi:[1,0,0]
	v_fma_mix_f32 v94, v31, v1, 0 op_sel:[0,1,0] op_sel_hi:[0,1,0]
	v_fma_mix_f32 v95, v32, v1, 0 op_sel:[0,1,0] op_sel_hi:[0,1,0]
	s_delay_alu instid0(VALU_DEP_3) | instskip(SKIP_1) | instid1(VALU_DEP_4)
	v_fma_mix_f32 v78, v2, v78, v79 op_sel_hi:[1,0,0]
	v_mul_lo_u32 v79, v119, v21
	v_fma_mix_f32 v94, v20, v2, v94 op_sel:[0,1,0] op_sel_hi:[0,1,0]
	s_delay_alu instid0(VALU_DEP_4) | instskip(NEXT) | instid1(VALU_DEP_3)
	v_fma_mix_f32 v95, v24, v2, v95 op_sel:[0,1,0] op_sel_hi:[0,1,0]
	v_cvt_f32_i32_e32 v79, v79
	s_delay_alu instid0(VALU_DEP_1) | instskip(NEXT) | instid1(VALU_DEP_1)
	v_fma_mix_f32 v79, v1, v79, 0 op_sel_hi:[1,0,0]
	v_fma_mix_f32 v79, v2, v80, v79 op_sel_hi:[1,0,0]
	v_mul_lo_u32 v80, v191, v25
	s_delay_alu instid0(VALU_DEP_1) | instskip(NEXT) | instid1(VALU_DEP_1)
	v_cvt_f32_i32_e32 v80, v80
	v_fma_mix_f32 v80, v1, v80, 0 op_sel_hi:[1,0,0]
	s_delay_alu instid0(VALU_DEP_1) | instskip(SKIP_3) | instid1(VALU_DEP_3)
	v_fma_mix_f32 v80, v2, v83, v80 op_sel_hi:[1,0,0]
	v_mul_lo_u32 v83, v114, v28
	v_mul_lo_u32 v114, v213, v26
	;; [unrolled: 1-line block ×3, first 2 shown]
	v_cvt_f32_i32_e32 v83, v83
	s_delay_alu instid0(VALU_DEP_3) | instskip(NEXT) | instid1(VALU_DEP_2)
	v_cvt_f32_i32_e32 v114, v114
	v_fma_mix_f32 v83, v1, v83, 0 op_sel_hi:[1,0,0]
	s_delay_alu instid0(VALU_DEP_1) | instskip(SKIP_2) | instid1(VALU_DEP_2)
	v_fma_mix_f32 v7, v2, v7, v83 op_sel_hi:[1,0,0]
	v_fma_mix_f32 v83, v30, v1, 0 op_sel:[0,1,0] op_sel_hi:[0,1,0]
	v_fma_mix_f32 v1, v33, v1, 0 op_sel:[0,1,0] op_sel_hi:[0,1,0]
	;; [unrolled: 1-line block ×3, first 2 shown]
	s_delay_alu instid0(VALU_DEP_2) | instskip(SKIP_4) | instid1(VALU_DEP_4)
	v_fma_mix_f32 v111, v27, v2, v1 op_sel:[0,1,0] op_sel_hi:[0,1,0]
	v_mul_lo_u32 v2, v207, v13
	v_lshrrev_b32_e32 v1, 1, v81
	v_mul_lo_u32 v81, v222, v14
	v_mul_lo_u32 v13, v195, v13
	v_cvt_f32_i32_e32 v112, v2
	ds_load_b64 v[1:2], v1 offset:43584
	v_cvt_f32_i32_e32 v81, v81
	v_cvt_f32_i32_e32 v13, v13
	s_wait_dscnt 0x0
	v_fma_mix_f32 v112, v1, v112, 0 op_sel_hi:[1,0,0]
	v_fma_mix_f32 v6, v1, v6, 0 op_sel_hi:[1,0,0]
	;; [unrolled: 1-line block ×3, first 2 shown]
	v_fma_mix_f32 v115, v31, v1, 0 op_sel:[0,1,0] op_sel_hi:[0,1,0]
	v_fma_mix_f32 v116, v32, v1, 0 op_sel:[0,1,0] op_sel_hi:[0,1,0]
	v_fma_mix_f32 v81, v2, v81, v112 op_sel_hi:[1,0,0]
	v_mul_lo_u32 v112, v219, v22
	v_mul_lo_u32 v22, v217, v22
	v_fma_mix_f32 v115, v20, v2, v115 op_sel:[0,1,0] op_sel_hi:[0,1,0]
	v_fma_mix_f32 v116, v24, v2, v116 op_sel:[0,1,0] op_sel_hi:[0,1,0]
	s_delay_alu instid0(VALU_DEP_4) | instskip(NEXT) | instid1(VALU_DEP_1)
	v_cvt_f32_i32_e32 v112, v112
	v_fma_mix_f32 v6, v2, v112, v6 op_sel_hi:[1,0,0]
	v_mul_lo_u32 v112, v194, v25
	v_mul_lo_u32 v25, v197, v25
	s_delay_alu instid0(VALU_DEP_2) | instskip(NEXT) | instid1(VALU_DEP_1)
	v_cvt_f32_i32_e32 v112, v112
	v_fma_mix_f32 v112, v1, v112, 0 op_sel_hi:[1,0,0]
	s_delay_alu instid0(VALU_DEP_1) | instskip(SKIP_2) | instid1(VALU_DEP_2)
	v_fma_mix_f32 v112, v2, v114, v112 op_sel_hi:[1,0,0]
	v_mul_lo_u32 v114, v122, v29
	v_mul_lo_u32 v29, v215, v29
	v_cvt_f32_i32_e32 v114, v114
	s_delay_alu instid0(VALU_DEP_1) | instskip(SKIP_2) | instid1(VALU_DEP_2)
	v_fma_mix_f32 v5, v2, v114, v5 op_sel_hi:[1,0,0]
	v_fma_mix_f32 v114, v30, v1, 0 op_sel:[0,1,0] op_sel_hi:[0,1,0]
	v_fma_mix_f32 v1, v33, v1, 0 op_sel:[0,1,0] op_sel_hi:[0,1,0]
	;; [unrolled: 1-line block ×3, first 2 shown]
	s_delay_alu instid0(VALU_DEP_2)
	v_fma_mix_f32 v118, v27, v2, v1 op_sel:[0,1,0] op_sel_hi:[0,1,0]
	v_lshrrev_b32_e32 v1, 1, v82
	ds_load_b64 v[1:2], v1 offset:43584
	s_wait_dscnt 0x0
	v_fma_mix_f32 v30, v30, v1, 0 op_sel:[0,1,0] op_sel_hi:[0,1,0]
	v_fma_mix_f32 v13, v1, v13, 0 op_sel_hi:[1,0,0]
	s_delay_alu instid0(VALU_DEP_2) | instskip(SKIP_3) | instid1(VALU_DEP_3)
	v_fma_mix_f32 v12, v12, v2, v30 op_sel:[0,1,0] op_sel_hi:[0,1,0]
	v_fma_mix_f32 v30, v31, v1, 0 op_sel:[0,1,0] op_sel_hi:[0,1,0]
	v_mul_f32_e32 v31, v75, v72
	v_mul_lo_u32 v14, v220, v14
	v_fma_mix_f32 v20, v20, v2, v30 op_sel:[0,1,0] op_sel_hi:[0,1,0]
	v_fma_mix_f32 v30, v32, v1, 0 op_sel:[0,1,0] op_sel_hi:[0,1,0]
	v_mul_f32_e32 v32, v76, v73
	v_fma_f32 v31, v58, v68, -v31
	v_cvt_f32_i32_e32 v14, v14
	s_delay_alu instid0(VALU_DEP_4) | instskip(SKIP_4) | instid1(VALU_DEP_4)
	v_fma_mix_f32 v24, v24, v2, v30 op_sel:[0,1,0] op_sel_hi:[0,1,0]
	v_fma_mix_f32 v30, v33, v1, 0 op_sel:[0,1,0] op_sel_hi:[0,1,0]
	v_mul_f32_e32 v33, v77, v74
	v_add_f32_e32 v101, v101, v31
	v_fma_mix_f32 v13, v2, v14, v13 op_sel_hi:[1,0,0]
	v_fma_mix_f32 v27, v27, v2, v30 op_sel:[0,1,0] op_sel_hi:[0,1,0]
	v_mul_f32_e32 v30, v61, v71
	v_mul_lo_u32 v21, v196, v21
	v_fma_f32 v33, v60, v70, -v33
	s_delay_alu instid0(VALU_DEP_3) | instskip(NEXT) | instid1(VALU_DEP_2)
	v_fma_f32 v30, v57, v67, -v30
	v_add_f32_e32 v99, v99, v33
	s_delay_alu instid0(VALU_DEP_4)
	v_cvt_f32_i32_e32 v14, v21
	v_cvt_f32_i32_e32 v21, v22
	;; [unrolled: 1-line block ×3, first 2 shown]
	v_mul_f32_e32 v26, v54, v72
	v_add_f32_e32 v102, v102, v30
	v_fma_mix_f32 v14, v1, v14, 0 op_sel_hi:[1,0,0]
	s_delay_alu instid0(VALU_DEP_3) | instskip(NEXT) | instid1(VALU_DEP_2)
	v_fma_f32 v26, v50, v68, -v26
	v_fma_mix_f32 v14, v2, v21, v14 op_sel_hi:[1,0,0]
	v_cvt_f32_i32_e32 v21, v25
	v_cvt_f32_i32_e32 v25, v29
	v_mul_f32_e32 v29, v56, v74
	v_mul_lo_u32 v28, v202, v28
	s_delay_alu instid0(VALU_DEP_4) | instskip(NEXT) | instid1(VALU_DEP_3)
	v_fma_mix_f32 v21, v1, v21, 0 op_sel_hi:[1,0,0]
	v_fma_f32 v29, v52, v70, -v29
	s_delay_alu instid0(VALU_DEP_2) | instskip(NEXT) | instid1(VALU_DEP_4)
	v_fma_mix_f32 v21, v2, v22, v21 op_sel_hi:[1,0,0]
	v_cvt_f32_i32_e32 v22, v28
	v_mul_f32_e32 v28, v55, v73
	s_delay_alu instid0(VALU_DEP_2) | instskip(SKIP_1) | instid1(VALU_DEP_3)
	v_fma_mix_f32 v1, v1, v22, 0 op_sel_hi:[1,0,0]
	v_mul_f32_e32 v22, v42, v72
	v_fma_f32 v28, v51, v69, -v28
	v_add_f32_e32 v113, v113, v26
	s_delay_alu instid0(VALU_DEP_4) | instskip(SKIP_4) | instid1(VALU_DEP_4)
	v_fma_mix_f32 v1, v2, v25, v1 op_sel_hi:[1,0,0]
	v_mul_f32_e32 v2, v34, v71
	v_fma_f32 v3, v3, v68, -v22
	v_dual_mul_f32 v22, v43, v73 :: v_dual_mul_f32 v25, v53, v71
	v_mul_f32_e32 v34, v83, v71
	v_fma_f32 v2, v11, v67, -v2
	v_mul_f32_e32 v11, v36, v73
	s_delay_alu instid0(VALU_DEP_4) | instskip(SKIP_1) | instid1(VALU_DEP_4)
	v_fma_f32 v22, v39, v69, -v22
	v_dual_mul_f32 v36, v95, v73 :: v_dual_mul_f32 v39, v118, v74
	v_add_f32_e32 v98, v98, v2
	v_mul_f32_e32 v2, v35, v72
	v_fma_f32 v11, v15, v69, -v11
	v_mul_f32_e32 v15, v37, v74
	v_mul_f32_e32 v37, v111, v74
	;; [unrolled: 1-line block ×3, first 2 shown]
	v_fma_f32 v2, v23, v68, -v2
	v_mul_f32_e32 v23, v45, v71
	v_fma_f32 v15, v16, v70, -v15
	v_mul_f32_e32 v16, v41, v71
	;; [unrolled: 2-line block ×5, first 2 shown]
	v_mul_f32_e32 v38, v115, v72
	v_fma_f32 v25, v49, v67, -v25
	v_fma_f32 v10, v10, v68, -v23
	v_mul_f32_e32 v23, v47, v73
	v_add_f32_e32 v131, v131, v16
	v_fma_f32 v12, v13, v67, -v12
	v_dual_mul_f32 v13, v20, v72 :: v_dual_mul_f32 v20, v27, v74
	s_delay_alu instid0(VALU_DEP_4)
	v_fma_f32 v4, v4, v69, -v23
	v_mul_f32_e32 v23, v48, v74
	v_fma_f32 v6, v6, v68, -v38
	v_dual_mul_f32 v38, v116, v73 :: v_dual_add_f32 v141, v141, v2
	v_fma_f32 v13, v14, v68, -v13
	v_dual_mul_f32 v14, v24, v73 :: v_dual_add_f32 v129, v129, v22
	v_fma_f32 v23, v44, v70, -v23
	v_fma_f32 v32, v59, v69, -v32
	;; [unrolled: 1-line block ×10, first 2 shown]
	v_dual_add_f32 v138, v138, v11 :: v_dual_add_f32 v127, v127, v8
	v_dual_add_f32 v134, v134, v15 :: v_dual_add_f32 v125, v125, v4
	;; [unrolled: 1-line block ×4, first 2 shown]
	v_add_f32_e32 v126, v126, v10
	v_add_f32_e32 v110, v110, v28
	v_dual_add_f32 v104, v104, v29 :: v_dual_add_f32 v97, v97, v34
	v_dual_add_f32 v100, v100, v32 :: v_dual_add_f32 v91, v91, v37
	;; [unrolled: 1-line block ×6, first 2 shown]
	v_add_f32_e32 v86, v86, v13
	v_add_f32_e32 v84, v84, v1
	s_cbranch_scc1 .LBB134_8
; %bb.9:                                ;   in Loop: Header=BB134_5 Depth=1
	s_add_co_i32 s4, s4, 1
	s_wait_loadcnt 0x0
	s_wait_alu 0xfffe
	s_cmp_eq_u32 s4, s15
	s_barrier_signal -1
	s_barrier_wait -1
	global_inv scope:SCOPE_SE
	s_cbranch_scc0 .LBB134_5
; %bb.10:
	s_clause 0x2
	scratch_load_b32 v1, off, off offset:224 th:TH_LOAD_LU
	scratch_load_b32 v2, off, off offset:228 th:TH_LOAD_LU
	scratch_load_b32 v3, off, off offset:232
.LBB134_11:
	s_mov_b32 s0, exec_lo
	s_wait_loadcnt 0x0
	v_cmpx_gt_u32_e64 s6, v3
	s_cbranch_execz .LBB134_62
; %bb.12:
	v_add_nc_u32_e32 v0, s14, v2
	v_mul_lo_u32 v5, v3, s12
	s_delay_alu instid0(VALU_DEP_2)
	v_cmp_gt_u32_e32 vcc_lo, s12, v0
	s_and_saveexec_b32 s1, vcc_lo
	s_cbranch_execz .LBB134_14
; %bb.13:
	s_delay_alu instid0(VALU_DEP_2) | instskip(NEXT) | instid1(VALU_DEP_1)
	v_dual_mov_b32 v3, 0 :: v_dual_add_nc_u32 v2, v0, v5
	v_lshlrev_b64_e32 v[2:3], 2, v[2:3]
	s_wait_kmcnt 0x0
	s_delay_alu instid0(VALU_DEP_1) | instskip(NEXT) | instid1(VALU_DEP_1)
	v_add_co_u32 v2, s0, s8, v2
	v_add_co_ci_u32_e64 v3, null, s9, v3, s0
	global_store_b32 v[2:3], v98, off
.LBB134_14:
	s_or_b32 exec_lo, exec_lo, s1
	v_add_nc_u32_e32 v2, 32, v0
	s_delay_alu instid0(VALU_DEP_1)
	v_cmp_gt_u32_e64 s0, s12, v2
	s_and_saveexec_b32 s2, s0
	s_cbranch_execz .LBB134_16
; %bb.15:
	v_dual_mov_b32 v4, 0 :: v_dual_add_nc_u32 v3, v2, v5
	s_delay_alu instid0(VALU_DEP_1) | instskip(SKIP_1) | instid1(VALU_DEP_1)
	v_lshlrev_b64_e32 v[3:4], 2, v[3:4]
	s_wait_kmcnt 0x0
	v_add_co_u32 v3, s1, s8, v3
	s_wait_alu 0xf1ff
	s_delay_alu instid0(VALU_DEP_2)
	v_add_co_ci_u32_e64 v4, null, s9, v4, s1
	global_store_b32 v[3:4], v141, off
.LBB134_16:
	s_wait_alu 0xfffe
	s_or_b32 exec_lo, exec_lo, s2
	v_add_nc_u32_e32 v3, 64, v0
	s_delay_alu instid0(VALU_DEP_1)
	v_cmp_gt_u32_e64 s1, s12, v3
	s_and_saveexec_b32 s3, s1
	s_cbranch_execz .LBB134_18
; %bb.17:
	v_dual_mov_b32 v7, 0 :: v_dual_add_nc_u32 v6, v3, v5
	s_delay_alu instid0(VALU_DEP_1) | instskip(SKIP_1) | instid1(VALU_DEP_1)
	v_lshlrev_b64_e32 v[6:7], 2, v[6:7]
	s_wait_kmcnt 0x0
	v_add_co_u32 v6, s2, s8, v6
	s_wait_alu 0xf1ff
	s_delay_alu instid0(VALU_DEP_2)
	v_add_co_ci_u32_e64 v7, null, s9, v7, s2
	global_store_b32 v[6:7], v138, off
.LBB134_18:
	s_wait_alu 0xfffe
	;; [unrolled: 18-line block ×3, first 2 shown]
	s_or_b32 exec_lo, exec_lo, s4
	v_add3_u32 v5, v1, s13, 8
	s_delay_alu instid0(VALU_DEP_1)
	v_cmp_gt_u32_e64 s3, s6, v5
	s_and_b32 exec_lo, exec_lo, s3
	s_cbranch_execz .LBB134_62
; %bb.21:
	v_mul_lo_u32 v5, v5, s12
	s_and_saveexec_b32 s4, vcc_lo
	s_cbranch_execnz .LBB134_63
; %bb.22:
	s_wait_alu 0xfffe
	s_or_b32 exec_lo, exec_lo, s4
	s_and_saveexec_b32 s4, s0
	s_cbranch_execnz .LBB134_64
.LBB134_23:
	s_wait_alu 0xfffe
	s_or_b32 exec_lo, exec_lo, s4
	s_and_saveexec_b32 s4, s1
	s_cbranch_execnz .LBB134_65
.LBB134_24:
	s_wait_alu 0xfffe
	s_or_b32 exec_lo, exec_lo, s4
	s_and_saveexec_b32 s4, s2
	s_cbranch_execz .LBB134_26
.LBB134_25:
	v_dual_mov_b32 v6, 0 :: v_dual_add_nc_u32 v5, v5, v4
	s_delay_alu instid0(VALU_DEP_1) | instskip(SKIP_1) | instid1(VALU_DEP_1)
	v_lshlrev_b64_e32 v[5:6], 2, v[5:6]
	s_wait_kmcnt 0x0
	v_add_co_u32 v5, s3, s8, v5
	s_wait_alu 0xf1ff
	s_delay_alu instid0(VALU_DEP_2)
	v_add_co_ci_u32_e64 v6, null, s9, v6, s3
	global_store_b32 v[5:6], v128, off
.LBB134_26:
	s_wait_alu 0xfffe
	s_or_b32 exec_lo, exec_lo, s4
	v_add3_u32 v5, v1, s13, 16
	s_delay_alu instid0(VALU_DEP_1)
	v_cmp_gt_u32_e64 s3, s6, v5
	s_and_b32 exec_lo, exec_lo, s3
	s_cbranch_execz .LBB134_62
; %bb.27:
	v_mul_lo_u32 v5, v5, s12
	s_and_saveexec_b32 s4, vcc_lo
	s_cbranch_execnz .LBB134_66
; %bb.28:
	s_wait_alu 0xfffe
	s_or_b32 exec_lo, exec_lo, s4
	s_and_saveexec_b32 s4, s0
	s_cbranch_execnz .LBB134_67
.LBB134_29:
	s_wait_alu 0xfffe
	s_or_b32 exec_lo, exec_lo, s4
	s_and_saveexec_b32 s4, s1
	s_cbranch_execnz .LBB134_68
.LBB134_30:
	s_wait_alu 0xfffe
	s_or_b32 exec_lo, exec_lo, s4
	s_and_saveexec_b32 s4, s2
	s_cbranch_execz .LBB134_32
.LBB134_31:
	v_dual_mov_b32 v6, 0 :: v_dual_add_nc_u32 v5, v5, v4
	s_delay_alu instid0(VALU_DEP_1) | instskip(SKIP_1) | instid1(VALU_DEP_1)
	v_lshlrev_b64_e32 v[5:6], 2, v[5:6]
	s_wait_kmcnt 0x0
	v_add_co_u32 v5, s3, s8, v5
	s_wait_alu 0xf1ff
	s_delay_alu instid0(VALU_DEP_2)
	v_add_co_ci_u32_e64 v6, null, s9, v6, s3
	global_store_b32 v[5:6], v121, off
.LBB134_32:
	s_wait_alu 0xfffe
	s_or_b32 exec_lo, exec_lo, s4
	v_add3_u32 v5, v1, s13, 24
	s_delay_alu instid0(VALU_DEP_1)
	v_cmp_gt_u32_e64 s3, s6, v5
	s_and_b32 exec_lo, exec_lo, s3
	s_cbranch_execz .LBB134_62
; %bb.33:
	v_mul_lo_u32 v5, v5, s12
	s_and_saveexec_b32 s4, vcc_lo
	s_cbranch_execnz .LBB134_69
; %bb.34:
	s_wait_alu 0xfffe
	s_or_b32 exec_lo, exec_lo, s4
	s_and_saveexec_b32 s4, s0
	s_cbranch_execnz .LBB134_70
.LBB134_35:
	s_wait_alu 0xfffe
	s_or_b32 exec_lo, exec_lo, s4
	s_and_saveexec_b32 s4, s1
	s_cbranch_execnz .LBB134_71
.LBB134_36:
	s_wait_alu 0xfffe
	s_or_b32 exec_lo, exec_lo, s4
	s_and_saveexec_b32 s4, s2
	s_cbranch_execz .LBB134_38
.LBB134_37:
	v_dual_mov_b32 v6, 0 :: v_dual_add_nc_u32 v5, v5, v4
	s_delay_alu instid0(VALU_DEP_1) | instskip(SKIP_1) | instid1(VALU_DEP_1)
	v_lshlrev_b64_e32 v[5:6], 2, v[5:6]
	s_wait_kmcnt 0x0
	v_add_co_u32 v5, s3, s8, v5
	s_wait_alu 0xf1ff
	s_delay_alu instid0(VALU_DEP_2)
	v_add_co_ci_u32_e64 v6, null, s9, v6, s3
	global_store_b32 v[5:6], v104, off
.LBB134_38:
	s_wait_alu 0xfffe
	s_or_b32 exec_lo, exec_lo, s4
	v_add3_u32 v5, v1, s13, 32
	s_delay_alu instid0(VALU_DEP_1)
	v_cmp_gt_u32_e64 s3, s6, v5
	s_and_b32 exec_lo, exec_lo, s3
	s_cbranch_execz .LBB134_62
; %bb.39:
	v_mul_lo_u32 v5, v5, s12
	s_and_saveexec_b32 s4, vcc_lo
	s_cbranch_execnz .LBB134_72
; %bb.40:
	s_wait_alu 0xfffe
	s_or_b32 exec_lo, exec_lo, s4
	s_and_saveexec_b32 s4, s0
	s_cbranch_execnz .LBB134_73
.LBB134_41:
	s_wait_alu 0xfffe
	s_or_b32 exec_lo, exec_lo, s4
	s_and_saveexec_b32 s4, s1
	s_cbranch_execnz .LBB134_74
.LBB134_42:
	s_wait_alu 0xfffe
	s_or_b32 exec_lo, exec_lo, s4
	s_and_saveexec_b32 s4, s2
	s_cbranch_execz .LBB134_44
.LBB134_43:
	v_dual_mov_b32 v6, 0 :: v_dual_add_nc_u32 v5, v5, v4
	s_delay_alu instid0(VALU_DEP_1) | instskip(SKIP_1) | instid1(VALU_DEP_1)
	v_lshlrev_b64_e32 v[5:6], 2, v[5:6]
	s_wait_kmcnt 0x0
	v_add_co_u32 v5, s3, s8, v5
	s_wait_alu 0xf1ff
	s_delay_alu instid0(VALU_DEP_2)
	v_add_co_ci_u32_e64 v6, null, s9, v6, s3
	global_store_b32 v[5:6], v99, off
.LBB134_44:
	s_wait_alu 0xfffe
	s_or_b32 exec_lo, exec_lo, s4
	v_add3_u32 v5, v1, s13, 40
	s_delay_alu instid0(VALU_DEP_1)
	v_cmp_gt_u32_e64 s3, s6, v5
	s_and_b32 exec_lo, exec_lo, s3
	s_cbranch_execz .LBB134_62
; %bb.45:
	v_mul_lo_u32 v5, v5, s12
	s_and_saveexec_b32 s4, vcc_lo
	s_cbranch_execnz .LBB134_75
; %bb.46:
	s_wait_alu 0xfffe
	s_or_b32 exec_lo, exec_lo, s4
	s_and_saveexec_b32 s4, s0
	s_cbranch_execnz .LBB134_76
.LBB134_47:
	s_wait_alu 0xfffe
	s_or_b32 exec_lo, exec_lo, s4
	s_and_saveexec_b32 s4, s1
	s_cbranch_execnz .LBB134_77
.LBB134_48:
	s_wait_alu 0xfffe
	s_or_b32 exec_lo, exec_lo, s4
	s_and_saveexec_b32 s4, s2
	s_cbranch_execz .LBB134_50
.LBB134_49:
	v_dual_mov_b32 v6, 0 :: v_dual_add_nc_u32 v5, v5, v4
	s_delay_alu instid0(VALU_DEP_1) | instskip(SKIP_1) | instid1(VALU_DEP_1)
	v_lshlrev_b64_e32 v[5:6], 2, v[5:6]
	s_wait_kmcnt 0x0
	v_add_co_u32 v5, s3, s8, v5
	s_wait_alu 0xf1ff
	s_delay_alu instid0(VALU_DEP_2)
	v_add_co_ci_u32_e64 v6, null, s9, v6, s3
	global_store_b32 v[5:6], v92, off
.LBB134_50:
	s_wait_alu 0xfffe
	s_or_b32 exec_lo, exec_lo, s4
	v_add3_u32 v5, v1, s13, 48
	s_delay_alu instid0(VALU_DEP_1)
	v_cmp_gt_u32_e64 s3, s6, v5
	s_and_b32 exec_lo, exec_lo, s3
	s_cbranch_execz .LBB134_62
; %bb.51:
	v_mul_lo_u32 v5, v5, s12
	s_and_saveexec_b32 s4, vcc_lo
	s_cbranch_execnz .LBB134_78
; %bb.52:
	s_wait_alu 0xfffe
	s_or_b32 exec_lo, exec_lo, s4
	s_and_saveexec_b32 s4, s0
	s_cbranch_execnz .LBB134_79
.LBB134_53:
	s_wait_alu 0xfffe
	s_or_b32 exec_lo, exec_lo, s4
	s_and_saveexec_b32 s4, s1
	s_cbranch_execnz .LBB134_80
.LBB134_54:
	s_wait_alu 0xfffe
	s_or_b32 exec_lo, exec_lo, s4
	s_and_saveexec_b32 s4, s2
	s_cbranch_execz .LBB134_56
.LBB134_55:
	v_dual_mov_b32 v6, 0 :: v_dual_add_nc_u32 v5, v5, v4
	s_delay_alu instid0(VALU_DEP_1) | instskip(SKIP_1) | instid1(VALU_DEP_1)
	v_lshlrev_b64_e32 v[5:6], 2, v[5:6]
	s_wait_kmcnt 0x0
	v_add_co_u32 v5, s3, s8, v5
	s_wait_alu 0xf1ff
	s_delay_alu instid0(VALU_DEP_2)
	v_add_co_ci_u32_e64 v6, null, s9, v6, s3
	global_store_b32 v[5:6], v88, off
.LBB134_56:
	s_wait_alu 0xfffe
	s_or_b32 exec_lo, exec_lo, s4
	v_add3_u32 v1, v1, s13, 56
	s_delay_alu instid0(VALU_DEP_1)
	v_cmp_gt_u32_e64 s3, s6, v1
	s_and_b32 exec_lo, exec_lo, s3
	s_cbranch_execz .LBB134_62
; %bb.57:
	v_mul_lo_u32 v1, v1, s12
	s_and_saveexec_b32 s3, vcc_lo
	s_cbranch_execnz .LBB134_81
; %bb.58:
	s_wait_alu 0xfffe
	s_or_b32 exec_lo, exec_lo, s3
	s_and_saveexec_b32 s3, s0
	s_cbranch_execnz .LBB134_82
.LBB134_59:
	s_wait_alu 0xfffe
	s_or_b32 exec_lo, exec_lo, s3
	s_and_saveexec_b32 s0, s1
	s_cbranch_execnz .LBB134_83
.LBB134_60:
	s_wait_alu 0xfffe
	s_or_b32 exec_lo, exec_lo, s0
	s_delay_alu instid0(SALU_CYCLE_1)
	s_and_b32 exec_lo, exec_lo, s2
	s_cbranch_execz .LBB134_62
.LBB134_61:
	v_dual_mov_b32 v1, 0 :: v_dual_add_nc_u32 v0, v1, v4
	s_delay_alu instid0(VALU_DEP_1) | instskip(SKIP_1) | instid1(VALU_DEP_1)
	v_lshlrev_b64_e32 v[0:1], 2, v[0:1]
	s_wait_kmcnt 0x0
	v_add_co_u32 v0, vcc_lo, s8, v0
	s_wait_alu 0xfffd
	s_delay_alu instid0(VALU_DEP_2)
	v_add_co_ci_u32_e64 v1, null, s9, v1, vcc_lo
	global_store_b32 v[0:1], v84, off
.LBB134_62:
	s_nop 0
	s_sendmsg sendmsg(MSG_DEALLOC_VGPRS)
	s_endpgm
.LBB134_63:
	s_delay_alu instid0(VALU_DEP_1) | instskip(NEXT) | instid1(VALU_DEP_1)
	v_dual_mov_b32 v7, 0 :: v_dual_add_nc_u32 v6, v5, v0
	v_lshlrev_b64_e32 v[6:7], 2, v[6:7]
	s_wait_kmcnt 0x0
	s_delay_alu instid0(VALU_DEP_1) | instskip(SKIP_1) | instid1(VALU_DEP_2)
	v_add_co_u32 v6, s3, s8, v6
	s_wait_alu 0xf1ff
	v_add_co_ci_u32_e64 v7, null, s9, v7, s3
	global_store_b32 v[6:7], v131, off
	s_wait_alu 0xfffe
	s_or_b32 exec_lo, exec_lo, s4
	s_and_saveexec_b32 s4, s0
	s_cbranch_execz .LBB134_23
.LBB134_64:
	s_delay_alu instid0(VALU_DEP_1) | instskip(NEXT) | instid1(VALU_DEP_1)
	v_dual_mov_b32 v7, 0 :: v_dual_add_nc_u32 v6, v5, v2
	v_lshlrev_b64_e32 v[6:7], 2, v[6:7]
	s_wait_kmcnt 0x0
	s_delay_alu instid0(VALU_DEP_1) | instskip(SKIP_1) | instid1(VALU_DEP_2)
	v_add_co_u32 v6, s3, s8, v6
	s_wait_alu 0xf1ff
	v_add_co_ci_u32_e64 v7, null, s9, v7, s3
	global_store_b32 v[6:7], v130, off
	s_wait_alu 0xfffe
	s_or_b32 exec_lo, exec_lo, s4
	s_and_saveexec_b32 s4, s1
	s_cbranch_execz .LBB134_24
.LBB134_65:
	v_dual_mov_b32 v7, 0 :: v_dual_add_nc_u32 v6, v5, v3
	s_delay_alu instid0(VALU_DEP_1) | instskip(SKIP_1) | instid1(VALU_DEP_1)
	v_lshlrev_b64_e32 v[6:7], 2, v[6:7]
	s_wait_kmcnt 0x0
	v_add_co_u32 v6, s3, s8, v6
	s_wait_alu 0xf1ff
	s_delay_alu instid0(VALU_DEP_2)
	v_add_co_ci_u32_e64 v7, null, s9, v7, s3
	global_store_b32 v[6:7], v129, off
	s_wait_alu 0xfffe
	s_or_b32 exec_lo, exec_lo, s4
	s_and_saveexec_b32 s4, s2
	s_cbranch_execnz .LBB134_25
	s_branch .LBB134_26
.LBB134_66:
	s_delay_alu instid0(VALU_DEP_1) | instskip(NEXT) | instid1(VALU_DEP_1)
	v_dual_mov_b32 v7, 0 :: v_dual_add_nc_u32 v6, v5, v0
	v_lshlrev_b64_e32 v[6:7], 2, v[6:7]
	s_wait_kmcnt 0x0
	s_delay_alu instid0(VALU_DEP_1) | instskip(SKIP_1) | instid1(VALU_DEP_2)
	v_add_co_u32 v6, s3, s8, v6
	s_wait_alu 0xf1ff
	v_add_co_ci_u32_e64 v7, null, s9, v7, s3
	global_store_b32 v[6:7], v127, off
	s_wait_alu 0xfffe
	s_or_b32 exec_lo, exec_lo, s4
	s_and_saveexec_b32 s4, s0
	s_cbranch_execz .LBB134_29
.LBB134_67:
	s_delay_alu instid0(VALU_DEP_1) | instskip(NEXT) | instid1(VALU_DEP_1)
	v_dual_mov_b32 v7, 0 :: v_dual_add_nc_u32 v6, v5, v2
	v_lshlrev_b64_e32 v[6:7], 2, v[6:7]
	s_wait_kmcnt 0x0
	s_delay_alu instid0(VALU_DEP_1) | instskip(SKIP_1) | instid1(VALU_DEP_2)
	v_add_co_u32 v6, s3, s8, v6
	s_wait_alu 0xf1ff
	v_add_co_ci_u32_e64 v7, null, s9, v7, s3
	global_store_b32 v[6:7], v126, off
	s_wait_alu 0xfffe
	s_or_b32 exec_lo, exec_lo, s4
	s_and_saveexec_b32 s4, s1
	s_cbranch_execz .LBB134_30
.LBB134_68:
	v_dual_mov_b32 v7, 0 :: v_dual_add_nc_u32 v6, v5, v3
	s_delay_alu instid0(VALU_DEP_1) | instskip(SKIP_1) | instid1(VALU_DEP_1)
	v_lshlrev_b64_e32 v[6:7], 2, v[6:7]
	s_wait_kmcnt 0x0
	v_add_co_u32 v6, s3, s8, v6
	s_wait_alu 0xf1ff
	s_delay_alu instid0(VALU_DEP_2)
	v_add_co_ci_u32_e64 v7, null, s9, v7, s3
	global_store_b32 v[6:7], v125, off
	s_wait_alu 0xfffe
	s_or_b32 exec_lo, exec_lo, s4
	s_and_saveexec_b32 s4, s2
	s_cbranch_execnz .LBB134_31
	s_branch .LBB134_32
.LBB134_69:
	s_delay_alu instid0(VALU_DEP_1) | instskip(NEXT) | instid1(VALU_DEP_1)
	v_dual_mov_b32 v7, 0 :: v_dual_add_nc_u32 v6, v5, v0
	v_lshlrev_b64_e32 v[6:7], 2, v[6:7]
	s_wait_kmcnt 0x0
	s_delay_alu instid0(VALU_DEP_1) | instskip(SKIP_1) | instid1(VALU_DEP_2)
	v_add_co_u32 v6, s3, s8, v6
	s_wait_alu 0xf1ff
	v_add_co_ci_u32_e64 v7, null, s9, v7, s3
	global_store_b32 v[6:7], v117, off
	s_wait_alu 0xfffe
	s_or_b32 exec_lo, exec_lo, s4
	s_and_saveexec_b32 s4, s0
	s_cbranch_execz .LBB134_35
.LBB134_70:
	s_delay_alu instid0(VALU_DEP_1) | instskip(NEXT) | instid1(VALU_DEP_1)
	v_dual_mov_b32 v7, 0 :: v_dual_add_nc_u32 v6, v5, v2
	v_lshlrev_b64_e32 v[6:7], 2, v[6:7]
	s_wait_kmcnt 0x0
	s_delay_alu instid0(VALU_DEP_1) | instskip(SKIP_1) | instid1(VALU_DEP_2)
	v_add_co_u32 v6, s3, s8, v6
	s_wait_alu 0xf1ff
	v_add_co_ci_u32_e64 v7, null, s9, v7, s3
	global_store_b32 v[6:7], v113, off
	s_wait_alu 0xfffe
	s_or_b32 exec_lo, exec_lo, s4
	s_and_saveexec_b32 s4, s1
	s_cbranch_execz .LBB134_36
.LBB134_71:
	v_dual_mov_b32 v7, 0 :: v_dual_add_nc_u32 v6, v5, v3
	s_delay_alu instid0(VALU_DEP_1) | instskip(SKIP_1) | instid1(VALU_DEP_1)
	v_lshlrev_b64_e32 v[6:7], 2, v[6:7]
	s_wait_kmcnt 0x0
	v_add_co_u32 v6, s3, s8, v6
	s_wait_alu 0xf1ff
	s_delay_alu instid0(VALU_DEP_2)
	v_add_co_ci_u32_e64 v7, null, s9, v7, s3
	global_store_b32 v[6:7], v110, off
	s_wait_alu 0xfffe
	s_or_b32 exec_lo, exec_lo, s4
	s_and_saveexec_b32 s4, s2
	s_cbranch_execnz .LBB134_37
	s_branch .LBB134_38
.LBB134_72:
	s_delay_alu instid0(VALU_DEP_1) | instskip(NEXT) | instid1(VALU_DEP_1)
	v_dual_mov_b32 v7, 0 :: v_dual_add_nc_u32 v6, v5, v0
	v_lshlrev_b64_e32 v[6:7], 2, v[6:7]
	s_wait_kmcnt 0x0
	s_delay_alu instid0(VALU_DEP_1) | instskip(SKIP_1) | instid1(VALU_DEP_2)
	v_add_co_u32 v6, s3, s8, v6
	s_wait_alu 0xf1ff
	v_add_co_ci_u32_e64 v7, null, s9, v7, s3
	global_store_b32 v[6:7], v102, off
	s_wait_alu 0xfffe
	s_or_b32 exec_lo, exec_lo, s4
	s_and_saveexec_b32 s4, s0
	s_cbranch_execz .LBB134_41
.LBB134_73:
	s_delay_alu instid0(VALU_DEP_1) | instskip(NEXT) | instid1(VALU_DEP_1)
	v_dual_mov_b32 v7, 0 :: v_dual_add_nc_u32 v6, v5, v2
	v_lshlrev_b64_e32 v[6:7], 2, v[6:7]
	s_wait_kmcnt 0x0
	s_delay_alu instid0(VALU_DEP_1) | instskip(SKIP_1) | instid1(VALU_DEP_2)
	v_add_co_u32 v6, s3, s8, v6
	s_wait_alu 0xf1ff
	v_add_co_ci_u32_e64 v7, null, s9, v7, s3
	global_store_b32 v[6:7], v101, off
	s_wait_alu 0xfffe
	s_or_b32 exec_lo, exec_lo, s4
	s_and_saveexec_b32 s4, s1
	s_cbranch_execz .LBB134_42
.LBB134_74:
	v_dual_mov_b32 v7, 0 :: v_dual_add_nc_u32 v6, v5, v3
	s_delay_alu instid0(VALU_DEP_1) | instskip(SKIP_1) | instid1(VALU_DEP_1)
	v_lshlrev_b64_e32 v[6:7], 2, v[6:7]
	s_wait_kmcnt 0x0
	v_add_co_u32 v6, s3, s8, v6
	s_wait_alu 0xf1ff
	s_delay_alu instid0(VALU_DEP_2)
	v_add_co_ci_u32_e64 v7, null, s9, v7, s3
	global_store_b32 v[6:7], v100, off
	s_wait_alu 0xfffe
	s_or_b32 exec_lo, exec_lo, s4
	s_and_saveexec_b32 s4, s2
	s_cbranch_execnz .LBB134_43
	s_branch .LBB134_44
.LBB134_75:
	s_delay_alu instid0(VALU_DEP_1) | instskip(NEXT) | instid1(VALU_DEP_1)
	v_dual_mov_b32 v7, 0 :: v_dual_add_nc_u32 v6, v5, v0
	v_lshlrev_b64_e32 v[6:7], 2, v[6:7]
	s_wait_kmcnt 0x0
	s_delay_alu instid0(VALU_DEP_1) | instskip(SKIP_1) | instid1(VALU_DEP_2)
	v_add_co_u32 v6, s3, s8, v6
	s_wait_alu 0xf1ff
	v_add_co_ci_u32_e64 v7, null, s9, v7, s3
	global_store_b32 v[6:7], v97, off
	s_wait_alu 0xfffe
	s_or_b32 exec_lo, exec_lo, s4
	s_and_saveexec_b32 s4, s0
	s_cbranch_execz .LBB134_47
.LBB134_76:
	s_delay_alu instid0(VALU_DEP_1) | instskip(NEXT) | instid1(VALU_DEP_1)
	v_dual_mov_b32 v7, 0 :: v_dual_add_nc_u32 v6, v5, v2
	v_lshlrev_b64_e32 v[6:7], 2, v[6:7]
	s_wait_kmcnt 0x0
	s_delay_alu instid0(VALU_DEP_1) | instskip(SKIP_1) | instid1(VALU_DEP_2)
	v_add_co_u32 v6, s3, s8, v6
	s_wait_alu 0xf1ff
	v_add_co_ci_u32_e64 v7, null, s9, v7, s3
	global_store_b32 v[6:7], v96, off
	s_wait_alu 0xfffe
	s_or_b32 exec_lo, exec_lo, s4
	s_and_saveexec_b32 s4, s1
	s_cbranch_execz .LBB134_48
.LBB134_77:
	v_dual_mov_b32 v7, 0 :: v_dual_add_nc_u32 v6, v5, v3
	s_delay_alu instid0(VALU_DEP_1) | instskip(SKIP_1) | instid1(VALU_DEP_1)
	v_lshlrev_b64_e32 v[6:7], 2, v[6:7]
	s_wait_kmcnt 0x0
	v_add_co_u32 v6, s3, s8, v6
	s_wait_alu 0xf1ff
	s_delay_alu instid0(VALU_DEP_2)
	v_add_co_ci_u32_e64 v7, null, s9, v7, s3
	global_store_b32 v[6:7], v93, off
	s_wait_alu 0xfffe
	s_or_b32 exec_lo, exec_lo, s4
	s_and_saveexec_b32 s4, s2
	s_cbranch_execnz .LBB134_49
	s_branch .LBB134_50
.LBB134_78:
	s_delay_alu instid0(VALU_DEP_1) | instskip(NEXT) | instid1(VALU_DEP_1)
	v_dual_mov_b32 v7, 0 :: v_dual_add_nc_u32 v6, v5, v0
	v_lshlrev_b64_e32 v[6:7], 2, v[6:7]
	s_wait_kmcnt 0x0
	s_delay_alu instid0(VALU_DEP_1) | instskip(SKIP_1) | instid1(VALU_DEP_2)
	v_add_co_u32 v6, s3, s8, v6
	s_wait_alu 0xf1ff
	v_add_co_ci_u32_e64 v7, null, s9, v7, s3
	global_store_b32 v[6:7], v91, off
	s_wait_alu 0xfffe
	s_or_b32 exec_lo, exec_lo, s4
	s_and_saveexec_b32 s4, s0
	s_cbranch_execz .LBB134_53
.LBB134_79:
	s_delay_alu instid0(VALU_DEP_1) | instskip(NEXT) | instid1(VALU_DEP_1)
	v_dual_mov_b32 v7, 0 :: v_dual_add_nc_u32 v6, v5, v2
	v_lshlrev_b64_e32 v[6:7], 2, v[6:7]
	s_wait_kmcnt 0x0
	s_delay_alu instid0(VALU_DEP_1) | instskip(SKIP_1) | instid1(VALU_DEP_2)
	v_add_co_u32 v6, s3, s8, v6
	s_wait_alu 0xf1ff
	v_add_co_ci_u32_e64 v7, null, s9, v7, s3
	global_store_b32 v[6:7], v90, off
	s_wait_alu 0xfffe
	s_or_b32 exec_lo, exec_lo, s4
	s_and_saveexec_b32 s4, s1
	s_cbranch_execz .LBB134_54
.LBB134_80:
	v_dual_mov_b32 v7, 0 :: v_dual_add_nc_u32 v6, v5, v3
	s_delay_alu instid0(VALU_DEP_1) | instskip(SKIP_1) | instid1(VALU_DEP_1)
	v_lshlrev_b64_e32 v[6:7], 2, v[6:7]
	s_wait_kmcnt 0x0
	v_add_co_u32 v6, s3, s8, v6
	s_wait_alu 0xf1ff
	s_delay_alu instid0(VALU_DEP_2)
	v_add_co_ci_u32_e64 v7, null, s9, v7, s3
	global_store_b32 v[6:7], v89, off
	s_wait_alu 0xfffe
	s_or_b32 exec_lo, exec_lo, s4
	s_and_saveexec_b32 s4, s2
	s_cbranch_execnz .LBB134_55
	s_branch .LBB134_56
.LBB134_81:
	s_delay_alu instid0(VALU_DEP_1) | instskip(NEXT) | instid1(VALU_DEP_1)
	v_dual_mov_b32 v6, 0 :: v_dual_add_nc_u32 v5, v1, v0
	v_lshlrev_b64_e32 v[5:6], 2, v[5:6]
	s_wait_kmcnt 0x0
	s_delay_alu instid0(VALU_DEP_1) | instskip(SKIP_1) | instid1(VALU_DEP_2)
	v_add_co_u32 v5, vcc_lo, s8, v5
	s_wait_alu 0xfffd
	v_add_co_ci_u32_e64 v6, null, s9, v6, vcc_lo
	global_store_b32 v[5:6], v87, off
	s_wait_alu 0xfffe
	s_or_b32 exec_lo, exec_lo, s3
	s_and_saveexec_b32 s3, s0
	s_cbranch_execz .LBB134_59
.LBB134_82:
	s_delay_alu instid0(VALU_DEP_1) | instskip(NEXT) | instid1(VALU_DEP_1)
	v_dual_mov_b32 v6, 0 :: v_dual_add_nc_u32 v5, v1, v2
	v_lshlrev_b64_e32 v[5:6], 2, v[5:6]
	s_wait_kmcnt 0x0
	s_delay_alu instid0(VALU_DEP_1) | instskip(SKIP_1) | instid1(VALU_DEP_2)
	v_add_co_u32 v5, vcc_lo, s8, v5
	s_wait_alu 0xfffd
	v_add_co_ci_u32_e64 v6, null, s9, v6, vcc_lo
	global_store_b32 v[5:6], v86, off
	s_wait_alu 0xfffe
	s_or_b32 exec_lo, exec_lo, s3
	s_and_saveexec_b32 s0, s1
	s_cbranch_execz .LBB134_60
.LBB134_83:
	v_dual_mov_b32 v3, 0 :: v_dual_add_nc_u32 v2, v1, v3
	s_delay_alu instid0(VALU_DEP_1) | instskip(SKIP_1) | instid1(VALU_DEP_1)
	v_lshlrev_b64_e32 v[2:3], 2, v[2:3]
	s_wait_kmcnt 0x0
	v_add_co_u32 v2, vcc_lo, s8, v2
	s_wait_alu 0xfffd
	s_delay_alu instid0(VALU_DEP_2) | instskip(SKIP_3) | instid1(SALU_CYCLE_1)
	v_add_co_ci_u32_e64 v3, null, s9, v3, vcc_lo
	global_store_b32 v[2:3], v85, off
	s_wait_alu 0xfffe
	s_or_b32 exec_lo, exec_lo, s0
	s_and_b32 exec_lo, exec_lo, s2
	s_cbranch_execnz .LBB134_61
	s_branch .LBB134_62
	.section	.rodata,"a",@progbits
	.p2align	6, 0x0
	.amdhsa_kernel _ZL12mul_mat_q5_KIfLb1EEvPKvS1_PT_iiiii
		.amdhsa_group_segment_fixed_size 45136
		.amdhsa_private_segment_fixed_size 240
		.amdhsa_kernarg_size 44
		.amdhsa_user_sgpr_count 2
		.amdhsa_user_sgpr_dispatch_ptr 0
		.amdhsa_user_sgpr_queue_ptr 0
		.amdhsa_user_sgpr_kernarg_segment_ptr 1
		.amdhsa_user_sgpr_dispatch_id 0
		.amdhsa_user_sgpr_private_segment_size 0
		.amdhsa_wavefront_size32 1
		.amdhsa_uses_dynamic_stack 0
		.amdhsa_enable_private_segment 1
		.amdhsa_system_sgpr_workgroup_id_x 1
		.amdhsa_system_sgpr_workgroup_id_y 1
		.amdhsa_system_sgpr_workgroup_id_z 0
		.amdhsa_system_sgpr_workgroup_info 0
		.amdhsa_system_vgpr_workitem_id 1
		.amdhsa_next_free_vgpr 256
		.amdhsa_next_free_sgpr 18
		.amdhsa_reserve_vcc 1
		.amdhsa_float_round_mode_32 0
		.amdhsa_float_round_mode_16_64 0
		.amdhsa_float_denorm_mode_32 3
		.amdhsa_float_denorm_mode_16_64 3
		.amdhsa_fp16_overflow 0
		.amdhsa_workgroup_processor_mode 1
		.amdhsa_memory_ordered 1
		.amdhsa_forward_progress 1
		.amdhsa_inst_pref_size 225
		.amdhsa_round_robin_scheduling 0
		.amdhsa_exception_fp_ieee_invalid_op 0
		.amdhsa_exception_fp_denorm_src 0
		.amdhsa_exception_fp_ieee_div_zero 0
		.amdhsa_exception_fp_ieee_overflow 0
		.amdhsa_exception_fp_ieee_underflow 0
		.amdhsa_exception_fp_ieee_inexact 0
		.amdhsa_exception_int_div_zero 0
	.end_amdhsa_kernel
	.section	.text._ZL12mul_mat_q5_KIfLb1EEvPKvS1_PT_iiiii,"axG",@progbits,_ZL12mul_mat_q5_KIfLb1EEvPKvS1_PT_iiiii,comdat
.Lfunc_end134:
	.size	_ZL12mul_mat_q5_KIfLb1EEvPKvS1_PT_iiiii, .Lfunc_end134-_ZL12mul_mat_q5_KIfLb1EEvPKvS1_PT_iiiii
                                        ; -- End function
	.set _ZL12mul_mat_q5_KIfLb1EEvPKvS1_PT_iiiii.num_vgpr, 256
	.set _ZL12mul_mat_q5_KIfLb1EEvPKvS1_PT_iiiii.num_agpr, 0
	.set _ZL12mul_mat_q5_KIfLb1EEvPKvS1_PT_iiiii.numbered_sgpr, 18
	.set _ZL12mul_mat_q5_KIfLb1EEvPKvS1_PT_iiiii.num_named_barrier, 0
	.set _ZL12mul_mat_q5_KIfLb1EEvPKvS1_PT_iiiii.private_seg_size, 240
	.set _ZL12mul_mat_q5_KIfLb1EEvPKvS1_PT_iiiii.uses_vcc, 1
	.set _ZL12mul_mat_q5_KIfLb1EEvPKvS1_PT_iiiii.uses_flat_scratch, 1
	.set _ZL12mul_mat_q5_KIfLb1EEvPKvS1_PT_iiiii.has_dyn_sized_stack, 0
	.set _ZL12mul_mat_q5_KIfLb1EEvPKvS1_PT_iiiii.has_recursion, 0
	.set _ZL12mul_mat_q5_KIfLb1EEvPKvS1_PT_iiiii.has_indirect_call, 0
	.section	.AMDGPU.csdata,"",@progbits
; Kernel info:
; codeLenInByte = 28744
; TotalNumSgprs: 20
; NumVgprs: 256
; ScratchSize: 240
; MemoryBound: 0
; FloatMode: 240
; IeeeMode: 1
; LDSByteSize: 45136 bytes/workgroup (compile time only)
; SGPRBlocks: 0
; VGPRBlocks: 31
; NumSGPRsForWavesPerEU: 20
; NumVGPRsForWavesPerEU: 256
; Occupancy: 4
; WaveLimiterHint : 0
; COMPUTE_PGM_RSRC2:SCRATCH_EN: 1
; COMPUTE_PGM_RSRC2:USER_SGPR: 2
; COMPUTE_PGM_RSRC2:TRAP_HANDLER: 0
; COMPUTE_PGM_RSRC2:TGID_X_EN: 1
; COMPUTE_PGM_RSRC2:TGID_Y_EN: 1
; COMPUTE_PGM_RSRC2:TGID_Z_EN: 0
; COMPUTE_PGM_RSRC2:TIDIG_COMP_CNT: 1
	.section	.text._ZL12mul_mat_q6_KIfLb0EEvPKvS1_PT_iiiii,"axG",@progbits,_ZL12mul_mat_q6_KIfLb0EEvPKvS1_PT_iiiii,comdat
	.globl	_ZL12mul_mat_q6_KIfLb0EEvPKvS1_PT_iiiii ; -- Begin function _ZL12mul_mat_q6_KIfLb0EEvPKvS1_PT_iiiii
	.p2align	8
	.type	_ZL12mul_mat_q6_KIfLb0EEvPKvS1_PT_iiiii,@function
_ZL12mul_mat_q6_KIfLb0EEvPKvS1_PT_iiiii: ; @_ZL12mul_mat_q6_KIfLb0EEvPKvS1_PT_iiiii
; %bb.0:
	s_clause 0x1
	s_load_b32 s10, s[0:1], 0x18
	s_load_b96 s[4:6], s[0:1], 0x20
	v_bfe_u32 v83, v0, 10, 10
	v_and_b32_e32 v28, 0x3ff, v0
	s_lshl_b32 s7, ttmp7, 6
	s_wait_kmcnt 0x0
	s_cmp_gt_i32 s10, 0xff
	s_cbranch_scc1 .LBB135_2
; %bb.1:
	v_bfe_u32 v1, v0, 10, 10
	v_and_b32_e32 v2, 0x3ff, v0
	s_mov_b32 s2, 0
	s_delay_alu instid0(VALU_DEP_2)
	v_add_nc_u32_e32 v3, s7, v1
	s_branch .LBB135_3
.LBB135_2:
	s_mov_b32 s2, -1
                                        ; implicit-def: $vgpr1
                                        ; implicit-def: $vgpr2
                                        ; implicit-def: $vgpr3
.LBB135_3:
	s_load_b64 s[8:9], s[0:1], 0x10
	v_dual_mov_b32 v70, 0 :: v_dual_mov_b32 v93, 0
	v_dual_mov_b32 v74, 0 :: v_dual_mov_b32 v99, 0
	;; [unrolled: 1-line block ×16, first 2 shown]
	s_and_not1_b32 vcc_lo, exec_lo, s2
	s_lshl_b32 s14, ttmp9, 7
	s_cbranch_vccnz .LBB135_11
; %bb.4:
	v_dual_mov_b32 v96, 0 :: v_dual_and_b32 v19, 31, v0
	s_add_co_i32 s17, s4, -1
	s_ashr_i32 s11, s10, 31
	v_cvt_f64_i32_e32 v[1:2], s17
	s_delay_alu instid0(VALU_DEP_2) | instskip(SKIP_3) | instid1(VALU_DEP_3)
	v_dual_mov_b32 v97, 0 :: v_dual_lshlrev_b32 v20, 1, v19
	v_cmp_gt_u32_e32 vcc_lo, 16, v19
	s_lshr_b32 s11, s11, 24
	v_add_nc_u16 v21, v19, -16
	v_dual_mov_b32 v81, 0 :: v_dual_add_nc_u32 v22, 0xe0, v20
	v_add_nc_u32_e32 v17, s7, v83
	s_add_co_i32 s10, s10, s11
	s_delay_alu instid0(VALU_DEP_2) | instskip(NEXT) | instid1(VALU_DEP_2)
	v_dual_cndmask_b32 v22, v22, v20 :: v_dual_lshlrev_b32 v123, 5, v83
	v_dual_mov_b32 v126, 0 :: v_dual_add_nc_u32 v9, 24, v17
	v_dual_mov_b32 v86, 0 :: v_dual_add_nc_u32 v11, 32, v17
	;; [unrolled: 1-line block ×3, first 2 shown]
	s_delay_alu instid0(VALU_DEP_3) | instskip(NEXT) | instid1(VALU_DEP_3)
	v_cvt_f64_u32_e32 v[9:10], v9
	v_cvt_f64_u32_e32 v[11:12], v11
	v_dual_mov_b32 v104, 0 :: v_dual_add_nc_u32 v5, 8, v17
	s_delay_alu instid0(VALU_DEP_4)
	v_cvt_f64_u32_e32 v[13:14], v13
	v_dual_mov_b32 v92, 0 :: v_dual_add_nc_u32 v7, 16, v17
	v_cvt_f64_u32_e32 v[3:4], v17
	v_dual_mov_b32 v76, 0 :: v_dual_add_nc_u32 v15, 48, v17
	s_clause 0x1
	scratch_store_b32 off, v17, off offset:4
	scratch_store_b32 off, v28, off
	v_dual_mov_b32 v94, 0 :: v_dual_add_nc_u32 v17, 56, v17
	v_cvt_f64_u32_e32 v[5:6], v5
	v_cvt_f64_u32_e32 v[7:8], v7
	v_cvt_f64_u32_e32 v[15:16], v15
	s_delay_alu instid0(VALU_DEP_4)
	v_cvt_f64_u32_e32 v[17:18], v17
	s_ashr_i32 s15, s10, 8
	v_cndmask_b32_e32 v21, v21, v19, vcc_lo
	s_lshl_b32 s16, s15, 3
	v_mov_b32_e32 v87, 0
	s_wait_alu 0xfffe
	v_mad_i32_i24 v98, s15, v83, s16
	v_dual_mov_b32 v72, 0 :: v_dual_mov_b32 v77, 0
	v_mov_b32_e32 v90, 0
	v_lshlrev_b32_e32 v26, 3, v83
	s_delay_alu instid0(VALU_DEP_4) | instskip(SKIP_3) | instid1(VALU_DEP_3)
	v_add_nc_u32_e32 v100, s16, v98
	v_bfe_u32 v27, v0, 2, 8
	v_dual_mov_b32 v110, 0 :: v_dual_mov_b32 v95, 0
	s_ashr_i32 s12, s5, 31
	v_add_nc_u32_e32 v102, s16, v100
	v_dual_mov_b32 v103, 0 :: v_dual_and_b32 v22, 0xfe, v22
	v_mov_b32_e32 v117, 0
	s_lshr_b32 s10, s12, 27
	s_delay_alu instid0(VALU_DEP_3)
	v_add_nc_u32_e32 v105, s16, v102
	v_min_num_f64_e32 v[9:10], v[9:10], v[1:2]
	v_min_num_f64_e32 v[11:12], v[11:12], v[1:2]
	s_load_b128 s[0:3], s[0:1], 0x0
	s_add_co_i32 s5, s5, s10
	v_min_num_f64_e32 v[13:14], v[13:14], v[1:2]
	v_add_nc_u32_e32 v106, s16, v105
	v_lshrrev_b32_e32 v23, 1, v0
	v_min_num_f64_e32 v[3:4], v[3:4], v[1:2]
	v_dual_mov_b32 v73, 0 :: v_dual_and_b32 v24, 7, v0
	s_delay_alu instid0(VALU_DEP_4)
	v_add_nc_u32_e32 v107, s16, v106
	v_dual_mov_b32 v88, 0 :: v_dual_lshlrev_b32 v111, 2, v19
	v_sub_nc_u32_e32 v19, v20, v22
	v_min_num_f64_e32 v[5:6], v[5:6], v[1:2]
	v_min_num_f64_e32 v[7:8], v[7:8], v[1:2]
	;; [unrolled: 1-line block ×4, first 2 shown]
	v_add_nc_u32_e32 v109, s16, v107
	v_add_nc_u32_e32 v17, v123, v28
	v_dual_mov_b32 v91, 0 :: v_dual_and_b32 v20, 15, v0
	v_mul_u32_u24_e32 v22, 0x41, v83
	s_delay_alu instid0(VALU_DEP_4) | instskip(NEXT) | instid1(VALU_DEP_4)
	v_add_nc_u32_e32 v112, s16, v109
	v_and_b32_e32 v25, 0x7f, v17
	v_lshrrev_b32_e32 v17, 3, v17
	v_mov_b32_e32 v74, 0
	s_ashr_i32 s5, s5, 5
	v_add_nc_u32_e32 v114, s16, v112
	v_and_or_b32 v23, v23, 8, v24
	v_dual_mov_b32 v78, 0 :: v_dual_lshlrev_b32 v19, 2, v19
	v_dual_mov_b32 v101, 0 :: v_dual_lshlrev_b32 v20, 2, v20
	s_delay_alu instid0(VALU_DEP_4)
	v_add_nc_u32_e32 v115, s16, v114
	v_dual_mov_b32 v85, 0 :: v_dual_lshlrev_b32 v22, 2, v22
	v_mov_b32_e32 v70, 0
	v_cvt_i32_f64_e32 v9, v[9:10]
	v_cvt_i32_f64_e32 v10, v[11:12]
	v_add_nc_u32_e32 v119, s16, v115
	v_lshlrev_b32_e32 v138, 2, v28
	v_cvt_i32_f64_e32 v12, v[13:14]
	v_add_nc_u16 v13, v27, v26
	v_bfe_u32 v108, v0, 5, 5
	v_cvt_i32_f64_e32 v4, v[3:4]
	v_and_b32_e32 v3, 3, v0
	v_dual_mov_b32 v75, 0 :: v_dual_add_nc_u32 v120, s16, v119
	v_lshrrev_b16 v13, 1, v13
	v_dual_mov_b32 v82, 0 :: v_dual_lshlrev_b32 v113, 2, v23
	v_cvt_i32_f64_e32 v5, v[5:6]
	v_cvt_i32_f64_e32 v7, v[7:8]
	;; [unrolled: 1-line block ×4, first 2 shown]
	v_add_nc_u32_e32 v6, v27, v26
	v_and_b32_e32 v8, 12, v17
	v_lshlrev_b32_e32 v15, 2, v25
	v_lshlrev_b32_e32 v134, 2, v3
	v_and_b32_e32 v13, 60, v13
	v_and_b32_e32 v11, 0x7f, v6
	;; [unrolled: 1-line block ×3, first 2 shown]
	v_add3_u32 v135, v15, v8, 0xae40
	v_cmp_lt_u16_e32 vcc_lo, 7, v21
	v_add3_u32 v118, v19, v20, v22
	v_xor_b32_e32 v16, 64, v11
	v_lshl_or_b32 v2, v11, 4, v134
	v_or_b32_e32 v15, s7, v6
	v_mul_i32_i24_e32 v136, s15, v11
	v_add_nc_u32_e32 v19, 8, v83
	v_lshrrev_b32_e32 v8, 1, v16
	v_add3_u32 v137, v2, v13, 0xa200
	v_min_i32_e32 v2, s17, v15
	v_lshl_or_b32 v11, v16, 4, v134
	v_dual_mov_b32 v79, 0 :: v_dual_add_nc_u32 v20, 16, v83
	v_mul_lo_u32 v146, s5, v10
	v_add_nc_u32_e32 v10, 64, v28
	v_mul_lo_u32 v145, s5, v9
	v_mul_lo_u32 v147, s5, v12
	v_add_nc_u32_e32 v9, 32, v28
	v_add_nc_u32_e32 v12, 0x60, v28
	v_and_b32_e32 v8, 60, v8
	v_lshrrev_b32_e32 v151, 3, v10
	v_add_nc_u32_e32 v21, 24, v83
	v_dual_mov_b32 v71, 0 :: v_dual_add_nc_u32 v18, 32, v83
	v_dual_mov_b32 v99, 0 :: v_dual_add_nc_u32 v22, 40, v83
	v_add_nc_u32_e32 v23, 48, v83
	v_dual_mov_b32 v93, 0 :: v_dual_add_nc_u32 v122, s16, v120
	v_add_nc_u32_e32 v24, 56, v83
	v_lshl_or_b32 v6, v6, 4, v134
	v_lshrrev_b32_e32 v150, 3, v9
	v_lshrrev_b32_e32 v152, 3, v12
	s_mul_i32 s10, s15, s14
	v_mul_i32_i24_e32 v139, s15, v16
	v_mad_co_u64_u32 v[16:17], null, v2, s5, v[3:4]
	v_add3_u32 v140, v11, v8, 0xa200
	v_and_b32_e32 v8, 28, v138
	v_and_b32_e32 v17, 60, v151
	s_ashr_i32 s11, s10, 31
	v_add_nc_u32_e32 v121, 0x30c0, v118
	v_add_nc_u32_e32 v127, s16, v122
	v_mul_i32_i24_e32 v133, s15, v25
	v_or_b32_e32 v11, 0x8200, v111
	v_add_nc_u32_e32 v141, 0xaa40, v6
	v_mul_lo_u32 v142, s5, v4
	v_lshlrev_b32_e32 v2, 7, v83
	v_mul_lo_u32 v143, s5, v5
	v_lshlrev_b32_e32 v3, 7, v19
	;; [unrolled: 2-line block ×3, first 2 shown]
	v_lshlrev_b32_e32 v5, 7, v21
	v_lshlrev_b32_e32 v6, 7, v18
	;; [unrolled: 1-line block ×3, first 2 shown]
	v_mul_lo_u32 v148, s5, v14
	v_lshlrev_b32_e32 v13, 7, v23
	v_mul_lo_u32 v149, s5, v1
	v_lshlrev_b32_e32 v1, 7, v24
	v_lshlrev_b32_e32 v14, 2, v108
	v_and_b32_e32 v15, 60, v150
	v_and_b32_e32 v25, 60, v152
	s_mul_u64 s[12:13], s[10:11], 0xd2
	s_movk_i32 s5, 0x104
	s_movk_i32 s10, 0x2080
	v_add3_u32 v156, v138, v17, 0xae40
	v_mad_u32_u24 v167, 0x104, v28, s10
	s_movk_i32 s10, 0x4100
	s_wait_alu 0xfffe
	v_mad_u32_u24 v171, v28, s5, 0x6180
	s_wait_kmcnt 0x0
	v_add_co_u32 v17, s5, s2, v8
	s_wait_alu 0xfffd
	v_cndmask_b32_e64 v116, 0, 2, vcc_lo
	v_add_nc_u32_e32 v128, 0x6180, v118
	v_add_nc_u32_e32 v129, 0x69a0, v118
	;; [unrolled: 1-line block ×5, first 2 shown]
	v_bfe_u32 v153, v0, 3, 7
	v_add3_u32 v154, v14, v138, 0xae40
	v_add3_u32 v155, v138, v15, 0xae40
	;; [unrolled: 1-line block ×3, first 2 shown]
	v_lshlrev_b32_e32 v158, 5, v19
	v_lshlrev_b32_e32 v159, 5, v20
	;; [unrolled: 1-line block ×7, first 2 shown]
	v_mul_u32_u24_e32 v165, 0x104, v28
	v_lshlrev_b32_e32 v166, 4, v9
	v_lshlrev_b32_e32 v168, 4, v10
	v_mad_u32_u24 v169, 0x104, v28, s10
	v_lshlrev_b32_e32 v170, 4, v12
	s_wait_alu 0xf1ff
	v_add_co_ci_u32_e64 v18, null, s3, 0, s5
	v_add_nc_u32_e32 v172, v11, v2
	v_add_nc_u32_e32 v173, v11, v3
	;; [unrolled: 1-line block ×16, first 2 shown]
	s_mov_b32 s11, 0
	s_add_nc_u64 s[0:1], s[0:1], s[12:13]
	s_wait_alu 0xfffe
	s_mov_b32 s10, s11
.LBB135_5:                              ; =>This Loop Header: Depth=1
                                        ;     Child Loop BB135_6 Depth 2
                                        ;     Child Loop BB135_8 Depth 2
	s_wait_alu 0xfffe
	s_mul_u64 s[12:13], s[10:11], 0xd2
	v_mul_i32_i24_e32 v2, s15, v83
	s_wait_alu 0xfffe
	s_add_nc_u64 s[12:13], s[0:1], s[12:13]
	s_lshl_b32 s5, s10, 3
	s_wait_alu 0xfffe
	v_mad_co_u64_u32 v[0:1], null, 0xd2, v108, s[12:13]
	v_add_nc_u32_e32 v193, s5, v16
	s_mov_b32 s16, 0
	s_delay_alu instid0(VALU_DEP_2) | instskip(SKIP_3) | instid1(VALU_DEP_4)
	v_mad_co_u64_u32 v[2:3], null, 0xd2, v2, v[0:1]
	v_mad_co_u64_u32 v[4:5], null, 0xd2, v98, v[0:1]
	;; [unrolled: 1-line block ×4, first 2 shown]
	v_add_co_u32 v8, vcc_lo, v2, v111
	s_wait_alu 0xfffd
	v_add_co_ci_u32_e64 v9, null, 0, v3, vcc_lo
	v_add_co_u32 v2, vcc_lo, v2, v113
	s_wait_alu 0xfffd
	v_add_co_ci_u32_e64 v3, null, 0, v3, vcc_lo
	;; [unrolled: 3-line block ×4, first 2 shown]
	v_add_co_u32 v12, vcc_lo, v6, v111
	v_mad_co_u64_u32 v[19:20], null, 0xd2, v105, v[0:1]
	s_wait_alu 0xfffd
	v_add_co_ci_u32_e64 v13, null, 0, v7, vcc_lo
	v_add_co_u32 v6, vcc_lo, v6, v113
	s_wait_alu 0xfffd
	v_add_co_ci_u32_e64 v7, null, 0, v7, vcc_lo
	v_add_co_u32 v21, vcc_lo, v14, v111
	;; [unrolled: 3-line block ×4, first 2 shown]
	s_wait_alu 0xfffd
	v_add_co_ci_u32_e64 v24, null, 0, v20, vcc_lo
	s_clause 0x8
	global_load_b32 v29, v[8:9], off
	global_load_b32 v30, v[2:3], off offset:128
	global_load_b32 v31, v[10:11], off
	global_load_b32 v32, v[4:5], off offset:128
	global_load_b32 v33, v[12:13], off
	global_load_b32 v34, v[6:7], off offset:128
	global_load_b32 v35, v[21:22], off
	global_load_b32 v15, v[14:15], off offset:128
	global_load_b32 v36, v[23:24], off
	v_mad_co_u64_u32 v[2:3], null, 0xd2, v106, v[0:1]
	v_mad_co_u64_u32 v[6:7], null, 0xd2, v107, v[0:1]
	v_add_co_u32 v4, vcc_lo, v19, v113
	s_wait_alu 0xfffd
	v_add_co_ci_u32_e64 v5, null, 0, v20, vcc_lo
	s_delay_alu instid0(VALU_DEP_4)
	v_add_co_u32 v8, vcc_lo, v2, v111
	s_wait_alu 0xfffd
	v_add_co_ci_u32_e64 v9, null, 0, v3, vcc_lo
	v_add_co_u32 v2, vcc_lo, v2, v113
	s_wait_alu 0xfffd
	v_add_co_ci_u32_e64 v3, null, 0, v3, vcc_lo
	v_add_co_u32 v10, vcc_lo, v6, v111
	s_wait_alu 0xfffd
	v_add_co_ci_u32_e64 v11, null, 0, v7, vcc_lo
	v_add_co_u32 v6, vcc_lo, v6, v113
	s_wait_alu 0xfffd
	v_add_co_ci_u32_e64 v7, null, 0, v7, vcc_lo
	s_clause 0x4
	global_load_b32 v37, v[4:5], off offset:128
	global_load_b32 v38, v[8:9], off
	global_load_b32 v39, v[2:3], off offset:128
	global_load_b32 v10, v[10:11], off
	global_load_b32 v40, v[6:7], off offset:128
	v_mad_co_u64_u32 v[2:3], null, 0xd2, v109, v[0:1]
	v_mad_co_u64_u32 v[4:5], null, 0xd2, v112, v[0:1]
	;; [unrolled: 1-line block ×4, first 2 shown]
	s_delay_alu instid0(VALU_DEP_4)
	v_add_co_u32 v19, vcc_lo, v2, v111
	s_wait_alu 0xfffd
	v_add_co_ci_u32_e64 v20, null, 0, v3, vcc_lo
	v_add_co_u32 v2, vcc_lo, v2, v113
	s_wait_alu 0xfffd
	v_add_co_ci_u32_e64 v3, null, 0, v3, vcc_lo
	s_clause 0x1
	global_load_b32 v41, v[19:20], off
	global_load_b32 v42, v[2:3], off offset:128
	v_add_co_u32 v21, vcc_lo, v4, v111
	s_wait_alu 0xfffd
	v_add_co_ci_u32_e64 v22, null, 0, v5, vcc_lo
	v_add_co_u32 v4, vcc_lo, v4, v113
	v_mad_co_u64_u32 v[11:12], null, 0xd2, v119, v[0:1]
	s_wait_alu 0xfffd
	v_add_co_ci_u32_e64 v5, null, 0, v5, vcc_lo
	v_add_co_u32 v2, vcc_lo, v6, v111
	s_wait_alu 0xfffd
	v_add_co_ci_u32_e64 v3, null, 0, v7, vcc_lo
	v_add_co_u32 v6, vcc_lo, v6, v113
	v_mad_co_u64_u32 v[13:14], null, 0xd2, v120, v[0:1]
	s_wait_alu 0xfffd
	v_add_co_ci_u32_e64 v7, null, 0, v7, vcc_lo
	v_add_co_u32 v19, vcc_lo, v8, v111
	s_wait_alu 0xfffd
	v_add_co_ci_u32_e64 v20, null, 0, v9, vcc_lo
	v_add_co_u32 v23, vcc_lo, v8, v113
	;; [unrolled: 3-line block ×6, first 2 shown]
	s_wait_alu 0xfffd
	v_add_co_ci_u32_e64 v14, null, 0, v14, vcc_lo
	s_clause 0x9
	global_load_b32 v21, v[21:22], off
	global_load_b32 v22, v[4:5], off offset:128
	global_load_b32 v8, v[2:3], off
	global_load_b32 v9, v[6:7], off offset:128
	;; [unrolled: 2-line block ×5, first 2 shown]
	s_wait_loadcnt 0x19
	v_lshrrev_b32_e32 v12, 4, v29
	s_wait_loadcnt 0x18
	v_ashrrev_i32_e32 v13, v116, v30
	s_wait_loadcnt 0x17
	v_lshrrev_b32_e32 v19, 4, v31
	s_wait_loadcnt 0x16
	v_ashrrev_i32_e32 v20, v116, v32
	;; [unrolled: 4-line block ×4, first 2 shown]
	v_and_b32_e32 v11, 0xf0f0f0f, v29
	s_wait_loadcnt 0x11
	v_lshrrev_b32_e32 v29, 4, v36
	v_and_b32_e32 v23, 0xf0f0f0f, v33
	v_and_b32_e32 v28, 0xf0f0f0f, v36
	;; [unrolled: 1-line block ×3, first 2 shown]
	v_lshlrev_b32_e32 v36, 4, v13
	v_and_b32_e32 v14, 0xf0f0f0f, v31
	v_and_b32_e32 v19, 0xf0f0f0f, v19
	;; [unrolled: 1-line block ×6, first 2 shown]
	v_and_or_b32 v11, 0x30303030, v36, v11
	v_and_or_b32 v12, 0x30303030, v13, v12
	s_wait_loadcnt 0x10
	v_ashrrev_i32_e32 v30, v116, v37
	s_wait_loadcnt 0xf
	v_lshrrev_b32_e32 v32, 4, v38
	s_wait_loadcnt 0xe
	v_ashrrev_i32_e32 v33, v116, v39
	v_lshlrev_b32_e32 v37, 4, v20
	v_and_b32_e32 v31, 0xf0f0f0f, v38
	s_wait_loadcnt 0xc
	v_ashrrev_i32_e32 v35, v116, v40
	v_lshlrev_b32_e32 v38, 4, v25
	v_lshlrev_b32_e32 v39, 4, v15
	v_lshlrev_b32_e32 v40, 4, v30
	v_lshlrev_b32_e32 v43, 4, v33
	v_and_b32_e32 v32, 0xf0f0f0f, v32
	v_and_or_b32 v13, 0x30303030, v37, v14
	v_and_or_b32 v14, 0x30303030, v20, v19
	v_and_b32_e32 v34, 0xf0f0f0f, v10
	v_lshlrev_b32_e32 v44, 4, v35
	v_and_or_b32 v19, 0x30303030, v38, v23
	v_and_or_b32 v20, 0x30303030, v25, v24
	;; [unrolled: 1-line block ×7, first 2 shown]
	v_lshrrev_b32_e32 v29, 16, v11
	v_and_b32_e32 v30, 0x3f00, v11
	v_lshlrev_b16 v11, 8, v11
	v_lshrrev_b32_e32 v31, 16, v12
	v_and_or_b32 v27, 0x30303030, v33, v32
	v_and_b32_e32 v32, 0x3f00, v12
	v_lshlrev_b16 v12, 8, v12
	v_lshrrev_b32_e32 v33, 16, v13
	v_lshrrev_b32_e32 v36, 16, v14
	v_and_or_b32 v28, 0x30303030, v44, v34
	v_and_b32_e32 v34, 0x3f00, v13
	v_lshlrev_b16 v13, 8, v13
	v_lshrrev_b32_e32 v38, 16, v19
	v_lshrrev_b32_e32 v40, 16, v20
	v_and_b32_e32 v37, 0x3f00, v14
	v_lshlrev_b16 v14, 8, v14
	v_lshrrev_b32_e32 v44, 16, v23
	v_lshrrev_b32_e32 v46, 16, v15
	;; [unrolled: 4-line block ×3, first 2 shown]
	v_add_nc_u16 v11, 0xe000, v11
	v_and_b32_e32 v58, 0x3f00, v29
	v_lshlrev_b16 v29, 8, v29
	v_and_b32_e32 v59, 0x3f00, v31
	v_lshlrev_b16 v31, 8, v31
	v_add_nc_u16 v12, 0xe000, v12
	v_and_b32_e32 v60, 0x3f00, v33
	v_lshlrev_b16 v33, 8, v33
	v_and_b32_e32 v61, 0x3f00, v36
	v_lshlrev_b16 v36, 8, v36
	v_and_b32_e32 v43, 0x3f00, v20
	v_lshlrev_b16 v20, 8, v20
	v_add_nc_u16 v13, 0xe000, v13
	v_and_b32_e32 v62, 0x3f00, v38
	v_lshlrev_b16 v38, 8, v38
	v_and_b32_e32 v63, 0x3f00, v40
	v_lshlrev_b16 v40, 8, v40
	v_and_b32_e32 v45, 0x3f00, v23
	v_lshlrev_b16 v23, 8, v23
	v_and_b32_e32 v47, 0x3f00, v15
	v_lshlrev_b16 v15, 8, v15
	v_add_nc_u16 v14, 0xe000, v14
	v_and_b32_e32 v64, 0x3f00, v44
	v_lshlrev_b16 v44, 8, v44
	;; [unrolled: 9-line block ×3, first 2 shown]
	v_and_b32_e32 v67, 0x3f00, v50
	v_lshlrev_b16 v50, 8, v50
	v_lshrrev_b16 v11, 8, v11
	v_add_nc_u16 v29, 0xe000, v29
	v_add_nc_u16 v31, 0xe000, v31
	v_lshrrev_b16 v12, 8, v12
	v_add_nc_u16 v33, 0xe000, v33
	v_add_nc_u16 v36, 0xe000, v36
	v_add_nc_u16 v20, 0xe000, v20
	v_lshrrev_b16 v13, 8, v13
	v_add_nc_u16 v38, 0xe000, v38
	v_add_nc_u16 v40, 0xe000, v40
	v_add_nc_u16 v23, 0xe000, v23
	v_add_nc_u16 v15, 0xe000, v15
	v_lshrrev_b16 v14, 8, v14
	v_add_nc_u16 v44, 0xe000, v44
	v_add_nc_u16 v46, 0xe000, v46
	v_add_nc_u16 v24, 0xe000, v24
	v_add_nc_u16 v25, 0xe000, v25
	v_lshrrev_b16 v19, 8, v19
	v_add_nc_u16 v48, 0xe000, v48
	v_add_nc_u16 v50, 0xe000, v50
	v_or_b32_e32 v11, v30, v11
	v_lshrrev_b16 v29, 8, v29
	v_lshrrev_b16 v30, 8, v31
	v_or_b32_e32 v12, v32, v12
	v_lshrrev_b16 v31, 8, v33
	v_lshrrev_b16 v32, 8, v36
	v_lshrrev_b16 v20, 8, v20
	v_or_b32_e32 v13, v34, v13
	v_lshrrev_b16 v33, 8, v38
	v_lshrrev_b16 v34, 8, v40
	v_lshrrev_b16 v23, 8, v23
	v_lshrrev_b16 v15, 8, v15
	v_or_b32_e32 v14, v37, v14
	v_lshrrev_b16 v36, 8, v44
	;; [unrolled: 5-line block ×3, first 2 shown]
	v_lshrrev_b16 v39, 8, v50
	v_or_b32_e32 v29, v58, v29
	v_or_b32_e32 v30, v59, v30
	;; [unrolled: 1-line block ×15, first 2 shown]
	v_add_nc_u16 v11, 0xe000, v11
	v_add_nc_u16 v12, 0xe000, v12
	;; [unrolled: 1-line block ×20, first 2 shown]
	v_and_b32_e32 v11, 0xffff, v11
	v_and_b32_e32 v12, 0xffff, v12
	v_lshlrev_b32_e32 v29, 16, v29
	v_lshlrev_b32_e32 v30, 16, v30
	v_and_b32_e32 v13, 0xffff, v13
	v_and_b32_e32 v14, 0xffff, v14
	v_lshlrev_b32_e32 v31, 16, v31
	v_lshlrev_b32_e32 v32, 16, v32
	v_lshrrev_b32_e32 v52, 16, v26
	v_lshrrev_b32_e32 v54, 16, v27
	v_and_b32_e32 v19, 0xffff, v19
	v_and_b32_e32 v20, 0xffff, v20
	v_lshlrev_b32_e32 v33, 16, v33
	v_lshlrev_b32_e32 v34, 16, v34
	v_and_b32_e32 v23, 0xffff, v23
	v_and_b32_e32 v15, 0xffff, v15
	v_lshlrev_b32_e32 v36, 16, v36
	v_lshlrev_b32_e32 v37, 16, v37
	;; [unrolled: 4-line block ×3, first 2 shown]
	v_or_b32_e32 v11, v11, v29
	v_or_b32_e32 v12, v12, v30
	;; [unrolled: 1-line block ×4, first 2 shown]
	v_and_b32_e32 v53, 0x3f00, v26
	v_lshlrev_b16 v26, 8, v26
	v_and_b32_e32 v55, 0x3f00, v27
	v_lshlrev_b16 v27, 8, v27
	;; [unrolled: 2-line block ×4, first 2 shown]
	v_or_b32_e32 v19, v19, v33
	v_or_b32_e32 v20, v20, v34
	;; [unrolled: 1-line block ×6, first 2 shown]
	ds_store_2addr_b32 v118, v11, v12 offset1:16
	ds_store_2addr_b32 v254, v13, v14 offset0:8 offset1:24
	ds_store_2addr_b32 v255, v19, v20 offset0:16 offset1:32
	;; [unrolled: 1-line block ×4, first 2 shown]
	v_lshrrev_b32_e32 v12, 4, v10
	v_lshlrev_b16 v57, 8, v28
	v_add_nc_u16 v26, 0xe000, v26
	v_add_nc_u16 v27, 0xe000, v27
	v_add_nc_u16 v52, 0xe000, v52
	v_add_nc_u16 v54, 0xe000, v54
	v_mad_co_u64_u32 v[10:11], null, 0xd2, v122, v[0:1]
	v_and_b32_e32 v12, 0xf0f0f0f, v12
	v_lshrrev_b16 v26, 8, v26
	v_lshrrev_b16 v27, 8, v27
	;; [unrolled: 1-line block ×4, first 2 shown]
	v_add_nc_u16 v13, 0xe000, v57
	v_lshrrev_b32_e32 v56, 16, v28
	v_and_or_b32 v25, 0x30303030, v35, v12
	v_add_co_u32 v12, vcc_lo, v10, v111
	v_or_b32_e32 v26, v53, v26
	v_or_b32_e32 v27, v55, v27
	;; [unrolled: 1-line block ×4, first 2 shown]
	v_lshrrev_b16 v23, 8, v13
	s_wait_alu 0xfffd
	v_add_co_ci_u32_e64 v13, null, 0, v11, vcc_lo
	v_add_co_u32 v10, vcc_lo, v10, v113
	s_wait_alu 0xfffd
	v_add_co_ci_u32_e64 v11, null, 0, v11, vcc_lo
	v_lshlrev_b16 v180, 8, v56
	v_add_nc_u16 v26, 0xe000, v26
	v_add_nc_u16 v27, 0xe000, v27
	;; [unrolled: 1-line block ×4, first 2 shown]
	v_and_b32_e32 v20, 0x3f00, v28
	s_clause 0x1
	global_load_b32 v29, v[12:13], off
	global_load_b32 v30, v[10:11], off offset:128
	v_add_nc_u16 v19, 0xe000, v180
	v_and_b32_e32 v26, 0xffff, v26
	v_and_b32_e32 v27, 0xffff, v27
	v_lshlrev_b32_e32 v40, 16, v40
	v_lshlrev_b32_e32 v43, 16, v43
	v_or_b32_e32 v20, v20, v23
	v_lshlrev_b16 v23, 8, v25
	v_and_b32_e32 v24, 0x3f00, v56
	v_lshrrev_b16 v19, 8, v19
	v_or_b32_e32 v14, v26, v40
	v_or_b32_e32 v15, v27, v43
	v_add_nc_u16 v11, 0xe000, v23
	v_lshrrev_b32_e32 v10, 16, v25
	v_or_b32_e32 v19, v24, v19
	v_add_nc_u16 v12, 0xe000, v20
	ds_store_2addr_b32 v184, v14, v15 offset0:40 offset1:56
	v_and_b32_e32 v14, 0x3f00, v25
	v_lshrrev_b16 v11, 8, v11
	v_add_nc_u16 v13, 0xe000, v19
	s_wait_loadcnt 0xc
	v_ashrrev_i32_e32 v19, v116, v42
	v_lshlrev_b16 v15, 8, v10
	v_and_b32_e32 v24, 0x3f00, v10
	v_or_b32_e32 v14, v14, v11
	v_mad_co_u64_u32 v[10:11], null, 0xd2, v127, v[0:1]
	v_and_b32_e32 v12, 0xffff, v12
	v_lshlrev_b32_e32 v13, 16, v13
	v_and_b32_e32 v20, 0xf0f0f0f, v41
	v_lshlrev_b32_e32 v23, 4, v19
	v_add_nc_u16 v15, 0xe000, v15
	v_add_nc_u16 v14, 0xe000, v14
	v_mad_co_u64_u32 v[0:1], null, 0xd2, v131, v[0:1]
	s_delay_alu instid0(VALU_DEP_4)
	v_and_or_b32 v20, 0x30303030, v23, v20
	v_or_b32_e32 v23, v12, v13
	v_add_co_u32 v12, vcc_lo, v10, v111
	v_lshrrev_b16 v15, 8, v15
	s_wait_alu 0xfffd
	v_add_co_ci_u32_e64 v13, null, 0, v11, vcc_lo
	v_add_co_u32 v10, vcc_lo, v10, v113
	s_wait_alu 0xfffd
	v_add_co_ci_u32_e64 v11, null, 0, v11, vcc_lo
	v_or_b32_e32 v15, v24, v15
	v_lshrrev_b32_e32 v24, 4, v41
	s_clause 0x1
	global_load_b32 v31, v[12:13], off
	global_load_b32 v32, v[10:11], off offset:128
	v_lshlrev_b16 v25, 8, v20
	v_and_b32_e32 v11, 0x3f00, v20
	v_add_nc_u16 v10, 0xe000, v15
	v_and_b32_e32 v24, 0xf0f0f0f, v24
	v_and_b32_e32 v14, 0xffff, v14
	v_add_nc_u16 v25, 0xe000, v25
	v_lshrrev_b32_e32 v26, 16, v20
	v_lshlrev_b32_e32 v10, 16, v10
	v_and_or_b32 v12, 0x30303030, v19, v24
	s_wait_loadcnt 0xc
	v_ashrrev_i32_e32 v33, v116, v22
	v_lshrrev_b16 v15, 8, v25
	v_lshlrev_b16 v13, 8, v26
	v_or_b32_e32 v14, v14, v10
	v_lshrrev_b32_e32 v19, 16, v12
	v_and_b32_e32 v20, 0x3f00, v26
	v_or_b32_e32 v11, v11, v15
	v_lshlrev_b16 v15, 8, v12
	v_and_b32_e32 v12, 0x3f00, v12
	v_lshlrev_b16 v24, 8, v19
	v_and_b32_e32 v19, 0x3f00, v19
	v_add_nc_u16 v13, 0xe000, v13
	v_add_nc_u16 v10, 0xe000, v15
	;; [unrolled: 1-line block ×4, first 2 shown]
	v_lshlrev_b32_e32 v22, 4, v33
	v_lshrrev_b16 v13, 8, v13
	v_lshrrev_b16 v10, 8, v10
	s_wait_loadcnt 0xa
	v_ashrrev_i32_e32 v9, v116, v9
	v_lshrrev_b16 v11, 8, v11
	s_wait_loadcnt 0x8
	v_ashrrev_i32_e32 v7, v116, v7
	v_or_b32_e32 v13, v20, v13
	v_or_b32_e32 v12, v12, v10
	v_add_co_u32 v10, vcc_lo, v0, v111
	v_or_b32_e32 v19, v19, v11
	s_wait_alu 0xfffd
	v_add_co_ci_u32_e64 v11, null, 0, v1, vcc_lo
	v_add_co_u32 v0, vcc_lo, v0, v113
	s_wait_alu 0xfffd
	v_add_co_ci_u32_e64 v1, null, 0, v1, vcc_lo
	s_clause 0x1
	global_load_b32 v35, v[10:11], off
	global_load_b32 v36, v[0:1], off offset:128
	v_add_nc_u16 v13, 0xe000, v13
	v_and_b32_e32 v20, 0xf0f0f0f, v21
	v_add_nc_u16 v12, 0xe000, v12
	v_add_nc_u16 v19, 0xe000, v19
	v_and_b32_e32 v0, 0xffff, v15
	v_lshlrev_b32_e32 v1, 16, v13
	v_and_or_b32 v34, 0x30303030, v22, v20
	v_and_b32_e32 v10, 0xffff, v12
	v_lshlrev_b32_e32 v12, 16, v19
	v_lshrrev_b32_e32 v13, 4, v21
	v_or_b32_e32 v37, v0, v1
	v_mad_co_u64_u32 v[0:1], null, 0xd2, v136, s[12:13]
	v_lshlrev_b16 v11, 8, v34
	v_or_b32_e32 v39, v10, v12
	v_and_b32_e32 v40, 0xf0f0f0f, v13
	v_mad_co_u64_u32 v[12:13], null, 0xd2, v139, s[12:13]
	s_delay_alu instid0(VALU_DEP_4)
	v_add_nc_u16 v38, 0xe000, v11
	v_mad_co_u64_u32 v[10:11], null, 0xd2, v133, s[12:13]
	v_add_co_u32 v0, vcc_lo, v0, v134
	ds_store_2addr_b32 v121, v23, v14 offset1:16
	v_add_nc_u32_e32 v23, s5, v153
	s_wait_alu 0xfffd
	v_add_co_ci_u32_e64 v1, null, 0, v1, vcc_lo
	v_add_co_u32 v12, vcc_lo, v12, v134
	s_wait_alu 0xfffd
	v_add_co_ci_u32_e64 v13, null, 0, v13, vcc_lo
	v_add_nc_u32_e32 v14, v23, v142
	s_clause 0x2
	global_load_u16 v43, v[10:11], off offset:208
	global_load_b32 v44, v[0:1], off offset:192
	global_load_b32 v45, v[12:13], off offset:192
	v_add_nc_u32_e32 v12, v23, v144
	v_add_nc_u32_e32 v21, v23, v146
	;; [unrolled: 1-line block ×4, first 2 shown]
	v_mad_co_i64_i32 v[0:1], null, v14, 36, v[17:18]
	v_mad_co_u64_u32 v[19:20], null, v193, 36, s[2:3]
	v_add_nc_u32_e32 v27, v23, v147
	v_add_nc_u32_e32 v14, v23, v145
	v_mad_co_i64_i32 v[12:13], null, v12, 36, v[17:18]
	v_add_nc_u32_e32 v10, v23, v143
	v_mad_co_i64_i32 v[21:22], null, v21, 36, v[17:18]
	v_mad_co_i64_i32 v[23:24], null, v24, 36, v[17:18]
	;; [unrolled: 1-line block ×6, first 2 shown]
	s_clause 0x8
	global_load_b32 v19, v[19:20], off
	global_load_b32 v0, v[0:1], off offset:4
	global_load_b32 v1, v[12:13], off offset:4
	;; [unrolled: 1-line block ×8, first 2 shown]
	v_lshrrev_b32_e32 v41, 16, v34
	v_and_or_b32 v20, 0x30303030, v33, v40
	v_and_b32_e32 v11, 0x3f00, v34
	v_lshrrev_b16 v23, 8, v38
	v_lshlrev_b32_e32 v27, 4, v9
	v_lshlrev_b16 v42, 8, v41
	v_lshrrev_b32_e32 v25, 16, v20
	v_lshlrev_b16 v26, 8, v20
	v_and_b32_e32 v24, 0x3f00, v41
	v_or_b32_e32 v11, v11, v23
	v_add_nc_u16 v15, 0xe000, v42
	v_lshlrev_b16 v23, 8, v25
	v_add_nc_u16 v26, 0xe000, v26
	v_and_b32_e32 v20, 0x3f00, v20
	v_and_b32_e32 v25, 0x3f00, v25
	v_lshrrev_b16 v15, 8, v15
	v_add_nc_u16 v23, 0xe000, v23
	v_add_nc_u16 v11, 0xe000, v11
	s_wait_loadcnt 0x14
	v_ashrrev_i32_e32 v5, v116, v5
	s_wait_loadcnt 0x12
	v_ashrrev_i32_e32 v3, v116, v3
	v_or_b32_e32 v15, v24, v15
	v_lshrrev_b16 v24, 8, v26
	v_and_b32_e32 v26, 0xf0f0f0f, v8
	v_lshrrev_b16 v23, 8, v23
	v_lshrrev_b32_e32 v8, 4, v8
	v_add_nc_u16 v15, 0xe000, v15
	v_or_b32_e32 v20, v20, v24
	v_and_or_b32 v24, 0x30303030, v27, v26
	v_or_b32_e32 v23, v25, v23
	v_and_b32_e32 v8, 0xf0f0f0f, v8
	v_and_b32_e32 v11, 0xffff, v11
	v_add_nc_u16 v20, 0xe000, v20
	v_lshlrev_b16 v25, 8, v24
	v_add_nc_u16 v23, 0xe000, v23
	v_lshlrev_b32_e32 v15, 16, v15
	v_lshrrev_b32_e32 v26, 16, v24
	v_and_b32_e32 v20, 0xffff, v20
	v_add_nc_u16 v25, 0xe000, v25
	v_lshlrev_b32_e32 v23, 16, v23
	v_and_b32_e32 v24, 0x3f00, v24
	v_and_or_b32 v8, 0x30303030, v9, v8
	v_lshlrev_b16 v27, 8, v26
	v_lshrrev_b16 v25, 8, v25
	v_or_b32_e32 v11, v11, v15
	v_or_b32_e32 v9, v20, v23
	v_and_b32_e32 v23, 0x3f00, v26
	v_add_nc_u16 v15, 0xe000, v27
	v_or_b32_e32 v20, v24, v25
	v_lshrrev_b32_e32 v24, 16, v8
	v_lshlrev_b16 v25, 8, v8
	ds_store_2addr_b32 v186, v11, v9 offset0:16 offset1:32
	v_lshrrev_b16 v15, 8, v15
	v_add_nc_u16 v9, 0xe000, v20
	v_lshlrev_b16 v11, 8, v24
	v_add_nc_u16 v20, 0xe000, v25
	v_and_b32_e32 v8, 0x3f00, v8
	v_or_b32_e32 v15, v23, v15
	v_and_b32_e32 v23, 0x3f00, v24
	v_add_nc_u16 v11, 0xe000, v11
	v_lshrrev_b16 v20, 8, v20
	v_and_b32_e32 v24, 0xf0f0f0f, v6
	v_lshlrev_b32_e32 v25, 4, v7
	v_lshrrev_b32_e32 v6, 4, v6
	v_lshrrev_b16 v11, 8, v11
	v_or_b32_e32 v8, v8, v20
	v_add_nc_u16 v15, 0xe000, v15
	v_and_or_b32 v20, 0x30303030, v25, v24
	v_and_b32_e32 v6, 0xf0f0f0f, v6
	v_or_b32_e32 v11, v23, v11
	v_add_nc_u16 v8, 0xe000, v8
	v_and_b32_e32 v9, 0xffff, v9
	v_lshlrev_b16 v23, 8, v20
	v_and_or_b32 v6, 0x30303030, v7, v6
	v_add_nc_u16 v11, 0xe000, v11
	v_and_b32_e32 v8, 0xffff, v8
	v_lshlrev_b32_e32 v15, 16, v15
	v_add_nc_u16 v23, 0xe000, v23
	v_lshrrev_b32_e32 v24, 16, v20
	v_lshlrev_b32_e32 v11, 16, v11
	v_and_b32_e32 v20, 0x3f00, v20
	v_or_b32_e32 v9, v9, v15
	v_lshrrev_b16 v23, 8, v23
	v_lshlrev_b16 v7, 8, v24
	v_or_b32_e32 v8, v8, v11
	v_lshrrev_b32_e32 v11, 16, v6
	v_and_b32_e32 v25, 0xf0f0f0f, v4
	v_or_b32_e32 v15, v20, v23
	v_lshlrev_b16 v20, 8, v6
	v_and_b32_e32 v23, 0x3f00, v24
	v_lshlrev_b16 v24, 8, v11
	v_add_nc_u16 v7, 0xe000, v7
	v_and_b32_e32 v6, 0x3f00, v6
	v_add_nc_u16 v20, 0xe000, v20
	v_lshlrev_b32_e32 v26, 4, v5
	v_add_nc_u16 v24, 0xe000, v24
	v_lshrrev_b16 v7, 8, v7
	v_and_b32_e32 v11, 0x3f00, v11
	v_lshrrev_b16 v20, 8, v20
	v_add_nc_u16 v15, 0xe000, v15
	v_lshrrev_b16 v24, 8, v24
	v_or_b32_e32 v7, v23, v7
	v_and_or_b32 v23, 0x30303030, v26, v25
	v_or_b32_e32 v6, v6, v20
	v_lshrrev_b32_e32 v4, 4, v4
	v_or_b32_e32 v11, v11, v24
	v_add_nc_u16 v7, 0xe000, v7
	v_lshlrev_b16 v20, 8, v23
	v_add_nc_u16 v6, 0xe000, v6
	v_and_b32_e32 v15, 0xffff, v15
	v_add_nc_u16 v11, 0xe000, v11
	v_lshlrev_b32_e32 v7, 16, v7
	v_add_nc_u16 v20, 0xe000, v20
	v_and_b32_e32 v6, 0xffff, v6
	v_and_b32_e32 v24, 0x3f00, v23
	v_lshlrev_b32_e32 v11, 16, v11
	v_lshrrev_b32_e32 v23, 16, v23
	v_and_b32_e32 v4, 0xf0f0f0f, v4
	v_lshrrev_b16 v20, 8, v20
	v_or_b32_e32 v7, v15, v7
	v_or_b32_e32 v6, v6, v11
	v_lshlrev_b16 v15, 8, v23
	v_and_or_b32 v4, 0x30303030, v5, v4
	v_add_nc_u32_e32 v5, 0x5140, v118
	v_or_b32_e32 v11, v24, v20
	ds_store_2addr_b32 v187, v9, v8 offset0:24 offset1:40
	v_and_b32_e32 v8, 0x3f00, v23
	v_lshlrev_b16 v9, 8, v4
	ds_store_2addr_b32 v5, v7, v6 offset1:16
	v_add_nc_u16 v6, 0xe000, v15
	v_lshrrev_b32_e32 v7, 16, v4
	v_add_nc_u16 v5, 0xe000, v11
	v_and_b32_e32 v15, 0xf0f0f0f, v2
	v_lshlrev_b32_e32 v20, 4, v3
	v_lshrrev_b16 v6, 8, v6
	v_lshlrev_b16 v11, 8, v7
	v_add_nc_u16 v9, 0xe000, v9
	v_and_b32_e32 v4, 0x3f00, v4
	v_and_b32_e32 v7, 0x3f00, v7
	v_or_b32_e32 v6, v8, v6
	v_add_nc_u16 v8, 0xe000, v11
	v_and_or_b32 v11, 0x30303030, v20, v15
	v_lshrrev_b16 v9, 8, v9
	v_lshrrev_b32_e32 v2, 4, v2
	v_add_nc_u16 v6, 0xe000, v6
	v_lshrrev_b16 v8, 8, v8
	v_lshlrev_b16 v15, 8, v11
	v_or_b32_e32 v4, v4, v9
	v_and_b32_e32 v9, 0x3f00, v11
	v_lshrrev_b32_e32 v11, 16, v11
	v_or_b32_e32 v7, v7, v8
	v_add_nc_u16 v8, 0xe000, v15
	v_add_nc_u16 v4, 0xe000, v4
	v_and_b32_e32 v2, 0xf0f0f0f, v2
	v_and_b32_e32 v5, 0xffff, v5
	v_add_nc_u16 v7, 0xe000, v7
	v_lshrrev_b16 v8, 8, v8
	v_lshlrev_b32_e32 v6, 16, v6
	v_and_b32_e32 v4, 0xffff, v4
	v_and_or_b32 v2, 0x30303030, v3, v2
	v_lshlrev_b32_e32 v7, 16, v7
	v_or_b32_e32 v8, v9, v8
	v_lshlrev_b16 v9, 8, v11
	v_or_b32_e32 v3, v5, v6
	ds_store_2addr_b32 v185, v37, v39 offset0:8 offset1:24
	v_or_b32_e32 v4, v4, v7
	v_add_nc_u16 v5, 0xe000, v8
	v_add_nc_u16 v6, 0xe000, v9
	v_lshlrev_b16 v7, 8, v2
	v_lshrrev_b32_e32 v8, 16, v2
	v_and_b32_e32 v9, 0x3f00, v11
	s_wait_loadcnt 0x10
	v_ashrrev_i32_e32 v11, v116, v30
	v_and_b32_e32 v20, 0xf0f0f0f, v29
	v_add_nc_u16 v7, 0xe000, v7
	v_lshlrev_b16 v15, 8, v8
	v_lshrrev_b16 v6, 8, v6
	v_lshlrev_b32_e32 v23, 4, v11
	v_and_b32_e32 v2, 0x3f00, v2
	v_lshrrev_b16 v7, 8, v7
	v_add_nc_u16 v15, 0xe000, v15
	v_or_b32_e32 v6, v9, v6
	v_and_or_b32 v20, 0x30303030, v23, v20
	v_lshrrev_b32_e32 v23, 4, v29
	v_or_b32_e32 v2, v2, v7
	v_and_b32_e32 v7, 0x3f00, v8
	v_lshrrev_b16 v8, 8, v15
	v_lshrrev_b32_e32 v9, 16, v20
	v_lshlrev_b16 v15, 8, v20
	v_add_nc_u16 v6, 0xe000, v6
	v_add_nc_u16 v2, 0xe000, v2
	v_or_b32_e32 v7, v7, v8
	v_lshlrev_b16 v8, 8, v9
	v_add_nc_u16 v15, 0xe000, v15
	v_and_b32_e32 v5, 0xffff, v5
	v_lshlrev_b32_e32 v6, 16, v6
	v_add_nc_u16 v7, 0xe000, v7
	v_add_nc_u16 v8, 0xe000, v8
	v_and_b32_e32 v2, 0xffff, v2
	v_and_b32_e32 v20, 0x3f00, v20
	v_lshrrev_b16 v15, 8, v15
	v_and_b32_e32 v9, 0x3f00, v9
	v_lshrrev_b16 v8, 8, v8
	v_and_b32_e32 v23, 0xf0f0f0f, v23
	v_lshlrev_b32_e32 v7, 16, v7
	v_or_b32_e32 v5, v5, v6
	v_or_b32_e32 v6, v20, v15
	v_or_b32_e32 v8, v9, v8
	v_and_or_b32 v9, 0x30303030, v11, v23
	v_or_b32_e32 v2, v2, v7
	s_mov_b32 s12, -1
	v_add_nc_u16 v6, 0xe000, v6
	v_add_nc_u16 v8, 0xe000, v8
	v_lshlrev_b16 v11, 8, v9
	v_lshrrev_b32_e32 v23, 16, v9
	v_and_b32_e32 v9, 0x3f00, v9
	s_wait_loadcnt 0xf
	v_and_b32_e32 v15, 0xf0f0f0f, v31
	s_wait_loadcnt 0xe
	v_ashrrev_i32_e32 v7, v116, v32
	v_and_b32_e32 v6, 0xffff, v6
	v_add_nc_u16 v11, 0xe000, v11
	v_lshlrev_b32_e32 v8, 16, v8
	v_lshrrev_b32_e32 v24, 4, v31
	v_lshlrev_b32_e32 v20, 4, v7
	s_delay_alu instid0(VALU_DEP_4) | instskip(NEXT) | instid1(VALU_DEP_4)
	v_lshrrev_b16 v11, 8, v11
	v_or_b32_e32 v6, v6, v8
	s_delay_alu instid0(VALU_DEP_3) | instskip(SKIP_1) | instid1(VALU_DEP_4)
	v_and_or_b32 v15, 0x30303030, v20, v15
	v_lshlrev_b16 v20, 8, v23
	v_or_b32_e32 v9, v9, v11
	v_and_b32_e32 v11, 0x3f00, v23
	v_and_b32_e32 v23, 0xf0f0f0f, v24
	v_lshlrev_b16 v8, 8, v15
	v_add_nc_u16 v20, 0xe000, v20
	v_lshrrev_b32_e32 v24, 16, v15
	v_and_b32_e32 v15, 0x3f00, v15
	v_and_or_b32 v7, 0x30303030, v7, v23
	v_add_nc_u16 v8, 0xe000, v8
	v_lshrrev_b16 v20, 8, v20
	v_lshlrev_b16 v23, 8, v24
	v_add_nc_u16 v9, 0xe000, v9
	s_delay_alu instid0(VALU_DEP_4) | instskip(NEXT) | instid1(VALU_DEP_4)
	v_lshrrev_b16 v8, 8, v8
	v_or_b32_e32 v11, v11, v20
	s_delay_alu instid0(VALU_DEP_4)
	v_add_nc_u16 v20, 0xe000, v23
	v_and_b32_e32 v23, 0x3f00, v24
	v_and_b32_e32 v24, 0x3f00, v7
	v_or_b32_e32 v8, v15, v8
	v_lshlrev_b16 v15, 8, v7
	v_lshrrev_b16 v20, 8, v20
	v_lshrrev_b32_e32 v7, 16, v7
	v_add_nc_u16 v11, 0xe000, v11
	v_add_nc_u16 v8, 0xe000, v8
	;; [unrolled: 1-line block ×3, first 2 shown]
	v_or_b32_e32 v20, v23, v20
	v_lshlrev_b16 v27, 8, v7
	v_and_b32_e32 v7, 0x3f00, v7
	v_and_b32_e32 v8, 0xffff, v8
	v_lshrrev_b16 v15, 8, v15
	v_add_nc_u16 v20, 0xe000, v20
	s_wait_loadcnt 0xd
	v_lshrrev_b32_e32 v25, 4, v35
	s_wait_loadcnt 0xc
	v_ashrrev_i32_e32 v23, v116, v36
	v_and_b32_e32 v9, 0xffff, v9
	v_or_b32_e32 v15, v24, v15
	v_and_b32_e32 v24, 0xf0f0f0f, v35
	v_and_b32_e32 v25, 0xf0f0f0f, v25
	v_lshlrev_b32_e32 v26, 4, v23
	v_lshlrev_b32_e32 v20, 16, v20
	v_add_nc_u16 v15, 0xe000, v15
	v_lshlrev_b32_e32 v11, 16, v11
	v_and_or_b32 v23, 0x30303030, v23, v25
	v_and_or_b32 v24, 0x30303030, v26, v24
	v_add_nc_u16 v26, 0xe000, v27
	v_and_b32_e32 v15, 0xffff, v15
	v_or_b32_e32 v8, v8, v20
	v_lshrrev_b32_e32 v28, 16, v23
	v_lshrrev_b32_e32 v25, 16, v24
	v_lshlrev_b16 v27, 8, v24
	v_lshlrev_b16 v30, 8, v23
	v_lshrrev_b16 v26, 8, v26
	v_lshlrev_b16 v31, 8, v28
	v_lshlrev_b16 v29, 8, v25
	v_add_nc_u16 v27, 0xe000, v27
	v_add_nc_u16 v30, 0xe000, v30
	v_and_b32_e32 v24, 0x3f00, v24
	v_add_nc_u16 v31, 0xe000, v31
	v_add_nc_u16 v29, 0xe000, v29
	v_lshrrev_b16 v27, 8, v27
	v_and_b32_e32 v25, 0x3f00, v25
	v_and_b32_e32 v23, 0x3f00, v23
	v_lshrrev_b16 v30, 8, v30
	v_lshrrev_b16 v29, 8, v29
	v_and_b32_e32 v28, 0x3f00, v28
	v_lshrrev_b16 v31, 8, v31
	v_or_b32_e32 v7, v7, v26
	v_or_b32_e32 v24, v24, v27
	;; [unrolled: 1-line block ×5, first 2 shown]
	v_add_nc_u16 v7, 0xe000, v7
	v_add_nc_u16 v24, 0xe000, v24
	;; [unrolled: 1-line block ×5, first 2 shown]
	v_lshlrev_b32_e32 v7, 16, v7
	v_and_b32_e32 v24, 0xffff, v24
	v_lshlrev_b32_e32 v25, 16, v25
	v_and_b32_e32 v23, 0xffff, v23
	v_lshlrev_b32_e32 v26, 16, v26
	v_add_nc_u32_e32 v20, 0x5960, v118
	v_or_b32_e32 v9, v9, v11
	v_or_b32_e32 v7, v15, v7
	;; [unrolled: 1-line block ×4, first 2 shown]
	ds_store_2addr_b32 v20, v3, v4 offset1:16
	ds_store_2addr_b32 v128, v5, v2 offset1:16
	;; [unrolled: 1-line block ×5, first 2 shown]
	s_wait_loadcnt 0xb
	v_cvt_f32_f16_e32 v2, v43
	s_wait_loadcnt 0x8
	v_cvt_f32_f16_e32 v3, v19
	ds_store_b32 v137, v44
	ds_store_b32 v140, v45
	s_wait_loadcnt 0x7
	ds_store_b32 v172, v0
	s_wait_loadcnt 0x6
	;; [unrolled: 2-line block ×4, first 2 shown]
	ds_store_b32 v178, v13
	ds_store_b32 v135, v2
	s_wait_loadcnt 0x0
	ds_store_b32 v173, v10
	ds_store_b32 v175, v14
	;; [unrolled: 1-line block ×5, first 2 shown]
	s_wait_storecnt_dscnt 0x0
	s_barrier_signal -1
	s_barrier_wait -1
	global_inv scope:SCOPE_SE
	ds_load_b32 v194, v154
	ds_load_b32 v195, v155 offset:128
	ds_load_b32 v196, v156 offset:256
	;; [unrolled: 1-line block ×3, first 2 shown]
.LBB135_6:                              ;   Parent Loop BB135_5 Depth=1
                                        ; =>  This Inner Loop Header: Depth=2
	s_wait_alu 0xfffe
	s_lshl_b32 s13, s16, 1
	v_lshlrev_b32_e32 v188, 2, v153
	s_wait_alu 0xfffe
	v_or_b32_e32 v0, s13, v123
	s_lshr_b32 s17, s16, 1
	s_lshl_b32 s16, s16, 3
	s_wait_alu 0xfffe
	s_add_co_i32 s17, s17, 0xa200
	v_add_nc_u32_e32 v33, s16, v165
	v_lshlrev_b32_e32 v1, 2, v0
	v_lshrrev_b32_e32 v0, 1, v0
	v_lshlrev_b32_e32 v191, 2, v151
	s_and_b32 vcc_lo, exec_lo, s12
	s_mov_b32 s12, 0
	ds_load_b128 v[4:7], v1 offset:33280
	ds_load_b128 v[198:201], v1 offset:33296
	;; [unrolled: 1-line block ×4, first 2 shown]
	ds_load_b64 v[68:69], v0 offset:43584
	v_lshlrev_b32_e32 v189, 2, v138
	ds_load_2addr_b32 v[25:26], v33 offset0:6 offset1:7
	ds_load_2addr_b32 v[29:30], v33 offset0:4 offset1:5
	;; [unrolled: 1-line block ×3, first 2 shown]
	ds_load_2addr_b32 v[27:28], v33 offset1:1
	v_lshlrev_b32_e32 v190, 2, v150
	v_lshlrev_b32_e32 v192, 2, v152
	s_wait_alu 0xfffe
	v_add3_u32 v0, s17, v188, v189
	ds_load_b32 v36, v0
	ds_load_u16 v236, v33 offset:32
	ds_load_b128 v[0:3], v33 offset:34
	ds_load_b64 v[51:52], v33 offset:50
	ds_load_u16 v237, v33 offset:58
	ds_load_b32 v231, v33 offset:60
	s_wait_dscnt 0xe
	v_lshrrev_b16 v9, 8, v5
	s_wait_dscnt 0xd
	v_lshrrev_b16 v8, 8, v199
	s_wait_dscnt 0xc
	v_bfe_i32 v13, v239, 16, 8
	s_wait_dscnt 0xb
	v_bfe_i32 v11, v243, 16, 8
	v_bfe_i32 v38, v244, 16, 8
	v_ashrrev_i32_e32 v40, 24, v243
	v_bfe_i32 v39, v244, 0, 8
	v_bfe_i32 v10, v244, 8, 8
	;; [unrolled: 1-line block ×3, first 2 shown]
	s_wait_dscnt 0x8
	v_lshrrev_b16 v34, 8, v30
	v_bfe_i32 v47, v26, 8, 8
	v_bfe_i32 v8, v8, 0, 8
	s_wait_dscnt 0x3
	v_bfe_i32 v234, v2, 0, 8
	s_wait_dscnt 0x2
	;; [unrolled: 2-line block ×3, first 2 shown]
	v_lshrrev_b16 v41, 8, v237
	v_bfe_i32 v42, v237, 0, 8
	v_bfe_i32 v44, v52, 8, 8
	;; [unrolled: 1-line block ×3, first 2 shown]
	v_mul_i32_i24_e32 v11, v37, v11
	v_ashrrev_i32_e32 v37, 24, v244
	v_bfe_i32 v41, v41, 0, 8
	v_mul_i32_i24_e32 v38, v42, v38
	v_perm_b32 v42, v245, v243, 0xc0c0600
	v_mul_i32_i24_e32 v40, v44, v40
	v_mul_i32_i24_e32 v39, v43, v39
	;; [unrolled: 1-line block ×3, first 2 shown]
	s_wait_dscnt 0x0
	v_perm_b32 v41, v231, v51, 0xc0c0602
	v_ashrrev_i32_e32 v33, 24, v52
	v_bfe_i32 v233, v2, 8, 8
	v_ashrrev_i32_e32 v232, 24, v1
	v_bfe_i32 v43, v201, 8, 8
	v_dot4_i32_iu8 v38, v41, v42, v38 neg_lo:[1,1,0]
	v_perm_b32 v41, v231, v51, 0xc0c0400
	v_perm_b32 v42, v245, v242, 0xc0c0402
	v_bfe_i32 v34, v34, 0, 8
	v_bfe_i32 v44, v201, 0, 8
	v_ashrrev_i32_e32 v45, 24, v200
	v_bfe_i32 v46, v200, 16, 8
	v_dot4_i32_iu8 v40, v41, v42, v40 neg_lo:[1,1,0]
	v_perm_b32 v41, v231, v51, 0xc0c0703
	v_perm_b32 v42, v245, v243, 0xc0c0701
	v_bfe_i32 v48, v26, 0, 8
	v_ashrrev_i32_e32 v49, 24, v25
	v_add_nc_u32_e32 v38, v40, v38
	v_bfe_i32 v40, v242, 0, 8
	v_dot4_i32_iu8 v37, v41, v42, v37 neg_lo:[1,1,0]
	v_perm_b32 v41, v231, v51, 0xc0c0501
	v_perm_b32 v42, v245, v242, 0xc0c0503
	v_bfe_i32 v50, v25, 16, 8
	v_mul_i32_i24_e32 v43, v47, v43
	v_mul_i32_i24_e32 v8, v34, v8
	;; [unrolled: 1-line block ×3, first 2 shown]
	v_dot4_i32_iu8 v39, v41, v42, v39 neg_lo:[1,1,0]
	v_ashrrev_i32_e32 v41, 24, v3
	v_bfe_i32 v42, v3, 16, 8
	v_mul_i32_i24_e32 v46, v50, v46
	v_mul_i32_i24_e32 v44, v48, v44
	v_add_nc_u32_e32 v37, v39, v37
	v_bfe_i32 v39, v242, 8, 8
	v_mul_i32_i24_e32 v40, v42, v40
	v_bfe_i32 v42, v30, 16, 8
	v_bfe_i32 v19, v201, 16, 8
	;; [unrolled: 1-line block ×3, first 2 shown]
	v_mul_i32_i24_e32 v39, v41, v39
	v_mad_i32_i24 v10, v33, v10, v40
	v_bfe_i32 v33, v240, 16, 8
	v_bfe_i32 v40, v1, 8, 8
	;; [unrolled: 1-line block ×3, first 2 shown]
	v_add3_u32 v37, v38, v37, v39
	v_ashrrev_i32_e32 v38, 24, v239
	v_bfe_i32 v39, v1, 16, 8
	v_mul_i32_i24_e32 v33, v234, v33
	v_bfe_i32 v14, v200, 8, 8
	v_add3_u32 v10, v37, v10, v11
	v_bfe_i32 v37, v240, 0, 8
	v_bfe_i32 v11, v1, 0, 8
	v_mul_i32_i24_e32 v38, v40, v38
	v_perm_b32 v40, v241, v239, 0xc0c0600
	v_bfe_i32 v15, v200, 0, 8
	v_mul_i32_i24_e32 v37, v39, v37
	v_perm_b32 v39, v3, v0, 0xc0c0402
	v_mul_i32_i24_e32 v11, v11, v13
	v_ashrrev_i32_e32 v13, 24, v240
	v_bfe_i32 v34, v25, 0, 8
	v_mul_i32_i24_e32 v19, v47, v19
	v_dot4_i32_iu8 v33, v39, v40, v33 neg_lo:[1,1,0]
	v_perm_b32 v39, v2, v0, 0xc0c0600
	v_perm_b32 v40, v241, v238, 0xc0c0402
	v_mul_i32_i24_e32 v13, v233, v13
	v_ashrrev_i32_e32 v20, 24, v201
	v_lshrrev_b16 v35, 8, v28
	v_ashrrev_i32_e32 v47, 24, v26
	v_dot4_i32_iu8 v38, v39, v40, v38 neg_lo:[1,1,0]
	v_perm_b32 v39, v3, v0, 0xc0c0503
	v_perm_b32 v40, v241, v239, 0xc0c0701
	v_bfe_i32 v9, v9, 0, 8
	v_mul_i32_i24_e32 v20, v47, v20
	v_add_nc_u32_e32 v33, v38, v33
	v_bfe_i32 v38, v238, 0, 8
	v_dot4_i32_iu8 v13, v39, v40, v13 neg_lo:[1,1,0]
	v_perm_b32 v39, v2, v0, 0xc0c0701
	v_perm_b32 v40, v241, v238, 0xc0c0503
	v_bfe_i32 v35, v35, 0, 8
	v_bfe_i32 v31, v7, 16, 8
	;; [unrolled: 1-line block ×4, first 2 shown]
	v_dot4_i32_iu8 v37, v39, v40, v37 neg_lo:[1,1,0]
	v_lshrrev_b16 v39, 8, v236
	v_ashrrev_i32_e32 v40, 24, v30
	v_mul_i32_i24_e32 v9, v35, v9
	v_bfe_i32 v35, v23, 0, 8
	v_add_nc_u32_e32 v13, v37, v13
	v_bfe_i32 v37, v238, 8, 8
	v_bfe_i32 v235, v39, 0, 8
	;; [unrolled: 1-line block ×3, first 2 shown]
	v_ashrrev_i32_e32 v32, 24, v7
	v_bfe_i32 v225, v36, 8, 8
	v_bfe_i32 v226, v36, 0, 8
	v_mul_i32_i24_e32 v37, v235, v37
	v_mul_i32_i24_e32 v38, v39, v38
	v_bfe_i32 v39, v199, 16, 8
	v_bfe_i32 v227, v36, 16, 8
	v_ashrrev_i32_e32 v228, 24, v36
	v_add3_u32 v13, v33, v13, v37
	v_mad_i32_i24 v12, v232, v12, v38
	v_ashrrev_i32_e32 v37, 24, v29
	v_bfe_i32 v33, v198, 16, 8
	v_bfe_i32 v38, v29, 16, 8
	v_mad_i32_i24 v39, v42, v39, v44
	v_add3_u32 v11, v13, v12, v11
	v_ashrrev_i32_e32 v13, 24, v198
	v_bfe_i32 v12, v25, 8, 8
	v_mul_i32_i24_e32 v33, v38, v33
	v_bfe_i32 v38, v199, 0, 8
	v_bfe_i32 v42, v24, 8, 8
	v_mul_i32_i24_e32 v13, v37, v13
	v_ashrrev_i32_e32 v37, 24, v199
	v_ashrrev_i32_e32 v44, 24, v23
	v_mad_i32_i24 v38, v41, v38, v46
	v_bfe_i32 v41, v6, 16, 8
	v_perm_b32 v180, v240, v239, 0x7060403
	v_mad_i32_i24 v37, v40, v37, v43
	v_bfe_i32 v40, v29, 0, 8
	v_bfe_i32 v43, v24, 0, 8
	v_perm_b32 v181, v199, v198, 0x6040503
	v_perm_b32 v182, v200, v199, 0x7060403
	v_add3_u32 v8, v8, v45, v37
	v_bfe_i32 v37, v198, 8, 8
	v_bfe_i32 v45, v23, 16, 8
	v_perm_b32 v183, v5, v4, 0x6040503
	v_perm_b32 v199, v6, v5, 0x7060403
	v_add3_u32 v8, v38, v39, v8
	v_bfe_i32 v39, v29, 8, 8
	v_bfe_i32 v38, v198, 0, 8
	v_mul_i32_i24_e32 v41, v45, v41
	s_delay_alu instid0(VALU_DEP_3) | instskip(NEXT) | instid1(VALU_DEP_3)
	v_mul_i32_i24_e32 v37, v39, v37
	v_mul_i32_i24_e32 v38, v40, v38
	v_bfe_i32 v39, v7, 0, 8
	v_ashrrev_i32_e32 v40, 24, v6
	s_delay_alu instid0(VALU_DEP_4)
	v_mad_i32_i24 v12, v12, v14, v37
	v_mad_i32_i24 v14, v34, v15, v19
	v_ashrrev_i32_e32 v15, 24, v27
	v_bfe_i32 v19, v27, 16, 8
	v_bfe_i32 v34, v28, 0, 8
	v_add3_u32 v8, v8, v38, v12
	v_add3_u32 v12, v33, v13, v14
	v_ashrrev_i32_e32 v13, 24, v4
	v_bfe_i32 v38, v7, 8, 8
	v_bfe_i32 v14, v4, 16, 8
	v_ashrrev_i32_e32 v33, 24, v28
	v_add3_u32 v8, v8, v12, v20
	v_mul_i32_i24_e32 v13, v15, v13
	v_ashrrev_i32_e32 v15, 24, v5
	v_mul_i32_i24_e32 v38, v42, v38
	v_mul_i32_i24_e32 v14, v19, v14
	v_bfe_i32 v19, v5, 0, 8
	v_bfe_i32 v20, v5, 16, 8
	;; [unrolled: 1-line block ×3, first 2 shown]
	v_mul_i32_i24_e32 v40, v44, v40
	v_mul_i32_i24_e32 v39, v43, v39
	v_mad_i32_i24 v15, v33, v15, v38
	v_mad_i32_i24 v19, v34, v19, v41
	v_bfe_i32 v42, v24, 16, 8
	v_bfe_i32 v12, v23, 8, 8
	v_mad_i32_i24 v20, v37, v20, v39
	v_add3_u32 v9, v9, v40, v15
	v_bfe_i32 v15, v4, 8, 8
	v_mul_i32_i24_e32 v31, v42, v31
	v_bfe_i32 v33, v27, 0, 8
	v_ashrrev_i32_e32 v42, 24, v24
	v_add3_u32 v9, v19, v20, v9
	v_bfe_i32 v20, v27, 8, 8
	v_bfe_i32 v19, v4, 0, 8
	v_mul_lo_u32 v8, v8, v225
	v_mul_i32_i24_e32 v32, v42, v32
	v_perm_b32 v41, v244, v243, 0x7060403
	v_mul_i32_i24_e32 v15, v20, v15
	v_mul_i32_i24_e32 v19, v33, v19
	s_delay_alu instid0(VALU_DEP_2) | instskip(SKIP_1) | instid1(VALU_DEP_2)
	v_mad_i32_i24 v12, v12, v21, v15
	v_mad_i32_i24 v15, v35, v22, v31
	v_add3_u32 v9, v9, v19, v12
	s_delay_alu instid0(VALU_DEP_2) | instskip(NEXT) | instid1(VALU_DEP_1)
	v_add3_u32 v12, v14, v13, v15
	v_add3_u32 v9, v9, v12, v32
	s_delay_alu instid0(VALU_DEP_1) | instskip(NEXT) | instid1(VALU_DEP_1)
	v_mad_co_u64_u32 v[8:9], null, v9, v226, v[8:9]
	v_cvt_f32_i32_e32 v8, v8
	s_delay_alu instid0(VALU_DEP_1) | instskip(SKIP_1) | instid1(VALU_DEP_1)
	v_fma_f32 v12, v68, v8, 0
	v_mul_lo_u32 v8, v11, v227
	v_mad_co_u64_u32 v[8:9], null, v10, v228, v[8:9]
	v_add_nc_u32_e32 v9, s16, v167
	s_delay_alu instid0(VALU_DEP_2) | instskip(NEXT) | instid1(VALU_DEP_1)
	v_cvt_f32_i32_e32 v8, v8
	v_fmac_f32_e32 v12, v69, v8
	v_add3_u32 v8, s17, v190, v166
	ds_load_2addr_b32 v[37:38], v9 offset0:6 offset1:7
	ds_load_2addr_b32 v[55:56], v9 offset0:4 offset1:5
	;; [unrolled: 1-line block ×3, first 2 shown]
	ds_load_2addr_b32 v[53:54], v9 offset1:1
	ds_load_b32 v10, v8
	ds_load_2addr_b32 v[47:48], v9 offset0:14 offset1:15
	ds_load_2addr_b32 v[64:65], v9 offset0:12 offset1:13
	;; [unrolled: 1-line block ×4, first 2 shown]
	v_fmac_f32_e32 v96, v194, v12
	s_wait_dscnt 0x7
	v_perm_b32 v215, v56, v55, 0x6040503
	s_wait_dscnt 0x6
	v_perm_b32 v13, v4, v35, 0x6050401
	v_perm_b32 v216, v37, v56, 0x7060403
	s_wait_dscnt 0x5
	v_perm_b32 v218, v54, v53, 0x6040503
	s_wait_dscnt 0x3
	;; [unrolled: 2-line block ×3, first 2 shown]
	v_perm_b32 v8, v64, v244, 0x6040501
	v_perm_b32 v12, v65, v242, 0x6040503
	;; [unrolled: 1-line block ×3, first 2 shown]
	s_wait_dscnt 0x1
	v_perm_b32 v9, v238, v49, 0x6040501
	s_wait_dscnt 0x0
	v_perm_b32 v230, v49, v67, 0x7060403
	v_dot4_i32_iu8 v8, v11, v8, 0 neg_lo:[1,1,0]
	v_perm_b32 v11, v243, v64, 0x6040503
	v_perm_b32 v219, v35, v54, 0x7060403
	v_bfe_i32 v217, v10, 8, 8
	v_bfe_i32 v220, v10, 0, 8
	;; [unrolled: 1-line block ×3, first 2 shown]
	v_dot4_i32_iu8 v8, v12, v11, v8 neg_lo:[1,1,0]
	v_perm_b32 v12, v67, v238, 0x6040503
	v_ashrrev_i32_e32 v222, 24, v10
	s_delay_alu instid0(VALU_DEP_3) | instskip(NEXT) | instid1(VALU_DEP_1)
	v_dot4_i32_iu8 v8, v41, v229, v8 neg_lo:[1,1,0]
	v_dot4_i32_iu8 v11, v245, v48, v8 neg_lo:[1,1,0]
	v_perm_b32 v8, v66, v240, 0x6040501
	s_delay_alu instid0(VALU_DEP_1) | instskip(SKIP_1) | instid1(VALU_DEP_1)
	v_dot4_i32_iu8 v8, v9, v8, 0 neg_lo:[1,1,0]
	v_perm_b32 v9, v239, v66, 0x6040503
	v_dot4_i32_iu8 v8, v12, v9, v8 neg_lo:[1,1,0]
	v_perm_b32 v9, v198, v37, 0x6050401
	s_delay_alu instid0(VALU_DEP_2) | instskip(NEXT) | instid1(VALU_DEP_1)
	v_dot4_i32_iu8 v8, v180, v230, v8 neg_lo:[1,1,0]
	v_dot4_i32_iu8 v12, v241, v50, v8 neg_lo:[1,1,0]
	v_perm_b32 v8, v55, v200, 0x6050401
	s_delay_alu instid0(VALU_DEP_1) | instskip(SKIP_1) | instid1(VALU_DEP_2)
	v_dot4_i32_iu8 v8, v9, v8, 0 neg_lo:[1,1,0]
	v_perm_b32 v9, v53, v6, 0x6050401
	v_dot4_i32_iu8 v8, v181, v215, v8 neg_lo:[1,1,0]
	s_delay_alu instid0(VALU_DEP_2) | instskip(NEXT) | instid1(VALU_DEP_2)
	v_dot4_i32_iu8 v9, v13, v9, 0 neg_lo:[1,1,0]
	v_dot4_i32_iu8 v8, v182, v216, v8 neg_lo:[1,1,0]
	s_delay_alu instid0(VALU_DEP_2) | instskip(NEXT) | instid1(VALU_DEP_2)
	v_dot4_i32_iu8 v9, v183, v218, v9 neg_lo:[1,1,0]
	;; [unrolled: 3-line block ×3, first 2 shown]
	v_mul_lo_u32 v8, v8, v217
	s_delay_alu instid0(VALU_DEP_2) | instskip(NEXT) | instid1(VALU_DEP_1)
	v_dot4_i32_iu8 v5, v36, v7, v5 neg_lo:[1,1,0]
	v_mad_co_u64_u32 v[8:9], null, v5, v220, v[8:9]
	s_delay_alu instid0(VALU_DEP_1) | instskip(NEXT) | instid1(VALU_DEP_1)
	v_cvt_f32_i32_e32 v5, v8
	v_fma_f32 v13, v68, v5, 0
	v_mul_lo_u32 v5, v12, v221
	s_delay_alu instid0(VALU_DEP_1) | instskip(NEXT) | instid1(VALU_DEP_1)
	v_mad_co_u64_u32 v[8:9], null, v11, v222, v[5:6]
	v_cvt_f32_i32_e32 v5, v8
	v_add_nc_u32_e32 v8, s16, v169
	s_delay_alu instid0(VALU_DEP_2) | instskip(SKIP_1) | instid1(VALU_DEP_2)
	v_fmac_f32_e32 v13, v69, v5
	v_add3_u32 v5, s17, v191, v168
	v_fmac_f32_e32 v126, v195, v13
	ds_load_2addr_b32 v[33:34], v8 offset0:6 offset1:7
	ds_load_2addr_b32 v[14:15], v8 offset0:4 offset1:5
	;; [unrolled: 1-line block ×3, first 2 shown]
	ds_load_2addr_b32 v[12:13], v8 offset1:1
	ds_load_b32 v10, v5
	ds_load_2addr_b32 v[43:44], v8 offset0:14 offset1:15
	ds_load_2addr_b32 v[60:61], v8 offset0:12 offset1:13
	;; [unrolled: 1-line block ×4, first 2 shown]
	s_wait_dscnt 0x7
	v_perm_b32 v205, v15, v14, 0x6040503
	v_perm_b32 v206, v33, v15, 0x7060403
	s_wait_dscnt 0x5
	v_perm_b32 v208, v13, v12, 0x6040503
	v_perm_b32 v209, v31, v13, 0x7060403
	s_wait_dscnt 0x3
	v_perm_b32 v9, v242, v43, 0x6040501
	s_wait_dscnt 0x2
	v_perm_b32 v5, v60, v244, 0x6040501
	v_perm_b32 v11, v61, v242, 0x6040503
	;; [unrolled: 1-line block ×3, first 2 shown]
	s_wait_dscnt 0x1
	v_perm_b32 v8, v238, v45, 0x6040501
	s_wait_dscnt 0x0
	v_perm_b32 v224, v45, v63, 0x7060403
	v_dot4_i32_iu8 v5, v9, v5, 0 neg_lo:[1,1,0]
	v_perm_b32 v9, v243, v60, 0x6040503
	v_bfe_i32 v207, v10, 8, 8
	v_bfe_i32 v210, v10, 0, 8
	;; [unrolled: 1-line block ×3, first 2 shown]
	v_ashrrev_i32_e32 v212, 24, v10
	v_dot4_i32_iu8 v5, v11, v9, v5 neg_lo:[1,1,0]
	v_perm_b32 v9, v63, v238, 0x6040503
	v_perm_b32 v43, v60, v43, 0x6040501
	;; [unrolled: 1-line block ×3, first 2 shown]
	s_delay_alu instid0(VALU_DEP_4) | instskip(NEXT) | instid1(VALU_DEP_1)
	v_dot4_i32_iu8 v5, v41, v223, v5 neg_lo:[1,1,0]
	v_dot4_i32_iu8 v11, v245, v44, v5 neg_lo:[1,1,0]
	v_perm_b32 v5, v62, v240, 0x6040501
	s_delay_alu instid0(VALU_DEP_1) | instskip(SKIP_1) | instid1(VALU_DEP_1)
	v_dot4_i32_iu8 v5, v8, v5, 0 neg_lo:[1,1,0]
	v_perm_b32 v8, v239, v62, 0x6040503
	v_dot4_i32_iu8 v5, v9, v8, v5 neg_lo:[1,1,0]
	v_perm_b32 v8, v198, v33, 0x6050401
	v_perm_b32 v9, v4, v31, 0x6050401
	s_delay_alu instid0(VALU_DEP_3) | instskip(NEXT) | instid1(VALU_DEP_1)
	v_dot4_i32_iu8 v5, v180, v224, v5 neg_lo:[1,1,0]
	v_dot4_i32_iu8 v19, v241, v46, v5 neg_lo:[1,1,0]
	v_perm_b32 v5, v14, v200, 0x6050401
	s_delay_alu instid0(VALU_DEP_1) | instskip(SKIP_1) | instid1(VALU_DEP_2)
	v_dot4_i32_iu8 v5, v8, v5, 0 neg_lo:[1,1,0]
	v_perm_b32 v8, v12, v6, 0x6050401
	v_dot4_i32_iu8 v5, v181, v205, v5 neg_lo:[1,1,0]
	s_delay_alu instid0(VALU_DEP_2) | instskip(NEXT) | instid1(VALU_DEP_2)
	v_dot4_i32_iu8 v8, v9, v8, 0 neg_lo:[1,1,0]
	v_dot4_i32_iu8 v5, v182, v206, v5 neg_lo:[1,1,0]
	s_delay_alu instid0(VALU_DEP_2) | instskip(NEXT) | instid1(VALU_DEP_2)
	v_dot4_i32_iu8 v8, v183, v208, v8 neg_lo:[1,1,0]
	v_dot4_i32_iu8 v5, v34, v201, v5 neg_lo:[1,1,0]
	s_delay_alu instid0(VALU_DEP_2) | instskip(NEXT) | instid1(VALU_DEP_2)
	v_dot4_i32_iu8 v8, v199, v209, v8 neg_lo:[1,1,0]
	v_mul_lo_u32 v5, v5, v207
	s_delay_alu instid0(VALU_DEP_2) | instskip(NEXT) | instid1(VALU_DEP_1)
	v_dot4_i32_iu8 v8, v32, v7, v8 neg_lo:[1,1,0]
	v_mad_co_u64_u32 v[8:9], null, v8, v210, v[5:6]
	s_delay_alu instid0(VALU_DEP_1) | instskip(NEXT) | instid1(VALU_DEP_1)
	v_cvt_f32_i32_e32 v5, v8
	v_fma_f32 v13, v68, v5, 0
	v_mul_lo_u32 v5, v19, v211
	s_delay_alu instid0(VALU_DEP_1) | instskip(NEXT) | instid1(VALU_DEP_1)
	v_mad_co_u64_u32 v[8:9], null, v11, v212, v[5:6]
	v_cvt_f32_i32_e32 v5, v8
	s_delay_alu instid0(VALU_DEP_1) | instskip(SKIP_1) | instid1(VALU_DEP_2)
	v_fmac_f32_e32 v13, v69, v5
	v_add3_u32 v5, s17, v192, v170
	v_fmac_f32_e32 v117, v196, v13
	v_add_nc_u32_e32 v13, s16, v171
	ds_load_2addr_b32 v[21:22], v13 offset0:6 offset1:7
	ds_load_2addr_b32 v[10:11], v13 offset0:4 offset1:5
	ds_load_2addr_b32 v[19:20], v13 offset0:2 offset1:3
	ds_load_2addr_b32 v[8:9], v13 offset1:1
	ds_load_b32 v15, v5
	ds_load_2addr_b32 v[39:40], v13 offset0:14 offset1:15
	ds_load_2addr_b32 v[56:57], v13 offset0:12 offset1:13
	s_mov_b32 s16, 8
	s_wait_dscnt 0x5
	v_perm_b32 v204, v11, v10, 0x6040503
	v_perm_b32 v203, v21, v11, 0x7060403
	s_wait_dscnt 0x3
	v_perm_b32 v6, v8, v6, 0x6050401
	v_perm_b32 v4, v4, v19, 0x6050401
	s_wait_dscnt 0x1
	v_perm_b32 v42, v242, v39, 0x6040501
	s_wait_dscnt 0x0
	v_perm_b32 v5, v56, v244, 0x6040501
	v_perm_b32 v54, v57, v242, 0x6040503
	;; [unrolled: 1-line block ×3, first 2 shown]
	v_dot4_i32_iu8 v4, v4, v6, 0 neg_lo:[1,1,0]
	v_bfe_i32 v202, v15, 8, 8
	v_dot4_i32_iu8 v5, v42, v5, 0 neg_lo:[1,1,0]
	v_perm_b32 v42, v243, v56, 0x6040503
	v_perm_b32 v243, v0, v236, 0x7050400
	;; [unrolled: 1-line block ×4, first 2 shown]
	s_delay_alu instid0(VALU_DEP_4) | instskip(NEXT) | instid1(VALU_DEP_1)
	v_dot4_i32_iu8 v5, v54, v42, v5 neg_lo:[1,1,0]
	v_dot4_i32_iu8 v5, v41, v213, v5 neg_lo:[1,1,0]
	ds_load_2addr_b32 v[41:42], v13 offset0:10 offset1:11
	ds_load_2addr_b32 v[58:59], v13 offset0:8 offset1:9
	v_dot4_i32_iu8 v242, v245, v40, v5 neg_lo:[1,1,0]
	v_perm_b32 v245, v3, v2, 0x5040203
	s_wait_dscnt 0x1
	v_perm_b32 v13, v238, v41, 0x6040501
	s_wait_dscnt 0x0
	v_perm_b32 v5, v58, v240, 0x6040501
	v_perm_b32 v54, v59, v238, 0x6040503
	v_perm_b32 v214, v41, v59, 0x7060403
	v_perm_b32 v240, v51, v3, 0x402030c
	s_delay_alu instid0(VALU_DEP_4) | instskip(SKIP_1) | instid1(VALU_DEP_1)
	v_dot4_i32_iu8 v5, v13, v5, 0 neg_lo:[1,1,0]
	v_perm_b32 v13, v239, v58, 0x6040503
	v_dot4_i32_iu8 v5, v54, v13, v5 neg_lo:[1,1,0]
	v_perm_b32 v54, v198, v21, 0x6050401
	v_ashrrev_i32_e32 v198, 24, v15
	v_perm_b32 v21, v10, v21, 0x6050401
	s_delay_alu instid0(VALU_DEP_4) | instskip(NEXT) | instid1(VALU_DEP_1)
	v_dot4_i32_iu8 v5, v180, v214, v5 neg_lo:[1,1,0]
	v_dot4_i32_iu8 v13, v241, v42, v5 neg_lo:[1,1,0]
	v_perm_b32 v5, v10, v200, 0x6050401
	v_perm_b32 v200, v19, v9, 0x7060403
	;; [unrolled: 1-line block ×4, first 2 shown]
	s_delay_alu instid0(VALU_DEP_4) | instskip(SKIP_1) | instid1(VALU_DEP_2)
	v_dot4_i32_iu8 v5, v54, v5, 0 neg_lo:[1,1,0]
	v_bfe_i32 v54, v15, 16, 8
	v_dot4_i32_iu8 v5, v181, v204, v5 neg_lo:[1,1,0]
	s_delay_alu instid0(VALU_DEP_1) | instskip(NEXT) | instid1(VALU_DEP_1)
	v_dot4_i32_iu8 v5, v182, v203, v5 neg_lo:[1,1,0]
	v_dot4_i32_iu8 v5, v22, v201, v5 neg_lo:[1,1,0]
	v_perm_b32 v201, v9, v8, 0x6040503
	s_delay_alu instid0(VALU_DEP_2) | instskip(NEXT) | instid1(VALU_DEP_2)
	v_mul_lo_u32 v5, v5, v202
	v_dot4_i32_iu8 v4, v183, v201, v4 neg_lo:[1,1,0]
	s_delay_alu instid0(VALU_DEP_1) | instskip(SKIP_1) | instid1(VALU_DEP_2)
	v_dot4_i32_iu8 v4, v199, v200, v4 neg_lo:[1,1,0]
	v_bfe_i32 v199, v15, 0, 8
	v_dot4_i32_iu8 v4, v20, v7, v4 neg_lo:[1,1,0]
	s_delay_alu instid0(VALU_DEP_1) | instskip(NEXT) | instid1(VALU_DEP_1)
	v_mad_co_u64_u32 v[4:5], null, v4, v199, v[5:6]
	v_cvt_f32_i32_e32 v4, v4
	s_delay_alu instid0(VALU_DEP_1) | instskip(SKIP_1) | instid1(VALU_DEP_1)
	v_fma_f32 v6, v68, v4, 0
	v_mul_lo_u32 v4, v13, v54
	v_mad_co_u64_u32 v[4:5], null, v242, v198, v[4:5]
	v_perm_b32 v242, v237, v52, 0x5040201
	v_perm_b32 v237, v28, v27, 0x6040503
	s_delay_alu instid0(VALU_DEP_3) | instskip(NEXT) | instid1(VALU_DEP_1)
	v_cvt_f32_i32_e32 v4, v4
	v_fmac_f32_e32 v6, v69, v4
	v_or_b32_e32 v4, s13, v158
	s_delay_alu instid0(VALU_DEP_1)
	v_dual_fmac_f32 v110, v197, v6 :: v_dual_lshlrev_b32 v9, 2, v4
	v_lshrrev_b32_e32 v11, 1, v4
	ds_load_b128 v[4:7], v9 offset:33280
	ds_load_b128 v[246:249], v9 offset:33296
	;; [unrolled: 1-line block ×4, first 2 shown]
	ds_load_b64 v[68:69], v11 offset:43584
	s_wait_dscnt 0x3
	v_perm_b32 v3, v247, v246, 0x6040503
	s_wait_dscnt 0x2
	v_bfe_i32 v9, v252, 8, 8
	v_bfe_i32 v11, v250, 8, 8
	s_wait_dscnt 0x1
	v_perm_b32 v239, v182, v182, 0xc0c0c01
	v_bfe_i32 v13, v252, 16, 8
	v_ashrrev_i32_e32 v15, 24, v252
	v_mul_i32_i24_e32 v9, v9, v232
	v_perm_b32 v238, v180, v52, 0x6040503
	v_or_b32_e32 v239, v240, v239
	v_perm_b32 v124, v181, v180, 0x6040503
	v_mul_i32_i24_e32 v13, v234, v13
	v_mad_i32_i24 v9, v235, v11, v9
	v_perm_b32 v11, v251, v250, 0x5030200
	v_dot4_i32_iu8 v238, v239, v238, 0 neg_lo:[1,1,0]
	v_mul_i32_i24_e32 v15, v233, v15
	v_perm_b32 v181, v182, v181, 0x7060403
	v_perm_b32 v1, v253, v253, 0x3020001
	v_dot4_i32_iu8 v9, v243, v11, v9 neg_lo:[1,1,0]
	v_perm_b32 v11, v252, v251, 0x4030200
	v_dot4_i32_iu8 v51, v124, v241, v238 neg_lo:[1,1,0]
	v_perm_b32 v238, v23, v28, 0x7060403
	s_delay_alu instid0(VALU_DEP_3) | instskip(NEXT) | instid1(VALU_DEP_3)
	v_dot4_i32_iu8 v0, v244, v11, v9 neg_lo:[1,1,0]
	v_dot4_i32_iu8 v51, v242, v181, v51 neg_lo:[1,1,0]
	v_perm_b32 v11, v27, v6, 0x6050401
	v_perm_b32 v9, v248, v247, 0x7060403
	s_delay_alu instid0(VALU_DEP_4) | instskip(NEXT) | instid1(VALU_DEP_4)
	v_add3_u32 v0, v0, v13, v15
	v_dot4_i32_iu8 v239, v231, v183, v51 neg_lo:[1,1,0]
	v_perm_b32 v51, v30, v29, 0x6040503
	v_perm_b32 v15, v250, v252, 0x6040501
	;; [unrolled: 1-line block ×3, first 2 shown]
	v_dot4_i32_iu8 v2, v245, v1, v0 neg_lo:[1,1,0]
	v_perm_b32 v0, v246, v25, 0x6050401
	v_perm_b32 v1, v29, v248, 0x6050401
	s_delay_alu instid0(VALU_DEP_1) | instskip(SKIP_1) | instid1(VALU_DEP_2)
	v_dot4_i32_iu8 v0, v1, v0, 0 neg_lo:[1,1,0]
	v_perm_b32 v1, v4, v23, 0x6050401
	v_dot4_i32_iu8 v0, v51, v3, v0 neg_lo:[1,1,0]
	s_delay_alu instid0(VALU_DEP_2) | instskip(SKIP_4) | instid1(VALU_DEP_4)
	v_dot4_i32_iu8 v1, v11, v1, 0 neg_lo:[1,1,0]
	v_perm_b32 v11, v5, v4, 0x6040503
	v_perm_b32 v5, v6, v5, 0x7060403
	;; [unrolled: 1-line block ×3, first 2 shown]
	v_dot4_i32_iu8 v0, v236, v9, v0 neg_lo:[1,1,0]
	v_dot4_i32_iu8 v1, v237, v11, v1 neg_lo:[1,1,0]
	s_delay_alu instid0(VALU_DEP_2) | instskip(NEXT) | instid1(VALU_DEP_2)
	v_dot4_i32_iu8 v0, v249, v26, v0 neg_lo:[1,1,0]
	v_dot4_i32_iu8 v1, v238, v5, v1 neg_lo:[1,1,0]
	s_delay_alu instid0(VALU_DEP_2) | instskip(NEXT) | instid1(VALU_DEP_2)
	v_mul_lo_u32 v0, v0, v225
	v_dot4_i32_iu8 v1, v7, v24, v1 neg_lo:[1,1,0]
	s_delay_alu instid0(VALU_DEP_1) | instskip(NEXT) | instid1(VALU_DEP_1)
	v_mad_co_u64_u32 v[0:1], null, v1, v226, v[0:1]
	v_cvt_f32_i32_e32 v0, v0
	s_wait_dscnt 0x0
	s_delay_alu instid0(VALU_DEP_1)
	v_fma_f32 v13, v68, v0, 0
	v_mul_lo_u32 v0, v239, v228
	v_perm_b32 v239, v64, v47, 0x6040501
	v_perm_b32 v64, v65, v64, 0x6040503
	v_perm_b32 v65, v66, v49, 0x6040501
	v_perm_b32 v66, v67, v66, 0x6040503
	v_perm_b32 v67, v252, v251, 0x7060403
	v_perm_b32 v47, v55, v37, 0x6050401
	v_perm_b32 v49, v53, v35, 0x6050401
	v_mad_co_u64_u32 v[0:1], null, v2, v227, v[0:1]
	v_perm_b32 v2, v180, v182, 0x6040501
	v_perm_b32 v180, v246, v248, 0x6050401
	s_delay_alu instid0(VALU_DEP_4)
	v_dot4_i32_iu8 v1, v4, v49, 0 neg_lo:[1,1,0]
	v_perm_b32 v53, v61, v60, 0x6040503
	v_perm_b32 v55, v63, v62, 0x6040503
	;; [unrolled: 1-line block ×3, first 2 shown]
	v_cvt_f32_i32_e32 v0, v0
	v_dot4_i32_iu8 v1, v11, v218, v1 neg_lo:[1,1,0]
	v_perm_b32 v37, v57, v56, 0x6040503
	v_perm_b32 v39, v58, v41, 0x6040501
	;; [unrolled: 1-line block ×3, first 2 shown]
	v_fmac_f32_e32 v13, v69, v0
	v_dot4_i32_iu8 v0, v2, v239, 0 neg_lo:[1,1,0]
	v_dot4_i32_iu8 v1, v5, v219, v1 neg_lo:[1,1,0]
	s_delay_alu instid0(VALU_DEP_3) | instskip(NEXT) | instid1(VALU_DEP_3)
	v_fmac_f32_e32 v104, v194, v13
	v_dot4_i32_iu8 v0, v124, v64, v0 neg_lo:[1,1,0]
	s_delay_alu instid0(VALU_DEP_3) | instskip(NEXT) | instid1(VALU_DEP_2)
	v_dot4_i32_iu8 v1, v7, v36, v1 neg_lo:[1,1,0]
	v_dot4_i32_iu8 v0, v181, v229, v0 neg_lo:[1,1,0]
	s_delay_alu instid0(VALU_DEP_1) | instskip(SKIP_1) | instid1(VALU_DEP_1)
	v_dot4_i32_iu8 v13, v183, v48, v0 neg_lo:[1,1,0]
	v_dot4_i32_iu8 v0, v15, v65, 0 neg_lo:[1,1,0]
	;; [unrolled: 1-line block ×3, first 2 shown]
	s_delay_alu instid0(VALU_DEP_1) | instskip(NEXT) | instid1(VALU_DEP_1)
	v_dot4_i32_iu8 v0, v67, v230, v0 neg_lo:[1,1,0]
	v_dot4_i32_iu8 v28, v253, v50, v0 neg_lo:[1,1,0]
	;; [unrolled: 1-line block ×3, first 2 shown]
	s_delay_alu instid0(VALU_DEP_1) | instskip(NEXT) | instid1(VALU_DEP_1)
	v_dot4_i32_iu8 v0, v3, v215, v0 neg_lo:[1,1,0]
	v_dot4_i32_iu8 v0, v9, v216, v0 neg_lo:[1,1,0]
	s_delay_alu instid0(VALU_DEP_1) | instskip(NEXT) | instid1(VALU_DEP_1)
	v_dot4_i32_iu8 v0, v249, v38, v0 neg_lo:[1,1,0]
	v_mul_lo_u32 v0, v0, v217
	s_delay_alu instid0(VALU_DEP_1) | instskip(NEXT) | instid1(VALU_DEP_1)
	v_mad_co_u64_u32 v[0:1], null, v1, v220, v[0:1]
	v_cvt_f32_i32_e32 v0, v0
	s_delay_alu instid0(VALU_DEP_1) | instskip(SKIP_1) | instid1(VALU_DEP_1)
	v_fma_f32 v6, v68, v0, 0
	v_mul_lo_u32 v0, v13, v222
	v_mad_co_u64_u32 v[0:1], null, v28, v221, v[0:1]
	v_perm_b32 v28, v14, v33, 0x6050401
	v_perm_b32 v33, v12, v31, 0x6050401
	s_delay_alu instid0(VALU_DEP_3) | instskip(NEXT) | instid1(VALU_DEP_2)
	v_cvt_f32_i32_e32 v0, v0
	v_dot4_i32_iu8 v1, v4, v33, 0 neg_lo:[1,1,0]
	s_delay_alu instid0(VALU_DEP_2) | instskip(SKIP_1) | instid1(VALU_DEP_3)
	v_fmac_f32_e32 v6, v69, v0
	v_dot4_i32_iu8 v0, v2, v43, 0 neg_lo:[1,1,0]
	v_dot4_i32_iu8 v1, v11, v208, v1 neg_lo:[1,1,0]
	s_delay_alu instid0(VALU_DEP_3) | instskip(NEXT) | instid1(VALU_DEP_3)
	v_fmac_f32_e32 v103, v195, v6
	v_dot4_i32_iu8 v0, v124, v53, v0 neg_lo:[1,1,0]
	s_delay_alu instid0(VALU_DEP_3) | instskip(NEXT) | instid1(VALU_DEP_2)
	v_dot4_i32_iu8 v1, v5, v209, v1 neg_lo:[1,1,0]
	v_dot4_i32_iu8 v0, v181, v223, v0 neg_lo:[1,1,0]
	s_delay_alu instid0(VALU_DEP_2) | instskip(NEXT) | instid1(VALU_DEP_2)
	v_dot4_i32_iu8 v1, v7, v32, v1 neg_lo:[1,1,0]
	v_dot4_i32_iu8 v6, v183, v44, v0 neg_lo:[1,1,0]
	;; [unrolled: 1-line block ×3, first 2 shown]
	s_delay_alu instid0(VALU_DEP_1) | instskip(NEXT) | instid1(VALU_DEP_1)
	v_dot4_i32_iu8 v0, v30, v55, v0 neg_lo:[1,1,0]
	v_dot4_i32_iu8 v0, v67, v224, v0 neg_lo:[1,1,0]
	s_delay_alu instid0(VALU_DEP_1) | instskip(SKIP_1) | instid1(VALU_DEP_1)
	v_dot4_i32_iu8 v13, v253, v46, v0 neg_lo:[1,1,0]
	v_dot4_i32_iu8 v0, v180, v28, 0 neg_lo:[1,1,0]
	v_dot4_i32_iu8 v0, v3, v205, v0 neg_lo:[1,1,0]
	s_delay_alu instid0(VALU_DEP_1) | instskip(NEXT) | instid1(VALU_DEP_1)
	v_dot4_i32_iu8 v0, v9, v206, v0 neg_lo:[1,1,0]
	v_dot4_i32_iu8 v0, v249, v34, v0 neg_lo:[1,1,0]
	s_delay_alu instid0(VALU_DEP_1) | instskip(NEXT) | instid1(VALU_DEP_1)
	v_mul_lo_u32 v0, v0, v207
	v_mad_co_u64_u32 v[0:1], null, v1, v210, v[0:1]
	s_delay_alu instid0(VALU_DEP_1) | instskip(NEXT) | instid1(VALU_DEP_1)
	v_cvt_f32_i32_e32 v0, v0
	v_fma_f32 v12, v68, v0, 0
	v_mul_lo_u32 v0, v6, v212
	s_delay_alu instid0(VALU_DEP_1) | instskip(SKIP_1) | instid1(VALU_DEP_1)
	v_mad_co_u64_u32 v[0:1], null, v13, v211, v[0:1]
	v_dot4_i32_iu8 v1, v4, v19, 0 neg_lo:[1,1,0]
	v_dot4_i32_iu8 v1, v11, v201, v1 neg_lo:[1,1,0]
	s_delay_alu instid0(VALU_DEP_3) | instskip(NEXT) | instid1(VALU_DEP_2)
	v_cvt_f32_i32_e32 v0, v0
	v_dot4_i32_iu8 v1, v5, v200, v1 neg_lo:[1,1,0]
	s_delay_alu instid0(VALU_DEP_2) | instskip(SKIP_1) | instid1(VALU_DEP_3)
	v_fmac_f32_e32 v12, v69, v0
	v_dot4_i32_iu8 v0, v2, v35, 0 neg_lo:[1,1,0]
	v_dot4_i32_iu8 v1, v7, v20, v1 neg_lo:[1,1,0]
	s_delay_alu instid0(VALU_DEP_3) | instskip(NEXT) | instid1(VALU_DEP_3)
	v_fmac_f32_e32 v101, v196, v12
	v_dot4_i32_iu8 v0, v124, v37, v0 neg_lo:[1,1,0]
	s_delay_alu instid0(VALU_DEP_1) | instskip(NEXT) | instid1(VALU_DEP_1)
	v_dot4_i32_iu8 v0, v181, v213, v0 neg_lo:[1,1,0]
	v_dot4_i32_iu8 v2, v183, v40, v0 neg_lo:[1,1,0]
	;; [unrolled: 1-line block ×3, first 2 shown]
	s_delay_alu instid0(VALU_DEP_1) | instskip(NEXT) | instid1(VALU_DEP_1)
	v_dot4_i32_iu8 v0, v30, v41, v0 neg_lo:[1,1,0]
	v_dot4_i32_iu8 v0, v67, v214, v0 neg_lo:[1,1,0]
	s_delay_alu instid0(VALU_DEP_1) | instskip(SKIP_1) | instid1(VALU_DEP_1)
	v_dot4_i32_iu8 v6, v253, v42, v0 neg_lo:[1,1,0]
	v_dot4_i32_iu8 v0, v180, v21, 0 neg_lo:[1,1,0]
	;; [unrolled: 1-line block ×3, first 2 shown]
	s_delay_alu instid0(VALU_DEP_1) | instskip(NEXT) | instid1(VALU_DEP_1)
	v_dot4_i32_iu8 v0, v9, v203, v0 neg_lo:[1,1,0]
	v_dot4_i32_iu8 v0, v249, v22, v0 neg_lo:[1,1,0]
	s_delay_alu instid0(VALU_DEP_1) | instskip(NEXT) | instid1(VALU_DEP_1)
	v_mul_lo_u32 v0, v0, v202
	v_mad_co_u64_u32 v[0:1], null, v1, v199, v[0:1]
	s_delay_alu instid0(VALU_DEP_1) | instskip(NEXT) | instid1(VALU_DEP_1)
	v_cvt_f32_i32_e32 v0, v0
	v_fma_f32 v3, v68, v0, 0
	v_mul_lo_u32 v0, v2, v198
	s_delay_alu instid0(VALU_DEP_1) | instskip(NEXT) | instid1(VALU_DEP_1)
	v_mad_co_u64_u32 v[0:1], null, v6, v54, v[0:1]
	v_cvt_f32_i32_e32 v0, v0
	s_delay_alu instid0(VALU_DEP_1) | instskip(SKIP_1) | instid1(VALU_DEP_1)
	v_fmac_f32_e32 v3, v69, v0
	v_or_b32_e32 v0, s13, v159
	v_dual_fmac_f32 v99, v197, v3 :: v_dual_lshlrev_b32 v12, 2, v0
	v_lshrrev_b32_e32 v30, 1, v0
	ds_load_b128 v[0:3], v12 offset:33280
	ds_load_b128 v[4:7], v12 offset:33296
	;; [unrolled: 1-line block ×4, first 2 shown]
	ds_load_b64 v[30:31], v30 offset:43584
	s_wait_dscnt 0x4
	v_perm_b32 v63, v1, v0, 0x6040503
	s_wait_dscnt 0x3
	v_perm_b32 v62, v6, v5, 0x7060403
	s_wait_dscnt 0x2
	v_bfe_i32 v56, v10, 8, 8
	v_bfe_i32 v57, v8, 8, 8
	;; [unrolled: 1-line block ×3, first 2 shown]
	v_ashrrev_i32_e32 v59, 24, v10
	s_wait_dscnt 0x1
	v_perm_b32 v61, v14, v14, 0xc0c0c01
	v_mul_i32_i24_e32 v56, v56, v232
	v_perm_b32 v67, v2, v1, 0x7060403
	v_mul_i32_i24_e32 v58, v234, v58
	v_mul_i32_i24_e32 v59, v233, v59
	v_perm_b32 v60, v12, v52, 0x6040503
	v_mad_i32_i24 v56, v235, v57, v56
	v_perm_b32 v57, v9, v8, 0x5030200
	v_or_b32_e32 v61, v240, v61
	s_delay_alu instid0(VALU_DEP_2) | instskip(SKIP_1) | instid1(VALU_DEP_3)
	v_dot4_i32_iu8 v56, v243, v57, v56 neg_lo:[1,1,0]
	v_perm_b32 v57, v10, v9, 0x4030200
	v_dot4_i32_iu8 v60, v61, v60, 0 neg_lo:[1,1,0]
	v_perm_b32 v61, v13, v12, 0x6040503
	v_perm_b32 v13, v14, v13, 0x7060403
	s_delay_alu instid0(VALU_DEP_4) | instskip(SKIP_1) | instid1(VALU_DEP_4)
	v_dot4_i32_iu8 v56, v244, v57, v56 neg_lo:[1,1,0]
	v_perm_b32 v57, v11, v11, 0x3020001
	v_dot4_i32_iu8 v60, v61, v241, v60 neg_lo:[1,1,0]
	s_delay_alu instid0(VALU_DEP_3) | instskip(SKIP_1) | instid1(VALU_DEP_3)
	v_add3_u32 v56, v56, v58, v59
	v_perm_b32 v59, v5, v4, 0x6040503
	v_dot4_i32_iu8 v60, v242, v13, v60 neg_lo:[1,1,0]
	s_delay_alu instid0(VALU_DEP_3) | instskip(SKIP_2) | instid1(VALU_DEP_4)
	v_dot4_i32_iu8 v58, v245, v57, v56 neg_lo:[1,1,0]
	v_perm_b32 v56, v4, v25, 0x6050401
	v_perm_b32 v57, v29, v6, 0x6050401
	v_dot4_i32_iu8 v60, v231, v15, v60 neg_lo:[1,1,0]
	v_perm_b32 v4, v4, v6, 0x6050401
	s_delay_alu instid0(VALU_DEP_3) | instskip(SKIP_1) | instid1(VALU_DEP_2)
	v_dot4_i32_iu8 v56, v57, v56, 0 neg_lo:[1,1,0]
	v_perm_b32 v57, v27, v2, 0x6050401
	v_dot4_i32_iu8 v56, v51, v59, v56 neg_lo:[1,1,0]
	s_delay_alu instid0(VALU_DEP_1) | instskip(SKIP_1) | instid1(VALU_DEP_2)
	v_dot4_i32_iu8 v5, v236, v62, v56 neg_lo:[1,1,0]
	v_perm_b32 v56, v0, v23, 0x6050401
	v_dot4_i32_iu8 v5, v7, v26, v5 neg_lo:[1,1,0]
	s_delay_alu instid0(VALU_DEP_2) | instskip(NEXT) | instid1(VALU_DEP_2)
	v_dot4_i32_iu8 v56, v57, v56, 0 neg_lo:[1,1,0]
	v_mul_lo_u32 v5, v5, v225
	s_delay_alu instid0(VALU_DEP_2) | instskip(NEXT) | instid1(VALU_DEP_1)
	v_dot4_i32_iu8 v56, v237, v63, v56 neg_lo:[1,1,0]
	v_dot4_i32_iu8 v1, v238, v67, v56 neg_lo:[1,1,0]
	s_delay_alu instid0(VALU_DEP_1) | instskip(NEXT) | instid1(VALU_DEP_1)
	v_dot4_i32_iu8 v1, v3, v24, v1 neg_lo:[1,1,0]
	v_mad_co_u64_u32 v[56:57], null, v1, v226, v[5:6]
	s_delay_alu instid0(VALU_DEP_1) | instskip(SKIP_1) | instid1(VALU_DEP_1)
	v_cvt_f32_i32_e32 v1, v56
	s_wait_dscnt 0x0
	v_fma_f32 v5, v30, v1, 0
	v_mul_lo_u32 v1, v60, v228
	s_delay_alu instid0(VALU_DEP_1) | instskip(SKIP_1) | instid1(VALU_DEP_1)
	v_mad_co_u64_u32 v[56:57], null, v58, v227, v[1:2]
	v_perm_b32 v2, v0, v2, 0x6050401
	v_dot4_i32_iu8 v0, v2, v49, 0 neg_lo:[1,1,0]
	s_delay_alu instid0(VALU_DEP_3) | instskip(NEXT) | instid1(VALU_DEP_2)
	v_cvt_f32_i32_e32 v1, v56
	v_dot4_i32_iu8 v0, v63, v218, v0 neg_lo:[1,1,0]
	s_delay_alu instid0(VALU_DEP_2) | instskip(NEXT) | instid1(VALU_DEP_2)
	v_fmac_f32_e32 v5, v31, v1
	v_dot4_i32_iu8 v0, v67, v219, v0 neg_lo:[1,1,0]
	s_delay_alu instid0(VALU_DEP_2)
	v_fmac_f32_e32 v97, v194, v5
	v_perm_b32 v5, v12, v14, 0x6040501
	v_perm_b32 v14, v8, v10, 0x6040501
	v_perm_b32 v8, v9, v8, 0x6040503
	v_perm_b32 v9, v10, v9, 0x7060403
	v_dot4_i32_iu8 v0, v3, v36, v0 neg_lo:[1,1,0]
	v_dot4_i32_iu8 v1, v5, v239, 0 neg_lo:[1,1,0]
	s_delay_alu instid0(VALU_DEP_1) | instskip(NEXT) | instid1(VALU_DEP_1)
	v_dot4_i32_iu8 v1, v61, v64, v1 neg_lo:[1,1,0]
	v_dot4_i32_iu8 v1, v13, v229, v1 neg_lo:[1,1,0]
	s_delay_alu instid0(VALU_DEP_1) | instskip(SKIP_1) | instid1(VALU_DEP_1)
	v_dot4_i32_iu8 v12, v15, v48, v1 neg_lo:[1,1,0]
	v_dot4_i32_iu8 v1, v14, v65, 0 neg_lo:[1,1,0]
	;; [unrolled: 1-line block ×3, first 2 shown]
	s_delay_alu instid0(VALU_DEP_1) | instskip(NEXT) | instid1(VALU_DEP_1)
	v_dot4_i32_iu8 v1, v9, v230, v1 neg_lo:[1,1,0]
	v_dot4_i32_iu8 v10, v11, v50, v1 neg_lo:[1,1,0]
	;; [unrolled: 1-line block ×3, first 2 shown]
	s_delay_alu instid0(VALU_DEP_1) | instskip(NEXT) | instid1(VALU_DEP_1)
	v_dot4_i32_iu8 v1, v59, v215, v1 neg_lo:[1,1,0]
	v_dot4_i32_iu8 v1, v62, v216, v1 neg_lo:[1,1,0]
	s_delay_alu instid0(VALU_DEP_1) | instskip(NEXT) | instid1(VALU_DEP_1)
	v_dot4_i32_iu8 v1, v7, v38, v1 neg_lo:[1,1,0]
	v_mul_lo_u32 v1, v1, v217
	s_delay_alu instid0(VALU_DEP_1) | instskip(NEXT) | instid1(VALU_DEP_1)
	v_mad_co_u64_u32 v[0:1], null, v0, v220, v[1:2]
	v_cvt_f32_i32_e32 v0, v0
	s_delay_alu instid0(VALU_DEP_1) | instskip(SKIP_1) | instid1(VALU_DEP_1)
	v_fma_f32 v6, v30, v0, 0
	v_mul_lo_u32 v0, v12, v222
	v_mad_co_u64_u32 v[0:1], null, v10, v221, v[0:1]
	v_dot4_i32_iu8 v1, v2, v33, 0 neg_lo:[1,1,0]
	s_delay_alu instid0(VALU_DEP_1) | instskip(NEXT) | instid1(VALU_DEP_3)
	v_dot4_i32_iu8 v1, v63, v208, v1 neg_lo:[1,1,0]
	v_cvt_f32_i32_e32 v0, v0
	s_delay_alu instid0(VALU_DEP_2) | instskip(NEXT) | instid1(VALU_DEP_2)
	v_dot4_i32_iu8 v1, v67, v209, v1 neg_lo:[1,1,0]
	v_fmac_f32_e32 v6, v31, v0
	v_dot4_i32_iu8 v0, v5, v43, 0 neg_lo:[1,1,0]
	s_delay_alu instid0(VALU_DEP_3) | instskip(NEXT) | instid1(VALU_DEP_3)
	v_dot4_i32_iu8 v1, v3, v32, v1 neg_lo:[1,1,0]
	v_fmac_f32_e32 v95, v195, v6
	s_delay_alu instid0(VALU_DEP_3) | instskip(NEXT) | instid1(VALU_DEP_1)
	v_dot4_i32_iu8 v0, v61, v53, v0 neg_lo:[1,1,0]
	v_dot4_i32_iu8 v0, v13, v223, v0 neg_lo:[1,1,0]
	s_delay_alu instid0(VALU_DEP_1) | instskip(SKIP_1) | instid1(VALU_DEP_1)
	v_dot4_i32_iu8 v6, v15, v44, v0 neg_lo:[1,1,0]
	v_dot4_i32_iu8 v0, v14, v45, 0 neg_lo:[1,1,0]
	;; [unrolled: 1-line block ×3, first 2 shown]
	s_delay_alu instid0(VALU_DEP_1) | instskip(NEXT) | instid1(VALU_DEP_1)
	v_dot4_i32_iu8 v0, v9, v224, v0 neg_lo:[1,1,0]
	v_dot4_i32_iu8 v10, v11, v46, v0 neg_lo:[1,1,0]
	;; [unrolled: 1-line block ×3, first 2 shown]
	s_delay_alu instid0(VALU_DEP_1) | instskip(NEXT) | instid1(VALU_DEP_1)
	v_dot4_i32_iu8 v0, v59, v205, v0 neg_lo:[1,1,0]
	v_dot4_i32_iu8 v0, v62, v206, v0 neg_lo:[1,1,0]
	s_delay_alu instid0(VALU_DEP_1) | instskip(NEXT) | instid1(VALU_DEP_1)
	v_dot4_i32_iu8 v0, v7, v34, v0 neg_lo:[1,1,0]
	v_mul_lo_u32 v0, v0, v207
	s_delay_alu instid0(VALU_DEP_1) | instskip(NEXT) | instid1(VALU_DEP_1)
	v_mad_co_u64_u32 v[0:1], null, v1, v210, v[0:1]
	v_cvt_f32_i32_e32 v0, v0
	s_delay_alu instid0(VALU_DEP_1) | instskip(SKIP_1) | instid1(VALU_DEP_1)
	v_fma_f32 v12, v30, v0, 0
	v_mul_lo_u32 v0, v6, v212
	v_mad_co_u64_u32 v[0:1], null, v10, v211, v[0:1]
	v_dot4_i32_iu8 v1, v2, v19, 0 neg_lo:[1,1,0]
	s_delay_alu instid0(VALU_DEP_1) | instskip(NEXT) | instid1(VALU_DEP_3)
	v_dot4_i32_iu8 v1, v63, v201, v1 neg_lo:[1,1,0]
	v_cvt_f32_i32_e32 v0, v0
	s_delay_alu instid0(VALU_DEP_2) | instskip(NEXT) | instid1(VALU_DEP_2)
	v_dot4_i32_iu8 v1, v67, v200, v1 neg_lo:[1,1,0]
	v_fmac_f32_e32 v12, v31, v0
	v_dot4_i32_iu8 v0, v5, v35, 0 neg_lo:[1,1,0]
	s_delay_alu instid0(VALU_DEP_3) | instskip(NEXT) | instid1(VALU_DEP_3)
	v_dot4_i32_iu8 v1, v3, v20, v1 neg_lo:[1,1,0]
	v_fmac_f32_e32 v94, v196, v12
	s_delay_alu instid0(VALU_DEP_3) | instskip(NEXT) | instid1(VALU_DEP_1)
	v_dot4_i32_iu8 v0, v61, v37, v0 neg_lo:[1,1,0]
	v_dot4_i32_iu8 v0, v13, v213, v0 neg_lo:[1,1,0]
	s_delay_alu instid0(VALU_DEP_1) | instskip(SKIP_1) | instid1(VALU_DEP_1)
	v_dot4_i32_iu8 v5, v15, v40, v0 neg_lo:[1,1,0]
	v_dot4_i32_iu8 v0, v14, v39, 0 neg_lo:[1,1,0]
	;; [unrolled: 1-line block ×3, first 2 shown]
	s_delay_alu instid0(VALU_DEP_1) | instskip(NEXT) | instid1(VALU_DEP_1)
	v_dot4_i32_iu8 v0, v9, v214, v0 neg_lo:[1,1,0]
	v_dot4_i32_iu8 v6, v11, v42, v0 neg_lo:[1,1,0]
	;; [unrolled: 1-line block ×3, first 2 shown]
	s_delay_alu instid0(VALU_DEP_1) | instskip(NEXT) | instid1(VALU_DEP_1)
	v_dot4_i32_iu8 v0, v59, v204, v0 neg_lo:[1,1,0]
	v_dot4_i32_iu8 v0, v62, v203, v0 neg_lo:[1,1,0]
	s_delay_alu instid0(VALU_DEP_1) | instskip(NEXT) | instid1(VALU_DEP_1)
	v_dot4_i32_iu8 v0, v7, v22, v0 neg_lo:[1,1,0]
	v_mul_lo_u32 v0, v0, v202
	s_delay_alu instid0(VALU_DEP_1) | instskip(NEXT) | instid1(VALU_DEP_1)
	v_mad_co_u64_u32 v[0:1], null, v1, v199, v[0:1]
	v_cvt_f32_i32_e32 v0, v0
	s_delay_alu instid0(VALU_DEP_1) | instskip(SKIP_1) | instid1(VALU_DEP_1)
	v_fma_f32 v2, v30, v0, 0
	v_mul_lo_u32 v0, v5, v198
	v_mad_co_u64_u32 v[0:1], null, v6, v54, v[0:1]
	s_delay_alu instid0(VALU_DEP_1) | instskip(NEXT) | instid1(VALU_DEP_1)
	v_cvt_f32_i32_e32 v0, v0
	v_fmac_f32_e32 v2, v31, v0
	v_or_b32_e32 v0, s13, v160
	s_delay_alu instid0(VALU_DEP_1)
	v_dual_fmac_f32 v93, v197, v2 :: v_dual_lshlrev_b32 v12, 2, v0
	v_lshrrev_b32_e32 v30, 1, v0
	ds_load_b128 v[0:3], v12 offset:33280
	ds_load_b128 v[4:7], v12 offset:33296
	;; [unrolled: 1-line block ×4, first 2 shown]
	ds_load_b64 v[30:31], v30 offset:43584
	s_wait_dscnt 0x4
	v_perm_b32 v63, v1, v0, 0x6040503
	s_wait_dscnt 0x3
	v_perm_b32 v62, v6, v5, 0x7060403
	s_wait_dscnt 0x2
	v_bfe_i32 v56, v10, 8, 8
	v_bfe_i32 v57, v8, 8, 8
	;; [unrolled: 1-line block ×3, first 2 shown]
	v_ashrrev_i32_e32 v59, 24, v10
	s_wait_dscnt 0x1
	v_perm_b32 v61, v14, v14, 0xc0c0c01
	v_mul_i32_i24_e32 v56, v56, v232
	v_perm_b32 v67, v2, v1, 0x7060403
	v_mul_i32_i24_e32 v58, v234, v58
	v_mul_i32_i24_e32 v59, v233, v59
	v_perm_b32 v60, v12, v52, 0x6040503
	v_mad_i32_i24 v56, v235, v57, v56
	v_perm_b32 v57, v9, v8, 0x5030200
	v_or_b32_e32 v61, v240, v61
	s_delay_alu instid0(VALU_DEP_2) | instskip(SKIP_1) | instid1(VALU_DEP_3)
	v_dot4_i32_iu8 v56, v243, v57, v56 neg_lo:[1,1,0]
	v_perm_b32 v57, v10, v9, 0x4030200
	v_dot4_i32_iu8 v60, v61, v60, 0 neg_lo:[1,1,0]
	v_perm_b32 v61, v13, v12, 0x6040503
	v_perm_b32 v13, v14, v13, 0x7060403
	s_delay_alu instid0(VALU_DEP_4) | instskip(SKIP_1) | instid1(VALU_DEP_4)
	v_dot4_i32_iu8 v56, v244, v57, v56 neg_lo:[1,1,0]
	v_perm_b32 v57, v11, v11, 0x3020001
	v_dot4_i32_iu8 v60, v61, v241, v60 neg_lo:[1,1,0]
	s_delay_alu instid0(VALU_DEP_3) | instskip(SKIP_1) | instid1(VALU_DEP_3)
	v_add3_u32 v56, v56, v58, v59
	v_perm_b32 v59, v5, v4, 0x6040503
	v_dot4_i32_iu8 v60, v242, v13, v60 neg_lo:[1,1,0]
	s_delay_alu instid0(VALU_DEP_3) | instskip(SKIP_2) | instid1(VALU_DEP_4)
	v_dot4_i32_iu8 v58, v245, v57, v56 neg_lo:[1,1,0]
	v_perm_b32 v56, v4, v25, 0x6050401
	v_perm_b32 v57, v29, v6, 0x6050401
	v_dot4_i32_iu8 v60, v231, v15, v60 neg_lo:[1,1,0]
	v_perm_b32 v4, v4, v6, 0x6050401
	s_delay_alu instid0(VALU_DEP_3) | instskip(SKIP_1) | instid1(VALU_DEP_2)
	v_dot4_i32_iu8 v56, v57, v56, 0 neg_lo:[1,1,0]
	v_perm_b32 v57, v27, v2, 0x6050401
	v_dot4_i32_iu8 v56, v51, v59, v56 neg_lo:[1,1,0]
	s_delay_alu instid0(VALU_DEP_1) | instskip(SKIP_1) | instid1(VALU_DEP_2)
	v_dot4_i32_iu8 v5, v236, v62, v56 neg_lo:[1,1,0]
	v_perm_b32 v56, v0, v23, 0x6050401
	v_dot4_i32_iu8 v5, v7, v26, v5 neg_lo:[1,1,0]
	s_delay_alu instid0(VALU_DEP_2) | instskip(NEXT) | instid1(VALU_DEP_2)
	v_dot4_i32_iu8 v56, v57, v56, 0 neg_lo:[1,1,0]
	v_mul_lo_u32 v5, v5, v225
	s_delay_alu instid0(VALU_DEP_2) | instskip(NEXT) | instid1(VALU_DEP_1)
	v_dot4_i32_iu8 v56, v237, v63, v56 neg_lo:[1,1,0]
	v_dot4_i32_iu8 v1, v238, v67, v56 neg_lo:[1,1,0]
	s_delay_alu instid0(VALU_DEP_1) | instskip(NEXT) | instid1(VALU_DEP_1)
	v_dot4_i32_iu8 v1, v3, v24, v1 neg_lo:[1,1,0]
	v_mad_co_u64_u32 v[56:57], null, v1, v226, v[5:6]
	s_delay_alu instid0(VALU_DEP_1) | instskip(SKIP_1) | instid1(VALU_DEP_1)
	v_cvt_f32_i32_e32 v1, v56
	s_wait_dscnt 0x0
	v_fma_f32 v5, v30, v1, 0
	v_mul_lo_u32 v1, v60, v228
	s_delay_alu instid0(VALU_DEP_1) | instskip(SKIP_1) | instid1(VALU_DEP_1)
	v_mad_co_u64_u32 v[56:57], null, v58, v227, v[1:2]
	v_perm_b32 v2, v0, v2, 0x6050401
	v_dot4_i32_iu8 v0, v2, v49, 0 neg_lo:[1,1,0]
	s_delay_alu instid0(VALU_DEP_3) | instskip(NEXT) | instid1(VALU_DEP_2)
	v_cvt_f32_i32_e32 v1, v56
	v_dot4_i32_iu8 v0, v63, v218, v0 neg_lo:[1,1,0]
	s_delay_alu instid0(VALU_DEP_2) | instskip(NEXT) | instid1(VALU_DEP_2)
	v_fmac_f32_e32 v5, v31, v1
	v_dot4_i32_iu8 v0, v67, v219, v0 neg_lo:[1,1,0]
	s_delay_alu instid0(VALU_DEP_2)
	v_fmac_f32_e32 v92, v194, v5
	v_perm_b32 v5, v12, v14, 0x6040501
	v_perm_b32 v14, v8, v10, 0x6040501
	v_perm_b32 v8, v9, v8, 0x6040503
	v_perm_b32 v9, v10, v9, 0x7060403
	v_dot4_i32_iu8 v0, v3, v36, v0 neg_lo:[1,1,0]
	v_dot4_i32_iu8 v1, v5, v239, 0 neg_lo:[1,1,0]
	s_delay_alu instid0(VALU_DEP_1) | instskip(NEXT) | instid1(VALU_DEP_1)
	v_dot4_i32_iu8 v1, v61, v64, v1 neg_lo:[1,1,0]
	v_dot4_i32_iu8 v1, v13, v229, v1 neg_lo:[1,1,0]
	s_delay_alu instid0(VALU_DEP_1) | instskip(SKIP_1) | instid1(VALU_DEP_1)
	v_dot4_i32_iu8 v12, v15, v48, v1 neg_lo:[1,1,0]
	v_dot4_i32_iu8 v1, v14, v65, 0 neg_lo:[1,1,0]
	;; [unrolled: 1-line block ×3, first 2 shown]
	s_delay_alu instid0(VALU_DEP_1) | instskip(NEXT) | instid1(VALU_DEP_1)
	v_dot4_i32_iu8 v1, v9, v230, v1 neg_lo:[1,1,0]
	v_dot4_i32_iu8 v10, v11, v50, v1 neg_lo:[1,1,0]
	;; [unrolled: 1-line block ×3, first 2 shown]
	s_delay_alu instid0(VALU_DEP_1) | instskip(NEXT) | instid1(VALU_DEP_1)
	v_dot4_i32_iu8 v1, v59, v215, v1 neg_lo:[1,1,0]
	v_dot4_i32_iu8 v1, v62, v216, v1 neg_lo:[1,1,0]
	s_delay_alu instid0(VALU_DEP_1) | instskip(NEXT) | instid1(VALU_DEP_1)
	v_dot4_i32_iu8 v1, v7, v38, v1 neg_lo:[1,1,0]
	v_mul_lo_u32 v1, v1, v217
	s_delay_alu instid0(VALU_DEP_1) | instskip(NEXT) | instid1(VALU_DEP_1)
	v_mad_co_u64_u32 v[0:1], null, v0, v220, v[1:2]
	v_cvt_f32_i32_e32 v0, v0
	s_delay_alu instid0(VALU_DEP_1) | instskip(SKIP_1) | instid1(VALU_DEP_1)
	v_fma_f32 v6, v30, v0, 0
	v_mul_lo_u32 v0, v12, v222
	v_mad_co_u64_u32 v[0:1], null, v10, v221, v[0:1]
	v_dot4_i32_iu8 v1, v2, v33, 0 neg_lo:[1,1,0]
	s_delay_alu instid0(VALU_DEP_1) | instskip(NEXT) | instid1(VALU_DEP_3)
	v_dot4_i32_iu8 v1, v63, v208, v1 neg_lo:[1,1,0]
	v_cvt_f32_i32_e32 v0, v0
	s_delay_alu instid0(VALU_DEP_2) | instskip(NEXT) | instid1(VALU_DEP_2)
	v_dot4_i32_iu8 v1, v67, v209, v1 neg_lo:[1,1,0]
	v_fmac_f32_e32 v6, v31, v0
	v_dot4_i32_iu8 v0, v5, v43, 0 neg_lo:[1,1,0]
	s_delay_alu instid0(VALU_DEP_3) | instskip(NEXT) | instid1(VALU_DEP_3)
	v_dot4_i32_iu8 v1, v3, v32, v1 neg_lo:[1,1,0]
	v_fmac_f32_e32 v91, v195, v6
	s_delay_alu instid0(VALU_DEP_3) | instskip(NEXT) | instid1(VALU_DEP_1)
	v_dot4_i32_iu8 v0, v61, v53, v0 neg_lo:[1,1,0]
	v_dot4_i32_iu8 v0, v13, v223, v0 neg_lo:[1,1,0]
	s_delay_alu instid0(VALU_DEP_1) | instskip(SKIP_1) | instid1(VALU_DEP_1)
	v_dot4_i32_iu8 v6, v15, v44, v0 neg_lo:[1,1,0]
	v_dot4_i32_iu8 v0, v14, v45, 0 neg_lo:[1,1,0]
	v_dot4_i32_iu8 v0, v8, v55, v0 neg_lo:[1,1,0]
	s_delay_alu instid0(VALU_DEP_1) | instskip(NEXT) | instid1(VALU_DEP_1)
	v_dot4_i32_iu8 v0, v9, v224, v0 neg_lo:[1,1,0]
	v_dot4_i32_iu8 v10, v11, v46, v0 neg_lo:[1,1,0]
	;; [unrolled: 1-line block ×3, first 2 shown]
	s_delay_alu instid0(VALU_DEP_1) | instskip(NEXT) | instid1(VALU_DEP_1)
	v_dot4_i32_iu8 v0, v59, v205, v0 neg_lo:[1,1,0]
	v_dot4_i32_iu8 v0, v62, v206, v0 neg_lo:[1,1,0]
	s_delay_alu instid0(VALU_DEP_1) | instskip(NEXT) | instid1(VALU_DEP_1)
	v_dot4_i32_iu8 v0, v7, v34, v0 neg_lo:[1,1,0]
	v_mul_lo_u32 v0, v0, v207
	s_delay_alu instid0(VALU_DEP_1) | instskip(NEXT) | instid1(VALU_DEP_1)
	v_mad_co_u64_u32 v[0:1], null, v1, v210, v[0:1]
	v_cvt_f32_i32_e32 v0, v0
	s_delay_alu instid0(VALU_DEP_1) | instskip(SKIP_1) | instid1(VALU_DEP_1)
	v_fma_f32 v12, v30, v0, 0
	v_mul_lo_u32 v0, v6, v212
	v_mad_co_u64_u32 v[0:1], null, v10, v211, v[0:1]
	v_dot4_i32_iu8 v1, v2, v19, 0 neg_lo:[1,1,0]
	s_delay_alu instid0(VALU_DEP_1) | instskip(NEXT) | instid1(VALU_DEP_3)
	v_dot4_i32_iu8 v1, v63, v201, v1 neg_lo:[1,1,0]
	v_cvt_f32_i32_e32 v0, v0
	s_delay_alu instid0(VALU_DEP_2) | instskip(NEXT) | instid1(VALU_DEP_2)
	v_dot4_i32_iu8 v1, v67, v200, v1 neg_lo:[1,1,0]
	v_fmac_f32_e32 v12, v31, v0
	v_dot4_i32_iu8 v0, v5, v35, 0 neg_lo:[1,1,0]
	s_delay_alu instid0(VALU_DEP_3) | instskip(NEXT) | instid1(VALU_DEP_3)
	v_dot4_i32_iu8 v1, v3, v20, v1 neg_lo:[1,1,0]
	v_fmac_f32_e32 v90, v196, v12
	s_delay_alu instid0(VALU_DEP_3) | instskip(NEXT) | instid1(VALU_DEP_1)
	v_dot4_i32_iu8 v0, v61, v37, v0 neg_lo:[1,1,0]
	v_dot4_i32_iu8 v0, v13, v213, v0 neg_lo:[1,1,0]
	s_delay_alu instid0(VALU_DEP_1) | instskip(SKIP_1) | instid1(VALU_DEP_1)
	v_dot4_i32_iu8 v5, v15, v40, v0 neg_lo:[1,1,0]
	v_dot4_i32_iu8 v0, v14, v39, 0 neg_lo:[1,1,0]
	;; [unrolled: 1-line block ×3, first 2 shown]
	s_delay_alu instid0(VALU_DEP_1) | instskip(NEXT) | instid1(VALU_DEP_1)
	v_dot4_i32_iu8 v0, v9, v214, v0 neg_lo:[1,1,0]
	v_dot4_i32_iu8 v6, v11, v42, v0 neg_lo:[1,1,0]
	;; [unrolled: 1-line block ×3, first 2 shown]
	s_delay_alu instid0(VALU_DEP_1) | instskip(NEXT) | instid1(VALU_DEP_1)
	v_dot4_i32_iu8 v0, v59, v204, v0 neg_lo:[1,1,0]
	v_dot4_i32_iu8 v0, v62, v203, v0 neg_lo:[1,1,0]
	s_delay_alu instid0(VALU_DEP_1) | instskip(NEXT) | instid1(VALU_DEP_1)
	v_dot4_i32_iu8 v0, v7, v22, v0 neg_lo:[1,1,0]
	v_mul_lo_u32 v0, v0, v202
	s_delay_alu instid0(VALU_DEP_1) | instskip(NEXT) | instid1(VALU_DEP_1)
	v_mad_co_u64_u32 v[0:1], null, v1, v199, v[0:1]
	v_cvt_f32_i32_e32 v0, v0
	s_delay_alu instid0(VALU_DEP_1) | instskip(SKIP_1) | instid1(VALU_DEP_1)
	v_fma_f32 v2, v30, v0, 0
	v_mul_lo_u32 v0, v5, v198
	v_mad_co_u64_u32 v[0:1], null, v6, v54, v[0:1]
	s_delay_alu instid0(VALU_DEP_1) | instskip(NEXT) | instid1(VALU_DEP_1)
	v_cvt_f32_i32_e32 v0, v0
	v_fmac_f32_e32 v2, v31, v0
	v_or_b32_e32 v0, s13, v161
	s_delay_alu instid0(VALU_DEP_2) | instskip(NEXT) | instid1(VALU_DEP_2)
	v_fmac_f32_e32 v88, v197, v2
	v_lshlrev_b32_e32 v12, 2, v0
	v_lshrrev_b32_e32 v30, 1, v0
	ds_load_b128 v[0:3], v12 offset:33280
	ds_load_b128 v[4:7], v12 offset:33296
	;; [unrolled: 1-line block ×4, first 2 shown]
	ds_load_b64 v[30:31], v30 offset:43584
	s_wait_dscnt 0x4
	v_perm_b32 v63, v1, v0, 0x6040503
	s_wait_dscnt 0x3
	v_perm_b32 v62, v6, v5, 0x7060403
	s_wait_dscnt 0x2
	v_bfe_i32 v56, v10, 8, 8
	v_bfe_i32 v57, v8, 8, 8
	;; [unrolled: 1-line block ×3, first 2 shown]
	v_ashrrev_i32_e32 v59, 24, v10
	s_wait_dscnt 0x1
	v_perm_b32 v61, v14, v14, 0xc0c0c01
	v_mul_i32_i24_e32 v56, v56, v232
	v_perm_b32 v67, v2, v1, 0x7060403
	v_mul_i32_i24_e32 v58, v234, v58
	v_mul_i32_i24_e32 v59, v233, v59
	v_perm_b32 v60, v12, v52, 0x6040503
	v_mad_i32_i24 v56, v235, v57, v56
	v_perm_b32 v57, v9, v8, 0x5030200
	v_or_b32_e32 v61, v240, v61
	s_delay_alu instid0(VALU_DEP_2) | instskip(SKIP_1) | instid1(VALU_DEP_3)
	v_dot4_i32_iu8 v56, v243, v57, v56 neg_lo:[1,1,0]
	v_perm_b32 v57, v10, v9, 0x4030200
	v_dot4_i32_iu8 v60, v61, v60, 0 neg_lo:[1,1,0]
	v_perm_b32 v61, v13, v12, 0x6040503
	v_perm_b32 v13, v14, v13, 0x7060403
	s_delay_alu instid0(VALU_DEP_4) | instskip(SKIP_1) | instid1(VALU_DEP_4)
	v_dot4_i32_iu8 v56, v244, v57, v56 neg_lo:[1,1,0]
	v_perm_b32 v57, v11, v11, 0x3020001
	v_dot4_i32_iu8 v60, v61, v241, v60 neg_lo:[1,1,0]
	s_delay_alu instid0(VALU_DEP_3) | instskip(SKIP_1) | instid1(VALU_DEP_3)
	v_add3_u32 v56, v56, v58, v59
	v_perm_b32 v59, v5, v4, 0x6040503
	v_dot4_i32_iu8 v60, v242, v13, v60 neg_lo:[1,1,0]
	s_delay_alu instid0(VALU_DEP_3) | instskip(SKIP_2) | instid1(VALU_DEP_4)
	v_dot4_i32_iu8 v58, v245, v57, v56 neg_lo:[1,1,0]
	v_perm_b32 v56, v4, v25, 0x6050401
	v_perm_b32 v57, v29, v6, 0x6050401
	v_dot4_i32_iu8 v60, v231, v15, v60 neg_lo:[1,1,0]
	v_perm_b32 v4, v4, v6, 0x6050401
	s_delay_alu instid0(VALU_DEP_3) | instskip(SKIP_1) | instid1(VALU_DEP_2)
	v_dot4_i32_iu8 v56, v57, v56, 0 neg_lo:[1,1,0]
	v_perm_b32 v57, v27, v2, 0x6050401
	v_dot4_i32_iu8 v56, v51, v59, v56 neg_lo:[1,1,0]
	s_delay_alu instid0(VALU_DEP_1) | instskip(SKIP_1) | instid1(VALU_DEP_2)
	v_dot4_i32_iu8 v5, v236, v62, v56 neg_lo:[1,1,0]
	v_perm_b32 v56, v0, v23, 0x6050401
	v_dot4_i32_iu8 v5, v7, v26, v5 neg_lo:[1,1,0]
	s_delay_alu instid0(VALU_DEP_2) | instskip(NEXT) | instid1(VALU_DEP_2)
	v_dot4_i32_iu8 v56, v57, v56, 0 neg_lo:[1,1,0]
	v_mul_lo_u32 v5, v5, v225
	s_delay_alu instid0(VALU_DEP_2) | instskip(NEXT) | instid1(VALU_DEP_1)
	v_dot4_i32_iu8 v56, v237, v63, v56 neg_lo:[1,1,0]
	v_dot4_i32_iu8 v1, v238, v67, v56 neg_lo:[1,1,0]
	s_delay_alu instid0(VALU_DEP_1) | instskip(NEXT) | instid1(VALU_DEP_1)
	v_dot4_i32_iu8 v1, v3, v24, v1 neg_lo:[1,1,0]
	v_mad_co_u64_u32 v[56:57], null, v1, v226, v[5:6]
	s_delay_alu instid0(VALU_DEP_1) | instskip(SKIP_1) | instid1(VALU_DEP_1)
	v_cvt_f32_i32_e32 v1, v56
	s_wait_dscnt 0x0
	v_fma_f32 v5, v30, v1, 0
	v_mul_lo_u32 v1, v60, v228
	s_delay_alu instid0(VALU_DEP_1) | instskip(SKIP_1) | instid1(VALU_DEP_1)
	v_mad_co_u64_u32 v[56:57], null, v58, v227, v[1:2]
	v_perm_b32 v2, v0, v2, 0x6050401
	v_dot4_i32_iu8 v0, v2, v49, 0 neg_lo:[1,1,0]
	s_delay_alu instid0(VALU_DEP_3) | instskip(NEXT) | instid1(VALU_DEP_2)
	v_cvt_f32_i32_e32 v1, v56
	v_dot4_i32_iu8 v0, v63, v218, v0 neg_lo:[1,1,0]
	s_delay_alu instid0(VALU_DEP_2) | instskip(NEXT) | instid1(VALU_DEP_2)
	v_fmac_f32_e32 v5, v31, v1
	v_dot4_i32_iu8 v0, v67, v219, v0 neg_lo:[1,1,0]
	s_delay_alu instid0(VALU_DEP_2)
	v_fmac_f32_e32 v87, v194, v5
	v_perm_b32 v5, v12, v14, 0x6040501
	v_perm_b32 v14, v8, v10, 0x6040501
	v_perm_b32 v8, v9, v8, 0x6040503
	v_perm_b32 v9, v10, v9, 0x7060403
	v_dot4_i32_iu8 v0, v3, v36, v0 neg_lo:[1,1,0]
	v_dot4_i32_iu8 v1, v5, v239, 0 neg_lo:[1,1,0]
	s_delay_alu instid0(VALU_DEP_1) | instskip(NEXT) | instid1(VALU_DEP_1)
	v_dot4_i32_iu8 v1, v61, v64, v1 neg_lo:[1,1,0]
	v_dot4_i32_iu8 v1, v13, v229, v1 neg_lo:[1,1,0]
	s_delay_alu instid0(VALU_DEP_1) | instskip(SKIP_1) | instid1(VALU_DEP_1)
	v_dot4_i32_iu8 v12, v15, v48, v1 neg_lo:[1,1,0]
	v_dot4_i32_iu8 v1, v14, v65, 0 neg_lo:[1,1,0]
	;; [unrolled: 1-line block ×3, first 2 shown]
	s_delay_alu instid0(VALU_DEP_1) | instskip(NEXT) | instid1(VALU_DEP_1)
	v_dot4_i32_iu8 v1, v9, v230, v1 neg_lo:[1,1,0]
	v_dot4_i32_iu8 v10, v11, v50, v1 neg_lo:[1,1,0]
	;; [unrolled: 1-line block ×3, first 2 shown]
	s_delay_alu instid0(VALU_DEP_1) | instskip(NEXT) | instid1(VALU_DEP_1)
	v_dot4_i32_iu8 v1, v59, v215, v1 neg_lo:[1,1,0]
	v_dot4_i32_iu8 v1, v62, v216, v1 neg_lo:[1,1,0]
	s_delay_alu instid0(VALU_DEP_1) | instskip(NEXT) | instid1(VALU_DEP_1)
	v_dot4_i32_iu8 v1, v7, v38, v1 neg_lo:[1,1,0]
	v_mul_lo_u32 v1, v1, v217
	s_delay_alu instid0(VALU_DEP_1) | instskip(NEXT) | instid1(VALU_DEP_1)
	v_mad_co_u64_u32 v[0:1], null, v0, v220, v[1:2]
	v_cvt_f32_i32_e32 v0, v0
	s_delay_alu instid0(VALU_DEP_1) | instskip(SKIP_1) | instid1(VALU_DEP_1)
	v_fma_f32 v6, v30, v0, 0
	v_mul_lo_u32 v0, v12, v222
	v_mad_co_u64_u32 v[0:1], null, v10, v221, v[0:1]
	v_dot4_i32_iu8 v1, v2, v33, 0 neg_lo:[1,1,0]
	s_delay_alu instid0(VALU_DEP_1) | instskip(NEXT) | instid1(VALU_DEP_3)
	v_dot4_i32_iu8 v1, v63, v208, v1 neg_lo:[1,1,0]
	v_cvt_f32_i32_e32 v0, v0
	s_delay_alu instid0(VALU_DEP_2) | instskip(NEXT) | instid1(VALU_DEP_2)
	v_dot4_i32_iu8 v1, v67, v209, v1 neg_lo:[1,1,0]
	v_fmac_f32_e32 v6, v31, v0
	v_dot4_i32_iu8 v0, v5, v43, 0 neg_lo:[1,1,0]
	s_delay_alu instid0(VALU_DEP_3) | instskip(NEXT) | instid1(VALU_DEP_3)
	v_dot4_i32_iu8 v1, v3, v32, v1 neg_lo:[1,1,0]
	v_fmac_f32_e32 v86, v195, v6
	s_delay_alu instid0(VALU_DEP_3) | instskip(NEXT) | instid1(VALU_DEP_1)
	v_dot4_i32_iu8 v0, v61, v53, v0 neg_lo:[1,1,0]
	v_dot4_i32_iu8 v0, v13, v223, v0 neg_lo:[1,1,0]
	s_delay_alu instid0(VALU_DEP_1) | instskip(SKIP_1) | instid1(VALU_DEP_1)
	v_dot4_i32_iu8 v6, v15, v44, v0 neg_lo:[1,1,0]
	v_dot4_i32_iu8 v0, v14, v45, 0 neg_lo:[1,1,0]
	;; [unrolled: 1-line block ×3, first 2 shown]
	s_delay_alu instid0(VALU_DEP_1) | instskip(NEXT) | instid1(VALU_DEP_1)
	v_dot4_i32_iu8 v0, v9, v224, v0 neg_lo:[1,1,0]
	v_dot4_i32_iu8 v10, v11, v46, v0 neg_lo:[1,1,0]
	;; [unrolled: 1-line block ×3, first 2 shown]
	s_delay_alu instid0(VALU_DEP_1) | instskip(NEXT) | instid1(VALU_DEP_1)
	v_dot4_i32_iu8 v0, v59, v205, v0 neg_lo:[1,1,0]
	v_dot4_i32_iu8 v0, v62, v206, v0 neg_lo:[1,1,0]
	s_delay_alu instid0(VALU_DEP_1) | instskip(NEXT) | instid1(VALU_DEP_1)
	v_dot4_i32_iu8 v0, v7, v34, v0 neg_lo:[1,1,0]
	v_mul_lo_u32 v0, v0, v207
	s_delay_alu instid0(VALU_DEP_1) | instskip(NEXT) | instid1(VALU_DEP_1)
	v_mad_co_u64_u32 v[0:1], null, v1, v210, v[0:1]
	v_cvt_f32_i32_e32 v0, v0
	s_delay_alu instid0(VALU_DEP_1) | instskip(SKIP_1) | instid1(VALU_DEP_1)
	v_fma_f32 v12, v30, v0, 0
	v_mul_lo_u32 v0, v6, v212
	v_mad_co_u64_u32 v[0:1], null, v10, v211, v[0:1]
	v_dot4_i32_iu8 v1, v2, v19, 0 neg_lo:[1,1,0]
	s_delay_alu instid0(VALU_DEP_1) | instskip(NEXT) | instid1(VALU_DEP_3)
	v_dot4_i32_iu8 v1, v63, v201, v1 neg_lo:[1,1,0]
	v_cvt_f32_i32_e32 v0, v0
	s_delay_alu instid0(VALU_DEP_2) | instskip(NEXT) | instid1(VALU_DEP_2)
	v_dot4_i32_iu8 v1, v67, v200, v1 neg_lo:[1,1,0]
	v_fmac_f32_e32 v12, v31, v0
	v_dot4_i32_iu8 v0, v5, v35, 0 neg_lo:[1,1,0]
	s_delay_alu instid0(VALU_DEP_3) | instskip(NEXT) | instid1(VALU_DEP_3)
	v_dot4_i32_iu8 v1, v3, v20, v1 neg_lo:[1,1,0]
	v_fmac_f32_e32 v85, v196, v12
	s_delay_alu instid0(VALU_DEP_3) | instskip(NEXT) | instid1(VALU_DEP_1)
	v_dot4_i32_iu8 v0, v61, v37, v0 neg_lo:[1,1,0]
	v_dot4_i32_iu8 v0, v13, v213, v0 neg_lo:[1,1,0]
	s_delay_alu instid0(VALU_DEP_1) | instskip(SKIP_1) | instid1(VALU_DEP_1)
	v_dot4_i32_iu8 v5, v15, v40, v0 neg_lo:[1,1,0]
	v_dot4_i32_iu8 v0, v14, v39, 0 neg_lo:[1,1,0]
	;; [unrolled: 1-line block ×3, first 2 shown]
	s_delay_alu instid0(VALU_DEP_1) | instskip(NEXT) | instid1(VALU_DEP_1)
	v_dot4_i32_iu8 v0, v9, v214, v0 neg_lo:[1,1,0]
	v_dot4_i32_iu8 v6, v11, v42, v0 neg_lo:[1,1,0]
	;; [unrolled: 1-line block ×3, first 2 shown]
	s_delay_alu instid0(VALU_DEP_1) | instskip(NEXT) | instid1(VALU_DEP_1)
	v_dot4_i32_iu8 v0, v59, v204, v0 neg_lo:[1,1,0]
	v_dot4_i32_iu8 v0, v62, v203, v0 neg_lo:[1,1,0]
	s_delay_alu instid0(VALU_DEP_1) | instskip(NEXT) | instid1(VALU_DEP_1)
	v_dot4_i32_iu8 v0, v7, v22, v0 neg_lo:[1,1,0]
	v_mul_lo_u32 v0, v0, v202
	s_delay_alu instid0(VALU_DEP_1) | instskip(NEXT) | instid1(VALU_DEP_1)
	v_mad_co_u64_u32 v[0:1], null, v1, v199, v[0:1]
	v_cvt_f32_i32_e32 v0, v0
	s_delay_alu instid0(VALU_DEP_1) | instskip(SKIP_1) | instid1(VALU_DEP_1)
	v_fma_f32 v2, v30, v0, 0
	v_mul_lo_u32 v0, v5, v198
	v_mad_co_u64_u32 v[0:1], null, v6, v54, v[0:1]
	s_delay_alu instid0(VALU_DEP_1) | instskip(NEXT) | instid1(VALU_DEP_1)
	v_cvt_f32_i32_e32 v0, v0
	v_fmac_f32_e32 v2, v31, v0
	v_or_b32_e32 v0, s13, v162
	s_delay_alu instid0(VALU_DEP_2) | instskip(NEXT) | instid1(VALU_DEP_2)
	v_fmac_f32_e32 v82, v197, v2
	v_lshlrev_b32_e32 v12, 2, v0
	v_lshrrev_b32_e32 v30, 1, v0
	ds_load_b128 v[0:3], v12 offset:33280
	ds_load_b128 v[4:7], v12 offset:33296
	;; [unrolled: 1-line block ×4, first 2 shown]
	ds_load_b64 v[30:31], v30 offset:43584
	s_wait_dscnt 0x4
	v_perm_b32 v63, v1, v0, 0x6040503
	s_wait_dscnt 0x3
	v_perm_b32 v62, v6, v5, 0x7060403
	s_wait_dscnt 0x2
	v_bfe_i32 v56, v10, 8, 8
	v_bfe_i32 v57, v8, 8, 8
	;; [unrolled: 1-line block ×3, first 2 shown]
	v_ashrrev_i32_e32 v59, 24, v10
	s_wait_dscnt 0x1
	v_perm_b32 v61, v14, v14, 0xc0c0c01
	v_mul_i32_i24_e32 v56, v56, v232
	v_perm_b32 v67, v2, v1, 0x7060403
	v_mul_i32_i24_e32 v58, v234, v58
	v_mul_i32_i24_e32 v59, v233, v59
	v_perm_b32 v60, v12, v52, 0x6040503
	v_mad_i32_i24 v56, v235, v57, v56
	v_perm_b32 v57, v9, v8, 0x5030200
	v_or_b32_e32 v61, v240, v61
	s_delay_alu instid0(VALU_DEP_2) | instskip(SKIP_1) | instid1(VALU_DEP_3)
	v_dot4_i32_iu8 v56, v243, v57, v56 neg_lo:[1,1,0]
	v_perm_b32 v57, v10, v9, 0x4030200
	v_dot4_i32_iu8 v60, v61, v60, 0 neg_lo:[1,1,0]
	v_perm_b32 v61, v13, v12, 0x6040503
	v_perm_b32 v13, v14, v13, 0x7060403
	s_delay_alu instid0(VALU_DEP_4) | instskip(SKIP_1) | instid1(VALU_DEP_4)
	v_dot4_i32_iu8 v56, v244, v57, v56 neg_lo:[1,1,0]
	v_perm_b32 v57, v11, v11, 0x3020001
	v_dot4_i32_iu8 v60, v61, v241, v60 neg_lo:[1,1,0]
	s_delay_alu instid0(VALU_DEP_3) | instskip(SKIP_1) | instid1(VALU_DEP_3)
	v_add3_u32 v56, v56, v58, v59
	v_perm_b32 v59, v5, v4, 0x6040503
	v_dot4_i32_iu8 v60, v242, v13, v60 neg_lo:[1,1,0]
	s_delay_alu instid0(VALU_DEP_3) | instskip(SKIP_2) | instid1(VALU_DEP_4)
	v_dot4_i32_iu8 v58, v245, v57, v56 neg_lo:[1,1,0]
	v_perm_b32 v56, v4, v25, 0x6050401
	v_perm_b32 v57, v29, v6, 0x6050401
	v_dot4_i32_iu8 v60, v231, v15, v60 neg_lo:[1,1,0]
	v_perm_b32 v4, v4, v6, 0x6050401
	s_delay_alu instid0(VALU_DEP_3) | instskip(SKIP_1) | instid1(VALU_DEP_2)
	v_dot4_i32_iu8 v56, v57, v56, 0 neg_lo:[1,1,0]
	v_perm_b32 v57, v27, v2, 0x6050401
	v_dot4_i32_iu8 v56, v51, v59, v56 neg_lo:[1,1,0]
	s_delay_alu instid0(VALU_DEP_1) | instskip(SKIP_1) | instid1(VALU_DEP_2)
	v_dot4_i32_iu8 v5, v236, v62, v56 neg_lo:[1,1,0]
	v_perm_b32 v56, v0, v23, 0x6050401
	v_dot4_i32_iu8 v5, v7, v26, v5 neg_lo:[1,1,0]
	s_delay_alu instid0(VALU_DEP_2) | instskip(NEXT) | instid1(VALU_DEP_2)
	v_dot4_i32_iu8 v56, v57, v56, 0 neg_lo:[1,1,0]
	v_mul_lo_u32 v5, v5, v225
	s_delay_alu instid0(VALU_DEP_2) | instskip(NEXT) | instid1(VALU_DEP_1)
	v_dot4_i32_iu8 v56, v237, v63, v56 neg_lo:[1,1,0]
	v_dot4_i32_iu8 v1, v238, v67, v56 neg_lo:[1,1,0]
	s_delay_alu instid0(VALU_DEP_1) | instskip(NEXT) | instid1(VALU_DEP_1)
	v_dot4_i32_iu8 v1, v3, v24, v1 neg_lo:[1,1,0]
	v_mad_co_u64_u32 v[56:57], null, v1, v226, v[5:6]
	s_delay_alu instid0(VALU_DEP_1) | instskip(SKIP_1) | instid1(VALU_DEP_1)
	v_cvt_f32_i32_e32 v1, v56
	s_wait_dscnt 0x0
	v_fma_f32 v5, v30, v1, 0
	v_mul_lo_u32 v1, v60, v228
	s_delay_alu instid0(VALU_DEP_1) | instskip(SKIP_1) | instid1(VALU_DEP_1)
	v_mad_co_u64_u32 v[56:57], null, v58, v227, v[1:2]
	v_perm_b32 v2, v0, v2, 0x6050401
	v_dot4_i32_iu8 v0, v2, v49, 0 neg_lo:[1,1,0]
	s_delay_alu instid0(VALU_DEP_3) | instskip(NEXT) | instid1(VALU_DEP_2)
	v_cvt_f32_i32_e32 v1, v56
	v_dot4_i32_iu8 v0, v63, v218, v0 neg_lo:[1,1,0]
	s_delay_alu instid0(VALU_DEP_2) | instskip(NEXT) | instid1(VALU_DEP_2)
	v_fmac_f32_e32 v5, v31, v1
	v_dot4_i32_iu8 v0, v67, v219, v0 neg_lo:[1,1,0]
	s_delay_alu instid0(VALU_DEP_2)
	v_fmac_f32_e32 v81, v194, v5
	v_perm_b32 v5, v12, v14, 0x6040501
	v_perm_b32 v14, v8, v10, 0x6040501
	;; [unrolled: 1-line block ×4, first 2 shown]
	v_dot4_i32_iu8 v0, v3, v36, v0 neg_lo:[1,1,0]
	v_dot4_i32_iu8 v1, v5, v239, 0 neg_lo:[1,1,0]
	s_delay_alu instid0(VALU_DEP_1) | instskip(NEXT) | instid1(VALU_DEP_1)
	v_dot4_i32_iu8 v1, v61, v64, v1 neg_lo:[1,1,0]
	v_dot4_i32_iu8 v1, v13, v229, v1 neg_lo:[1,1,0]
	s_delay_alu instid0(VALU_DEP_1) | instskip(SKIP_1) | instid1(VALU_DEP_1)
	v_dot4_i32_iu8 v12, v15, v48, v1 neg_lo:[1,1,0]
	v_dot4_i32_iu8 v1, v14, v65, 0 neg_lo:[1,1,0]
	;; [unrolled: 1-line block ×3, first 2 shown]
	s_delay_alu instid0(VALU_DEP_1) | instskip(NEXT) | instid1(VALU_DEP_1)
	v_dot4_i32_iu8 v1, v9, v230, v1 neg_lo:[1,1,0]
	v_dot4_i32_iu8 v10, v11, v50, v1 neg_lo:[1,1,0]
	;; [unrolled: 1-line block ×3, first 2 shown]
	s_delay_alu instid0(VALU_DEP_1) | instskip(NEXT) | instid1(VALU_DEP_1)
	v_dot4_i32_iu8 v1, v59, v215, v1 neg_lo:[1,1,0]
	v_dot4_i32_iu8 v1, v62, v216, v1 neg_lo:[1,1,0]
	s_delay_alu instid0(VALU_DEP_1) | instskip(NEXT) | instid1(VALU_DEP_1)
	v_dot4_i32_iu8 v1, v7, v38, v1 neg_lo:[1,1,0]
	v_mul_lo_u32 v1, v1, v217
	s_delay_alu instid0(VALU_DEP_1) | instskip(NEXT) | instid1(VALU_DEP_1)
	v_mad_co_u64_u32 v[0:1], null, v0, v220, v[1:2]
	v_cvt_f32_i32_e32 v0, v0
	s_delay_alu instid0(VALU_DEP_1) | instskip(SKIP_1) | instid1(VALU_DEP_1)
	v_fma_f32 v6, v30, v0, 0
	v_mul_lo_u32 v0, v12, v222
	v_mad_co_u64_u32 v[0:1], null, v10, v221, v[0:1]
	v_dot4_i32_iu8 v1, v2, v33, 0 neg_lo:[1,1,0]
	s_delay_alu instid0(VALU_DEP_1) | instskip(NEXT) | instid1(VALU_DEP_3)
	v_dot4_i32_iu8 v1, v63, v208, v1 neg_lo:[1,1,0]
	v_cvt_f32_i32_e32 v0, v0
	s_delay_alu instid0(VALU_DEP_2) | instskip(NEXT) | instid1(VALU_DEP_2)
	v_dot4_i32_iu8 v1, v67, v209, v1 neg_lo:[1,1,0]
	v_fmac_f32_e32 v6, v31, v0
	v_dot4_i32_iu8 v0, v5, v43, 0 neg_lo:[1,1,0]
	s_delay_alu instid0(VALU_DEP_3) | instskip(NEXT) | instid1(VALU_DEP_3)
	v_dot4_i32_iu8 v1, v3, v32, v1 neg_lo:[1,1,0]
	v_fmac_f32_e32 v80, v195, v6
	s_delay_alu instid0(VALU_DEP_3) | instskip(NEXT) | instid1(VALU_DEP_1)
	v_dot4_i32_iu8 v0, v61, v53, v0 neg_lo:[1,1,0]
	v_dot4_i32_iu8 v0, v13, v223, v0 neg_lo:[1,1,0]
	s_delay_alu instid0(VALU_DEP_1) | instskip(SKIP_1) | instid1(VALU_DEP_1)
	v_dot4_i32_iu8 v6, v15, v44, v0 neg_lo:[1,1,0]
	v_dot4_i32_iu8 v0, v14, v45, 0 neg_lo:[1,1,0]
	;; [unrolled: 1-line block ×3, first 2 shown]
	s_delay_alu instid0(VALU_DEP_1) | instskip(NEXT) | instid1(VALU_DEP_1)
	v_dot4_i32_iu8 v0, v9, v224, v0 neg_lo:[1,1,0]
	v_dot4_i32_iu8 v10, v11, v46, v0 neg_lo:[1,1,0]
	;; [unrolled: 1-line block ×3, first 2 shown]
	s_delay_alu instid0(VALU_DEP_1) | instskip(NEXT) | instid1(VALU_DEP_1)
	v_dot4_i32_iu8 v0, v59, v205, v0 neg_lo:[1,1,0]
	v_dot4_i32_iu8 v0, v62, v206, v0 neg_lo:[1,1,0]
	s_delay_alu instid0(VALU_DEP_1) | instskip(NEXT) | instid1(VALU_DEP_1)
	v_dot4_i32_iu8 v0, v7, v34, v0 neg_lo:[1,1,0]
	v_mul_lo_u32 v0, v0, v207
	s_delay_alu instid0(VALU_DEP_1) | instskip(NEXT) | instid1(VALU_DEP_1)
	v_mad_co_u64_u32 v[0:1], null, v1, v210, v[0:1]
	v_cvt_f32_i32_e32 v0, v0
	s_delay_alu instid0(VALU_DEP_1) | instskip(SKIP_1) | instid1(VALU_DEP_1)
	v_fma_f32 v12, v30, v0, 0
	v_mul_lo_u32 v0, v6, v212
	v_mad_co_u64_u32 v[0:1], null, v10, v211, v[0:1]
	v_dot4_i32_iu8 v1, v2, v19, 0 neg_lo:[1,1,0]
	s_delay_alu instid0(VALU_DEP_1) | instskip(NEXT) | instid1(VALU_DEP_3)
	v_dot4_i32_iu8 v1, v63, v201, v1 neg_lo:[1,1,0]
	v_cvt_f32_i32_e32 v0, v0
	s_delay_alu instid0(VALU_DEP_2) | instskip(NEXT) | instid1(VALU_DEP_2)
	v_dot4_i32_iu8 v1, v67, v200, v1 neg_lo:[1,1,0]
	v_fmac_f32_e32 v12, v31, v0
	v_dot4_i32_iu8 v0, v5, v35, 0 neg_lo:[1,1,0]
	s_delay_alu instid0(VALU_DEP_3) | instskip(NEXT) | instid1(VALU_DEP_2)
	v_dot4_i32_iu8 v1, v3, v20, v1 neg_lo:[1,1,0]
	v_dot4_i32_iu8 v0, v61, v37, v0 neg_lo:[1,1,0]
	s_delay_alu instid0(VALU_DEP_1) | instskip(NEXT) | instid1(VALU_DEP_1)
	v_dot4_i32_iu8 v0, v13, v213, v0 neg_lo:[1,1,0]
	v_dot4_i32_iu8 v5, v15, v40, v0 neg_lo:[1,1,0]
	;; [unrolled: 1-line block ×3, first 2 shown]
	s_delay_alu instid0(VALU_DEP_1) | instskip(NEXT) | instid1(VALU_DEP_1)
	v_dot4_i32_iu8 v0, v8, v41, v0 neg_lo:[1,1,0]
	v_dot4_i32_iu8 v0, v9, v214, v0 neg_lo:[1,1,0]
	s_delay_alu instid0(VALU_DEP_1) | instskip(SKIP_1) | instid1(VALU_DEP_1)
	v_dot4_i32_iu8 v6, v11, v42, v0 neg_lo:[1,1,0]
	v_dot4_i32_iu8 v0, v4, v21, 0 neg_lo:[1,1,0]
	;; [unrolled: 1-line block ×3, first 2 shown]
	s_delay_alu instid0(VALU_DEP_1) | instskip(NEXT) | instid1(VALU_DEP_1)
	v_dot4_i32_iu8 v0, v62, v203, v0 neg_lo:[1,1,0]
	v_dot4_i32_iu8 v0, v7, v22, v0 neg_lo:[1,1,0]
	s_delay_alu instid0(VALU_DEP_1) | instskip(NEXT) | instid1(VALU_DEP_1)
	v_mul_lo_u32 v0, v0, v202
	v_mad_co_u64_u32 v[0:1], null, v1, v199, v[0:1]
	s_delay_alu instid0(VALU_DEP_1) | instskip(NEXT) | instid1(VALU_DEP_1)
	v_cvt_f32_i32_e32 v0, v0
	v_fma_f32 v2, v30, v0, 0
	v_mul_lo_u32 v0, v5, v198
	s_delay_alu instid0(VALU_DEP_1) | instskip(NEXT) | instid1(VALU_DEP_1)
	v_mad_co_u64_u32 v[0:1], null, v6, v54, v[0:1]
	v_cvt_f32_i32_e32 v0, v0
	s_delay_alu instid0(VALU_DEP_1) | instskip(SKIP_1) | instid1(VALU_DEP_2)
	v_fmac_f32_e32 v2, v31, v0
	v_or_b32_e32 v0, s13, v163
	v_dual_fmac_f32 v79, v196, v12 :: v_dual_fmac_f32 v78, v197, v2
	s_delay_alu instid0(VALU_DEP_2)
	v_lshlrev_b32_e32 v12, 2, v0
	v_lshrrev_b32_e32 v30, 1, v0
	ds_load_b128 v[0:3], v12 offset:33280
	ds_load_b128 v[4:7], v12 offset:33296
	;; [unrolled: 1-line block ×4, first 2 shown]
	ds_load_b64 v[30:31], v30 offset:43584
	s_wait_dscnt 0x4
	v_perm_b32 v63, v1, v0, 0x6040503
	s_wait_dscnt 0x3
	v_perm_b32 v62, v6, v5, 0x7060403
	s_wait_dscnt 0x2
	v_bfe_i32 v56, v10, 8, 8
	v_bfe_i32 v57, v8, 8, 8
	v_bfe_i32 v58, v10, 16, 8
	v_ashrrev_i32_e32 v59, 24, v10
	s_wait_dscnt 0x1
	v_perm_b32 v61, v14, v14, 0xc0c0c01
	v_mul_i32_i24_e32 v56, v56, v232
	v_perm_b32 v67, v2, v1, 0x7060403
	v_mul_i32_i24_e32 v58, v234, v58
	v_mul_i32_i24_e32 v59, v233, v59
	v_perm_b32 v60, v12, v52, 0x6040503
	v_mad_i32_i24 v56, v235, v57, v56
	v_perm_b32 v57, v9, v8, 0x5030200
	v_or_b32_e32 v61, v240, v61
	s_delay_alu instid0(VALU_DEP_2) | instskip(SKIP_1) | instid1(VALU_DEP_3)
	v_dot4_i32_iu8 v56, v243, v57, v56 neg_lo:[1,1,0]
	v_perm_b32 v57, v10, v9, 0x4030200
	v_dot4_i32_iu8 v60, v61, v60, 0 neg_lo:[1,1,0]
	v_perm_b32 v61, v13, v12, 0x6040503
	v_perm_b32 v13, v14, v13, 0x7060403
	s_delay_alu instid0(VALU_DEP_4) | instskip(SKIP_1) | instid1(VALU_DEP_4)
	v_dot4_i32_iu8 v56, v244, v57, v56 neg_lo:[1,1,0]
	v_perm_b32 v57, v11, v11, 0x3020001
	v_dot4_i32_iu8 v60, v61, v241, v60 neg_lo:[1,1,0]
	s_delay_alu instid0(VALU_DEP_3) | instskip(SKIP_1) | instid1(VALU_DEP_3)
	v_add3_u32 v56, v56, v58, v59
	v_perm_b32 v59, v5, v4, 0x6040503
	v_dot4_i32_iu8 v60, v242, v13, v60 neg_lo:[1,1,0]
	s_delay_alu instid0(VALU_DEP_3) | instskip(SKIP_2) | instid1(VALU_DEP_4)
	v_dot4_i32_iu8 v58, v245, v57, v56 neg_lo:[1,1,0]
	v_perm_b32 v56, v4, v25, 0x6050401
	v_perm_b32 v57, v29, v6, 0x6050401
	v_dot4_i32_iu8 v60, v231, v15, v60 neg_lo:[1,1,0]
	v_perm_b32 v4, v4, v6, 0x6050401
	s_delay_alu instid0(VALU_DEP_3) | instskip(SKIP_1) | instid1(VALU_DEP_2)
	v_dot4_i32_iu8 v56, v57, v56, 0 neg_lo:[1,1,0]
	v_perm_b32 v57, v27, v2, 0x6050401
	v_dot4_i32_iu8 v56, v51, v59, v56 neg_lo:[1,1,0]
	s_delay_alu instid0(VALU_DEP_1) | instskip(SKIP_1) | instid1(VALU_DEP_2)
	v_dot4_i32_iu8 v5, v236, v62, v56 neg_lo:[1,1,0]
	v_perm_b32 v56, v0, v23, 0x6050401
	v_dot4_i32_iu8 v5, v7, v26, v5 neg_lo:[1,1,0]
	s_delay_alu instid0(VALU_DEP_2) | instskip(NEXT) | instid1(VALU_DEP_2)
	v_dot4_i32_iu8 v56, v57, v56, 0 neg_lo:[1,1,0]
	v_mul_lo_u32 v5, v5, v225
	s_delay_alu instid0(VALU_DEP_2) | instskip(NEXT) | instid1(VALU_DEP_1)
	v_dot4_i32_iu8 v56, v237, v63, v56 neg_lo:[1,1,0]
	v_dot4_i32_iu8 v1, v238, v67, v56 neg_lo:[1,1,0]
	s_delay_alu instid0(VALU_DEP_1) | instskip(NEXT) | instid1(VALU_DEP_1)
	v_dot4_i32_iu8 v1, v3, v24, v1 neg_lo:[1,1,0]
	v_mad_co_u64_u32 v[56:57], null, v1, v226, v[5:6]
	s_delay_alu instid0(VALU_DEP_1) | instskip(SKIP_1) | instid1(VALU_DEP_1)
	v_cvt_f32_i32_e32 v1, v56
	s_wait_dscnt 0x0
	v_fma_f32 v5, v30, v1, 0
	v_mul_lo_u32 v1, v60, v228
	s_delay_alu instid0(VALU_DEP_1) | instskip(SKIP_1) | instid1(VALU_DEP_1)
	v_mad_co_u64_u32 v[56:57], null, v58, v227, v[1:2]
	v_perm_b32 v2, v0, v2, 0x6050401
	v_dot4_i32_iu8 v0, v2, v49, 0 neg_lo:[1,1,0]
	s_delay_alu instid0(VALU_DEP_3) | instskip(NEXT) | instid1(VALU_DEP_2)
	v_cvt_f32_i32_e32 v1, v56
	v_dot4_i32_iu8 v0, v63, v218, v0 neg_lo:[1,1,0]
	s_delay_alu instid0(VALU_DEP_2) | instskip(NEXT) | instid1(VALU_DEP_2)
	v_fmac_f32_e32 v5, v31, v1
	v_dot4_i32_iu8 v0, v67, v219, v0 neg_lo:[1,1,0]
	s_delay_alu instid0(VALU_DEP_2)
	v_fmac_f32_e32 v77, v194, v5
	v_perm_b32 v5, v12, v14, 0x6040501
	v_perm_b32 v14, v8, v10, 0x6040501
	;; [unrolled: 1-line block ×4, first 2 shown]
	v_dot4_i32_iu8 v0, v3, v36, v0 neg_lo:[1,1,0]
	v_dot4_i32_iu8 v1, v5, v239, 0 neg_lo:[1,1,0]
	s_delay_alu instid0(VALU_DEP_1) | instskip(NEXT) | instid1(VALU_DEP_1)
	v_dot4_i32_iu8 v1, v61, v64, v1 neg_lo:[1,1,0]
	v_dot4_i32_iu8 v1, v13, v229, v1 neg_lo:[1,1,0]
	s_delay_alu instid0(VALU_DEP_1) | instskip(SKIP_1) | instid1(VALU_DEP_1)
	v_dot4_i32_iu8 v12, v15, v48, v1 neg_lo:[1,1,0]
	v_dot4_i32_iu8 v1, v14, v65, 0 neg_lo:[1,1,0]
	;; [unrolled: 1-line block ×3, first 2 shown]
	s_delay_alu instid0(VALU_DEP_1) | instskip(NEXT) | instid1(VALU_DEP_1)
	v_dot4_i32_iu8 v1, v9, v230, v1 neg_lo:[1,1,0]
	v_dot4_i32_iu8 v10, v11, v50, v1 neg_lo:[1,1,0]
	;; [unrolled: 1-line block ×3, first 2 shown]
	s_delay_alu instid0(VALU_DEP_1) | instskip(NEXT) | instid1(VALU_DEP_1)
	v_dot4_i32_iu8 v1, v59, v215, v1 neg_lo:[1,1,0]
	v_dot4_i32_iu8 v1, v62, v216, v1 neg_lo:[1,1,0]
	s_delay_alu instid0(VALU_DEP_1) | instskip(NEXT) | instid1(VALU_DEP_1)
	v_dot4_i32_iu8 v1, v7, v38, v1 neg_lo:[1,1,0]
	v_mul_lo_u32 v1, v1, v217
	s_delay_alu instid0(VALU_DEP_1) | instskip(NEXT) | instid1(VALU_DEP_1)
	v_mad_co_u64_u32 v[0:1], null, v0, v220, v[1:2]
	v_cvt_f32_i32_e32 v0, v0
	s_delay_alu instid0(VALU_DEP_1) | instskip(SKIP_1) | instid1(VALU_DEP_1)
	v_fma_f32 v6, v30, v0, 0
	v_mul_lo_u32 v0, v12, v222
	v_mad_co_u64_u32 v[0:1], null, v10, v221, v[0:1]
	v_dot4_i32_iu8 v1, v2, v33, 0 neg_lo:[1,1,0]
	s_delay_alu instid0(VALU_DEP_1) | instskip(NEXT) | instid1(VALU_DEP_3)
	v_dot4_i32_iu8 v1, v63, v208, v1 neg_lo:[1,1,0]
	v_cvt_f32_i32_e32 v0, v0
	s_delay_alu instid0(VALU_DEP_2) | instskip(NEXT) | instid1(VALU_DEP_2)
	v_dot4_i32_iu8 v1, v67, v209, v1 neg_lo:[1,1,0]
	v_fmac_f32_e32 v6, v31, v0
	v_dot4_i32_iu8 v0, v5, v43, 0 neg_lo:[1,1,0]
	s_delay_alu instid0(VALU_DEP_3) | instskip(NEXT) | instid1(VALU_DEP_3)
	v_dot4_i32_iu8 v1, v3, v32, v1 neg_lo:[1,1,0]
	v_fmac_f32_e32 v76, v195, v6
	s_delay_alu instid0(VALU_DEP_3) | instskip(NEXT) | instid1(VALU_DEP_1)
	v_dot4_i32_iu8 v0, v61, v53, v0 neg_lo:[1,1,0]
	v_dot4_i32_iu8 v0, v13, v223, v0 neg_lo:[1,1,0]
	s_delay_alu instid0(VALU_DEP_1) | instskip(SKIP_1) | instid1(VALU_DEP_1)
	v_dot4_i32_iu8 v6, v15, v44, v0 neg_lo:[1,1,0]
	v_dot4_i32_iu8 v0, v14, v45, 0 neg_lo:[1,1,0]
	;; [unrolled: 1-line block ×3, first 2 shown]
	s_delay_alu instid0(VALU_DEP_1) | instskip(NEXT) | instid1(VALU_DEP_1)
	v_dot4_i32_iu8 v0, v9, v224, v0 neg_lo:[1,1,0]
	v_dot4_i32_iu8 v10, v11, v46, v0 neg_lo:[1,1,0]
	;; [unrolled: 1-line block ×3, first 2 shown]
	s_delay_alu instid0(VALU_DEP_1) | instskip(NEXT) | instid1(VALU_DEP_1)
	v_dot4_i32_iu8 v0, v59, v205, v0 neg_lo:[1,1,0]
	v_dot4_i32_iu8 v0, v62, v206, v0 neg_lo:[1,1,0]
	s_delay_alu instid0(VALU_DEP_1) | instskip(NEXT) | instid1(VALU_DEP_1)
	v_dot4_i32_iu8 v0, v7, v34, v0 neg_lo:[1,1,0]
	v_mul_lo_u32 v0, v0, v207
	s_delay_alu instid0(VALU_DEP_1) | instskip(NEXT) | instid1(VALU_DEP_1)
	v_mad_co_u64_u32 v[0:1], null, v1, v210, v[0:1]
	v_cvt_f32_i32_e32 v0, v0
	s_delay_alu instid0(VALU_DEP_1) | instskip(SKIP_1) | instid1(VALU_DEP_1)
	v_fma_f32 v12, v30, v0, 0
	v_mul_lo_u32 v0, v6, v212
	v_mad_co_u64_u32 v[0:1], null, v10, v211, v[0:1]
	v_dot4_i32_iu8 v1, v2, v19, 0 neg_lo:[1,1,0]
	s_delay_alu instid0(VALU_DEP_1) | instskip(NEXT) | instid1(VALU_DEP_3)
	v_dot4_i32_iu8 v1, v63, v201, v1 neg_lo:[1,1,0]
	v_cvt_f32_i32_e32 v0, v0
	s_delay_alu instid0(VALU_DEP_2) | instskip(NEXT) | instid1(VALU_DEP_2)
	v_dot4_i32_iu8 v1, v67, v200, v1 neg_lo:[1,1,0]
	v_fmac_f32_e32 v12, v31, v0
	v_dot4_i32_iu8 v0, v5, v35, 0 neg_lo:[1,1,0]
	s_delay_alu instid0(VALU_DEP_3) | instskip(NEXT) | instid1(VALU_DEP_3)
	v_dot4_i32_iu8 v1, v3, v20, v1 neg_lo:[1,1,0]
	v_fmac_f32_e32 v75, v196, v12
	s_delay_alu instid0(VALU_DEP_3) | instskip(NEXT) | instid1(VALU_DEP_1)
	v_dot4_i32_iu8 v0, v61, v37, v0 neg_lo:[1,1,0]
	v_dot4_i32_iu8 v0, v13, v213, v0 neg_lo:[1,1,0]
	s_delay_alu instid0(VALU_DEP_1) | instskip(SKIP_1) | instid1(VALU_DEP_1)
	v_dot4_i32_iu8 v5, v15, v40, v0 neg_lo:[1,1,0]
	v_dot4_i32_iu8 v0, v14, v39, 0 neg_lo:[1,1,0]
	;; [unrolled: 1-line block ×3, first 2 shown]
	s_delay_alu instid0(VALU_DEP_1) | instskip(NEXT) | instid1(VALU_DEP_1)
	v_dot4_i32_iu8 v0, v9, v214, v0 neg_lo:[1,1,0]
	v_dot4_i32_iu8 v6, v11, v42, v0 neg_lo:[1,1,0]
	;; [unrolled: 1-line block ×3, first 2 shown]
	s_delay_alu instid0(VALU_DEP_1) | instskip(NEXT) | instid1(VALU_DEP_1)
	v_dot4_i32_iu8 v0, v59, v204, v0 neg_lo:[1,1,0]
	v_dot4_i32_iu8 v0, v62, v203, v0 neg_lo:[1,1,0]
	s_delay_alu instid0(VALU_DEP_1) | instskip(NEXT) | instid1(VALU_DEP_1)
	v_dot4_i32_iu8 v0, v7, v22, v0 neg_lo:[1,1,0]
	v_mul_lo_u32 v0, v0, v202
	s_delay_alu instid0(VALU_DEP_1) | instskip(NEXT) | instid1(VALU_DEP_1)
	v_mad_co_u64_u32 v[0:1], null, v1, v199, v[0:1]
	v_cvt_f32_i32_e32 v0, v0
	s_delay_alu instid0(VALU_DEP_1) | instskip(SKIP_1) | instid1(VALU_DEP_1)
	v_fma_f32 v2, v30, v0, 0
	v_mul_lo_u32 v0, v5, v198
	v_mad_co_u64_u32 v[0:1], null, v6, v54, v[0:1]
	s_delay_alu instid0(VALU_DEP_1) | instskip(NEXT) | instid1(VALU_DEP_1)
	v_cvt_f32_i32_e32 v0, v0
	v_fmac_f32_e32 v2, v31, v0
	v_or_b32_e32 v0, s13, v164
	s_delay_alu instid0(VALU_DEP_2) | instskip(NEXT) | instid1(VALU_DEP_2)
	v_fmac_f32_e32 v74, v197, v2
	v_lshlrev_b32_e32 v12, 2, v0
	v_lshrrev_b32_e32 v30, 1, v0
	ds_load_b128 v[0:3], v12 offset:33280
	ds_load_b128 v[4:7], v12 offset:33296
	;; [unrolled: 1-line block ×4, first 2 shown]
	ds_load_b64 v[30:31], v30 offset:43584
	s_wait_dscnt 0x4
	v_perm_b32 v23, v0, v23, 0x6050401
	s_wait_dscnt 0x3
	v_perm_b32 v25, v4, v25, 0x6050401
	v_perm_b32 v29, v29, v6, 0x6050401
	s_wait_dscnt 0x1
	v_perm_b32 v60, v14, v14, 0xc0c0c01
	v_bfe_i32 v56, v10, 8, 8
	v_perm_b32 v52, v12, v52, 0x6040503
	v_bfe_i32 v57, v8, 8, 8
	v_dot4_i32_iu8 v25, v29, v25, 0 neg_lo:[1,1,0]
	v_perm_b32 v29, v5, v4, 0x6040503
	v_or_b32_e32 v60, v240, v60
	v_mul_i32_i24_e32 v56, v56, v232
	v_bfe_i32 v58, v10, 16, 8
	v_ashrrev_i32_e32 v59, 24, v10
	v_dot4_i32_iu8 v25, v51, v29, v25 neg_lo:[1,1,0]
	v_perm_b32 v51, v6, v5, 0x7060403
	v_dot4_i32_iu8 v60, v60, v52, 0 neg_lo:[1,1,0]
	v_perm_b32 v52, v13, v12, 0x6040503
	v_mad_i32_i24 v56, v235, v57, v56
	v_perm_b32 v57, v9, v8, 0x5030200
	v_dot4_i32_iu8 v5, v236, v51, v25 neg_lo:[1,1,0]
	v_perm_b32 v25, v27, v2, 0x6050401
	v_dot4_i32_iu8 v60, v52, v241, v60 neg_lo:[1,1,0]
	;; [unrolled: 2-line block ×3, first 2 shown]
	v_dot4_i32_iu8 v5, v7, v26, v5 neg_lo:[1,1,0]
	v_dot4_i32_iu8 v23, v25, v23, 0 neg_lo:[1,1,0]
	v_perm_b32 v25, v1, v0, 0x6040503
	v_perm_b32 v26, v2, v1, 0x7060403
	;; [unrolled: 1-line block ×3, first 2 shown]
	v_mul_lo_u32 v5, v5, v225
	v_dot4_i32_iu8 v60, v242, v13, v60 neg_lo:[1,1,0]
	v_dot4_i32_iu8 v23, v237, v25, v23 neg_lo:[1,1,0]
	v_mul_i32_i24_e32 v58, v234, v58
	v_mul_i32_i24_e32 v59, v233, v59
	v_dot4_i32_iu8 v56, v244, v57, v56 neg_lo:[1,1,0]
	v_dot4_i32_iu8 v60, v231, v15, v60 neg_lo:[1,1,0]
	;; [unrolled: 1-line block ×3, first 2 shown]
	v_perm_b32 v57, v11, v11, 0x3020001
	v_perm_b32 v4, v4, v6, 0x6050401
	v_add3_u32 v56, v56, v58, v59
	s_delay_alu instid0(VALU_DEP_4) | instskip(NEXT) | instid1(VALU_DEP_2)
	v_dot4_i32_iu8 v1, v3, v24, v1 neg_lo:[1,1,0]
	v_dot4_i32_iu8 v56, v245, v57, v56 neg_lo:[1,1,0]
	s_delay_alu instid0(VALU_DEP_2) | instskip(SKIP_1) | instid1(VALU_DEP_1)
	v_mad_co_u64_u32 v[23:24], null, v1, v226, v[5:6]
	v_perm_b32 v6, v0, v2, 0x6050401
	v_dot4_i32_iu8 v0, v6, v49, 0 neg_lo:[1,1,0]
	s_delay_alu instid0(VALU_DEP_3) | instskip(NEXT) | instid1(VALU_DEP_2)
	v_cvt_f32_i32_e32 v1, v23
	v_dot4_i32_iu8 v0, v25, v218, v0 neg_lo:[1,1,0]
	s_wait_dscnt 0x0
	s_delay_alu instid0(VALU_DEP_2) | instskip(SKIP_1) | instid1(VALU_DEP_3)
	v_fma_f32 v5, v30, v1, 0
	v_mul_lo_u32 v1, v60, v228
	v_dot4_i32_iu8 v0, v26, v219, v0 neg_lo:[1,1,0]
	s_delay_alu instid0(VALU_DEP_2) | instskip(NEXT) | instid1(VALU_DEP_2)
	v_mad_co_u64_u32 v[23:24], null, v56, v227, v[1:2]
	v_dot4_i32_iu8 v0, v3, v36, v0 neg_lo:[1,1,0]
	s_delay_alu instid0(VALU_DEP_2) | instskip(NEXT) | instid1(VALU_DEP_1)
	v_cvt_f32_i32_e32 v1, v23
	v_fmac_f32_e32 v5, v31, v1
	s_delay_alu instid0(VALU_DEP_1) | instskip(SKIP_4) | instid1(VALU_DEP_4)
	v_fmac_f32_e32 v73, v194, v5
	v_perm_b32 v5, v12, v14, 0x6040501
	v_perm_b32 v14, v8, v10, 0x6040501
	;; [unrolled: 1-line block ×4, first 2 shown]
	v_dot4_i32_iu8 v1, v5, v239, 0 neg_lo:[1,1,0]
	s_delay_alu instid0(VALU_DEP_1) | instskip(NEXT) | instid1(VALU_DEP_1)
	v_dot4_i32_iu8 v1, v52, v64, v1 neg_lo:[1,1,0]
	v_dot4_i32_iu8 v1, v13, v229, v1 neg_lo:[1,1,0]
	s_delay_alu instid0(VALU_DEP_1) | instskip(SKIP_1) | instid1(VALU_DEP_1)
	v_dot4_i32_iu8 v12, v15, v48, v1 neg_lo:[1,1,0]
	v_dot4_i32_iu8 v1, v14, v65, 0 neg_lo:[1,1,0]
	;; [unrolled: 1-line block ×3, first 2 shown]
	s_delay_alu instid0(VALU_DEP_1) | instskip(NEXT) | instid1(VALU_DEP_1)
	v_dot4_i32_iu8 v1, v9, v230, v1 neg_lo:[1,1,0]
	v_dot4_i32_iu8 v10, v11, v50, v1 neg_lo:[1,1,0]
	;; [unrolled: 1-line block ×3, first 2 shown]
	s_delay_alu instid0(VALU_DEP_1) | instskip(NEXT) | instid1(VALU_DEP_1)
	v_dot4_i32_iu8 v1, v29, v215, v1 neg_lo:[1,1,0]
	v_dot4_i32_iu8 v1, v51, v216, v1 neg_lo:[1,1,0]
	s_delay_alu instid0(VALU_DEP_1) | instskip(NEXT) | instid1(VALU_DEP_1)
	v_dot4_i32_iu8 v1, v7, v38, v1 neg_lo:[1,1,0]
	v_mul_lo_u32 v1, v1, v217
	s_delay_alu instid0(VALU_DEP_1) | instskip(NEXT) | instid1(VALU_DEP_1)
	v_mad_co_u64_u32 v[0:1], null, v0, v220, v[1:2]
	v_cvt_f32_i32_e32 v0, v0
	s_delay_alu instid0(VALU_DEP_1) | instskip(SKIP_1) | instid1(VALU_DEP_1)
	v_fma_f32 v2, v30, v0, 0
	v_mul_lo_u32 v0, v12, v222
	v_mad_co_u64_u32 v[0:1], null, v10, v221, v[0:1]
	v_dot4_i32_iu8 v1, v6, v33, 0 neg_lo:[1,1,0]
	s_delay_alu instid0(VALU_DEP_1) | instskip(NEXT) | instid1(VALU_DEP_3)
	v_dot4_i32_iu8 v1, v25, v208, v1 neg_lo:[1,1,0]
	v_cvt_f32_i32_e32 v0, v0
	s_delay_alu instid0(VALU_DEP_2) | instskip(NEXT) | instid1(VALU_DEP_2)
	v_dot4_i32_iu8 v1, v26, v209, v1 neg_lo:[1,1,0]
	v_fmac_f32_e32 v2, v31, v0
	v_dot4_i32_iu8 v0, v5, v43, 0 neg_lo:[1,1,0]
	s_delay_alu instid0(VALU_DEP_3) | instskip(NEXT) | instid1(VALU_DEP_3)
	v_dot4_i32_iu8 v1, v3, v32, v1 neg_lo:[1,1,0]
	v_fmac_f32_e32 v72, v195, v2
	s_delay_alu instid0(VALU_DEP_3) | instskip(NEXT) | instid1(VALU_DEP_1)
	v_dot4_i32_iu8 v0, v52, v53, v0 neg_lo:[1,1,0]
	v_dot4_i32_iu8 v0, v13, v223, v0 neg_lo:[1,1,0]
	s_delay_alu instid0(VALU_DEP_1) | instskip(SKIP_1) | instid1(VALU_DEP_1)
	v_dot4_i32_iu8 v2, v15, v44, v0 neg_lo:[1,1,0]
	v_dot4_i32_iu8 v0, v14, v45, 0 neg_lo:[1,1,0]
	;; [unrolled: 1-line block ×3, first 2 shown]
	s_delay_alu instid0(VALU_DEP_1) | instskip(NEXT) | instid1(VALU_DEP_1)
	v_dot4_i32_iu8 v0, v9, v224, v0 neg_lo:[1,1,0]
	v_dot4_i32_iu8 v10, v11, v46, v0 neg_lo:[1,1,0]
	;; [unrolled: 1-line block ×3, first 2 shown]
	s_delay_alu instid0(VALU_DEP_1) | instskip(NEXT) | instid1(VALU_DEP_1)
	v_dot4_i32_iu8 v0, v29, v205, v0 neg_lo:[1,1,0]
	v_dot4_i32_iu8 v0, v51, v206, v0 neg_lo:[1,1,0]
	s_delay_alu instid0(VALU_DEP_1) | instskip(NEXT) | instid1(VALU_DEP_1)
	v_dot4_i32_iu8 v0, v7, v34, v0 neg_lo:[1,1,0]
	v_mul_lo_u32 v0, v0, v207
	s_delay_alu instid0(VALU_DEP_1) | instskip(NEXT) | instid1(VALU_DEP_1)
	v_mad_co_u64_u32 v[0:1], null, v1, v210, v[0:1]
	v_cvt_f32_i32_e32 v0, v0
	s_delay_alu instid0(VALU_DEP_1) | instskip(SKIP_1) | instid1(VALU_DEP_1)
	v_fma_f32 v12, v30, v0, 0
	v_mul_lo_u32 v0, v2, v212
	v_mad_co_u64_u32 v[0:1], null, v10, v211, v[0:1]
	s_delay_alu instid0(VALU_DEP_1) | instskip(NEXT) | instid1(VALU_DEP_1)
	v_cvt_f32_i32_e32 v0, v0
	v_fmac_f32_e32 v12, v31, v0
	v_dot4_i32_iu8 v0, v5, v35, 0 neg_lo:[1,1,0]
	s_delay_alu instid0(VALU_DEP_2) | instskip(NEXT) | instid1(VALU_DEP_2)
	v_fmac_f32_e32 v71, v196, v12
	v_dot4_i32_iu8 v0, v52, v37, v0 neg_lo:[1,1,0]
	s_delay_alu instid0(VALU_DEP_1) | instskip(NEXT) | instid1(VALU_DEP_1)
	v_dot4_i32_iu8 v0, v13, v213, v0 neg_lo:[1,1,0]
	v_dot4_i32_iu8 v1, v15, v40, v0 neg_lo:[1,1,0]
	;; [unrolled: 1-line block ×3, first 2 shown]
	s_delay_alu instid0(VALU_DEP_1) | instskip(NEXT) | instid1(VALU_DEP_1)
	v_dot4_i32_iu8 v0, v8, v41, v0 neg_lo:[1,1,0]
	v_dot4_i32_iu8 v0, v9, v214, v0 neg_lo:[1,1,0]
	s_delay_alu instid0(VALU_DEP_1) | instskip(SKIP_2) | instid1(VALU_DEP_2)
	v_dot4_i32_iu8 v2, v11, v42, v0 neg_lo:[1,1,0]
	v_dot4_i32_iu8 v0, v4, v21, 0 neg_lo:[1,1,0]
	;; [unrolled: 1-line block ×4, first 2 shown]
	s_delay_alu instid0(VALU_DEP_2) | instskip(NEXT) | instid1(VALU_DEP_2)
	v_dot4_i32_iu8 v4, v25, v201, v4 neg_lo:[1,1,0]
	v_dot4_i32_iu8 v0, v51, v203, v0 neg_lo:[1,1,0]
	s_delay_alu instid0(VALU_DEP_2) | instskip(NEXT) | instid1(VALU_DEP_2)
	v_dot4_i32_iu8 v4, v26, v200, v4 neg_lo:[1,1,0]
	v_dot4_i32_iu8 v0, v7, v22, v0 neg_lo:[1,1,0]
	s_delay_alu instid0(VALU_DEP_2) | instskip(NEXT) | instid1(VALU_DEP_2)
	v_dot4_i32_iu8 v3, v3, v20, v4 neg_lo:[1,1,0]
	v_mul_lo_u32 v0, v0, v202
	s_delay_alu instid0(VALU_DEP_1) | instskip(NEXT) | instid1(VALU_DEP_1)
	v_mad_co_u64_u32 v[3:4], null, v3, v199, v[0:1]
	v_cvt_f32_i32_e32 v0, v3
	s_delay_alu instid0(VALU_DEP_1) | instskip(SKIP_1) | instid1(VALU_DEP_1)
	v_fma_f32 v3, v30, v0, 0
	v_mul_lo_u32 v0, v1, v198
	v_mad_co_u64_u32 v[0:1], null, v2, v54, v[0:1]
	s_delay_alu instid0(VALU_DEP_1) | instskip(NEXT) | instid1(VALU_DEP_1)
	v_cvt_f32_i32_e32 v0, v0
	v_fmac_f32_e32 v3, v31, v0
	s_delay_alu instid0(VALU_DEP_1)
	v_fmac_f32_e32 v70, v197, v3
	s_cbranch_vccnz .LBB135_6
; %bb.7:                                ;   in Loop: Header=BB135_5 Depth=1
	v_add_nc_u32_e32 v8, s5, v150
	v_add_nc_u32_e32 v9, 4, v193
	s_wait_loadcnt 0x0
	s_barrier_signal -1
	s_barrier_wait -1
	v_add_nc_u32_e32 v10, v8, v149
	v_add_nc_u32_e32 v0, v8, v142
	;; [unrolled: 1-line block ×8, first 2 shown]
	v_mad_co_u64_u32 v[8:9], null, v9, 36, s[2:3]
	v_mad_co_i64_i32 v[10:11], null, v10, 36, v[17:18]
	v_mad_co_i64_i32 v[0:1], null, v0, 36, v[17:18]
	;; [unrolled: 1-line block ×7, first 2 shown]
	global_inv scope:SCOPE_SE
	v_mad_co_i64_i32 v[19:20], null, v19, 36, v[17:18]
	s_clause 0x8
	global_load_b32 v8, v[8:9], off
	global_load_b32 v9, v[10:11], off offset:4
	global_load_b32 v0, v[0:1], off offset:4
	;; [unrolled: 1-line block ×8, first 2 shown]
	s_mov_b32 s5, 16
	s_wait_loadcnt 0x8
	v_cvt_f32_f16_e32 v7, v8
	s_wait_loadcnt 0x7
	ds_store_b32 v179, v9
	s_wait_loadcnt 0x6
	ds_store_b32 v172, v0
	;; [unrolled: 2-line block ×8, first 2 shown]
	ds_store_b32 v141, v7
	s_wait_dscnt 0x0
	s_barrier_signal -1
	s_barrier_wait -1
	global_inv scope:SCOPE_SE
	ds_load_b32 v63, v154
	ds_load_b32 v64, v155 offset:128
	ds_load_b32 v65, v156 offset:256
	;; [unrolled: 1-line block ×3, first 2 shown]
.LBB135_8:                              ;   Parent Loop BB135_5 Depth=1
                                        ; =>  This Inner Loop Header: Depth=2
	s_wait_alu 0xfffe
	s_lshl_b32 s12, s5, 1
	s_lshr_b32 s13, s5, 1
	s_wait_alu 0xfffe
	s_and_b32 s12, s12, 16
	s_add_co_i32 s13, s13, 0xa200
	s_wait_alu 0xfffe
	v_or_b32_e32 v0, s12, v123
	s_lshl_b32 s16, s5, 3
	s_delay_alu instid0(VALU_DEP_1)
	v_lshlrev_b32_e32 v1, 2, v0
	v_lshrrev_b32_e32 v0, 1, v0
	ds_load_b128 v[180:183], v1 offset:33280
	ds_load_b128 v[231:234], v1 offset:33296
	;; [unrolled: 1-line block ×4, first 2 shown]
	ds_load_b64 v[239:240], v0 offset:43584
	v_add3_u32 v0, s13, v188, v189
	s_wait_alu 0xfffe
	v_add_nc_u32_e32 v29, s16, v165
	ds_load_2addr_b32 v[23:24], v29 offset0:6 offset1:7
	ds_load_2addr_b32 v[27:28], v29 offset0:4 offset1:5
	;; [unrolled: 1-line block ×3, first 2 shown]
	ds_load_2addr_b32 v[25:26], v29 offset1:1
	ds_load_b32 v32, v0
	ds_load_u16 v229, v29 offset:32
	ds_load_b128 v[0:3], v29 offset:34
	ds_load_b64 v[51:52], v29 offset:50
	ds_load_u16 v230, v29 offset:58
	ds_load_b32 v224, v29 offset:60
	s_wait_dscnt 0xe
	v_lshrrev_b16 v5, 8, v181
	s_wait_dscnt 0xd
	v_lshrrev_b16 v4, 8, v232
	s_wait_dscnt 0xc
	v_bfe_i32 v9, v194, 16, 8
	s_wait_dscnt 0xb
	v_bfe_i32 v7, v236, 16, 8
	v_bfe_i32 v34, v237, 16, 8
	v_ashrrev_i32_e32 v36, 24, v236
	v_bfe_i32 v35, v237, 0, 8
	v_bfe_i32 v6, v237, 8, 8
	;; [unrolled: 1-line block ×4, first 2 shown]
	s_wait_dscnt 0x3
	v_bfe_i32 v227, v2, 0, 8
	s_wait_dscnt 0x2
	v_bfe_i32 v33, v52, 0, 8
	s_wait_dscnt 0x1
	v_lshrrev_b16 v37, 8, v230
	v_bfe_i32 v38, v230, 0, 8
	v_bfe_i32 v40, v52, 8, 8
	;; [unrolled: 1-line block ×3, first 2 shown]
	v_mul_i32_i24_e32 v7, v33, v7
	v_ashrrev_i32_e32 v33, 24, v237
	v_bfe_i32 v37, v37, 0, 8
	v_mul_i32_i24_e32 v34, v38, v34
	v_perm_b32 v38, v238, v236, 0xc0c0600
	v_mul_i32_i24_e32 v36, v40, v36
	v_mul_i32_i24_e32 v35, v39, v35
	;; [unrolled: 1-line block ×3, first 2 shown]
	s_wait_dscnt 0x0
	v_perm_b32 v37, v224, v51, 0xc0c0602
	v_ashrrev_i32_e32 v29, 24, v52
	v_bfe_i32 v226, v2, 8, 8
	v_ashrrev_i32_e32 v225, 24, v1
	v_lshrrev_b16 v30, 8, v28
	v_dot4_i32_iu8 v34, v37, v38, v34 neg_lo:[1,1,0]
	v_perm_b32 v37, v224, v51, 0xc0c0400
	v_perm_b32 v38, v238, v235, 0xc0c0402
	v_bfe_i32 v39, v234, 8, 8
	v_bfe_i32 v43, v24, 8, 8
	;; [unrolled: 1-line block ×4, first 2 shown]
	v_dot4_i32_iu8 v36, v37, v38, v36 neg_lo:[1,1,0]
	v_perm_b32 v37, v224, v51, 0xc0c0703
	v_perm_b32 v38, v238, v236, 0xc0c0701
	v_ashrrev_i32_e32 v41, 24, v233
	v_bfe_i32 v42, v233, 16, 8
	v_add_nc_u32_e32 v34, v36, v34
	v_bfe_i32 v36, v235, 0, 8
	v_dot4_i32_iu8 v33, v37, v38, v33 neg_lo:[1,1,0]
	v_perm_b32 v37, v224, v51, 0xc0c0501
	v_perm_b32 v38, v238, v235, 0xc0c0503
	v_bfe_i32 v44, v24, 0, 8
	v_ashrrev_i32_e32 v45, 24, v23
	v_bfe_i32 v46, v23, 16, 8
	v_mul_i32_i24_e32 v39, v43, v39
	v_dot4_i32_iu8 v35, v37, v38, v35 neg_lo:[1,1,0]
	v_ashrrev_i32_e32 v37, 24, v3
	v_bfe_i32 v38, v3, 16, 8
	v_mul_i32_i24_e32 v4, v30, v4
	v_mul_i32_i24_e32 v42, v46, v42
	v_add_nc_u32_e32 v33, v35, v33
	v_bfe_i32 v35, v235, 8, 8
	v_mul_i32_i24_e32 v36, v38, v36
	v_bfe_i32 v38, v28, 16, 8
	v_mul_i32_i24_e32 v41, v45, v41
	v_mul_i32_i24_e32 v40, v44, v40
	;; [unrolled: 1-line block ×3, first 2 shown]
	v_mad_i32_i24 v6, v29, v6, v36
	v_bfe_i32 v29, v195, 16, 8
	v_bfe_i32 v36, v1, 8, 8
	;; [unrolled: 1-line block ×3, first 2 shown]
	v_add3_u32 v33, v34, v33, v35
	v_ashrrev_i32_e32 v34, 24, v194
	v_bfe_i32 v35, v1, 16, 8
	v_mul_i32_i24_e32 v29, v227, v29
	v_bfe_i32 v12, v234, 16, 8
	v_add3_u32 v6, v33, v6, v7
	v_bfe_i32 v33, v195, 0, 8
	v_bfe_i32 v7, v1, 0, 8
	v_mul_i32_i24_e32 v34, v36, v34
	v_perm_b32 v36, v196, v194, 0xc0c0600
	v_bfe_i32 v43, v24, 16, 8
	v_mul_i32_i24_e32 v33, v35, v33
	v_perm_b32 v35, v3, v0, 0xc0c0402
	v_mul_i32_i24_e32 v7, v7, v9
	v_ashrrev_i32_e32 v9, 24, v195
	v_bfe_i32 v10, v233, 8, 8
	v_bfe_i32 v11, v233, 0, 8
	v_dot4_i32_iu8 v29, v35, v36, v29 neg_lo:[1,1,0]
	v_perm_b32 v35, v2, v0, 0xc0c0600
	v_perm_b32 v36, v196, v193, 0xc0c0402
	v_mul_i32_i24_e32 v9, v226, v9
	v_bfe_i32 v30, v23, 0, 8
	v_mul_i32_i24_e32 v12, v43, v12
	v_ashrrev_i32_e32 v13, 24, v234
	v_dot4_i32_iu8 v34, v35, v36, v34 neg_lo:[1,1,0]
	v_perm_b32 v35, v3, v0, 0xc0c0503
	v_perm_b32 v36, v196, v194, 0xc0c0701
	v_lshrrev_b16 v31, 8, v26
	v_ashrrev_i32_e32 v43, 24, v24
	v_add_nc_u32_e32 v29, v34, v29
	v_bfe_i32 v34, v193, 0, 8
	v_dot4_i32_iu8 v9, v35, v36, v9 neg_lo:[1,1,0]
	v_perm_b32 v35, v2, v0, 0xc0c0701
	v_perm_b32 v36, v196, v193, 0xc0c0503
	v_mul_i32_i24_e32 v13, v43, v13
	v_bfe_i32 v5, v5, 0, 8
	v_bfe_i32 v31, v31, 0, 8
	;; [unrolled: 1-line block ×3, first 2 shown]
	v_dot4_i32_iu8 v33, v35, v36, v33 neg_lo:[1,1,0]
	v_lshrrev_b16 v35, 8, v229
	v_ashrrev_i32_e32 v36, 24, v28
	v_mul_i32_i24_e32 v5, v31, v5
	v_bfe_i32 v14, v182, 8, 8
	v_add_nc_u32_e32 v9, v33, v9
	v_bfe_i32 v33, v193, 8, 8
	v_bfe_i32 v228, v35, 0, 8
	v_bfe_i32 v35, v229, 0, 8
	v_bfe_i32 v15, v182, 0, 8
	v_bfe_i32 v31, v21, 0, 8
	v_ashrrev_i32_e32 v20, 24, v183
	v_mul_i32_i24_e32 v33, v228, v33
	v_mul_i32_i24_e32 v34, v35, v34
	v_bfe_i32 v35, v232, 16, 8
	v_bfe_i32 v211, v32, 8, 8
	;; [unrolled: 1-line block ×3, first 2 shown]
	v_add3_u32 v9, v29, v9, v33
	v_mad_i32_i24 v8, v225, v8, v34
	v_ashrrev_i32_e32 v33, 24, v27
	v_bfe_i32 v29, v231, 16, 8
	v_bfe_i32 v34, v27, 16, 8
	v_mad_i32_i24 v35, v38, v35, v40
	v_add3_u32 v7, v9, v8, v7
	v_ashrrev_i32_e32 v9, 24, v231
	v_bfe_i32 v8, v23, 8, 8
	v_mul_i32_i24_e32 v29, v34, v29
	v_bfe_i32 v34, v232, 0, 8
	v_bfe_i32 v38, v22, 8, 8
	v_mul_i32_i24_e32 v9, v33, v9
	v_ashrrev_i32_e32 v33, 24, v232
	v_ashrrev_i32_e32 v40, 24, v21
	v_mad_i32_i24 v34, v37, v34, v42
	v_bfe_i32 v37, v182, 16, 8
	v_bfe_i32 v220, v32, 16, 8
	v_mad_i32_i24 v33, v36, v33, v39
	v_bfe_i32 v36, v27, 0, 8
	v_bfe_i32 v39, v22, 0, 8
	v_ashrrev_i32_e32 v221, 24, v32
	v_perm_b32 v67, v195, v194, 0x7060403
	v_add3_u32 v4, v4, v41, v33
	v_bfe_i32 v33, v231, 8, 8
	v_bfe_i32 v41, v21, 16, 8
	v_perm_b32 v68, v232, v231, 0x6040503
	v_perm_b32 v69, v233, v232, 0x7060403
	v_add3_u32 v4, v34, v35, v4
	v_bfe_i32 v35, v27, 8, 8
	v_bfe_i32 v34, v231, 0, 8
	v_mul_i32_i24_e32 v37, v41, v37
	v_perm_b32 v41, v237, v236, 0x7060403
	v_perm_b32 v124, v181, v180, 0x6040503
	v_mul_i32_i24_e32 v33, v35, v33
	v_mul_i32_i24_e32 v34, v36, v34
	v_bfe_i32 v35, v183, 0, 8
	v_ashrrev_i32_e32 v36, 24, v182
	s_delay_alu instid0(VALU_DEP_4)
	v_mad_i32_i24 v8, v8, v10, v33
	v_mad_i32_i24 v10, v30, v11, v12
	v_ashrrev_i32_e32 v11, 24, v25
	v_bfe_i32 v12, v25, 16, 8
	v_bfe_i32 v30, v26, 0, 8
	v_add3_u32 v4, v4, v34, v8
	v_add3_u32 v8, v29, v9, v10
	v_ashrrev_i32_e32 v9, 24, v180
	v_bfe_i32 v34, v183, 8, 8
	v_bfe_i32 v10, v180, 16, 8
	v_ashrrev_i32_e32 v29, 24, v26
	v_add3_u32 v4, v4, v8, v13
	v_mul_i32_i24_e32 v9, v11, v9
	v_ashrrev_i32_e32 v11, 24, v181
	v_mul_i32_i24_e32 v34, v38, v34
	v_mul_i32_i24_e32 v10, v12, v10
	v_bfe_i32 v12, v181, 0, 8
	v_bfe_i32 v13, v181, 16, 8
	;; [unrolled: 1-line block ×3, first 2 shown]
	v_mul_i32_i24_e32 v36, v40, v36
	v_mul_i32_i24_e32 v35, v39, v35
	v_mad_i32_i24 v11, v29, v11, v34
	v_mad_i32_i24 v12, v30, v12, v37
	v_bfe_i32 v38, v22, 16, 8
	v_bfe_i32 v8, v21, 8, 8
	v_mad_i32_i24 v13, v33, v13, v35
	v_add3_u32 v5, v5, v36, v11
	v_bfe_i32 v11, v180, 8, 8
	v_mul_i32_i24_e32 v19, v38, v19
	v_bfe_i32 v29, v25, 0, 8
	v_ashrrev_i32_e32 v38, 24, v22
	v_add3_u32 v5, v12, v13, v5
	v_bfe_i32 v13, v25, 8, 8
	v_bfe_i32 v12, v180, 0, 8
	v_mul_lo_u32 v4, v4, v211
	v_mul_i32_i24_e32 v20, v38, v20
	v_perm_b32 v181, v182, v181, 0x7060403
	v_mul_i32_i24_e32 v11, v13, v11
	v_mul_i32_i24_e32 v12, v29, v12
	s_delay_alu instid0(VALU_DEP_2) | instskip(SKIP_1) | instid1(VALU_DEP_2)
	v_mad_i32_i24 v8, v8, v14, v11
	v_mad_i32_i24 v11, v31, v15, v19
	v_add3_u32 v5, v5, v12, v8
	s_delay_alu instid0(VALU_DEP_2) | instskip(NEXT) | instid1(VALU_DEP_1)
	v_add3_u32 v8, v10, v9, v11
	v_add3_u32 v5, v5, v8, v20
	s_delay_alu instid0(VALU_DEP_1) | instskip(NEXT) | instid1(VALU_DEP_1)
	v_mad_co_u64_u32 v[4:5], null, v5, v219, v[4:5]
	v_cvt_f32_i32_e32 v4, v4
	s_delay_alu instid0(VALU_DEP_1) | instskip(SKIP_1) | instid1(VALU_DEP_1)
	v_fma_f32 v8, v239, v4, 0
	v_mul_lo_u32 v4, v7, v220
	v_mad_co_u64_u32 v[4:5], null, v6, v221, v[4:5]
	v_add_nc_u32_e32 v5, s16, v167
	s_delay_alu instid0(VALU_DEP_2) | instskip(NEXT) | instid1(VALU_DEP_1)
	v_cvt_f32_i32_e32 v4, v4
	v_fmac_f32_e32 v8, v240, v4
	v_add3_u32 v4, s13, v190, v166
	ds_load_2addr_b32 v[37:38], v5 offset0:6 offset1:7
	ds_load_2addr_b32 v[13:14], v5 offset0:4 offset1:5
	;; [unrolled: 1-line block ×3, first 2 shown]
	ds_load_2addr_b32 v[10:11], v5 offset1:1
	ds_load_b32 v6, v4
	ds_load_2addr_b32 v[47:48], v5 offset0:14 offset1:15
	ds_load_2addr_b32 v[59:60], v5 offset0:12 offset1:13
	;; [unrolled: 1-line block ×4, first 2 shown]
	v_fmac_f32_e32 v96, v63, v8
	s_wait_dscnt 0x7
	v_perm_b32 v206, v14, v13, 0x6040503
	s_wait_dscnt 0x6
	v_perm_b32 v9, v180, v35, 0x6050401
	v_perm_b32 v207, v37, v14, 0x7060403
	s_wait_dscnt 0x5
	v_perm_b32 v210, v11, v10, 0x6040503
	s_wait_dscnt 0x3
	;; [unrolled: 2-line block ×3, first 2 shown]
	v_perm_b32 v4, v59, v237, 0x6040501
	v_perm_b32 v8, v60, v235, 0x6040503
	;; [unrolled: 1-line block ×3, first 2 shown]
	s_wait_dscnt 0x1
	v_perm_b32 v5, v193, v49, 0x6040501
	s_wait_dscnt 0x0
	v_perm_b32 v223, v49, v62, 0x7060403
	v_dot4_i32_iu8 v4, v7, v4, 0 neg_lo:[1,1,0]
	v_perm_b32 v7, v236, v59, 0x6040503
	v_perm_b32 v212, v35, v11, 0x7060403
	v_bfe_i32 v208, v6, 8, 8
	v_bfe_i32 v213, v6, 0, 8
	;; [unrolled: 1-line block ×3, first 2 shown]
	v_dot4_i32_iu8 v4, v8, v7, v4 neg_lo:[1,1,0]
	v_perm_b32 v8, v62, v193, 0x6040503
	v_ashrrev_i32_e32 v216, 24, v6
	s_delay_alu instid0(VALU_DEP_3) | instskip(NEXT) | instid1(VALU_DEP_1)
	v_dot4_i32_iu8 v4, v41, v222, v4 neg_lo:[1,1,0]
	v_dot4_i32_iu8 v7, v238, v48, v4 neg_lo:[1,1,0]
	v_perm_b32 v4, v61, v195, 0x6040501
	s_delay_alu instid0(VALU_DEP_1) | instskip(SKIP_1) | instid1(VALU_DEP_1)
	v_dot4_i32_iu8 v4, v5, v4, 0 neg_lo:[1,1,0]
	v_perm_b32 v5, v194, v61, 0x6040503
	v_dot4_i32_iu8 v4, v8, v5, v4 neg_lo:[1,1,0]
	v_perm_b32 v5, v231, v37, 0x6050401
	s_delay_alu instid0(VALU_DEP_2) | instskip(NEXT) | instid1(VALU_DEP_1)
	v_dot4_i32_iu8 v4, v67, v223, v4 neg_lo:[1,1,0]
	v_dot4_i32_iu8 v8, v196, v50, v4 neg_lo:[1,1,0]
	v_perm_b32 v4, v13, v233, 0x6050401
	s_delay_alu instid0(VALU_DEP_1) | instskip(SKIP_1) | instid1(VALU_DEP_2)
	v_dot4_i32_iu8 v4, v5, v4, 0 neg_lo:[1,1,0]
	v_perm_b32 v5, v10, v182, 0x6050401
	v_dot4_i32_iu8 v4, v68, v206, v4 neg_lo:[1,1,0]
	s_delay_alu instid0(VALU_DEP_2) | instskip(NEXT) | instid1(VALU_DEP_2)
	v_dot4_i32_iu8 v5, v9, v5, 0 neg_lo:[1,1,0]
	v_dot4_i32_iu8 v4, v69, v207, v4 neg_lo:[1,1,0]
	s_delay_alu instid0(VALU_DEP_2) | instskip(NEXT) | instid1(VALU_DEP_2)
	v_dot4_i32_iu8 v5, v124, v210, v5 neg_lo:[1,1,0]
	;; [unrolled: 3-line block ×3, first 2 shown]
	v_mul_lo_u32 v4, v4, v208
	s_delay_alu instid0(VALU_DEP_2) | instskip(NEXT) | instid1(VALU_DEP_1)
	v_dot4_i32_iu8 v5, v36, v183, v5 neg_lo:[1,1,0]
	v_mad_co_u64_u32 v[4:5], null, v5, v213, v[4:5]
	s_delay_alu instid0(VALU_DEP_1) | instskip(NEXT) | instid1(VALU_DEP_1)
	v_cvt_f32_i32_e32 v4, v4
	v_fma_f32 v9, v239, v4, 0
	v_mul_lo_u32 v4, v8, v214
	s_delay_alu instid0(VALU_DEP_1) | instskip(SKIP_1) | instid1(VALU_DEP_2)
	v_mad_co_u64_u32 v[4:5], null, v7, v216, v[4:5]
	v_add_nc_u32_e32 v5, s16, v169
	v_cvt_f32_i32_e32 v4, v4
	s_delay_alu instid0(VALU_DEP_1) | instskip(SKIP_1) | instid1(VALU_DEP_2)
	v_fmac_f32_e32 v9, v240, v4
	v_add3_u32 v4, s13, v191, v168
	v_fmac_f32_e32 v126, v64, v9
	ds_load_2addr_b32 v[33:34], v5 offset0:6 offset1:7
	ds_load_2addr_b32 v[11:12], v5 offset0:4 offset1:5
	;; [unrolled: 1-line block ×3, first 2 shown]
	ds_load_2addr_b32 v[8:9], v5 offset1:1
	ds_load_b32 v6, v4
	ds_load_2addr_b32 v[43:44], v5 offset0:14 offset1:15
	ds_load_2addr_b32 v[55:56], v5 offset0:12 offset1:13
	;; [unrolled: 1-line block ×4, first 2 shown]
	s_wait_dscnt 0x7
	v_perm_b32 v198, v12, v11, 0x6040503
	v_perm_b32 v199, v33, v12, 0x7060403
	s_wait_dscnt 0x6
	v_perm_b32 v12, v180, v31, 0x6050401
	s_wait_dscnt 0x5
	;; [unrolled: 2-line block ×4, first 2 shown]
	v_perm_b32 v4, v55, v237, 0x6040501
	v_perm_b32 v14, v56, v235, 0x6040503
	;; [unrolled: 1-line block ×3, first 2 shown]
	s_wait_dscnt 0x1
	v_perm_b32 v5, v193, v45, 0x6040501
	s_wait_dscnt 0x0
	v_perm_b32 v218, v45, v58, 0x7060403
	v_dot4_i32_iu8 v4, v7, v4, 0 neg_lo:[1,1,0]
	v_perm_b32 v7, v236, v55, 0x6040503
	v_perm_b32 v202, v31, v9, 0x7060403
	v_bfe_i32 v200, v6, 8, 8
	v_bfe_i32 v203, v6, 0, 8
	;; [unrolled: 1-line block ×3, first 2 shown]
	v_dot4_i32_iu8 v4, v14, v7, v4 neg_lo:[1,1,0]
	v_perm_b32 v14, v58, v193, 0x6040503
	v_ashrrev_i32_e32 v205, 24, v6
	v_perm_b32 v43, v55, v43, 0x6040501
	v_perm_b32 v45, v57, v45, 0x6040501
	v_dot4_i32_iu8 v4, v41, v217, v4 neg_lo:[1,1,0]
	v_perm_b32 v31, v8, v31, 0x6050401
	s_delay_alu instid0(VALU_DEP_2) | instskip(SKIP_1) | instid1(VALU_DEP_1)
	v_dot4_i32_iu8 v7, v238, v44, v4 neg_lo:[1,1,0]
	v_perm_b32 v4, v57, v195, 0x6040501
	v_dot4_i32_iu8 v4, v5, v4, 0 neg_lo:[1,1,0]
	v_perm_b32 v5, v194, v57, 0x6040503
	s_delay_alu instid0(VALU_DEP_1) | instskip(SKIP_2) | instid1(VALU_DEP_3)
	v_dot4_i32_iu8 v4, v14, v5, v4 neg_lo:[1,1,0]
	v_perm_b32 v5, v231, v33, 0x6050401
	v_perm_b32 v33, v11, v33, 0x6050401
	v_dot4_i32_iu8 v4, v67, v218, v4 neg_lo:[1,1,0]
	s_delay_alu instid0(VALU_DEP_1) | instskip(SKIP_1) | instid1(VALU_DEP_1)
	v_dot4_i32_iu8 v14, v196, v46, v4 neg_lo:[1,1,0]
	v_perm_b32 v4, v11, v233, 0x6050401
	v_dot4_i32_iu8 v4, v5, v4, 0 neg_lo:[1,1,0]
	v_perm_b32 v5, v8, v182, 0x6050401
	s_delay_alu instid0(VALU_DEP_2) | instskip(NEXT) | instid1(VALU_DEP_2)
	v_dot4_i32_iu8 v4, v68, v198, v4 neg_lo:[1,1,0]
	v_dot4_i32_iu8 v5, v12, v5, 0 neg_lo:[1,1,0]
	v_add_nc_u32_e32 v12, s16, v171
	s_delay_alu instid0(VALU_DEP_3) | instskip(NEXT) | instid1(VALU_DEP_3)
	v_dot4_i32_iu8 v4, v69, v199, v4 neg_lo:[1,1,0]
	v_dot4_i32_iu8 v5, v124, v201, v5 neg_lo:[1,1,0]
	s_delay_alu instid0(VALU_DEP_2) | instskip(NEXT) | instid1(VALU_DEP_2)
	v_dot4_i32_iu8 v4, v34, v234, v4 neg_lo:[1,1,0]
	v_dot4_i32_iu8 v5, v181, v202, v5 neg_lo:[1,1,0]
	s_delay_alu instid0(VALU_DEP_2) | instskip(NEXT) | instid1(VALU_DEP_2)
	v_mul_lo_u32 v4, v4, v200
	v_dot4_i32_iu8 v5, v32, v183, v5 neg_lo:[1,1,0]
	s_delay_alu instid0(VALU_DEP_1) | instskip(NEXT) | instid1(VALU_DEP_1)
	v_mad_co_u64_u32 v[4:5], null, v5, v203, v[4:5]
	v_cvt_f32_i32_e32 v4, v4
	s_delay_alu instid0(VALU_DEP_1) | instskip(SKIP_1) | instid1(VALU_DEP_1)
	v_fma_f32 v9, v239, v4, 0
	v_mul_lo_u32 v4, v14, v204
	v_mad_co_u64_u32 v[4:5], null, v7, v205, v[4:5]
	s_delay_alu instid0(VALU_DEP_1) | instskip(NEXT) | instid1(VALU_DEP_1)
	v_cvt_f32_i32_e32 v4, v4
	v_fmac_f32_e32 v9, v240, v4
	s_delay_alu instid0(VALU_DEP_1)
	v_fmac_f32_e32 v117, v65, v9
	v_add3_u32 v9, s13, v192, v170
	ds_load_2addr_b32 v[29:30], v12 offset0:6 offset1:7
	ds_load_2addr_b32 v[6:7], v12 offset0:4 offset1:5
	;; [unrolled: 1-line block ×3, first 2 shown]
	ds_load_2addr_b32 v[4:5], v12 offset1:1
	ds_load_b32 v9, v9
	ds_load_2addr_b32 v[39:40], v12 offset0:14 offset1:15
	ds_load_2addr_b32 v[14:15], v12 offset0:12 offset1:13
	s_wait_dscnt 0x5
	v_perm_b32 v197, v7, v6, 0x6040503
	s_wait_dscnt 0x1
	v_perm_b32 v53, v235, v39, 0x6040501
	;; [unrolled: 2-line block ×3, first 2 shown]
	v_perm_b32 v54, v15, v235, 0x6040503
	v_perm_b32 v209, v39, v15, 0x7060403
	;; [unrolled: 1-line block ×4, first 2 shown]
	v_dot4_i32_iu8 v42, v53, v42, 0 neg_lo:[1,1,0]
	v_perm_b32 v53, v236, v14, 0x6040503
	v_perm_b32 v236, v230, v52, 0x5040201
	;; [unrolled: 1-line block ×4, first 2 shown]
	s_delay_alu instid0(VALU_DEP_4) | instskip(NEXT) | instid1(VALU_DEP_1)
	v_dot4_i32_iu8 v42, v54, v53, v42 neg_lo:[1,1,0]
	v_dot4_i32_iu8 v41, v41, v209, v42 neg_lo:[1,1,0]
	s_delay_alu instid0(VALU_DEP_1)
	v_dot4_i32_iu8 v232, v238, v40, v41 neg_lo:[1,1,0]
	ds_load_2addr_b32 v[41:42], v12 offset0:10 offset1:11
	ds_load_2addr_b32 v[53:54], v12 offset0:8 offset1:9
	v_perm_b32 v238, v1, v0, 0x6050402
	s_wait_dscnt 0x0
	v_perm_b32 v12, v53, v195, 0x6040501
	v_perm_b32 v195, v193, v41, 0x6040501
	;; [unrolled: 1-line block ×5, first 2 shown]
	s_delay_alu instid0(VALU_DEP_4) | instskip(SKIP_1) | instid1(VALU_DEP_2)
	v_dot4_i32_iu8 v12, v195, v12, 0 neg_lo:[1,1,0]
	v_bfe_i32 v195, v9, 8, 8
	v_dot4_i32_iu8 v12, v193, v194, v12 neg_lo:[1,1,0]
	v_perm_b32 v193, v231, v29, 0x6050401
	v_perm_b32 v194, v5, v4, 0x6040503
	s_delay_alu instid0(VALU_DEP_3)
	v_dot4_i32_iu8 v12, v67, v215, v12 neg_lo:[1,1,0]
	v_perm_b32 v67, v6, v233, 0x6050401
	v_perm_b32 v233, v59, v47, 0x6040501
	;; [unrolled: 1-line block ×4, first 2 shown]
	v_dot4_i32_iu8 v12, v196, v42, v12 neg_lo:[1,1,0]
	v_dot4_i32_iu8 v67, v193, v67, 0 neg_lo:[1,1,0]
	v_perm_b32 v196, v29, v7, 0x7060403
	v_perm_b32 v193, v19, v5, 0x7060403
	;; [unrolled: 1-line block ×4, first 2 shown]
	v_dot4_i32_iu8 v67, v68, v197, v67 neg_lo:[1,1,0]
	v_perm_b32 v68, v180, v19, 0x6050401
	v_perm_b32 v49, v10, v35, 0x6050401
	;; [unrolled: 1-line block ×4, first 2 shown]
	v_dot4_i32_iu8 v7, v69, v196, v67 neg_lo:[1,1,0]
	v_perm_b32 v67, v4, v182, 0x6050401
	v_bfe_i32 v69, v9, 0, 8
	s_delay_alu instid0(VALU_DEP_3) | instskip(NEXT) | instid1(VALU_DEP_3)
	v_dot4_i32_iu8 v7, v30, v234, v7 neg_lo:[1,1,0]
	v_dot4_i32_iu8 v67, v68, v67, 0 neg_lo:[1,1,0]
	v_perm_b32 v234, v51, v3, 0x402030c
	s_delay_alu instid0(VALU_DEP_3) | instskip(NEXT) | instid1(VALU_DEP_3)
	v_mul_lo_u32 v7, v7, v195
	v_dot4_i32_iu8 v67, v124, v194, v67 neg_lo:[1,1,0]
	s_delay_alu instid0(VALU_DEP_1) | instskip(NEXT) | instid1(VALU_DEP_1)
	v_dot4_i32_iu8 v5, v181, v193, v67 neg_lo:[1,1,0]
	v_dot4_i32_iu8 v5, v20, v183, v5 neg_lo:[1,1,0]
	s_delay_alu instid0(VALU_DEP_1) | instskip(SKIP_1) | instid1(VALU_DEP_2)
	v_mad_co_u64_u32 v[67:68], null, v5, v69, v[7:8]
	v_ashrrev_i32_e32 v68, 24, v9
	v_cvt_f32_i32_e32 v5, v67
	v_bfe_i32 v67, v9, 16, 8
	s_delay_alu instid0(VALU_DEP_2) | instskip(NEXT) | instid1(VALU_DEP_2)
	v_fma_f32 v7, v239, v5, 0
	v_mul_lo_u32 v5, v12, v67
	v_perm_b32 v239, v3, v2, 0x5040203
	s_delay_alu instid0(VALU_DEP_2) | instskip(SKIP_1) | instid1(VALU_DEP_2)
	v_mad_co_u64_u32 v[180:181], null, v232, v68, v[5:6]
	v_perm_b32 v232, v21, v26, 0x7060403
	v_cvt_f32_i32_e32 v5, v180
	s_delay_alu instid0(VALU_DEP_1) | instskip(SKIP_1) | instid1(VALU_DEP_1)
	v_fmac_f32_e32 v7, v240, v5
	v_or_b32_e32 v5, s12, v158
	v_dual_fmac_f32 v110, v66, v7 :: v_dual_lshlrev_b32 v7, 2, v5
	v_lshrrev_b32_e32 v5, 1, v5
	ds_load_b128 v[180:183], v7 offset:33280
	ds_load_b128 v[240:243], v7 offset:33296
	;; [unrolled: 1-line block ×4, first 2 shown]
	ds_load_b64 v[252:253], v5 offset:43584
	s_wait_dscnt 0x4
	v_perm_b32 v10, v180, v182, 0x6050401
	s_wait_dscnt 0x3
	v_perm_b32 v3, v241, v240, 0x6040503
	s_wait_dscnt 0x2
	v_bfe_i32 v5, v246, 8, 8
	v_bfe_i32 v7, v244, 8, 8
	;; [unrolled: 1-line block ×3, first 2 shown]
	v_ashrrev_i32_e32 v12, 24, v246
	v_perm_b32 v0, v246, v245, 0x4030200
	v_mul_i32_i24_e32 v5, v5, v225
	v_perm_b32 v1, v247, v247, 0x3020001
	v_mul_i32_i24_e32 v9, v227, v9
	v_mul_i32_i24_e32 v12, v226, v12
	s_wait_dscnt 0x1
	v_perm_b32 v231, v250, v250, 0xc0c0c01
	v_mad_i32_i24 v5, v228, v7, v5
	v_perm_b32 v7, v245, v244, 0x5030200
	v_perm_b32 v124, v248, v52, 0x6040503
	;; [unrolled: 1-line block ×3, first 2 shown]
	v_or_b32_e32 v231, v234, v231
	v_perm_b32 v28, v245, v244, 0x6040503
	v_dot4_i32_iu8 v5, v237, v7, v5 neg_lo:[1,1,0]
	v_perm_b32 v7, v25, v182, 0x6050401
	v_perm_b32 v62, v246, v245, 0x7060403
	v_dot4_i32_iu8 v124, v231, v124, 0 neg_lo:[1,1,0]
	v_perm_b32 v231, v26, v25, 0x6040503
	v_dot4_i32_iu8 v0, v238, v0, v5 neg_lo:[1,1,0]
	v_perm_b32 v5, v242, v241, 0x7060403
	v_perm_b32 v26, v244, v246, 0x6040501
	v_dot4_i32_iu8 v51, v125, v235, v124 neg_lo:[1,1,0]
	v_perm_b32 v124, v250, v249, 0x7060403
	v_add3_u32 v0, v0, v9, v12
	v_perm_b32 v9, v182, v181, 0x7060403
	v_perm_b32 v13, v240, v242, 0x6050401
	s_delay_alu instid0(VALU_DEP_4) | instskip(NEXT) | instid1(VALU_DEP_4)
	v_dot4_i32_iu8 v51, v236, v124, v51 neg_lo:[1,1,0]
	v_dot4_i32_iu8 v2, v239, v1, v0 neg_lo:[1,1,0]
	v_perm_b32 v0, v240, v23, 0x6050401
	v_perm_b32 v1, v27, v242, 0x6050401
	s_delay_alu instid0(VALU_DEP_4) | instskip(NEXT) | instid1(VALU_DEP_2)
	v_dot4_i32_iu8 v51, v224, v251, v51 neg_lo:[1,1,0]
	v_dot4_i32_iu8 v0, v1, v0, 0 neg_lo:[1,1,0]
	v_perm_b32 v1, v180, v21, 0x6050401
	s_delay_alu instid0(VALU_DEP_2) | instskip(NEXT) | instid1(VALU_DEP_2)
	v_dot4_i32_iu8 v0, v229, v3, v0 neg_lo:[1,1,0]
	v_dot4_i32_iu8 v1, v7, v1, 0 neg_lo:[1,1,0]
	v_perm_b32 v7, v181, v180, 0x6040503
	s_delay_alu instid0(VALU_DEP_3) | instskip(NEXT) | instid1(VALU_DEP_2)
	v_dot4_i32_iu8 v0, v230, v5, v0 neg_lo:[1,1,0]
	v_dot4_i32_iu8 v1, v231, v7, v1 neg_lo:[1,1,0]
	s_delay_alu instid0(VALU_DEP_2) | instskip(NEXT) | instid1(VALU_DEP_2)
	v_dot4_i32_iu8 v0, v243, v24, v0 neg_lo:[1,1,0]
	v_dot4_i32_iu8 v1, v232, v9, v1 neg_lo:[1,1,0]
	s_delay_alu instid0(VALU_DEP_2) | instskip(NEXT) | instid1(VALU_DEP_2)
	v_mul_lo_u32 v0, v0, v211
	v_dot4_i32_iu8 v1, v183, v22, v1 neg_lo:[1,1,0]
	s_delay_alu instid0(VALU_DEP_1) | instskip(NEXT) | instid1(VALU_DEP_1)
	v_mad_co_u64_u32 v[0:1], null, v1, v219, v[0:1]
	v_cvt_f32_i32_e32 v0, v0
	s_wait_dscnt 0x0
	s_delay_alu instid0(VALU_DEP_1) | instskip(SKIP_1) | instid1(VALU_DEP_1)
	v_fma_f32 v12, v252, v0, 0
	v_mul_lo_u32 v0, v51, v221
	v_mad_co_u64_u32 v[0:1], null, v2, v220, v[0:1]
	v_perm_b32 v2, v248, v250, 0x6040501
	v_dot4_i32_iu8 v1, v10, v49, 0 neg_lo:[1,1,0]
	s_delay_alu instid0(VALU_DEP_3) | instskip(NEXT) | instid1(VALU_DEP_2)
	v_cvt_f32_i32_e32 v0, v0
	v_dot4_i32_iu8 v1, v7, v210, v1 neg_lo:[1,1,0]
	s_delay_alu instid0(VALU_DEP_2) | instskip(SKIP_1) | instid1(VALU_DEP_3)
	v_fmac_f32_e32 v12, v253, v0
	v_dot4_i32_iu8 v0, v2, v233, 0 neg_lo:[1,1,0]
	v_dot4_i32_iu8 v1, v9, v212, v1 neg_lo:[1,1,0]
	s_delay_alu instid0(VALU_DEP_3) | instskip(NEXT) | instid1(VALU_DEP_3)
	v_fmac_f32_e32 v104, v63, v12
	v_dot4_i32_iu8 v0, v125, v59, v0 neg_lo:[1,1,0]
	s_delay_alu instid0(VALU_DEP_3) | instskip(NEXT) | instid1(VALU_DEP_2)
	v_dot4_i32_iu8 v1, v183, v36, v1 neg_lo:[1,1,0]
	v_dot4_i32_iu8 v0, v124, v222, v0 neg_lo:[1,1,0]
	s_delay_alu instid0(VALU_DEP_1) | instskip(SKIP_1) | instid1(VALU_DEP_1)
	v_dot4_i32_iu8 v12, v251, v48, v0 neg_lo:[1,1,0]
	v_dot4_i32_iu8 v0, v26, v60, 0 neg_lo:[1,1,0]
	;; [unrolled: 1-line block ×3, first 2 shown]
	s_delay_alu instid0(VALU_DEP_1) | instskip(NEXT) | instid1(VALU_DEP_1)
	v_dot4_i32_iu8 v0, v62, v223, v0 neg_lo:[1,1,0]
	v_dot4_i32_iu8 v51, v247, v50, v0 neg_lo:[1,1,0]
	;; [unrolled: 1-line block ×3, first 2 shown]
	s_delay_alu instid0(VALU_DEP_1) | instskip(NEXT) | instid1(VALU_DEP_1)
	v_dot4_i32_iu8 v0, v3, v206, v0 neg_lo:[1,1,0]
	v_dot4_i32_iu8 v0, v5, v207, v0 neg_lo:[1,1,0]
	s_delay_alu instid0(VALU_DEP_1) | instskip(NEXT) | instid1(VALU_DEP_1)
	v_dot4_i32_iu8 v0, v243, v38, v0 neg_lo:[1,1,0]
	v_mul_lo_u32 v0, v0, v208
	s_delay_alu instid0(VALU_DEP_1) | instskip(NEXT) | instid1(VALU_DEP_1)
	v_mad_co_u64_u32 v[0:1], null, v1, v213, v[0:1]
	v_cvt_f32_i32_e32 v0, v0
	s_delay_alu instid0(VALU_DEP_1) | instskip(SKIP_1) | instid1(VALU_DEP_1)
	v_fma_f32 v35, v252, v0, 0
	v_mul_lo_u32 v0, v12, v216
	v_mad_co_u64_u32 v[0:1], null, v51, v214, v[0:1]
	v_perm_b32 v51, v56, v55, 0x6040503
	v_perm_b32 v55, v58, v57, 0x6040503
	v_dot4_i32_iu8 v1, v10, v31, 0 neg_lo:[1,1,0]
	s_delay_alu instid0(VALU_DEP_4) | instskip(NEXT) | instid1(VALU_DEP_2)
	v_cvt_f32_i32_e32 v0, v0
	v_dot4_i32_iu8 v1, v7, v201, v1 neg_lo:[1,1,0]
	s_delay_alu instid0(VALU_DEP_2) | instskip(SKIP_1) | instid1(VALU_DEP_3)
	v_fmac_f32_e32 v35, v253, v0
	v_dot4_i32_iu8 v0, v2, v43, 0 neg_lo:[1,1,0]
	v_dot4_i32_iu8 v1, v9, v202, v1 neg_lo:[1,1,0]
	s_delay_alu instid0(VALU_DEP_3) | instskip(NEXT) | instid1(VALU_DEP_3)
	v_fmac_f32_e32 v103, v64, v35
	v_dot4_i32_iu8 v0, v125, v51, v0 neg_lo:[1,1,0]
	s_delay_alu instid0(VALU_DEP_3) | instskip(NEXT) | instid1(VALU_DEP_2)
	v_dot4_i32_iu8 v1, v183, v32, v1 neg_lo:[1,1,0]
	v_dot4_i32_iu8 v0, v124, v217, v0 neg_lo:[1,1,0]
	s_delay_alu instid0(VALU_DEP_1) | instskip(SKIP_1) | instid1(VALU_DEP_1)
	v_dot4_i32_iu8 v12, v251, v44, v0 neg_lo:[1,1,0]
	v_dot4_i32_iu8 v0, v26, v45, 0 neg_lo:[1,1,0]
	;; [unrolled: 1-line block ×3, first 2 shown]
	s_delay_alu instid0(VALU_DEP_1) | instskip(NEXT) | instid1(VALU_DEP_1)
	v_dot4_i32_iu8 v0, v62, v218, v0 neg_lo:[1,1,0]
	v_dot4_i32_iu8 v35, v247, v46, v0 neg_lo:[1,1,0]
	;; [unrolled: 1-line block ×3, first 2 shown]
	s_delay_alu instid0(VALU_DEP_1) | instskip(NEXT) | instid1(VALU_DEP_1)
	v_dot4_i32_iu8 v0, v3, v198, v0 neg_lo:[1,1,0]
	v_dot4_i32_iu8 v0, v5, v199, v0 neg_lo:[1,1,0]
	s_delay_alu instid0(VALU_DEP_1) | instskip(NEXT) | instid1(VALU_DEP_1)
	v_dot4_i32_iu8 v0, v243, v34, v0 neg_lo:[1,1,0]
	v_mul_lo_u32 v0, v0, v200
	s_delay_alu instid0(VALU_DEP_1) | instskip(NEXT) | instid1(VALU_DEP_1)
	v_mad_co_u64_u32 v[0:1], null, v1, v203, v[0:1]
	v_cvt_f32_i32_e32 v0, v0
	s_delay_alu instid0(VALU_DEP_1) | instskip(SKIP_1) | instid1(VALU_DEP_1)
	v_fma_f32 v8, v252, v0, 0
	v_mul_lo_u32 v0, v12, v205
	v_mad_co_u64_u32 v[0:1], null, v35, v204, v[0:1]
	v_perm_b32 v35, v14, v39, 0x6040501
	v_perm_b32 v39, v53, v41, 0x6040501
	;; [unrolled: 1-line block ×3, first 2 shown]
	v_dot4_i32_iu8 v1, v10, v19, 0 neg_lo:[1,1,0]
	v_cvt_f32_i32_e32 v0, v0
	s_delay_alu instid0(VALU_DEP_2) | instskip(NEXT) | instid1(VALU_DEP_2)
	v_dot4_i32_iu8 v1, v7, v194, v1 neg_lo:[1,1,0]
	v_fmac_f32_e32 v8, v253, v0
	v_dot4_i32_iu8 v0, v2, v35, 0 neg_lo:[1,1,0]
	s_delay_alu instid0(VALU_DEP_3) | instskip(NEXT) | instid1(VALU_DEP_3)
	v_dot4_i32_iu8 v1, v9, v193, v1 neg_lo:[1,1,0]
	v_fmac_f32_e32 v101, v65, v8
	s_delay_alu instid0(VALU_DEP_3) | instskip(NEXT) | instid1(VALU_DEP_3)
	v_dot4_i32_iu8 v0, v125, v37, v0 neg_lo:[1,1,0]
	v_dot4_i32_iu8 v1, v183, v20, v1 neg_lo:[1,1,0]
	s_delay_alu instid0(VALU_DEP_2) | instskip(NEXT) | instid1(VALU_DEP_1)
	v_dot4_i32_iu8 v0, v124, v209, v0 neg_lo:[1,1,0]
	v_dot4_i32_iu8 v2, v251, v40, v0 neg_lo:[1,1,0]
	;; [unrolled: 1-line block ×3, first 2 shown]
	v_perm_b32 v26, v6, v29, 0x6050401
	s_delay_alu instid0(VALU_DEP_2) | instskip(NEXT) | instid1(VALU_DEP_1)
	v_dot4_i32_iu8 v0, v28, v41, v0 neg_lo:[1,1,0]
	v_dot4_i32_iu8 v0, v62, v215, v0 neg_lo:[1,1,0]
	s_delay_alu instid0(VALU_DEP_1) | instskip(NEXT) | instid1(VALU_DEP_4)
	v_dot4_i32_iu8 v8, v247, v42, v0 neg_lo:[1,1,0]
	v_dot4_i32_iu8 v0, v13, v26, 0 neg_lo:[1,1,0]
	s_delay_alu instid0(VALU_DEP_1) | instskip(NEXT) | instid1(VALU_DEP_1)
	v_dot4_i32_iu8 v0, v3, v197, v0 neg_lo:[1,1,0]
	v_dot4_i32_iu8 v0, v5, v196, v0 neg_lo:[1,1,0]
	s_delay_alu instid0(VALU_DEP_1) | instskip(NEXT) | instid1(VALU_DEP_1)
	v_dot4_i32_iu8 v0, v243, v30, v0 neg_lo:[1,1,0]
	v_mul_lo_u32 v0, v0, v195
	s_delay_alu instid0(VALU_DEP_1) | instskip(NEXT) | instid1(VALU_DEP_1)
	v_mad_co_u64_u32 v[0:1], null, v1, v69, v[0:1]
	v_cvt_f32_i32_e32 v0, v0
	s_delay_alu instid0(VALU_DEP_1) | instskip(SKIP_1) | instid1(VALU_DEP_1)
	v_fma_f32 v3, v252, v0, 0
	v_mul_lo_u32 v0, v2, v68
	v_mad_co_u64_u32 v[0:1], null, v8, v67, v[0:1]
	s_delay_alu instid0(VALU_DEP_1) | instskip(NEXT) | instid1(VALU_DEP_1)
	v_cvt_f32_i32_e32 v0, v0
	v_fmac_f32_e32 v3, v253, v0
	v_or_b32_e32 v0, s12, v159
	s_delay_alu instid0(VALU_DEP_1)
	v_dual_fmac_f32 v99, v66, v3 :: v_dual_lshlrev_b32 v12, 2, v0
	v_lshrrev_b32_e32 v28, 1, v0
	ds_load_b128 v[0:3], v12 offset:33280
	ds_load_b128 v[4:7], v12 offset:33296
	;; [unrolled: 1-line block ×4, first 2 shown]
	ds_load_b64 v[28:29], v28 offset:43584
	s_wait_dscnt 0x4
	v_perm_b32 v125, v1, v0, 0x6040503
	s_wait_dscnt 0x3
	v_perm_b32 v124, v6, v5, 0x7060403
	s_wait_dscnt 0x2
	v_bfe_i32 v53, v10, 8, 8
	v_bfe_i32 v54, v8, 8, 8
	;; [unrolled: 1-line block ×3, first 2 shown]
	v_ashrrev_i32_e32 v57, 24, v10
	s_wait_dscnt 0x1
	v_perm_b32 v62, v14, v14, 0xc0c0c01
	v_mul_i32_i24_e32 v53, v53, v225
	v_perm_b32 v180, v2, v1, 0x7060403
	v_mul_i32_i24_e32 v56, v227, v56
	v_mul_i32_i24_e32 v57, v226, v57
	v_perm_b32 v58, v12, v52, 0x6040503
	v_mad_i32_i24 v53, v228, v54, v53
	v_perm_b32 v54, v9, v8, 0x5030200
	v_or_b32_e32 v62, v234, v62
	s_delay_alu instid0(VALU_DEP_2) | instskip(SKIP_1) | instid1(VALU_DEP_3)
	v_dot4_i32_iu8 v53, v237, v54, v53 neg_lo:[1,1,0]
	v_perm_b32 v54, v10, v9, 0x4030200
	v_dot4_i32_iu8 v58, v62, v58, 0 neg_lo:[1,1,0]
	v_perm_b32 v62, v13, v12, 0x6040503
	v_perm_b32 v13, v14, v13, 0x7060403
	s_delay_alu instid0(VALU_DEP_4) | instskip(SKIP_1) | instid1(VALU_DEP_4)
	v_dot4_i32_iu8 v53, v238, v54, v53 neg_lo:[1,1,0]
	v_perm_b32 v54, v11, v11, 0x3020001
	v_dot4_i32_iu8 v58, v62, v235, v58 neg_lo:[1,1,0]
	s_delay_alu instid0(VALU_DEP_3) | instskip(SKIP_1) | instid1(VALU_DEP_3)
	v_add3_u32 v53, v53, v56, v57
	v_perm_b32 v57, v5, v4, 0x6040503
	v_dot4_i32_iu8 v58, v236, v13, v58 neg_lo:[1,1,0]
	s_delay_alu instid0(VALU_DEP_3) | instskip(SKIP_2) | instid1(VALU_DEP_4)
	v_dot4_i32_iu8 v56, v239, v54, v53 neg_lo:[1,1,0]
	v_perm_b32 v53, v4, v23, 0x6050401
	v_perm_b32 v54, v27, v6, 0x6050401
	v_dot4_i32_iu8 v58, v224, v15, v58 neg_lo:[1,1,0]
	v_perm_b32 v4, v4, v6, 0x6050401
	s_delay_alu instid0(VALU_DEP_3) | instskip(SKIP_1) | instid1(VALU_DEP_2)
	v_dot4_i32_iu8 v53, v54, v53, 0 neg_lo:[1,1,0]
	v_perm_b32 v54, v25, v2, 0x6050401
	v_dot4_i32_iu8 v53, v229, v57, v53 neg_lo:[1,1,0]
	s_delay_alu instid0(VALU_DEP_1) | instskip(SKIP_1) | instid1(VALU_DEP_2)
	v_dot4_i32_iu8 v5, v230, v124, v53 neg_lo:[1,1,0]
	v_perm_b32 v53, v0, v21, 0x6050401
	v_dot4_i32_iu8 v5, v7, v24, v5 neg_lo:[1,1,0]
	s_delay_alu instid0(VALU_DEP_2) | instskip(NEXT) | instid1(VALU_DEP_2)
	v_dot4_i32_iu8 v53, v54, v53, 0 neg_lo:[1,1,0]
	v_mul_lo_u32 v5, v5, v211
	s_delay_alu instid0(VALU_DEP_2) | instskip(NEXT) | instid1(VALU_DEP_1)
	v_dot4_i32_iu8 v53, v231, v125, v53 neg_lo:[1,1,0]
	v_dot4_i32_iu8 v1, v232, v180, v53 neg_lo:[1,1,0]
	s_delay_alu instid0(VALU_DEP_1) | instskip(NEXT) | instid1(VALU_DEP_1)
	v_dot4_i32_iu8 v1, v3, v22, v1 neg_lo:[1,1,0]
	v_mad_co_u64_u32 v[53:54], null, v1, v219, v[5:6]
	s_delay_alu instid0(VALU_DEP_1) | instskip(SKIP_1) | instid1(VALU_DEP_1)
	v_cvt_f32_i32_e32 v1, v53
	s_wait_dscnt 0x0
	v_fma_f32 v5, v28, v1, 0
	v_mul_lo_u32 v1, v58, v221
	s_delay_alu instid0(VALU_DEP_1) | instskip(SKIP_1) | instid1(VALU_DEP_1)
	v_mad_co_u64_u32 v[53:54], null, v56, v220, v[1:2]
	v_perm_b32 v2, v0, v2, 0x6050401
	v_dot4_i32_iu8 v0, v2, v49, 0 neg_lo:[1,1,0]
	s_delay_alu instid0(VALU_DEP_3) | instskip(NEXT) | instid1(VALU_DEP_2)
	v_cvt_f32_i32_e32 v1, v53
	v_dot4_i32_iu8 v0, v125, v210, v0 neg_lo:[1,1,0]
	s_delay_alu instid0(VALU_DEP_2) | instskip(NEXT) | instid1(VALU_DEP_2)
	v_fmac_f32_e32 v5, v29, v1
	v_dot4_i32_iu8 v0, v180, v212, v0 neg_lo:[1,1,0]
	s_delay_alu instid0(VALU_DEP_2)
	v_fmac_f32_e32 v97, v63, v5
	v_perm_b32 v5, v12, v14, 0x6040501
	v_perm_b32 v14, v8, v10, 0x6040501
	;; [unrolled: 1-line block ×4, first 2 shown]
	v_dot4_i32_iu8 v0, v3, v36, v0 neg_lo:[1,1,0]
	v_dot4_i32_iu8 v1, v5, v233, 0 neg_lo:[1,1,0]
	s_delay_alu instid0(VALU_DEP_1) | instskip(NEXT) | instid1(VALU_DEP_1)
	v_dot4_i32_iu8 v1, v62, v59, v1 neg_lo:[1,1,0]
	v_dot4_i32_iu8 v1, v13, v222, v1 neg_lo:[1,1,0]
	s_delay_alu instid0(VALU_DEP_1) | instskip(SKIP_1) | instid1(VALU_DEP_1)
	v_dot4_i32_iu8 v12, v15, v48, v1 neg_lo:[1,1,0]
	v_dot4_i32_iu8 v1, v14, v60, 0 neg_lo:[1,1,0]
	;; [unrolled: 1-line block ×3, first 2 shown]
	s_delay_alu instid0(VALU_DEP_1) | instskip(NEXT) | instid1(VALU_DEP_1)
	v_dot4_i32_iu8 v1, v9, v223, v1 neg_lo:[1,1,0]
	v_dot4_i32_iu8 v10, v11, v50, v1 neg_lo:[1,1,0]
	;; [unrolled: 1-line block ×3, first 2 shown]
	s_delay_alu instid0(VALU_DEP_1) | instskip(NEXT) | instid1(VALU_DEP_1)
	v_dot4_i32_iu8 v1, v57, v206, v1 neg_lo:[1,1,0]
	v_dot4_i32_iu8 v1, v124, v207, v1 neg_lo:[1,1,0]
	s_delay_alu instid0(VALU_DEP_1) | instskip(NEXT) | instid1(VALU_DEP_1)
	v_dot4_i32_iu8 v1, v7, v38, v1 neg_lo:[1,1,0]
	v_mul_lo_u32 v1, v1, v208
	s_delay_alu instid0(VALU_DEP_1) | instskip(NEXT) | instid1(VALU_DEP_1)
	v_mad_co_u64_u32 v[0:1], null, v0, v213, v[1:2]
	v_cvt_f32_i32_e32 v0, v0
	s_delay_alu instid0(VALU_DEP_1) | instskip(SKIP_1) | instid1(VALU_DEP_1)
	v_fma_f32 v6, v28, v0, 0
	v_mul_lo_u32 v0, v12, v216
	v_mad_co_u64_u32 v[0:1], null, v10, v214, v[0:1]
	v_dot4_i32_iu8 v1, v2, v31, 0 neg_lo:[1,1,0]
	s_delay_alu instid0(VALU_DEP_1) | instskip(NEXT) | instid1(VALU_DEP_3)
	v_dot4_i32_iu8 v1, v125, v201, v1 neg_lo:[1,1,0]
	v_cvt_f32_i32_e32 v0, v0
	s_delay_alu instid0(VALU_DEP_2) | instskip(NEXT) | instid1(VALU_DEP_2)
	v_dot4_i32_iu8 v1, v180, v202, v1 neg_lo:[1,1,0]
	v_fmac_f32_e32 v6, v29, v0
	v_dot4_i32_iu8 v0, v5, v43, 0 neg_lo:[1,1,0]
	s_delay_alu instid0(VALU_DEP_3) | instskip(NEXT) | instid1(VALU_DEP_3)
	v_dot4_i32_iu8 v1, v3, v32, v1 neg_lo:[1,1,0]
	v_fmac_f32_e32 v95, v64, v6
	s_delay_alu instid0(VALU_DEP_3) | instskip(NEXT) | instid1(VALU_DEP_1)
	v_dot4_i32_iu8 v0, v62, v51, v0 neg_lo:[1,1,0]
	v_dot4_i32_iu8 v0, v13, v217, v0 neg_lo:[1,1,0]
	s_delay_alu instid0(VALU_DEP_1) | instskip(SKIP_1) | instid1(VALU_DEP_1)
	v_dot4_i32_iu8 v6, v15, v44, v0 neg_lo:[1,1,0]
	v_dot4_i32_iu8 v0, v14, v45, 0 neg_lo:[1,1,0]
	;; [unrolled: 1-line block ×3, first 2 shown]
	s_delay_alu instid0(VALU_DEP_1) | instskip(NEXT) | instid1(VALU_DEP_1)
	v_dot4_i32_iu8 v0, v9, v218, v0 neg_lo:[1,1,0]
	v_dot4_i32_iu8 v10, v11, v46, v0 neg_lo:[1,1,0]
	;; [unrolled: 1-line block ×3, first 2 shown]
	s_delay_alu instid0(VALU_DEP_1) | instskip(NEXT) | instid1(VALU_DEP_1)
	v_dot4_i32_iu8 v0, v57, v198, v0 neg_lo:[1,1,0]
	v_dot4_i32_iu8 v0, v124, v199, v0 neg_lo:[1,1,0]
	s_delay_alu instid0(VALU_DEP_1) | instskip(NEXT) | instid1(VALU_DEP_1)
	v_dot4_i32_iu8 v0, v7, v34, v0 neg_lo:[1,1,0]
	v_mul_lo_u32 v0, v0, v200
	s_delay_alu instid0(VALU_DEP_1) | instskip(NEXT) | instid1(VALU_DEP_1)
	v_mad_co_u64_u32 v[0:1], null, v1, v203, v[0:1]
	v_cvt_f32_i32_e32 v0, v0
	s_delay_alu instid0(VALU_DEP_1) | instskip(SKIP_1) | instid1(VALU_DEP_1)
	v_fma_f32 v12, v28, v0, 0
	v_mul_lo_u32 v0, v6, v205
	v_mad_co_u64_u32 v[0:1], null, v10, v204, v[0:1]
	v_dot4_i32_iu8 v1, v2, v19, 0 neg_lo:[1,1,0]
	s_delay_alu instid0(VALU_DEP_1) | instskip(NEXT) | instid1(VALU_DEP_3)
	v_dot4_i32_iu8 v1, v125, v194, v1 neg_lo:[1,1,0]
	v_cvt_f32_i32_e32 v0, v0
	s_delay_alu instid0(VALU_DEP_2) | instskip(NEXT) | instid1(VALU_DEP_2)
	v_dot4_i32_iu8 v1, v180, v193, v1 neg_lo:[1,1,0]
	v_fmac_f32_e32 v12, v29, v0
	v_dot4_i32_iu8 v0, v5, v35, 0 neg_lo:[1,1,0]
	s_delay_alu instid0(VALU_DEP_3) | instskip(NEXT) | instid1(VALU_DEP_3)
	v_dot4_i32_iu8 v1, v3, v20, v1 neg_lo:[1,1,0]
	v_fmac_f32_e32 v94, v65, v12
	s_delay_alu instid0(VALU_DEP_3) | instskip(NEXT) | instid1(VALU_DEP_1)
	v_dot4_i32_iu8 v0, v62, v37, v0 neg_lo:[1,1,0]
	v_dot4_i32_iu8 v0, v13, v209, v0 neg_lo:[1,1,0]
	s_delay_alu instid0(VALU_DEP_1) | instskip(SKIP_1) | instid1(VALU_DEP_1)
	v_dot4_i32_iu8 v5, v15, v40, v0 neg_lo:[1,1,0]
	v_dot4_i32_iu8 v0, v14, v39, 0 neg_lo:[1,1,0]
	;; [unrolled: 1-line block ×3, first 2 shown]
	s_delay_alu instid0(VALU_DEP_1) | instskip(NEXT) | instid1(VALU_DEP_1)
	v_dot4_i32_iu8 v0, v9, v215, v0 neg_lo:[1,1,0]
	v_dot4_i32_iu8 v6, v11, v42, v0 neg_lo:[1,1,0]
	;; [unrolled: 1-line block ×3, first 2 shown]
	s_delay_alu instid0(VALU_DEP_1) | instskip(NEXT) | instid1(VALU_DEP_1)
	v_dot4_i32_iu8 v0, v57, v197, v0 neg_lo:[1,1,0]
	v_dot4_i32_iu8 v0, v124, v196, v0 neg_lo:[1,1,0]
	s_delay_alu instid0(VALU_DEP_1) | instskip(NEXT) | instid1(VALU_DEP_1)
	v_dot4_i32_iu8 v0, v7, v30, v0 neg_lo:[1,1,0]
	v_mul_lo_u32 v0, v0, v195
	s_delay_alu instid0(VALU_DEP_1) | instskip(NEXT) | instid1(VALU_DEP_1)
	v_mad_co_u64_u32 v[0:1], null, v1, v69, v[0:1]
	v_cvt_f32_i32_e32 v0, v0
	s_delay_alu instid0(VALU_DEP_1) | instskip(SKIP_1) | instid1(VALU_DEP_1)
	v_fma_f32 v2, v28, v0, 0
	v_mul_lo_u32 v0, v5, v68
	v_mad_co_u64_u32 v[0:1], null, v6, v67, v[0:1]
	s_delay_alu instid0(VALU_DEP_1) | instskip(NEXT) | instid1(VALU_DEP_1)
	v_cvt_f32_i32_e32 v0, v0
	v_fmac_f32_e32 v2, v29, v0
	v_or_b32_e32 v0, s12, v160
	s_delay_alu instid0(VALU_DEP_1)
	v_dual_fmac_f32 v93, v66, v2 :: v_dual_lshlrev_b32 v12, 2, v0
	v_lshrrev_b32_e32 v28, 1, v0
	ds_load_b128 v[0:3], v12 offset:33280
	ds_load_b128 v[4:7], v12 offset:33296
	;; [unrolled: 1-line block ×4, first 2 shown]
	ds_load_b64 v[28:29], v28 offset:43584
	s_wait_dscnt 0x4
	v_perm_b32 v125, v1, v0, 0x6040503
	s_wait_dscnt 0x3
	v_perm_b32 v124, v6, v5, 0x7060403
	s_wait_dscnt 0x2
	v_bfe_i32 v53, v10, 8, 8
	v_bfe_i32 v54, v8, 8, 8
	;; [unrolled: 1-line block ×3, first 2 shown]
	v_ashrrev_i32_e32 v57, 24, v10
	s_wait_dscnt 0x1
	v_perm_b32 v62, v14, v14, 0xc0c0c01
	v_mul_i32_i24_e32 v53, v53, v225
	v_perm_b32 v180, v2, v1, 0x7060403
	v_mul_i32_i24_e32 v56, v227, v56
	v_mul_i32_i24_e32 v57, v226, v57
	v_perm_b32 v58, v12, v52, 0x6040503
	v_mad_i32_i24 v53, v228, v54, v53
	v_perm_b32 v54, v9, v8, 0x5030200
	v_or_b32_e32 v62, v234, v62
	s_delay_alu instid0(VALU_DEP_2) | instskip(SKIP_1) | instid1(VALU_DEP_3)
	v_dot4_i32_iu8 v53, v237, v54, v53 neg_lo:[1,1,0]
	v_perm_b32 v54, v10, v9, 0x4030200
	v_dot4_i32_iu8 v58, v62, v58, 0 neg_lo:[1,1,0]
	v_perm_b32 v62, v13, v12, 0x6040503
	v_perm_b32 v13, v14, v13, 0x7060403
	s_delay_alu instid0(VALU_DEP_4) | instskip(SKIP_1) | instid1(VALU_DEP_4)
	v_dot4_i32_iu8 v53, v238, v54, v53 neg_lo:[1,1,0]
	v_perm_b32 v54, v11, v11, 0x3020001
	v_dot4_i32_iu8 v58, v62, v235, v58 neg_lo:[1,1,0]
	s_delay_alu instid0(VALU_DEP_3) | instskip(SKIP_1) | instid1(VALU_DEP_3)
	v_add3_u32 v53, v53, v56, v57
	v_perm_b32 v57, v5, v4, 0x6040503
	v_dot4_i32_iu8 v58, v236, v13, v58 neg_lo:[1,1,0]
	s_delay_alu instid0(VALU_DEP_3) | instskip(SKIP_2) | instid1(VALU_DEP_4)
	v_dot4_i32_iu8 v56, v239, v54, v53 neg_lo:[1,1,0]
	v_perm_b32 v53, v4, v23, 0x6050401
	v_perm_b32 v54, v27, v6, 0x6050401
	v_dot4_i32_iu8 v58, v224, v15, v58 neg_lo:[1,1,0]
	v_perm_b32 v4, v4, v6, 0x6050401
	s_delay_alu instid0(VALU_DEP_3) | instskip(SKIP_1) | instid1(VALU_DEP_2)
	v_dot4_i32_iu8 v53, v54, v53, 0 neg_lo:[1,1,0]
	v_perm_b32 v54, v25, v2, 0x6050401
	v_dot4_i32_iu8 v53, v229, v57, v53 neg_lo:[1,1,0]
	s_delay_alu instid0(VALU_DEP_1) | instskip(SKIP_1) | instid1(VALU_DEP_2)
	v_dot4_i32_iu8 v5, v230, v124, v53 neg_lo:[1,1,0]
	v_perm_b32 v53, v0, v21, 0x6050401
	v_dot4_i32_iu8 v5, v7, v24, v5 neg_lo:[1,1,0]
	s_delay_alu instid0(VALU_DEP_2) | instskip(NEXT) | instid1(VALU_DEP_2)
	v_dot4_i32_iu8 v53, v54, v53, 0 neg_lo:[1,1,0]
	v_mul_lo_u32 v5, v5, v211
	s_delay_alu instid0(VALU_DEP_2) | instskip(NEXT) | instid1(VALU_DEP_1)
	v_dot4_i32_iu8 v53, v231, v125, v53 neg_lo:[1,1,0]
	v_dot4_i32_iu8 v1, v232, v180, v53 neg_lo:[1,1,0]
	s_delay_alu instid0(VALU_DEP_1) | instskip(NEXT) | instid1(VALU_DEP_1)
	v_dot4_i32_iu8 v1, v3, v22, v1 neg_lo:[1,1,0]
	v_mad_co_u64_u32 v[53:54], null, v1, v219, v[5:6]
	s_delay_alu instid0(VALU_DEP_1) | instskip(SKIP_1) | instid1(VALU_DEP_1)
	v_cvt_f32_i32_e32 v1, v53
	s_wait_dscnt 0x0
	v_fma_f32 v5, v28, v1, 0
	v_mul_lo_u32 v1, v58, v221
	s_delay_alu instid0(VALU_DEP_1) | instskip(SKIP_1) | instid1(VALU_DEP_1)
	v_mad_co_u64_u32 v[53:54], null, v56, v220, v[1:2]
	v_perm_b32 v2, v0, v2, 0x6050401
	v_dot4_i32_iu8 v0, v2, v49, 0 neg_lo:[1,1,0]
	s_delay_alu instid0(VALU_DEP_3) | instskip(NEXT) | instid1(VALU_DEP_2)
	v_cvt_f32_i32_e32 v1, v53
	v_dot4_i32_iu8 v0, v125, v210, v0 neg_lo:[1,1,0]
	s_delay_alu instid0(VALU_DEP_2) | instskip(NEXT) | instid1(VALU_DEP_2)
	v_fmac_f32_e32 v5, v29, v1
	v_dot4_i32_iu8 v0, v180, v212, v0 neg_lo:[1,1,0]
	s_delay_alu instid0(VALU_DEP_2)
	v_fmac_f32_e32 v92, v63, v5
	v_perm_b32 v5, v12, v14, 0x6040501
	v_perm_b32 v14, v8, v10, 0x6040501
	;; [unrolled: 1-line block ×4, first 2 shown]
	v_dot4_i32_iu8 v0, v3, v36, v0 neg_lo:[1,1,0]
	v_dot4_i32_iu8 v1, v5, v233, 0 neg_lo:[1,1,0]
	s_delay_alu instid0(VALU_DEP_1) | instskip(NEXT) | instid1(VALU_DEP_1)
	v_dot4_i32_iu8 v1, v62, v59, v1 neg_lo:[1,1,0]
	v_dot4_i32_iu8 v1, v13, v222, v1 neg_lo:[1,1,0]
	s_delay_alu instid0(VALU_DEP_1) | instskip(SKIP_1) | instid1(VALU_DEP_1)
	v_dot4_i32_iu8 v12, v15, v48, v1 neg_lo:[1,1,0]
	v_dot4_i32_iu8 v1, v14, v60, 0 neg_lo:[1,1,0]
	;; [unrolled: 1-line block ×3, first 2 shown]
	s_delay_alu instid0(VALU_DEP_1) | instskip(NEXT) | instid1(VALU_DEP_1)
	v_dot4_i32_iu8 v1, v9, v223, v1 neg_lo:[1,1,0]
	v_dot4_i32_iu8 v10, v11, v50, v1 neg_lo:[1,1,0]
	;; [unrolled: 1-line block ×3, first 2 shown]
	s_delay_alu instid0(VALU_DEP_1) | instskip(NEXT) | instid1(VALU_DEP_1)
	v_dot4_i32_iu8 v1, v57, v206, v1 neg_lo:[1,1,0]
	v_dot4_i32_iu8 v1, v124, v207, v1 neg_lo:[1,1,0]
	s_delay_alu instid0(VALU_DEP_1) | instskip(NEXT) | instid1(VALU_DEP_1)
	v_dot4_i32_iu8 v1, v7, v38, v1 neg_lo:[1,1,0]
	v_mul_lo_u32 v1, v1, v208
	s_delay_alu instid0(VALU_DEP_1) | instskip(NEXT) | instid1(VALU_DEP_1)
	v_mad_co_u64_u32 v[0:1], null, v0, v213, v[1:2]
	v_cvt_f32_i32_e32 v0, v0
	s_delay_alu instid0(VALU_DEP_1) | instskip(SKIP_1) | instid1(VALU_DEP_1)
	v_fma_f32 v6, v28, v0, 0
	v_mul_lo_u32 v0, v12, v216
	v_mad_co_u64_u32 v[0:1], null, v10, v214, v[0:1]
	v_dot4_i32_iu8 v1, v2, v31, 0 neg_lo:[1,1,0]
	s_delay_alu instid0(VALU_DEP_1) | instskip(NEXT) | instid1(VALU_DEP_3)
	v_dot4_i32_iu8 v1, v125, v201, v1 neg_lo:[1,1,0]
	v_cvt_f32_i32_e32 v0, v0
	s_delay_alu instid0(VALU_DEP_2) | instskip(NEXT) | instid1(VALU_DEP_2)
	v_dot4_i32_iu8 v1, v180, v202, v1 neg_lo:[1,1,0]
	v_fmac_f32_e32 v6, v29, v0
	v_dot4_i32_iu8 v0, v5, v43, 0 neg_lo:[1,1,0]
	s_delay_alu instid0(VALU_DEP_3) | instskip(NEXT) | instid1(VALU_DEP_3)
	v_dot4_i32_iu8 v1, v3, v32, v1 neg_lo:[1,1,0]
	v_fmac_f32_e32 v91, v64, v6
	s_delay_alu instid0(VALU_DEP_3) | instskip(NEXT) | instid1(VALU_DEP_1)
	v_dot4_i32_iu8 v0, v62, v51, v0 neg_lo:[1,1,0]
	v_dot4_i32_iu8 v0, v13, v217, v0 neg_lo:[1,1,0]
	s_delay_alu instid0(VALU_DEP_1) | instskip(SKIP_1) | instid1(VALU_DEP_1)
	v_dot4_i32_iu8 v6, v15, v44, v0 neg_lo:[1,1,0]
	v_dot4_i32_iu8 v0, v14, v45, 0 neg_lo:[1,1,0]
	v_dot4_i32_iu8 v0, v8, v55, v0 neg_lo:[1,1,0]
	s_delay_alu instid0(VALU_DEP_1) | instskip(NEXT) | instid1(VALU_DEP_1)
	v_dot4_i32_iu8 v0, v9, v218, v0 neg_lo:[1,1,0]
	v_dot4_i32_iu8 v10, v11, v46, v0 neg_lo:[1,1,0]
	;; [unrolled: 1-line block ×3, first 2 shown]
	s_delay_alu instid0(VALU_DEP_1) | instskip(NEXT) | instid1(VALU_DEP_1)
	v_dot4_i32_iu8 v0, v57, v198, v0 neg_lo:[1,1,0]
	v_dot4_i32_iu8 v0, v124, v199, v0 neg_lo:[1,1,0]
	s_delay_alu instid0(VALU_DEP_1) | instskip(NEXT) | instid1(VALU_DEP_1)
	v_dot4_i32_iu8 v0, v7, v34, v0 neg_lo:[1,1,0]
	v_mul_lo_u32 v0, v0, v200
	s_delay_alu instid0(VALU_DEP_1) | instskip(NEXT) | instid1(VALU_DEP_1)
	v_mad_co_u64_u32 v[0:1], null, v1, v203, v[0:1]
	v_cvt_f32_i32_e32 v0, v0
	s_delay_alu instid0(VALU_DEP_1) | instskip(SKIP_1) | instid1(VALU_DEP_1)
	v_fma_f32 v12, v28, v0, 0
	v_mul_lo_u32 v0, v6, v205
	v_mad_co_u64_u32 v[0:1], null, v10, v204, v[0:1]
	v_dot4_i32_iu8 v1, v2, v19, 0 neg_lo:[1,1,0]
	s_delay_alu instid0(VALU_DEP_1) | instskip(NEXT) | instid1(VALU_DEP_3)
	v_dot4_i32_iu8 v1, v125, v194, v1 neg_lo:[1,1,0]
	v_cvt_f32_i32_e32 v0, v0
	s_delay_alu instid0(VALU_DEP_2) | instskip(NEXT) | instid1(VALU_DEP_2)
	v_dot4_i32_iu8 v1, v180, v193, v1 neg_lo:[1,1,0]
	v_fmac_f32_e32 v12, v29, v0
	v_dot4_i32_iu8 v0, v5, v35, 0 neg_lo:[1,1,0]
	s_delay_alu instid0(VALU_DEP_3) | instskip(NEXT) | instid1(VALU_DEP_3)
	v_dot4_i32_iu8 v1, v3, v20, v1 neg_lo:[1,1,0]
	v_fmac_f32_e32 v90, v65, v12
	s_delay_alu instid0(VALU_DEP_3) | instskip(NEXT) | instid1(VALU_DEP_1)
	v_dot4_i32_iu8 v0, v62, v37, v0 neg_lo:[1,1,0]
	v_dot4_i32_iu8 v0, v13, v209, v0 neg_lo:[1,1,0]
	s_delay_alu instid0(VALU_DEP_1) | instskip(SKIP_1) | instid1(VALU_DEP_1)
	v_dot4_i32_iu8 v5, v15, v40, v0 neg_lo:[1,1,0]
	v_dot4_i32_iu8 v0, v14, v39, 0 neg_lo:[1,1,0]
	;; [unrolled: 1-line block ×3, first 2 shown]
	s_delay_alu instid0(VALU_DEP_1) | instskip(NEXT) | instid1(VALU_DEP_1)
	v_dot4_i32_iu8 v0, v9, v215, v0 neg_lo:[1,1,0]
	v_dot4_i32_iu8 v6, v11, v42, v0 neg_lo:[1,1,0]
	;; [unrolled: 1-line block ×3, first 2 shown]
	s_delay_alu instid0(VALU_DEP_1) | instskip(NEXT) | instid1(VALU_DEP_1)
	v_dot4_i32_iu8 v0, v57, v197, v0 neg_lo:[1,1,0]
	v_dot4_i32_iu8 v0, v124, v196, v0 neg_lo:[1,1,0]
	s_delay_alu instid0(VALU_DEP_1) | instskip(NEXT) | instid1(VALU_DEP_1)
	v_dot4_i32_iu8 v0, v7, v30, v0 neg_lo:[1,1,0]
	v_mul_lo_u32 v0, v0, v195
	s_delay_alu instid0(VALU_DEP_1) | instskip(NEXT) | instid1(VALU_DEP_1)
	v_mad_co_u64_u32 v[0:1], null, v1, v69, v[0:1]
	v_cvt_f32_i32_e32 v0, v0
	s_delay_alu instid0(VALU_DEP_1) | instskip(SKIP_1) | instid1(VALU_DEP_1)
	v_fma_f32 v2, v28, v0, 0
	v_mul_lo_u32 v0, v5, v68
	v_mad_co_u64_u32 v[0:1], null, v6, v67, v[0:1]
	s_delay_alu instid0(VALU_DEP_1) | instskip(NEXT) | instid1(VALU_DEP_1)
	v_cvt_f32_i32_e32 v0, v0
	v_fmac_f32_e32 v2, v29, v0
	v_or_b32_e32 v0, s12, v161
	s_delay_alu instid0(VALU_DEP_2) | instskip(NEXT) | instid1(VALU_DEP_2)
	v_fmac_f32_e32 v88, v66, v2
	v_lshlrev_b32_e32 v12, 2, v0
	v_lshrrev_b32_e32 v28, 1, v0
	ds_load_b128 v[0:3], v12 offset:33280
	ds_load_b128 v[4:7], v12 offset:33296
	;; [unrolled: 1-line block ×4, first 2 shown]
	ds_load_b64 v[28:29], v28 offset:43584
	s_wait_dscnt 0x4
	v_perm_b32 v125, v1, v0, 0x6040503
	s_wait_dscnt 0x3
	v_perm_b32 v124, v6, v5, 0x7060403
	s_wait_dscnt 0x2
	v_bfe_i32 v53, v10, 8, 8
	v_bfe_i32 v54, v8, 8, 8
	;; [unrolled: 1-line block ×3, first 2 shown]
	v_ashrrev_i32_e32 v57, 24, v10
	s_wait_dscnt 0x1
	v_perm_b32 v62, v14, v14, 0xc0c0c01
	v_mul_i32_i24_e32 v53, v53, v225
	v_perm_b32 v180, v2, v1, 0x7060403
	v_mul_i32_i24_e32 v56, v227, v56
	v_mul_i32_i24_e32 v57, v226, v57
	v_perm_b32 v58, v12, v52, 0x6040503
	v_mad_i32_i24 v53, v228, v54, v53
	v_perm_b32 v54, v9, v8, 0x5030200
	v_or_b32_e32 v62, v234, v62
	s_delay_alu instid0(VALU_DEP_2) | instskip(SKIP_1) | instid1(VALU_DEP_3)
	v_dot4_i32_iu8 v53, v237, v54, v53 neg_lo:[1,1,0]
	v_perm_b32 v54, v10, v9, 0x4030200
	v_dot4_i32_iu8 v58, v62, v58, 0 neg_lo:[1,1,0]
	v_perm_b32 v62, v13, v12, 0x6040503
	v_perm_b32 v13, v14, v13, 0x7060403
	s_delay_alu instid0(VALU_DEP_4) | instskip(SKIP_1) | instid1(VALU_DEP_4)
	v_dot4_i32_iu8 v53, v238, v54, v53 neg_lo:[1,1,0]
	v_perm_b32 v54, v11, v11, 0x3020001
	v_dot4_i32_iu8 v58, v62, v235, v58 neg_lo:[1,1,0]
	s_delay_alu instid0(VALU_DEP_3) | instskip(SKIP_1) | instid1(VALU_DEP_3)
	v_add3_u32 v53, v53, v56, v57
	v_perm_b32 v57, v5, v4, 0x6040503
	v_dot4_i32_iu8 v58, v236, v13, v58 neg_lo:[1,1,0]
	s_delay_alu instid0(VALU_DEP_3) | instskip(SKIP_2) | instid1(VALU_DEP_4)
	v_dot4_i32_iu8 v56, v239, v54, v53 neg_lo:[1,1,0]
	v_perm_b32 v53, v4, v23, 0x6050401
	v_perm_b32 v54, v27, v6, 0x6050401
	v_dot4_i32_iu8 v58, v224, v15, v58 neg_lo:[1,1,0]
	v_perm_b32 v4, v4, v6, 0x6050401
	s_delay_alu instid0(VALU_DEP_3) | instskip(SKIP_1) | instid1(VALU_DEP_2)
	v_dot4_i32_iu8 v53, v54, v53, 0 neg_lo:[1,1,0]
	v_perm_b32 v54, v25, v2, 0x6050401
	v_dot4_i32_iu8 v53, v229, v57, v53 neg_lo:[1,1,0]
	s_delay_alu instid0(VALU_DEP_1) | instskip(SKIP_1) | instid1(VALU_DEP_2)
	v_dot4_i32_iu8 v5, v230, v124, v53 neg_lo:[1,1,0]
	v_perm_b32 v53, v0, v21, 0x6050401
	v_dot4_i32_iu8 v5, v7, v24, v5 neg_lo:[1,1,0]
	s_delay_alu instid0(VALU_DEP_2) | instskip(NEXT) | instid1(VALU_DEP_2)
	v_dot4_i32_iu8 v53, v54, v53, 0 neg_lo:[1,1,0]
	v_mul_lo_u32 v5, v5, v211
	s_delay_alu instid0(VALU_DEP_2) | instskip(NEXT) | instid1(VALU_DEP_1)
	v_dot4_i32_iu8 v53, v231, v125, v53 neg_lo:[1,1,0]
	v_dot4_i32_iu8 v1, v232, v180, v53 neg_lo:[1,1,0]
	s_delay_alu instid0(VALU_DEP_1) | instskip(NEXT) | instid1(VALU_DEP_1)
	v_dot4_i32_iu8 v1, v3, v22, v1 neg_lo:[1,1,0]
	v_mad_co_u64_u32 v[53:54], null, v1, v219, v[5:6]
	s_delay_alu instid0(VALU_DEP_1) | instskip(SKIP_1) | instid1(VALU_DEP_1)
	v_cvt_f32_i32_e32 v1, v53
	s_wait_dscnt 0x0
	v_fma_f32 v5, v28, v1, 0
	v_mul_lo_u32 v1, v58, v221
	s_delay_alu instid0(VALU_DEP_1) | instskip(SKIP_1) | instid1(VALU_DEP_1)
	v_mad_co_u64_u32 v[53:54], null, v56, v220, v[1:2]
	v_perm_b32 v2, v0, v2, 0x6050401
	v_dot4_i32_iu8 v0, v2, v49, 0 neg_lo:[1,1,0]
	s_delay_alu instid0(VALU_DEP_3) | instskip(NEXT) | instid1(VALU_DEP_2)
	v_cvt_f32_i32_e32 v1, v53
	v_dot4_i32_iu8 v0, v125, v210, v0 neg_lo:[1,1,0]
	s_delay_alu instid0(VALU_DEP_2) | instskip(NEXT) | instid1(VALU_DEP_2)
	v_fmac_f32_e32 v5, v29, v1
	v_dot4_i32_iu8 v0, v180, v212, v0 neg_lo:[1,1,0]
	s_delay_alu instid0(VALU_DEP_2)
	v_fmac_f32_e32 v87, v63, v5
	v_perm_b32 v5, v12, v14, 0x6040501
	v_perm_b32 v14, v8, v10, 0x6040501
	;; [unrolled: 1-line block ×4, first 2 shown]
	v_dot4_i32_iu8 v0, v3, v36, v0 neg_lo:[1,1,0]
	v_dot4_i32_iu8 v1, v5, v233, 0 neg_lo:[1,1,0]
	s_delay_alu instid0(VALU_DEP_1) | instskip(NEXT) | instid1(VALU_DEP_1)
	v_dot4_i32_iu8 v1, v62, v59, v1 neg_lo:[1,1,0]
	v_dot4_i32_iu8 v1, v13, v222, v1 neg_lo:[1,1,0]
	s_delay_alu instid0(VALU_DEP_1) | instskip(SKIP_1) | instid1(VALU_DEP_1)
	v_dot4_i32_iu8 v12, v15, v48, v1 neg_lo:[1,1,0]
	v_dot4_i32_iu8 v1, v14, v60, 0 neg_lo:[1,1,0]
	;; [unrolled: 1-line block ×3, first 2 shown]
	s_delay_alu instid0(VALU_DEP_1) | instskip(NEXT) | instid1(VALU_DEP_1)
	v_dot4_i32_iu8 v1, v9, v223, v1 neg_lo:[1,1,0]
	v_dot4_i32_iu8 v10, v11, v50, v1 neg_lo:[1,1,0]
	;; [unrolled: 1-line block ×3, first 2 shown]
	s_delay_alu instid0(VALU_DEP_1) | instskip(NEXT) | instid1(VALU_DEP_1)
	v_dot4_i32_iu8 v1, v57, v206, v1 neg_lo:[1,1,0]
	v_dot4_i32_iu8 v1, v124, v207, v1 neg_lo:[1,1,0]
	s_delay_alu instid0(VALU_DEP_1) | instskip(NEXT) | instid1(VALU_DEP_1)
	v_dot4_i32_iu8 v1, v7, v38, v1 neg_lo:[1,1,0]
	v_mul_lo_u32 v1, v1, v208
	s_delay_alu instid0(VALU_DEP_1) | instskip(NEXT) | instid1(VALU_DEP_1)
	v_mad_co_u64_u32 v[0:1], null, v0, v213, v[1:2]
	v_cvt_f32_i32_e32 v0, v0
	s_delay_alu instid0(VALU_DEP_1) | instskip(SKIP_1) | instid1(VALU_DEP_1)
	v_fma_f32 v6, v28, v0, 0
	v_mul_lo_u32 v0, v12, v216
	v_mad_co_u64_u32 v[0:1], null, v10, v214, v[0:1]
	v_dot4_i32_iu8 v1, v2, v31, 0 neg_lo:[1,1,0]
	s_delay_alu instid0(VALU_DEP_1) | instskip(NEXT) | instid1(VALU_DEP_3)
	v_dot4_i32_iu8 v1, v125, v201, v1 neg_lo:[1,1,0]
	v_cvt_f32_i32_e32 v0, v0
	s_delay_alu instid0(VALU_DEP_2) | instskip(NEXT) | instid1(VALU_DEP_2)
	v_dot4_i32_iu8 v1, v180, v202, v1 neg_lo:[1,1,0]
	v_fmac_f32_e32 v6, v29, v0
	v_dot4_i32_iu8 v0, v5, v43, 0 neg_lo:[1,1,0]
	s_delay_alu instid0(VALU_DEP_3) | instskip(NEXT) | instid1(VALU_DEP_3)
	v_dot4_i32_iu8 v1, v3, v32, v1 neg_lo:[1,1,0]
	v_fmac_f32_e32 v86, v64, v6
	s_delay_alu instid0(VALU_DEP_3) | instskip(NEXT) | instid1(VALU_DEP_1)
	v_dot4_i32_iu8 v0, v62, v51, v0 neg_lo:[1,1,0]
	v_dot4_i32_iu8 v0, v13, v217, v0 neg_lo:[1,1,0]
	s_delay_alu instid0(VALU_DEP_1) | instskip(SKIP_1) | instid1(VALU_DEP_1)
	v_dot4_i32_iu8 v6, v15, v44, v0 neg_lo:[1,1,0]
	v_dot4_i32_iu8 v0, v14, v45, 0 neg_lo:[1,1,0]
	;; [unrolled: 1-line block ×3, first 2 shown]
	s_delay_alu instid0(VALU_DEP_1) | instskip(NEXT) | instid1(VALU_DEP_1)
	v_dot4_i32_iu8 v0, v9, v218, v0 neg_lo:[1,1,0]
	v_dot4_i32_iu8 v10, v11, v46, v0 neg_lo:[1,1,0]
	;; [unrolled: 1-line block ×3, first 2 shown]
	s_delay_alu instid0(VALU_DEP_1) | instskip(NEXT) | instid1(VALU_DEP_1)
	v_dot4_i32_iu8 v0, v57, v198, v0 neg_lo:[1,1,0]
	v_dot4_i32_iu8 v0, v124, v199, v0 neg_lo:[1,1,0]
	s_delay_alu instid0(VALU_DEP_1) | instskip(NEXT) | instid1(VALU_DEP_1)
	v_dot4_i32_iu8 v0, v7, v34, v0 neg_lo:[1,1,0]
	v_mul_lo_u32 v0, v0, v200
	s_delay_alu instid0(VALU_DEP_1) | instskip(NEXT) | instid1(VALU_DEP_1)
	v_mad_co_u64_u32 v[0:1], null, v1, v203, v[0:1]
	v_cvt_f32_i32_e32 v0, v0
	s_delay_alu instid0(VALU_DEP_1) | instskip(SKIP_1) | instid1(VALU_DEP_1)
	v_fma_f32 v12, v28, v0, 0
	v_mul_lo_u32 v0, v6, v205
	v_mad_co_u64_u32 v[0:1], null, v10, v204, v[0:1]
	v_dot4_i32_iu8 v1, v2, v19, 0 neg_lo:[1,1,0]
	s_delay_alu instid0(VALU_DEP_1) | instskip(NEXT) | instid1(VALU_DEP_3)
	v_dot4_i32_iu8 v1, v125, v194, v1 neg_lo:[1,1,0]
	v_cvt_f32_i32_e32 v0, v0
	s_delay_alu instid0(VALU_DEP_2) | instskip(NEXT) | instid1(VALU_DEP_2)
	v_dot4_i32_iu8 v1, v180, v193, v1 neg_lo:[1,1,0]
	v_fmac_f32_e32 v12, v29, v0
	v_dot4_i32_iu8 v0, v5, v35, 0 neg_lo:[1,1,0]
	s_delay_alu instid0(VALU_DEP_3) | instskip(NEXT) | instid1(VALU_DEP_3)
	v_dot4_i32_iu8 v1, v3, v20, v1 neg_lo:[1,1,0]
	v_fmac_f32_e32 v85, v65, v12
	s_delay_alu instid0(VALU_DEP_3) | instskip(NEXT) | instid1(VALU_DEP_1)
	v_dot4_i32_iu8 v0, v62, v37, v0 neg_lo:[1,1,0]
	v_dot4_i32_iu8 v0, v13, v209, v0 neg_lo:[1,1,0]
	s_delay_alu instid0(VALU_DEP_1) | instskip(SKIP_1) | instid1(VALU_DEP_1)
	v_dot4_i32_iu8 v5, v15, v40, v0 neg_lo:[1,1,0]
	v_dot4_i32_iu8 v0, v14, v39, 0 neg_lo:[1,1,0]
	;; [unrolled: 1-line block ×3, first 2 shown]
	s_delay_alu instid0(VALU_DEP_1) | instskip(NEXT) | instid1(VALU_DEP_1)
	v_dot4_i32_iu8 v0, v9, v215, v0 neg_lo:[1,1,0]
	v_dot4_i32_iu8 v6, v11, v42, v0 neg_lo:[1,1,0]
	;; [unrolled: 1-line block ×3, first 2 shown]
	s_delay_alu instid0(VALU_DEP_1) | instskip(NEXT) | instid1(VALU_DEP_1)
	v_dot4_i32_iu8 v0, v57, v197, v0 neg_lo:[1,1,0]
	v_dot4_i32_iu8 v0, v124, v196, v0 neg_lo:[1,1,0]
	s_delay_alu instid0(VALU_DEP_1) | instskip(NEXT) | instid1(VALU_DEP_1)
	v_dot4_i32_iu8 v0, v7, v30, v0 neg_lo:[1,1,0]
	v_mul_lo_u32 v0, v0, v195
	s_delay_alu instid0(VALU_DEP_1) | instskip(NEXT) | instid1(VALU_DEP_1)
	v_mad_co_u64_u32 v[0:1], null, v1, v69, v[0:1]
	v_cvt_f32_i32_e32 v0, v0
	s_delay_alu instid0(VALU_DEP_1) | instskip(SKIP_1) | instid1(VALU_DEP_1)
	v_fma_f32 v2, v28, v0, 0
	v_mul_lo_u32 v0, v5, v68
	v_mad_co_u64_u32 v[0:1], null, v6, v67, v[0:1]
	s_delay_alu instid0(VALU_DEP_1) | instskip(NEXT) | instid1(VALU_DEP_1)
	v_cvt_f32_i32_e32 v0, v0
	v_fmac_f32_e32 v2, v29, v0
	v_or_b32_e32 v0, s12, v162
	s_delay_alu instid0(VALU_DEP_2) | instskip(NEXT) | instid1(VALU_DEP_2)
	v_fmac_f32_e32 v82, v66, v2
	v_lshlrev_b32_e32 v12, 2, v0
	v_lshrrev_b32_e32 v28, 1, v0
	ds_load_b128 v[0:3], v12 offset:33280
	ds_load_b128 v[4:7], v12 offset:33296
	;; [unrolled: 1-line block ×4, first 2 shown]
	ds_load_b64 v[28:29], v28 offset:43584
	s_wait_dscnt 0x4
	v_perm_b32 v125, v1, v0, 0x6040503
	s_wait_dscnt 0x3
	v_perm_b32 v124, v6, v5, 0x7060403
	s_wait_dscnt 0x2
	v_bfe_i32 v53, v10, 8, 8
	v_bfe_i32 v54, v8, 8, 8
	;; [unrolled: 1-line block ×3, first 2 shown]
	v_ashrrev_i32_e32 v57, 24, v10
	s_wait_dscnt 0x1
	v_perm_b32 v62, v14, v14, 0xc0c0c01
	v_mul_i32_i24_e32 v53, v53, v225
	v_perm_b32 v180, v2, v1, 0x7060403
	v_mul_i32_i24_e32 v56, v227, v56
	v_mul_i32_i24_e32 v57, v226, v57
	v_perm_b32 v58, v12, v52, 0x6040503
	v_mad_i32_i24 v53, v228, v54, v53
	v_perm_b32 v54, v9, v8, 0x5030200
	v_or_b32_e32 v62, v234, v62
	s_delay_alu instid0(VALU_DEP_2) | instskip(SKIP_1) | instid1(VALU_DEP_3)
	v_dot4_i32_iu8 v53, v237, v54, v53 neg_lo:[1,1,0]
	v_perm_b32 v54, v10, v9, 0x4030200
	v_dot4_i32_iu8 v58, v62, v58, 0 neg_lo:[1,1,0]
	v_perm_b32 v62, v13, v12, 0x6040503
	v_perm_b32 v13, v14, v13, 0x7060403
	s_delay_alu instid0(VALU_DEP_4) | instskip(SKIP_1) | instid1(VALU_DEP_4)
	v_dot4_i32_iu8 v53, v238, v54, v53 neg_lo:[1,1,0]
	v_perm_b32 v54, v11, v11, 0x3020001
	v_dot4_i32_iu8 v58, v62, v235, v58 neg_lo:[1,1,0]
	s_delay_alu instid0(VALU_DEP_3) | instskip(SKIP_1) | instid1(VALU_DEP_3)
	v_add3_u32 v53, v53, v56, v57
	v_perm_b32 v57, v5, v4, 0x6040503
	v_dot4_i32_iu8 v58, v236, v13, v58 neg_lo:[1,1,0]
	s_delay_alu instid0(VALU_DEP_3) | instskip(SKIP_2) | instid1(VALU_DEP_4)
	v_dot4_i32_iu8 v56, v239, v54, v53 neg_lo:[1,1,0]
	v_perm_b32 v53, v4, v23, 0x6050401
	v_perm_b32 v54, v27, v6, 0x6050401
	v_dot4_i32_iu8 v58, v224, v15, v58 neg_lo:[1,1,0]
	v_perm_b32 v4, v4, v6, 0x6050401
	s_delay_alu instid0(VALU_DEP_3) | instskip(SKIP_1) | instid1(VALU_DEP_2)
	v_dot4_i32_iu8 v53, v54, v53, 0 neg_lo:[1,1,0]
	v_perm_b32 v54, v25, v2, 0x6050401
	v_dot4_i32_iu8 v53, v229, v57, v53 neg_lo:[1,1,0]
	s_delay_alu instid0(VALU_DEP_1) | instskip(SKIP_1) | instid1(VALU_DEP_2)
	v_dot4_i32_iu8 v5, v230, v124, v53 neg_lo:[1,1,0]
	v_perm_b32 v53, v0, v21, 0x6050401
	v_dot4_i32_iu8 v5, v7, v24, v5 neg_lo:[1,1,0]
	s_delay_alu instid0(VALU_DEP_2) | instskip(NEXT) | instid1(VALU_DEP_2)
	v_dot4_i32_iu8 v53, v54, v53, 0 neg_lo:[1,1,0]
	v_mul_lo_u32 v5, v5, v211
	s_delay_alu instid0(VALU_DEP_2) | instskip(NEXT) | instid1(VALU_DEP_1)
	v_dot4_i32_iu8 v53, v231, v125, v53 neg_lo:[1,1,0]
	v_dot4_i32_iu8 v1, v232, v180, v53 neg_lo:[1,1,0]
	s_delay_alu instid0(VALU_DEP_1) | instskip(NEXT) | instid1(VALU_DEP_1)
	v_dot4_i32_iu8 v1, v3, v22, v1 neg_lo:[1,1,0]
	v_mad_co_u64_u32 v[53:54], null, v1, v219, v[5:6]
	s_delay_alu instid0(VALU_DEP_1) | instskip(SKIP_1) | instid1(VALU_DEP_1)
	v_cvt_f32_i32_e32 v1, v53
	s_wait_dscnt 0x0
	v_fma_f32 v5, v28, v1, 0
	v_mul_lo_u32 v1, v58, v221
	s_delay_alu instid0(VALU_DEP_1) | instskip(SKIP_1) | instid1(VALU_DEP_1)
	v_mad_co_u64_u32 v[53:54], null, v56, v220, v[1:2]
	v_perm_b32 v2, v0, v2, 0x6050401
	v_dot4_i32_iu8 v0, v2, v49, 0 neg_lo:[1,1,0]
	s_delay_alu instid0(VALU_DEP_3) | instskip(NEXT) | instid1(VALU_DEP_2)
	v_cvt_f32_i32_e32 v1, v53
	v_dot4_i32_iu8 v0, v125, v210, v0 neg_lo:[1,1,0]
	s_delay_alu instid0(VALU_DEP_2) | instskip(NEXT) | instid1(VALU_DEP_2)
	v_fmac_f32_e32 v5, v29, v1
	v_dot4_i32_iu8 v0, v180, v212, v0 neg_lo:[1,1,0]
	s_delay_alu instid0(VALU_DEP_2)
	v_fmac_f32_e32 v81, v63, v5
	v_perm_b32 v5, v12, v14, 0x6040501
	v_perm_b32 v14, v8, v10, 0x6040501
	v_perm_b32 v8, v9, v8, 0x6040503
	v_perm_b32 v9, v10, v9, 0x7060403
	v_dot4_i32_iu8 v0, v3, v36, v0 neg_lo:[1,1,0]
	v_dot4_i32_iu8 v1, v5, v233, 0 neg_lo:[1,1,0]
	s_delay_alu instid0(VALU_DEP_1) | instskip(NEXT) | instid1(VALU_DEP_1)
	v_dot4_i32_iu8 v1, v62, v59, v1 neg_lo:[1,1,0]
	v_dot4_i32_iu8 v1, v13, v222, v1 neg_lo:[1,1,0]
	s_delay_alu instid0(VALU_DEP_1) | instskip(SKIP_1) | instid1(VALU_DEP_1)
	v_dot4_i32_iu8 v12, v15, v48, v1 neg_lo:[1,1,0]
	v_dot4_i32_iu8 v1, v14, v60, 0 neg_lo:[1,1,0]
	;; [unrolled: 1-line block ×3, first 2 shown]
	s_delay_alu instid0(VALU_DEP_1) | instskip(NEXT) | instid1(VALU_DEP_1)
	v_dot4_i32_iu8 v1, v9, v223, v1 neg_lo:[1,1,0]
	v_dot4_i32_iu8 v10, v11, v50, v1 neg_lo:[1,1,0]
	;; [unrolled: 1-line block ×3, first 2 shown]
	s_delay_alu instid0(VALU_DEP_1) | instskip(NEXT) | instid1(VALU_DEP_1)
	v_dot4_i32_iu8 v1, v57, v206, v1 neg_lo:[1,1,0]
	v_dot4_i32_iu8 v1, v124, v207, v1 neg_lo:[1,1,0]
	s_delay_alu instid0(VALU_DEP_1) | instskip(NEXT) | instid1(VALU_DEP_1)
	v_dot4_i32_iu8 v1, v7, v38, v1 neg_lo:[1,1,0]
	v_mul_lo_u32 v1, v1, v208
	s_delay_alu instid0(VALU_DEP_1) | instskip(NEXT) | instid1(VALU_DEP_1)
	v_mad_co_u64_u32 v[0:1], null, v0, v213, v[1:2]
	v_cvt_f32_i32_e32 v0, v0
	s_delay_alu instid0(VALU_DEP_1) | instskip(SKIP_1) | instid1(VALU_DEP_1)
	v_fma_f32 v6, v28, v0, 0
	v_mul_lo_u32 v0, v12, v216
	v_mad_co_u64_u32 v[0:1], null, v10, v214, v[0:1]
	v_dot4_i32_iu8 v1, v2, v31, 0 neg_lo:[1,1,0]
	s_delay_alu instid0(VALU_DEP_1) | instskip(NEXT) | instid1(VALU_DEP_3)
	v_dot4_i32_iu8 v1, v125, v201, v1 neg_lo:[1,1,0]
	v_cvt_f32_i32_e32 v0, v0
	s_delay_alu instid0(VALU_DEP_2) | instskip(NEXT) | instid1(VALU_DEP_2)
	v_dot4_i32_iu8 v1, v180, v202, v1 neg_lo:[1,1,0]
	v_fmac_f32_e32 v6, v29, v0
	v_dot4_i32_iu8 v0, v5, v43, 0 neg_lo:[1,1,0]
	s_delay_alu instid0(VALU_DEP_3) | instskip(NEXT) | instid1(VALU_DEP_3)
	v_dot4_i32_iu8 v1, v3, v32, v1 neg_lo:[1,1,0]
	v_fmac_f32_e32 v80, v64, v6
	s_delay_alu instid0(VALU_DEP_3) | instskip(NEXT) | instid1(VALU_DEP_1)
	v_dot4_i32_iu8 v0, v62, v51, v0 neg_lo:[1,1,0]
	v_dot4_i32_iu8 v0, v13, v217, v0 neg_lo:[1,1,0]
	s_delay_alu instid0(VALU_DEP_1) | instskip(SKIP_1) | instid1(VALU_DEP_1)
	v_dot4_i32_iu8 v6, v15, v44, v0 neg_lo:[1,1,0]
	v_dot4_i32_iu8 v0, v14, v45, 0 neg_lo:[1,1,0]
	;; [unrolled: 1-line block ×3, first 2 shown]
	s_delay_alu instid0(VALU_DEP_1) | instskip(NEXT) | instid1(VALU_DEP_1)
	v_dot4_i32_iu8 v0, v9, v218, v0 neg_lo:[1,1,0]
	v_dot4_i32_iu8 v10, v11, v46, v0 neg_lo:[1,1,0]
	;; [unrolled: 1-line block ×3, first 2 shown]
	s_delay_alu instid0(VALU_DEP_1) | instskip(NEXT) | instid1(VALU_DEP_1)
	v_dot4_i32_iu8 v0, v57, v198, v0 neg_lo:[1,1,0]
	v_dot4_i32_iu8 v0, v124, v199, v0 neg_lo:[1,1,0]
	s_delay_alu instid0(VALU_DEP_1) | instskip(NEXT) | instid1(VALU_DEP_1)
	v_dot4_i32_iu8 v0, v7, v34, v0 neg_lo:[1,1,0]
	v_mul_lo_u32 v0, v0, v200
	s_delay_alu instid0(VALU_DEP_1) | instskip(NEXT) | instid1(VALU_DEP_1)
	v_mad_co_u64_u32 v[0:1], null, v1, v203, v[0:1]
	v_cvt_f32_i32_e32 v0, v0
	s_delay_alu instid0(VALU_DEP_1) | instskip(SKIP_1) | instid1(VALU_DEP_1)
	v_fma_f32 v12, v28, v0, 0
	v_mul_lo_u32 v0, v6, v205
	v_mad_co_u64_u32 v[0:1], null, v10, v204, v[0:1]
	v_dot4_i32_iu8 v1, v2, v19, 0 neg_lo:[1,1,0]
	s_delay_alu instid0(VALU_DEP_1) | instskip(NEXT) | instid1(VALU_DEP_3)
	v_dot4_i32_iu8 v1, v125, v194, v1 neg_lo:[1,1,0]
	v_cvt_f32_i32_e32 v0, v0
	s_delay_alu instid0(VALU_DEP_2) | instskip(NEXT) | instid1(VALU_DEP_2)
	v_dot4_i32_iu8 v1, v180, v193, v1 neg_lo:[1,1,0]
	v_fmac_f32_e32 v12, v29, v0
	v_dot4_i32_iu8 v0, v5, v35, 0 neg_lo:[1,1,0]
	s_delay_alu instid0(VALU_DEP_3) | instskip(NEXT) | instid1(VALU_DEP_3)
	v_dot4_i32_iu8 v1, v3, v20, v1 neg_lo:[1,1,0]
	v_fmac_f32_e32 v79, v65, v12
	s_delay_alu instid0(VALU_DEP_3) | instskip(NEXT) | instid1(VALU_DEP_1)
	v_dot4_i32_iu8 v0, v62, v37, v0 neg_lo:[1,1,0]
	v_dot4_i32_iu8 v0, v13, v209, v0 neg_lo:[1,1,0]
	s_delay_alu instid0(VALU_DEP_1) | instskip(SKIP_1) | instid1(VALU_DEP_1)
	v_dot4_i32_iu8 v5, v15, v40, v0 neg_lo:[1,1,0]
	v_dot4_i32_iu8 v0, v14, v39, 0 neg_lo:[1,1,0]
	;; [unrolled: 1-line block ×3, first 2 shown]
	s_delay_alu instid0(VALU_DEP_1) | instskip(NEXT) | instid1(VALU_DEP_1)
	v_dot4_i32_iu8 v0, v9, v215, v0 neg_lo:[1,1,0]
	v_dot4_i32_iu8 v6, v11, v42, v0 neg_lo:[1,1,0]
	;; [unrolled: 1-line block ×3, first 2 shown]
	s_delay_alu instid0(VALU_DEP_1) | instskip(NEXT) | instid1(VALU_DEP_1)
	v_dot4_i32_iu8 v0, v57, v197, v0 neg_lo:[1,1,0]
	v_dot4_i32_iu8 v0, v124, v196, v0 neg_lo:[1,1,0]
	s_delay_alu instid0(VALU_DEP_1) | instskip(NEXT) | instid1(VALU_DEP_1)
	v_dot4_i32_iu8 v0, v7, v30, v0 neg_lo:[1,1,0]
	v_mul_lo_u32 v0, v0, v195
	s_delay_alu instid0(VALU_DEP_1) | instskip(NEXT) | instid1(VALU_DEP_1)
	v_mad_co_u64_u32 v[0:1], null, v1, v69, v[0:1]
	v_cvt_f32_i32_e32 v0, v0
	s_delay_alu instid0(VALU_DEP_1) | instskip(SKIP_1) | instid1(VALU_DEP_1)
	v_fma_f32 v2, v28, v0, 0
	v_mul_lo_u32 v0, v5, v68
	v_mad_co_u64_u32 v[0:1], null, v6, v67, v[0:1]
	s_delay_alu instid0(VALU_DEP_1) | instskip(NEXT) | instid1(VALU_DEP_1)
	v_cvt_f32_i32_e32 v0, v0
	v_fmac_f32_e32 v2, v29, v0
	v_or_b32_e32 v0, s12, v163
	s_delay_alu instid0(VALU_DEP_2) | instskip(NEXT) | instid1(VALU_DEP_2)
	v_fmac_f32_e32 v78, v66, v2
	v_lshlrev_b32_e32 v12, 2, v0
	v_lshrrev_b32_e32 v28, 1, v0
	ds_load_b128 v[0:3], v12 offset:33280
	ds_load_b128 v[4:7], v12 offset:33296
	;; [unrolled: 1-line block ×4, first 2 shown]
	ds_load_b64 v[28:29], v28 offset:43584
	s_wait_dscnt 0x4
	v_perm_b32 v125, v1, v0, 0x6040503
	s_wait_dscnt 0x3
	v_perm_b32 v124, v6, v5, 0x7060403
	s_wait_dscnt 0x2
	v_bfe_i32 v53, v10, 8, 8
	v_bfe_i32 v54, v8, 8, 8
	;; [unrolled: 1-line block ×3, first 2 shown]
	v_ashrrev_i32_e32 v57, 24, v10
	s_wait_dscnt 0x1
	v_perm_b32 v62, v14, v14, 0xc0c0c01
	v_mul_i32_i24_e32 v53, v53, v225
	v_perm_b32 v180, v2, v1, 0x7060403
	v_mul_i32_i24_e32 v56, v227, v56
	v_mul_i32_i24_e32 v57, v226, v57
	v_perm_b32 v58, v12, v52, 0x6040503
	v_mad_i32_i24 v53, v228, v54, v53
	v_perm_b32 v54, v9, v8, 0x5030200
	v_or_b32_e32 v62, v234, v62
	s_delay_alu instid0(VALU_DEP_2) | instskip(SKIP_1) | instid1(VALU_DEP_3)
	v_dot4_i32_iu8 v53, v237, v54, v53 neg_lo:[1,1,0]
	v_perm_b32 v54, v10, v9, 0x4030200
	v_dot4_i32_iu8 v58, v62, v58, 0 neg_lo:[1,1,0]
	v_perm_b32 v62, v13, v12, 0x6040503
	v_perm_b32 v13, v14, v13, 0x7060403
	s_delay_alu instid0(VALU_DEP_4) | instskip(SKIP_1) | instid1(VALU_DEP_4)
	v_dot4_i32_iu8 v53, v238, v54, v53 neg_lo:[1,1,0]
	v_perm_b32 v54, v11, v11, 0x3020001
	v_dot4_i32_iu8 v58, v62, v235, v58 neg_lo:[1,1,0]
	s_delay_alu instid0(VALU_DEP_3) | instskip(SKIP_1) | instid1(VALU_DEP_3)
	v_add3_u32 v53, v53, v56, v57
	v_perm_b32 v57, v5, v4, 0x6040503
	v_dot4_i32_iu8 v58, v236, v13, v58 neg_lo:[1,1,0]
	s_delay_alu instid0(VALU_DEP_3) | instskip(SKIP_2) | instid1(VALU_DEP_4)
	v_dot4_i32_iu8 v56, v239, v54, v53 neg_lo:[1,1,0]
	v_perm_b32 v53, v4, v23, 0x6050401
	v_perm_b32 v54, v27, v6, 0x6050401
	v_dot4_i32_iu8 v58, v224, v15, v58 neg_lo:[1,1,0]
	v_perm_b32 v4, v4, v6, 0x6050401
	s_delay_alu instid0(VALU_DEP_3) | instskip(SKIP_1) | instid1(VALU_DEP_2)
	v_dot4_i32_iu8 v53, v54, v53, 0 neg_lo:[1,1,0]
	v_perm_b32 v54, v25, v2, 0x6050401
	v_dot4_i32_iu8 v53, v229, v57, v53 neg_lo:[1,1,0]
	s_delay_alu instid0(VALU_DEP_1) | instskip(SKIP_1) | instid1(VALU_DEP_2)
	v_dot4_i32_iu8 v5, v230, v124, v53 neg_lo:[1,1,0]
	v_perm_b32 v53, v0, v21, 0x6050401
	v_dot4_i32_iu8 v5, v7, v24, v5 neg_lo:[1,1,0]
	s_delay_alu instid0(VALU_DEP_2) | instskip(NEXT) | instid1(VALU_DEP_2)
	v_dot4_i32_iu8 v53, v54, v53, 0 neg_lo:[1,1,0]
	v_mul_lo_u32 v5, v5, v211
	s_delay_alu instid0(VALU_DEP_2) | instskip(NEXT) | instid1(VALU_DEP_1)
	v_dot4_i32_iu8 v53, v231, v125, v53 neg_lo:[1,1,0]
	v_dot4_i32_iu8 v1, v232, v180, v53 neg_lo:[1,1,0]
	s_delay_alu instid0(VALU_DEP_1) | instskip(NEXT) | instid1(VALU_DEP_1)
	v_dot4_i32_iu8 v1, v3, v22, v1 neg_lo:[1,1,0]
	v_mad_co_u64_u32 v[53:54], null, v1, v219, v[5:6]
	s_delay_alu instid0(VALU_DEP_1) | instskip(SKIP_1) | instid1(VALU_DEP_1)
	v_cvt_f32_i32_e32 v1, v53
	s_wait_dscnt 0x0
	v_fma_f32 v5, v28, v1, 0
	v_mul_lo_u32 v1, v58, v221
	s_delay_alu instid0(VALU_DEP_1) | instskip(SKIP_1) | instid1(VALU_DEP_1)
	v_mad_co_u64_u32 v[53:54], null, v56, v220, v[1:2]
	v_perm_b32 v2, v0, v2, 0x6050401
	v_dot4_i32_iu8 v0, v2, v49, 0 neg_lo:[1,1,0]
	s_delay_alu instid0(VALU_DEP_3) | instskip(NEXT) | instid1(VALU_DEP_2)
	v_cvt_f32_i32_e32 v1, v53
	v_dot4_i32_iu8 v0, v125, v210, v0 neg_lo:[1,1,0]
	s_delay_alu instid0(VALU_DEP_2) | instskip(NEXT) | instid1(VALU_DEP_2)
	v_fmac_f32_e32 v5, v29, v1
	v_dot4_i32_iu8 v0, v180, v212, v0 neg_lo:[1,1,0]
	s_delay_alu instid0(VALU_DEP_2)
	v_fmac_f32_e32 v77, v63, v5
	v_perm_b32 v5, v12, v14, 0x6040501
	v_perm_b32 v14, v8, v10, 0x6040501
	;; [unrolled: 1-line block ×4, first 2 shown]
	v_dot4_i32_iu8 v0, v3, v36, v0 neg_lo:[1,1,0]
	v_dot4_i32_iu8 v1, v5, v233, 0 neg_lo:[1,1,0]
	s_delay_alu instid0(VALU_DEP_1) | instskip(NEXT) | instid1(VALU_DEP_1)
	v_dot4_i32_iu8 v1, v62, v59, v1 neg_lo:[1,1,0]
	v_dot4_i32_iu8 v1, v13, v222, v1 neg_lo:[1,1,0]
	s_delay_alu instid0(VALU_DEP_1) | instskip(SKIP_1) | instid1(VALU_DEP_1)
	v_dot4_i32_iu8 v12, v15, v48, v1 neg_lo:[1,1,0]
	v_dot4_i32_iu8 v1, v14, v60, 0 neg_lo:[1,1,0]
	;; [unrolled: 1-line block ×3, first 2 shown]
	s_delay_alu instid0(VALU_DEP_1) | instskip(NEXT) | instid1(VALU_DEP_1)
	v_dot4_i32_iu8 v1, v9, v223, v1 neg_lo:[1,1,0]
	v_dot4_i32_iu8 v10, v11, v50, v1 neg_lo:[1,1,0]
	;; [unrolled: 1-line block ×3, first 2 shown]
	s_delay_alu instid0(VALU_DEP_1) | instskip(NEXT) | instid1(VALU_DEP_1)
	v_dot4_i32_iu8 v1, v57, v206, v1 neg_lo:[1,1,0]
	v_dot4_i32_iu8 v1, v124, v207, v1 neg_lo:[1,1,0]
	s_delay_alu instid0(VALU_DEP_1) | instskip(NEXT) | instid1(VALU_DEP_1)
	v_dot4_i32_iu8 v1, v7, v38, v1 neg_lo:[1,1,0]
	v_mul_lo_u32 v1, v1, v208
	s_delay_alu instid0(VALU_DEP_1) | instskip(NEXT) | instid1(VALU_DEP_1)
	v_mad_co_u64_u32 v[0:1], null, v0, v213, v[1:2]
	v_cvt_f32_i32_e32 v0, v0
	s_delay_alu instid0(VALU_DEP_1) | instskip(SKIP_1) | instid1(VALU_DEP_1)
	v_fma_f32 v6, v28, v0, 0
	v_mul_lo_u32 v0, v12, v216
	v_mad_co_u64_u32 v[0:1], null, v10, v214, v[0:1]
	v_dot4_i32_iu8 v1, v2, v31, 0 neg_lo:[1,1,0]
	s_delay_alu instid0(VALU_DEP_1) | instskip(NEXT) | instid1(VALU_DEP_3)
	v_dot4_i32_iu8 v1, v125, v201, v1 neg_lo:[1,1,0]
	v_cvt_f32_i32_e32 v0, v0
	s_delay_alu instid0(VALU_DEP_2) | instskip(NEXT) | instid1(VALU_DEP_2)
	v_dot4_i32_iu8 v1, v180, v202, v1 neg_lo:[1,1,0]
	v_fmac_f32_e32 v6, v29, v0
	v_dot4_i32_iu8 v0, v5, v43, 0 neg_lo:[1,1,0]
	s_delay_alu instid0(VALU_DEP_3) | instskip(NEXT) | instid1(VALU_DEP_3)
	v_dot4_i32_iu8 v1, v3, v32, v1 neg_lo:[1,1,0]
	v_fmac_f32_e32 v76, v64, v6
	s_delay_alu instid0(VALU_DEP_3) | instskip(NEXT) | instid1(VALU_DEP_1)
	v_dot4_i32_iu8 v0, v62, v51, v0 neg_lo:[1,1,0]
	v_dot4_i32_iu8 v0, v13, v217, v0 neg_lo:[1,1,0]
	s_delay_alu instid0(VALU_DEP_1) | instskip(SKIP_1) | instid1(VALU_DEP_1)
	v_dot4_i32_iu8 v6, v15, v44, v0 neg_lo:[1,1,0]
	v_dot4_i32_iu8 v0, v14, v45, 0 neg_lo:[1,1,0]
	;; [unrolled: 1-line block ×3, first 2 shown]
	s_delay_alu instid0(VALU_DEP_1) | instskip(NEXT) | instid1(VALU_DEP_1)
	v_dot4_i32_iu8 v0, v9, v218, v0 neg_lo:[1,1,0]
	v_dot4_i32_iu8 v10, v11, v46, v0 neg_lo:[1,1,0]
	;; [unrolled: 1-line block ×3, first 2 shown]
	s_delay_alu instid0(VALU_DEP_1) | instskip(NEXT) | instid1(VALU_DEP_1)
	v_dot4_i32_iu8 v0, v57, v198, v0 neg_lo:[1,1,0]
	v_dot4_i32_iu8 v0, v124, v199, v0 neg_lo:[1,1,0]
	s_delay_alu instid0(VALU_DEP_1) | instskip(NEXT) | instid1(VALU_DEP_1)
	v_dot4_i32_iu8 v0, v7, v34, v0 neg_lo:[1,1,0]
	v_mul_lo_u32 v0, v0, v200
	s_delay_alu instid0(VALU_DEP_1) | instskip(NEXT) | instid1(VALU_DEP_1)
	v_mad_co_u64_u32 v[0:1], null, v1, v203, v[0:1]
	v_cvt_f32_i32_e32 v0, v0
	s_delay_alu instid0(VALU_DEP_1) | instskip(SKIP_1) | instid1(VALU_DEP_1)
	v_fma_f32 v12, v28, v0, 0
	v_mul_lo_u32 v0, v6, v205
	v_mad_co_u64_u32 v[0:1], null, v10, v204, v[0:1]
	v_dot4_i32_iu8 v1, v2, v19, 0 neg_lo:[1,1,0]
	s_delay_alu instid0(VALU_DEP_1) | instskip(NEXT) | instid1(VALU_DEP_3)
	v_dot4_i32_iu8 v1, v125, v194, v1 neg_lo:[1,1,0]
	v_cvt_f32_i32_e32 v0, v0
	s_delay_alu instid0(VALU_DEP_2) | instskip(NEXT) | instid1(VALU_DEP_2)
	v_dot4_i32_iu8 v1, v180, v193, v1 neg_lo:[1,1,0]
	v_fmac_f32_e32 v12, v29, v0
	v_dot4_i32_iu8 v0, v5, v35, 0 neg_lo:[1,1,0]
	s_delay_alu instid0(VALU_DEP_3) | instskip(NEXT) | instid1(VALU_DEP_2)
	v_dot4_i32_iu8 v1, v3, v20, v1 neg_lo:[1,1,0]
	v_dot4_i32_iu8 v0, v62, v37, v0 neg_lo:[1,1,0]
	s_delay_alu instid0(VALU_DEP_1) | instskip(NEXT) | instid1(VALU_DEP_1)
	v_dot4_i32_iu8 v0, v13, v209, v0 neg_lo:[1,1,0]
	v_dot4_i32_iu8 v5, v15, v40, v0 neg_lo:[1,1,0]
	;; [unrolled: 1-line block ×3, first 2 shown]
	s_delay_alu instid0(VALU_DEP_1) | instskip(NEXT) | instid1(VALU_DEP_1)
	v_dot4_i32_iu8 v0, v8, v41, v0 neg_lo:[1,1,0]
	v_dot4_i32_iu8 v0, v9, v215, v0 neg_lo:[1,1,0]
	s_delay_alu instid0(VALU_DEP_1) | instskip(SKIP_1) | instid1(VALU_DEP_1)
	v_dot4_i32_iu8 v6, v11, v42, v0 neg_lo:[1,1,0]
	v_dot4_i32_iu8 v0, v4, v26, 0 neg_lo:[1,1,0]
	;; [unrolled: 1-line block ×3, first 2 shown]
	s_delay_alu instid0(VALU_DEP_1) | instskip(NEXT) | instid1(VALU_DEP_1)
	v_dot4_i32_iu8 v0, v124, v196, v0 neg_lo:[1,1,0]
	v_dot4_i32_iu8 v0, v7, v30, v0 neg_lo:[1,1,0]
	s_delay_alu instid0(VALU_DEP_1) | instskip(NEXT) | instid1(VALU_DEP_1)
	v_mul_lo_u32 v0, v0, v195
	v_mad_co_u64_u32 v[0:1], null, v1, v69, v[0:1]
	s_delay_alu instid0(VALU_DEP_1) | instskip(NEXT) | instid1(VALU_DEP_1)
	v_cvt_f32_i32_e32 v0, v0
	v_fma_f32 v2, v28, v0, 0
	v_mul_lo_u32 v0, v5, v68
	s_delay_alu instid0(VALU_DEP_1) | instskip(NEXT) | instid1(VALU_DEP_1)
	v_mad_co_u64_u32 v[0:1], null, v6, v67, v[0:1]
	v_cvt_f32_i32_e32 v0, v0
	s_delay_alu instid0(VALU_DEP_1)
	v_fmac_f32_e32 v2, v29, v0
	v_or_b32_e32 v0, s12, v164
	v_fmac_f32_e32 v75, v65, v12
	s_add_co_i32 s12, s5, 8
	s_cmp_lt_u32 s5, 24
	v_fmac_f32_e32 v74, v66, v2
	v_lshlrev_b32_e32 v12, 2, v0
	v_lshrrev_b32_e32 v28, 1, v0
	ds_load_b128 v[0:3], v12 offset:33280
	ds_load_b128 v[4:7], v12 offset:33296
	ds_load_b128 v[8:11], v12 offset:33312
	ds_load_b128 v[12:15], v12 offset:33328
	ds_load_b64 v[28:29], v28 offset:43584
	s_wait_alu 0xfffe
	s_mov_b32 s5, s12
	s_wait_dscnt 0x4
	v_perm_b32 v21, v0, v21, 0x6050401
	s_wait_dscnt 0x3
	v_perm_b32 v23, v4, v23, 0x6050401
	s_wait_dscnt 0x2
	v_bfe_i32 v53, v10, 8, 8
	v_bfe_i32 v54, v8, 8, 8
	;; [unrolled: 1-line block ×3, first 2 shown]
	v_ashrrev_i32_e32 v57, 24, v10
	v_perm_b32 v27, v27, v6, 0x6050401
	v_mul_i32_i24_e32 v53, v53, v225
	s_wait_dscnt 0x1
	v_perm_b32 v58, v14, v14, 0xc0c0c01
	v_mul_i32_i24_e32 v56, v227, v56
	v_mul_i32_i24_e32 v57, v226, v57
	v_dot4_i32_iu8 v23, v27, v23, 0 neg_lo:[1,1,0]
	v_mad_i32_i24 v53, v228, v54, v53
	v_perm_b32 v54, v9, v8, 0x5030200
	v_perm_b32 v27, v5, v4, 0x6040503
	;; [unrolled: 1-line block ×3, first 2 shown]
	v_or_b32_e32 v58, v234, v58
	v_perm_b32 v4, v4, v6, 0x6050401
	v_dot4_i32_iu8 v53, v237, v54, v53 neg_lo:[1,1,0]
	v_perm_b32 v54, v10, v9, 0x4030200
	v_dot4_i32_iu8 v23, v229, v27, v23 neg_lo:[1,1,0]
	v_dot4_i32_iu8 v58, v58, v52, 0 neg_lo:[1,1,0]
	v_perm_b32 v52, v13, v12, 0x6040503
	v_perm_b32 v13, v14, v13, 0x7060403
	v_dot4_i32_iu8 v53, v238, v54, v53 neg_lo:[1,1,0]
	v_perm_b32 v54, v11, v11, 0x3020001
	s_delay_alu instid0(VALU_DEP_4) | instskip(NEXT) | instid1(VALU_DEP_3)
	v_dot4_i32_iu8 v58, v52, v235, v58 neg_lo:[1,1,0]
	v_add3_u32 v53, v53, v56, v57
	s_delay_alu instid0(VALU_DEP_2) | instskip(NEXT) | instid1(VALU_DEP_2)
	v_dot4_i32_iu8 v58, v236, v13, v58 neg_lo:[1,1,0]
	v_dot4_i32_iu8 v53, v239, v54, v53 neg_lo:[1,1,0]
	v_perm_b32 v54, v6, v5, 0x7060403
	s_delay_alu instid0(VALU_DEP_3) | instskip(NEXT) | instid1(VALU_DEP_2)
	v_dot4_i32_iu8 v58, v224, v15, v58 neg_lo:[1,1,0]
	v_dot4_i32_iu8 v5, v230, v54, v23 neg_lo:[1,1,0]
	v_perm_b32 v23, v25, v2, 0x6050401
	s_delay_alu instid0(VALU_DEP_2) | instskip(NEXT) | instid1(VALU_DEP_2)
	v_dot4_i32_iu8 v5, v7, v24, v5 neg_lo:[1,1,0]
	v_dot4_i32_iu8 v21, v23, v21, 0 neg_lo:[1,1,0]
	v_perm_b32 v23, v1, v0, 0x6040503
	v_perm_b32 v24, v2, v1, 0x7060403
	s_delay_alu instid0(VALU_DEP_4) | instskip(NEXT) | instid1(VALU_DEP_3)
	v_mul_lo_u32 v5, v5, v211
	v_dot4_i32_iu8 v21, v231, v23, v21 neg_lo:[1,1,0]
	s_delay_alu instid0(VALU_DEP_1) | instskip(NEXT) | instid1(VALU_DEP_1)
	v_dot4_i32_iu8 v1, v232, v24, v21 neg_lo:[1,1,0]
	v_dot4_i32_iu8 v1, v3, v22, v1 neg_lo:[1,1,0]
	s_delay_alu instid0(VALU_DEP_1) | instskip(SKIP_1) | instid1(VALU_DEP_1)
	v_mad_co_u64_u32 v[21:22], null, v1, v219, v[5:6]
	v_perm_b32 v6, v0, v2, 0x6050401
	v_dot4_i32_iu8 v0, v6, v49, 0 neg_lo:[1,1,0]
	s_delay_alu instid0(VALU_DEP_3) | instskip(NEXT) | instid1(VALU_DEP_2)
	v_cvt_f32_i32_e32 v1, v21
	v_dot4_i32_iu8 v0, v23, v210, v0 neg_lo:[1,1,0]
	s_wait_dscnt 0x0
	s_delay_alu instid0(VALU_DEP_2) | instskip(SKIP_1) | instid1(VALU_DEP_3)
	v_fma_f32 v5, v28, v1, 0
	v_mul_lo_u32 v1, v58, v221
	v_dot4_i32_iu8 v0, v24, v212, v0 neg_lo:[1,1,0]
	s_delay_alu instid0(VALU_DEP_2) | instskip(NEXT) | instid1(VALU_DEP_2)
	v_mad_co_u64_u32 v[21:22], null, v53, v220, v[1:2]
	v_dot4_i32_iu8 v0, v3, v36, v0 neg_lo:[1,1,0]
	s_delay_alu instid0(VALU_DEP_2) | instskip(NEXT) | instid1(VALU_DEP_1)
	v_cvt_f32_i32_e32 v1, v21
	v_fmac_f32_e32 v5, v29, v1
	s_delay_alu instid0(VALU_DEP_1) | instskip(SKIP_4) | instid1(VALU_DEP_4)
	v_fmac_f32_e32 v73, v63, v5
	v_perm_b32 v5, v12, v14, 0x6040501
	v_perm_b32 v14, v8, v10, 0x6040501
	;; [unrolled: 1-line block ×4, first 2 shown]
	v_dot4_i32_iu8 v1, v5, v233, 0 neg_lo:[1,1,0]
	s_delay_alu instid0(VALU_DEP_1) | instskip(NEXT) | instid1(VALU_DEP_1)
	v_dot4_i32_iu8 v1, v52, v59, v1 neg_lo:[1,1,0]
	v_dot4_i32_iu8 v1, v13, v222, v1 neg_lo:[1,1,0]
	s_delay_alu instid0(VALU_DEP_1) | instskip(SKIP_1) | instid1(VALU_DEP_1)
	v_dot4_i32_iu8 v12, v15, v48, v1 neg_lo:[1,1,0]
	v_dot4_i32_iu8 v1, v14, v60, 0 neg_lo:[1,1,0]
	;; [unrolled: 1-line block ×3, first 2 shown]
	s_delay_alu instid0(VALU_DEP_1) | instskip(NEXT) | instid1(VALU_DEP_1)
	v_dot4_i32_iu8 v1, v9, v223, v1 neg_lo:[1,1,0]
	v_dot4_i32_iu8 v10, v11, v50, v1 neg_lo:[1,1,0]
	;; [unrolled: 1-line block ×3, first 2 shown]
	s_delay_alu instid0(VALU_DEP_1) | instskip(NEXT) | instid1(VALU_DEP_1)
	v_dot4_i32_iu8 v1, v27, v206, v1 neg_lo:[1,1,0]
	v_dot4_i32_iu8 v1, v54, v207, v1 neg_lo:[1,1,0]
	s_delay_alu instid0(VALU_DEP_1) | instskip(NEXT) | instid1(VALU_DEP_1)
	v_dot4_i32_iu8 v1, v7, v38, v1 neg_lo:[1,1,0]
	v_mul_lo_u32 v1, v1, v208
	s_delay_alu instid0(VALU_DEP_1) | instskip(NEXT) | instid1(VALU_DEP_1)
	v_mad_co_u64_u32 v[0:1], null, v0, v213, v[1:2]
	v_cvt_f32_i32_e32 v0, v0
	s_delay_alu instid0(VALU_DEP_1) | instskip(SKIP_1) | instid1(VALU_DEP_1)
	v_fma_f32 v2, v28, v0, 0
	v_mul_lo_u32 v0, v12, v216
	v_mad_co_u64_u32 v[0:1], null, v10, v214, v[0:1]
	v_dot4_i32_iu8 v1, v6, v31, 0 neg_lo:[1,1,0]
	s_delay_alu instid0(VALU_DEP_1) | instskip(NEXT) | instid1(VALU_DEP_3)
	v_dot4_i32_iu8 v1, v23, v201, v1 neg_lo:[1,1,0]
	v_cvt_f32_i32_e32 v0, v0
	s_delay_alu instid0(VALU_DEP_2) | instskip(NEXT) | instid1(VALU_DEP_2)
	v_dot4_i32_iu8 v1, v24, v202, v1 neg_lo:[1,1,0]
	v_fmac_f32_e32 v2, v29, v0
	v_dot4_i32_iu8 v0, v5, v43, 0 neg_lo:[1,1,0]
	s_delay_alu instid0(VALU_DEP_3) | instskip(NEXT) | instid1(VALU_DEP_3)
	v_dot4_i32_iu8 v1, v3, v32, v1 neg_lo:[1,1,0]
	v_fmac_f32_e32 v72, v64, v2
	s_delay_alu instid0(VALU_DEP_3) | instskip(NEXT) | instid1(VALU_DEP_1)
	v_dot4_i32_iu8 v0, v52, v51, v0 neg_lo:[1,1,0]
	v_dot4_i32_iu8 v0, v13, v217, v0 neg_lo:[1,1,0]
	s_delay_alu instid0(VALU_DEP_1) | instskip(SKIP_1) | instid1(VALU_DEP_1)
	v_dot4_i32_iu8 v2, v15, v44, v0 neg_lo:[1,1,0]
	v_dot4_i32_iu8 v0, v14, v45, 0 neg_lo:[1,1,0]
	;; [unrolled: 1-line block ×3, first 2 shown]
	s_delay_alu instid0(VALU_DEP_1) | instskip(NEXT) | instid1(VALU_DEP_1)
	v_dot4_i32_iu8 v0, v9, v218, v0 neg_lo:[1,1,0]
	v_dot4_i32_iu8 v10, v11, v46, v0 neg_lo:[1,1,0]
	;; [unrolled: 1-line block ×3, first 2 shown]
	s_delay_alu instid0(VALU_DEP_1) | instskip(NEXT) | instid1(VALU_DEP_1)
	v_dot4_i32_iu8 v0, v27, v198, v0 neg_lo:[1,1,0]
	v_dot4_i32_iu8 v0, v54, v199, v0 neg_lo:[1,1,0]
	s_delay_alu instid0(VALU_DEP_1) | instskip(NEXT) | instid1(VALU_DEP_1)
	v_dot4_i32_iu8 v0, v7, v34, v0 neg_lo:[1,1,0]
	v_mul_lo_u32 v0, v0, v200
	s_delay_alu instid0(VALU_DEP_1) | instskip(NEXT) | instid1(VALU_DEP_1)
	v_mad_co_u64_u32 v[0:1], null, v1, v203, v[0:1]
	v_cvt_f32_i32_e32 v0, v0
	s_delay_alu instid0(VALU_DEP_1) | instskip(SKIP_1) | instid1(VALU_DEP_1)
	v_fma_f32 v12, v28, v0, 0
	v_mul_lo_u32 v0, v2, v205
	v_mad_co_u64_u32 v[0:1], null, v10, v204, v[0:1]
	s_delay_alu instid0(VALU_DEP_1) | instskip(NEXT) | instid1(VALU_DEP_1)
	v_cvt_f32_i32_e32 v0, v0
	v_fmac_f32_e32 v12, v29, v0
	v_dot4_i32_iu8 v0, v5, v35, 0 neg_lo:[1,1,0]
	s_delay_alu instid0(VALU_DEP_2) | instskip(NEXT) | instid1(VALU_DEP_2)
	v_fmac_f32_e32 v71, v65, v12
	v_dot4_i32_iu8 v0, v52, v37, v0 neg_lo:[1,1,0]
	s_delay_alu instid0(VALU_DEP_1) | instskip(NEXT) | instid1(VALU_DEP_1)
	v_dot4_i32_iu8 v0, v13, v209, v0 neg_lo:[1,1,0]
	v_dot4_i32_iu8 v2, v15, v40, v0 neg_lo:[1,1,0]
	;; [unrolled: 1-line block ×3, first 2 shown]
	s_delay_alu instid0(VALU_DEP_2) | instskip(NEXT) | instid1(VALU_DEP_2)
	v_mul_lo_u32 v2, v2, v68
	v_dot4_i32_iu8 v0, v8, v41, v0 neg_lo:[1,1,0]
	s_delay_alu instid0(VALU_DEP_1) | instskip(NEXT) | instid1(VALU_DEP_1)
	v_dot4_i32_iu8 v0, v9, v215, v0 neg_lo:[1,1,0]
	v_dot4_i32_iu8 v1, v11, v42, v0 neg_lo:[1,1,0]
	;; [unrolled: 1-line block ×4, first 2 shown]
	s_delay_alu instid0(VALU_DEP_2) | instskip(NEXT) | instid1(VALU_DEP_2)
	v_dot4_i32_iu8 v0, v27, v197, v0 neg_lo:[1,1,0]
	v_dot4_i32_iu8 v4, v23, v194, v4 neg_lo:[1,1,0]
	s_delay_alu instid0(VALU_DEP_2) | instskip(NEXT) | instid1(VALU_DEP_2)
	v_dot4_i32_iu8 v0, v54, v196, v0 neg_lo:[1,1,0]
	v_dot4_i32_iu8 v4, v24, v193, v4 neg_lo:[1,1,0]
	s_delay_alu instid0(VALU_DEP_2) | instskip(NEXT) | instid1(VALU_DEP_2)
	v_dot4_i32_iu8 v0, v7, v30, v0 neg_lo:[1,1,0]
	v_dot4_i32_iu8 v3, v3, v20, v4 neg_lo:[1,1,0]
	s_delay_alu instid0(VALU_DEP_2) | instskip(NEXT) | instid1(VALU_DEP_1)
	v_mul_lo_u32 v0, v0, v195
	v_mad_co_u64_u32 v[3:4], null, v3, v69, v[0:1]
	s_delay_alu instid0(VALU_DEP_1) | instskip(SKIP_1) | instid1(VALU_DEP_1)
	v_mad_co_u64_u32 v[1:2], null, v1, v67, v[2:3]
	v_cvt_f32_i32_e32 v0, v3
	v_fma_f32 v0, v28, v0, 0
	s_delay_alu instid0(VALU_DEP_3) | instskip(NEXT) | instid1(VALU_DEP_1)
	v_cvt_f32_i32_e32 v1, v1
	v_fmac_f32_e32 v0, v29, v1
	s_delay_alu instid0(VALU_DEP_1)
	v_fmac_f32_e32 v70, v66, v0
	s_cbranch_scc1 .LBB135_8
; %bb.9:                                ;   in Loop: Header=BB135_5 Depth=1
	s_add_co_i32 s10, s10, 1
	s_wait_loadcnt 0x0
	s_wait_alu 0xfffe
	s_cmp_eq_u32 s10, s15
	s_barrier_signal -1
	s_barrier_wait -1
	global_inv scope:SCOPE_SE
	s_cbranch_scc0 .LBB135_5
; %bb.10:
	s_clause 0x1
	scratch_load_b32 v2, off, off th:TH_LOAD_LU
	scratch_load_b32 v3, off, off offset:4
	v_mov_b32_e32 v1, v83
.LBB135_11:
	s_mov_b32 s0, exec_lo
	s_wait_loadcnt 0x0
	v_cmpx_gt_u32_e64 s4, v3
	s_cbranch_execz .LBB135_62
; %bb.12:
	v_add_nc_u32_e32 v0, s14, v2
	v_mul_lo_u32 v5, v3, s6
	s_delay_alu instid0(VALU_DEP_2)
	v_cmp_gt_u32_e32 vcc_lo, s6, v0
	s_and_saveexec_b32 s1, vcc_lo
	s_cbranch_execz .LBB135_14
; %bb.13:
	s_delay_alu instid0(VALU_DEP_2) | instskip(NEXT) | instid1(VALU_DEP_1)
	v_dual_mov_b32 v3, 0 :: v_dual_add_nc_u32 v2, v0, v5
	v_lshlrev_b64_e32 v[2:3], 2, v[2:3]
	s_wait_kmcnt 0x0
	s_delay_alu instid0(VALU_DEP_1) | instskip(NEXT) | instid1(VALU_DEP_1)
	v_add_co_u32 v2, s0, s8, v2
	v_add_co_ci_u32_e64 v3, null, s9, v3, s0
	global_store_b32 v[2:3], v96, off
.LBB135_14:
	s_or_b32 exec_lo, exec_lo, s1
	v_add_nc_u32_e32 v2, 32, v0
	s_delay_alu instid0(VALU_DEP_1)
	v_cmp_gt_u32_e64 s0, s6, v2
	s_and_saveexec_b32 s2, s0
	s_cbranch_execz .LBB135_16
; %bb.15:
	v_dual_mov_b32 v4, 0 :: v_dual_add_nc_u32 v3, v2, v5
	s_delay_alu instid0(VALU_DEP_1) | instskip(SKIP_1) | instid1(VALU_DEP_1)
	v_lshlrev_b64_e32 v[3:4], 2, v[3:4]
	s_wait_kmcnt 0x0
	v_add_co_u32 v3, s1, s8, v3
	s_wait_alu 0xf1ff
	s_delay_alu instid0(VALU_DEP_2)
	v_add_co_ci_u32_e64 v4, null, s9, v4, s1
	global_store_b32 v[3:4], v126, off
.LBB135_16:
	s_wait_alu 0xfffe
	s_or_b32 exec_lo, exec_lo, s2
	v_add_nc_u32_e32 v3, 64, v0
	s_delay_alu instid0(VALU_DEP_1)
	v_cmp_gt_u32_e64 s1, s6, v3
	s_and_saveexec_b32 s3, s1
	s_cbranch_execz .LBB135_18
; %bb.17:
	v_dual_mov_b32 v7, 0 :: v_dual_add_nc_u32 v6, v3, v5
	s_delay_alu instid0(VALU_DEP_1) | instskip(SKIP_1) | instid1(VALU_DEP_1)
	v_lshlrev_b64_e32 v[6:7], 2, v[6:7]
	s_wait_kmcnt 0x0
	v_add_co_u32 v6, s2, s8, v6
	s_wait_alu 0xf1ff
	s_delay_alu instid0(VALU_DEP_2)
	v_add_co_ci_u32_e64 v7, null, s9, v7, s2
	global_store_b32 v[6:7], v117, off
.LBB135_18:
	s_wait_alu 0xfffe
	;; [unrolled: 18-line block ×3, first 2 shown]
	s_or_b32 exec_lo, exec_lo, s5
	v_add3_u32 v5, v1, s7, 8
	s_delay_alu instid0(VALU_DEP_1)
	v_cmp_gt_u32_e64 s3, s4, v5
	s_and_b32 exec_lo, exec_lo, s3
	s_cbranch_execz .LBB135_62
; %bb.21:
	v_mul_lo_u32 v5, v5, s6
	s_and_saveexec_b32 s5, vcc_lo
	s_cbranch_execnz .LBB135_63
; %bb.22:
	s_wait_alu 0xfffe
	s_or_b32 exec_lo, exec_lo, s5
	s_and_saveexec_b32 s5, s0
	s_cbranch_execnz .LBB135_64
.LBB135_23:
	s_wait_alu 0xfffe
	s_or_b32 exec_lo, exec_lo, s5
	s_and_saveexec_b32 s5, s1
	s_cbranch_execnz .LBB135_65
.LBB135_24:
	s_wait_alu 0xfffe
	s_or_b32 exec_lo, exec_lo, s5
	s_and_saveexec_b32 s5, s2
	s_cbranch_execz .LBB135_26
.LBB135_25:
	v_dual_mov_b32 v6, 0 :: v_dual_add_nc_u32 v5, v5, v4
	s_delay_alu instid0(VALU_DEP_1) | instskip(SKIP_1) | instid1(VALU_DEP_1)
	v_lshlrev_b64_e32 v[5:6], 2, v[5:6]
	s_wait_kmcnt 0x0
	v_add_co_u32 v5, s3, s8, v5
	s_wait_alu 0xf1ff
	s_delay_alu instid0(VALU_DEP_2)
	v_add_co_ci_u32_e64 v6, null, s9, v6, s3
	global_store_b32 v[5:6], v99, off
.LBB135_26:
	s_wait_alu 0xfffe
	s_or_b32 exec_lo, exec_lo, s5
	v_add3_u32 v5, v1, s7, 16
	s_delay_alu instid0(VALU_DEP_1)
	v_cmp_gt_u32_e64 s3, s4, v5
	s_and_b32 exec_lo, exec_lo, s3
	s_cbranch_execz .LBB135_62
; %bb.27:
	v_mul_lo_u32 v5, v5, s6
	s_and_saveexec_b32 s5, vcc_lo
	s_cbranch_execnz .LBB135_66
; %bb.28:
	s_wait_alu 0xfffe
	s_or_b32 exec_lo, exec_lo, s5
	s_and_saveexec_b32 s5, s0
	s_cbranch_execnz .LBB135_67
.LBB135_29:
	s_wait_alu 0xfffe
	s_or_b32 exec_lo, exec_lo, s5
	s_and_saveexec_b32 s5, s1
	s_cbranch_execnz .LBB135_68
.LBB135_30:
	s_wait_alu 0xfffe
	s_or_b32 exec_lo, exec_lo, s5
	s_and_saveexec_b32 s5, s2
	s_cbranch_execz .LBB135_32
.LBB135_31:
	v_dual_mov_b32 v6, 0 :: v_dual_add_nc_u32 v5, v5, v4
	s_delay_alu instid0(VALU_DEP_1) | instskip(SKIP_1) | instid1(VALU_DEP_1)
	v_lshlrev_b64_e32 v[5:6], 2, v[5:6]
	s_wait_kmcnt 0x0
	v_add_co_u32 v5, s3, s8, v5
	s_wait_alu 0xf1ff
	s_delay_alu instid0(VALU_DEP_2)
	v_add_co_ci_u32_e64 v6, null, s9, v6, s3
	global_store_b32 v[5:6], v93, off
.LBB135_32:
	s_wait_alu 0xfffe
	s_or_b32 exec_lo, exec_lo, s5
	v_add3_u32 v5, v1, s7, 24
	s_delay_alu instid0(VALU_DEP_1)
	v_cmp_gt_u32_e64 s3, s4, v5
	s_and_b32 exec_lo, exec_lo, s3
	s_cbranch_execz .LBB135_62
; %bb.33:
	v_mul_lo_u32 v5, v5, s6
	s_and_saveexec_b32 s5, vcc_lo
	s_cbranch_execnz .LBB135_69
; %bb.34:
	s_wait_alu 0xfffe
	s_or_b32 exec_lo, exec_lo, s5
	s_and_saveexec_b32 s5, s0
	s_cbranch_execnz .LBB135_70
.LBB135_35:
	s_wait_alu 0xfffe
	s_or_b32 exec_lo, exec_lo, s5
	s_and_saveexec_b32 s5, s1
	s_cbranch_execnz .LBB135_71
.LBB135_36:
	s_wait_alu 0xfffe
	s_or_b32 exec_lo, exec_lo, s5
	s_and_saveexec_b32 s5, s2
	s_cbranch_execz .LBB135_38
.LBB135_37:
	v_dual_mov_b32 v6, 0 :: v_dual_add_nc_u32 v5, v5, v4
	s_delay_alu instid0(VALU_DEP_1) | instskip(SKIP_1) | instid1(VALU_DEP_1)
	v_lshlrev_b64_e32 v[5:6], 2, v[5:6]
	s_wait_kmcnt 0x0
	v_add_co_u32 v5, s3, s8, v5
	s_wait_alu 0xf1ff
	s_delay_alu instid0(VALU_DEP_2)
	v_add_co_ci_u32_e64 v6, null, s9, v6, s3
	global_store_b32 v[5:6], v88, off
.LBB135_38:
	s_wait_alu 0xfffe
	s_or_b32 exec_lo, exec_lo, s5
	v_add3_u32 v5, v1, s7, 32
	s_delay_alu instid0(VALU_DEP_1)
	v_cmp_gt_u32_e64 s3, s4, v5
	s_and_b32 exec_lo, exec_lo, s3
	s_cbranch_execz .LBB135_62
; %bb.39:
	v_mul_lo_u32 v5, v5, s6
	s_and_saveexec_b32 s5, vcc_lo
	s_cbranch_execnz .LBB135_72
; %bb.40:
	s_wait_alu 0xfffe
	s_or_b32 exec_lo, exec_lo, s5
	s_and_saveexec_b32 s5, s0
	s_cbranch_execnz .LBB135_73
.LBB135_41:
	s_wait_alu 0xfffe
	s_or_b32 exec_lo, exec_lo, s5
	s_and_saveexec_b32 s5, s1
	s_cbranch_execnz .LBB135_74
.LBB135_42:
	s_wait_alu 0xfffe
	s_or_b32 exec_lo, exec_lo, s5
	s_and_saveexec_b32 s5, s2
	s_cbranch_execz .LBB135_44
.LBB135_43:
	v_dual_mov_b32 v6, 0 :: v_dual_add_nc_u32 v5, v5, v4
	s_delay_alu instid0(VALU_DEP_1) | instskip(SKIP_1) | instid1(VALU_DEP_1)
	v_lshlrev_b64_e32 v[5:6], 2, v[5:6]
	s_wait_kmcnt 0x0
	v_add_co_u32 v5, s3, s8, v5
	s_wait_alu 0xf1ff
	s_delay_alu instid0(VALU_DEP_2)
	v_add_co_ci_u32_e64 v6, null, s9, v6, s3
	global_store_b32 v[5:6], v82, off
.LBB135_44:
	s_wait_alu 0xfffe
	s_or_b32 exec_lo, exec_lo, s5
	v_add3_u32 v5, v1, s7, 40
	s_delay_alu instid0(VALU_DEP_1)
	v_cmp_gt_u32_e64 s3, s4, v5
	s_and_b32 exec_lo, exec_lo, s3
	s_cbranch_execz .LBB135_62
; %bb.45:
	v_mul_lo_u32 v5, v5, s6
	s_and_saveexec_b32 s5, vcc_lo
	s_cbranch_execnz .LBB135_75
; %bb.46:
	s_wait_alu 0xfffe
	s_or_b32 exec_lo, exec_lo, s5
	s_and_saveexec_b32 s5, s0
	s_cbranch_execnz .LBB135_76
.LBB135_47:
	s_wait_alu 0xfffe
	s_or_b32 exec_lo, exec_lo, s5
	s_and_saveexec_b32 s5, s1
	s_cbranch_execnz .LBB135_77
.LBB135_48:
	s_wait_alu 0xfffe
	s_or_b32 exec_lo, exec_lo, s5
	s_and_saveexec_b32 s5, s2
	s_cbranch_execz .LBB135_50
.LBB135_49:
	v_dual_mov_b32 v6, 0 :: v_dual_add_nc_u32 v5, v5, v4
	s_delay_alu instid0(VALU_DEP_1) | instskip(SKIP_1) | instid1(VALU_DEP_1)
	v_lshlrev_b64_e32 v[5:6], 2, v[5:6]
	s_wait_kmcnt 0x0
	v_add_co_u32 v5, s3, s8, v5
	s_wait_alu 0xf1ff
	s_delay_alu instid0(VALU_DEP_2)
	v_add_co_ci_u32_e64 v6, null, s9, v6, s3
	global_store_b32 v[5:6], v78, off
.LBB135_50:
	s_wait_alu 0xfffe
	s_or_b32 exec_lo, exec_lo, s5
	v_add3_u32 v5, v1, s7, 48
	s_delay_alu instid0(VALU_DEP_1)
	v_cmp_gt_u32_e64 s3, s4, v5
	s_and_b32 exec_lo, exec_lo, s3
	s_cbranch_execz .LBB135_62
; %bb.51:
	v_mul_lo_u32 v5, v5, s6
	s_and_saveexec_b32 s5, vcc_lo
	s_cbranch_execnz .LBB135_78
; %bb.52:
	s_wait_alu 0xfffe
	s_or_b32 exec_lo, exec_lo, s5
	s_and_saveexec_b32 s5, s0
	s_cbranch_execnz .LBB135_79
.LBB135_53:
	s_wait_alu 0xfffe
	s_or_b32 exec_lo, exec_lo, s5
	s_and_saveexec_b32 s5, s1
	s_cbranch_execnz .LBB135_80
.LBB135_54:
	s_wait_alu 0xfffe
	s_or_b32 exec_lo, exec_lo, s5
	s_and_saveexec_b32 s5, s2
	s_cbranch_execz .LBB135_56
.LBB135_55:
	v_dual_mov_b32 v6, 0 :: v_dual_add_nc_u32 v5, v5, v4
	s_delay_alu instid0(VALU_DEP_1) | instskip(SKIP_1) | instid1(VALU_DEP_1)
	v_lshlrev_b64_e32 v[5:6], 2, v[5:6]
	s_wait_kmcnt 0x0
	v_add_co_u32 v5, s3, s8, v5
	s_wait_alu 0xf1ff
	s_delay_alu instid0(VALU_DEP_2)
	v_add_co_ci_u32_e64 v6, null, s9, v6, s3
	global_store_b32 v[5:6], v74, off
.LBB135_56:
	s_wait_alu 0xfffe
	s_or_b32 exec_lo, exec_lo, s5
	v_add3_u32 v1, v1, s7, 56
	s_delay_alu instid0(VALU_DEP_1)
	v_cmp_gt_u32_e64 s3, s4, v1
	s_and_b32 exec_lo, exec_lo, s3
	s_cbranch_execz .LBB135_62
; %bb.57:
	v_mul_lo_u32 v1, v1, s6
	s_and_saveexec_b32 s3, vcc_lo
	s_cbranch_execnz .LBB135_81
; %bb.58:
	s_wait_alu 0xfffe
	s_or_b32 exec_lo, exec_lo, s3
	s_and_saveexec_b32 s3, s0
	s_cbranch_execnz .LBB135_82
.LBB135_59:
	s_wait_alu 0xfffe
	s_or_b32 exec_lo, exec_lo, s3
	s_and_saveexec_b32 s0, s1
	s_cbranch_execnz .LBB135_83
.LBB135_60:
	s_wait_alu 0xfffe
	s_or_b32 exec_lo, exec_lo, s0
	s_delay_alu instid0(SALU_CYCLE_1)
	s_and_b32 exec_lo, exec_lo, s2
	s_cbranch_execz .LBB135_62
.LBB135_61:
	v_dual_mov_b32 v1, 0 :: v_dual_add_nc_u32 v0, v1, v4
	s_delay_alu instid0(VALU_DEP_1) | instskip(SKIP_1) | instid1(VALU_DEP_1)
	v_lshlrev_b64_e32 v[0:1], 2, v[0:1]
	s_wait_kmcnt 0x0
	v_add_co_u32 v0, vcc_lo, s8, v0
	s_wait_alu 0xfffd
	s_delay_alu instid0(VALU_DEP_2)
	v_add_co_ci_u32_e64 v1, null, s9, v1, vcc_lo
	global_store_b32 v[0:1], v70, off
.LBB135_62:
	s_nop 0
	s_sendmsg sendmsg(MSG_DEALLOC_VGPRS)
	s_endpgm
.LBB135_63:
	s_delay_alu instid0(VALU_DEP_1) | instskip(NEXT) | instid1(VALU_DEP_1)
	v_dual_mov_b32 v7, 0 :: v_dual_add_nc_u32 v6, v5, v0
	v_lshlrev_b64_e32 v[6:7], 2, v[6:7]
	s_wait_kmcnt 0x0
	s_delay_alu instid0(VALU_DEP_1) | instskip(SKIP_1) | instid1(VALU_DEP_2)
	v_add_co_u32 v6, s3, s8, v6
	s_wait_alu 0xf1ff
	v_add_co_ci_u32_e64 v7, null, s9, v7, s3
	global_store_b32 v[6:7], v104, off
	s_wait_alu 0xfffe
	s_or_b32 exec_lo, exec_lo, s5
	s_and_saveexec_b32 s5, s0
	s_cbranch_execz .LBB135_23
.LBB135_64:
	s_delay_alu instid0(VALU_DEP_1) | instskip(NEXT) | instid1(VALU_DEP_1)
	v_dual_mov_b32 v7, 0 :: v_dual_add_nc_u32 v6, v5, v2
	v_lshlrev_b64_e32 v[6:7], 2, v[6:7]
	s_wait_kmcnt 0x0
	s_delay_alu instid0(VALU_DEP_1) | instskip(SKIP_1) | instid1(VALU_DEP_2)
	v_add_co_u32 v6, s3, s8, v6
	s_wait_alu 0xf1ff
	v_add_co_ci_u32_e64 v7, null, s9, v7, s3
	global_store_b32 v[6:7], v103, off
	s_wait_alu 0xfffe
	s_or_b32 exec_lo, exec_lo, s5
	s_and_saveexec_b32 s5, s1
	s_cbranch_execz .LBB135_24
.LBB135_65:
	v_dual_mov_b32 v7, 0 :: v_dual_add_nc_u32 v6, v5, v3
	s_delay_alu instid0(VALU_DEP_1) | instskip(SKIP_1) | instid1(VALU_DEP_1)
	v_lshlrev_b64_e32 v[6:7], 2, v[6:7]
	s_wait_kmcnt 0x0
	v_add_co_u32 v6, s3, s8, v6
	s_wait_alu 0xf1ff
	s_delay_alu instid0(VALU_DEP_2)
	v_add_co_ci_u32_e64 v7, null, s9, v7, s3
	global_store_b32 v[6:7], v101, off
	s_wait_alu 0xfffe
	s_or_b32 exec_lo, exec_lo, s5
	s_and_saveexec_b32 s5, s2
	s_cbranch_execnz .LBB135_25
	s_branch .LBB135_26
.LBB135_66:
	s_delay_alu instid0(VALU_DEP_1) | instskip(NEXT) | instid1(VALU_DEP_1)
	v_dual_mov_b32 v7, 0 :: v_dual_add_nc_u32 v6, v5, v0
	v_lshlrev_b64_e32 v[6:7], 2, v[6:7]
	s_wait_kmcnt 0x0
	s_delay_alu instid0(VALU_DEP_1) | instskip(SKIP_1) | instid1(VALU_DEP_2)
	v_add_co_u32 v6, s3, s8, v6
	s_wait_alu 0xf1ff
	v_add_co_ci_u32_e64 v7, null, s9, v7, s3
	global_store_b32 v[6:7], v97, off
	s_wait_alu 0xfffe
	s_or_b32 exec_lo, exec_lo, s5
	s_and_saveexec_b32 s5, s0
	s_cbranch_execz .LBB135_29
.LBB135_67:
	s_delay_alu instid0(VALU_DEP_1) | instskip(NEXT) | instid1(VALU_DEP_1)
	v_dual_mov_b32 v7, 0 :: v_dual_add_nc_u32 v6, v5, v2
	v_lshlrev_b64_e32 v[6:7], 2, v[6:7]
	s_wait_kmcnt 0x0
	s_delay_alu instid0(VALU_DEP_1) | instskip(SKIP_1) | instid1(VALU_DEP_2)
	v_add_co_u32 v6, s3, s8, v6
	s_wait_alu 0xf1ff
	v_add_co_ci_u32_e64 v7, null, s9, v7, s3
	global_store_b32 v[6:7], v95, off
	s_wait_alu 0xfffe
	s_or_b32 exec_lo, exec_lo, s5
	s_and_saveexec_b32 s5, s1
	s_cbranch_execz .LBB135_30
.LBB135_68:
	v_dual_mov_b32 v7, 0 :: v_dual_add_nc_u32 v6, v5, v3
	s_delay_alu instid0(VALU_DEP_1) | instskip(SKIP_1) | instid1(VALU_DEP_1)
	v_lshlrev_b64_e32 v[6:7], 2, v[6:7]
	s_wait_kmcnt 0x0
	v_add_co_u32 v6, s3, s8, v6
	s_wait_alu 0xf1ff
	s_delay_alu instid0(VALU_DEP_2)
	v_add_co_ci_u32_e64 v7, null, s9, v7, s3
	global_store_b32 v[6:7], v94, off
	s_wait_alu 0xfffe
	s_or_b32 exec_lo, exec_lo, s5
	s_and_saveexec_b32 s5, s2
	s_cbranch_execnz .LBB135_31
	s_branch .LBB135_32
.LBB135_69:
	s_delay_alu instid0(VALU_DEP_1) | instskip(NEXT) | instid1(VALU_DEP_1)
	v_dual_mov_b32 v7, 0 :: v_dual_add_nc_u32 v6, v5, v0
	v_lshlrev_b64_e32 v[6:7], 2, v[6:7]
	s_wait_kmcnt 0x0
	s_delay_alu instid0(VALU_DEP_1) | instskip(SKIP_1) | instid1(VALU_DEP_2)
	v_add_co_u32 v6, s3, s8, v6
	s_wait_alu 0xf1ff
	v_add_co_ci_u32_e64 v7, null, s9, v7, s3
	global_store_b32 v[6:7], v92, off
	s_wait_alu 0xfffe
	s_or_b32 exec_lo, exec_lo, s5
	s_and_saveexec_b32 s5, s0
	s_cbranch_execz .LBB135_35
.LBB135_70:
	s_delay_alu instid0(VALU_DEP_1) | instskip(NEXT) | instid1(VALU_DEP_1)
	v_dual_mov_b32 v7, 0 :: v_dual_add_nc_u32 v6, v5, v2
	v_lshlrev_b64_e32 v[6:7], 2, v[6:7]
	s_wait_kmcnt 0x0
	s_delay_alu instid0(VALU_DEP_1) | instskip(SKIP_1) | instid1(VALU_DEP_2)
	v_add_co_u32 v6, s3, s8, v6
	s_wait_alu 0xf1ff
	v_add_co_ci_u32_e64 v7, null, s9, v7, s3
	global_store_b32 v[6:7], v91, off
	s_wait_alu 0xfffe
	s_or_b32 exec_lo, exec_lo, s5
	s_and_saveexec_b32 s5, s1
	s_cbranch_execz .LBB135_36
.LBB135_71:
	v_dual_mov_b32 v7, 0 :: v_dual_add_nc_u32 v6, v5, v3
	s_delay_alu instid0(VALU_DEP_1) | instskip(SKIP_1) | instid1(VALU_DEP_1)
	v_lshlrev_b64_e32 v[6:7], 2, v[6:7]
	s_wait_kmcnt 0x0
	v_add_co_u32 v6, s3, s8, v6
	s_wait_alu 0xf1ff
	s_delay_alu instid0(VALU_DEP_2)
	v_add_co_ci_u32_e64 v7, null, s9, v7, s3
	global_store_b32 v[6:7], v90, off
	s_wait_alu 0xfffe
	s_or_b32 exec_lo, exec_lo, s5
	s_and_saveexec_b32 s5, s2
	s_cbranch_execnz .LBB135_37
	s_branch .LBB135_38
.LBB135_72:
	s_delay_alu instid0(VALU_DEP_1) | instskip(NEXT) | instid1(VALU_DEP_1)
	v_dual_mov_b32 v7, 0 :: v_dual_add_nc_u32 v6, v5, v0
	v_lshlrev_b64_e32 v[6:7], 2, v[6:7]
	s_wait_kmcnt 0x0
	s_delay_alu instid0(VALU_DEP_1) | instskip(SKIP_1) | instid1(VALU_DEP_2)
	v_add_co_u32 v6, s3, s8, v6
	s_wait_alu 0xf1ff
	v_add_co_ci_u32_e64 v7, null, s9, v7, s3
	global_store_b32 v[6:7], v87, off
	s_wait_alu 0xfffe
	s_or_b32 exec_lo, exec_lo, s5
	s_and_saveexec_b32 s5, s0
	s_cbranch_execz .LBB135_41
.LBB135_73:
	s_delay_alu instid0(VALU_DEP_1) | instskip(NEXT) | instid1(VALU_DEP_1)
	v_dual_mov_b32 v7, 0 :: v_dual_add_nc_u32 v6, v5, v2
	v_lshlrev_b64_e32 v[6:7], 2, v[6:7]
	s_wait_kmcnt 0x0
	s_delay_alu instid0(VALU_DEP_1) | instskip(SKIP_1) | instid1(VALU_DEP_2)
	v_add_co_u32 v6, s3, s8, v6
	s_wait_alu 0xf1ff
	v_add_co_ci_u32_e64 v7, null, s9, v7, s3
	global_store_b32 v[6:7], v86, off
	s_wait_alu 0xfffe
	s_or_b32 exec_lo, exec_lo, s5
	s_and_saveexec_b32 s5, s1
	s_cbranch_execz .LBB135_42
.LBB135_74:
	v_dual_mov_b32 v7, 0 :: v_dual_add_nc_u32 v6, v5, v3
	s_delay_alu instid0(VALU_DEP_1) | instskip(SKIP_1) | instid1(VALU_DEP_1)
	v_lshlrev_b64_e32 v[6:7], 2, v[6:7]
	s_wait_kmcnt 0x0
	v_add_co_u32 v6, s3, s8, v6
	s_wait_alu 0xf1ff
	s_delay_alu instid0(VALU_DEP_2)
	v_add_co_ci_u32_e64 v7, null, s9, v7, s3
	global_store_b32 v[6:7], v85, off
	s_wait_alu 0xfffe
	s_or_b32 exec_lo, exec_lo, s5
	s_and_saveexec_b32 s5, s2
	s_cbranch_execnz .LBB135_43
	s_branch .LBB135_44
.LBB135_75:
	s_delay_alu instid0(VALU_DEP_1) | instskip(NEXT) | instid1(VALU_DEP_1)
	v_dual_mov_b32 v7, 0 :: v_dual_add_nc_u32 v6, v5, v0
	v_lshlrev_b64_e32 v[6:7], 2, v[6:7]
	s_wait_kmcnt 0x0
	s_delay_alu instid0(VALU_DEP_1) | instskip(SKIP_1) | instid1(VALU_DEP_2)
	v_add_co_u32 v6, s3, s8, v6
	s_wait_alu 0xf1ff
	v_add_co_ci_u32_e64 v7, null, s9, v7, s3
	global_store_b32 v[6:7], v81, off
	s_wait_alu 0xfffe
	s_or_b32 exec_lo, exec_lo, s5
	s_and_saveexec_b32 s5, s0
	s_cbranch_execz .LBB135_47
.LBB135_76:
	s_delay_alu instid0(VALU_DEP_1) | instskip(NEXT) | instid1(VALU_DEP_1)
	v_dual_mov_b32 v7, 0 :: v_dual_add_nc_u32 v6, v5, v2
	v_lshlrev_b64_e32 v[6:7], 2, v[6:7]
	s_wait_kmcnt 0x0
	s_delay_alu instid0(VALU_DEP_1) | instskip(SKIP_1) | instid1(VALU_DEP_2)
	v_add_co_u32 v6, s3, s8, v6
	s_wait_alu 0xf1ff
	v_add_co_ci_u32_e64 v7, null, s9, v7, s3
	global_store_b32 v[6:7], v80, off
	s_wait_alu 0xfffe
	s_or_b32 exec_lo, exec_lo, s5
	s_and_saveexec_b32 s5, s1
	s_cbranch_execz .LBB135_48
.LBB135_77:
	v_dual_mov_b32 v7, 0 :: v_dual_add_nc_u32 v6, v5, v3
	s_delay_alu instid0(VALU_DEP_1) | instskip(SKIP_1) | instid1(VALU_DEP_1)
	v_lshlrev_b64_e32 v[6:7], 2, v[6:7]
	s_wait_kmcnt 0x0
	v_add_co_u32 v6, s3, s8, v6
	s_wait_alu 0xf1ff
	s_delay_alu instid0(VALU_DEP_2)
	v_add_co_ci_u32_e64 v7, null, s9, v7, s3
	global_store_b32 v[6:7], v79, off
	s_wait_alu 0xfffe
	s_or_b32 exec_lo, exec_lo, s5
	s_and_saveexec_b32 s5, s2
	s_cbranch_execnz .LBB135_49
	s_branch .LBB135_50
.LBB135_78:
	s_delay_alu instid0(VALU_DEP_1) | instskip(NEXT) | instid1(VALU_DEP_1)
	v_dual_mov_b32 v7, 0 :: v_dual_add_nc_u32 v6, v5, v0
	v_lshlrev_b64_e32 v[6:7], 2, v[6:7]
	s_wait_kmcnt 0x0
	s_delay_alu instid0(VALU_DEP_1) | instskip(SKIP_1) | instid1(VALU_DEP_2)
	v_add_co_u32 v6, s3, s8, v6
	s_wait_alu 0xf1ff
	v_add_co_ci_u32_e64 v7, null, s9, v7, s3
	global_store_b32 v[6:7], v77, off
	s_wait_alu 0xfffe
	s_or_b32 exec_lo, exec_lo, s5
	s_and_saveexec_b32 s5, s0
	s_cbranch_execz .LBB135_53
.LBB135_79:
	s_delay_alu instid0(VALU_DEP_1) | instskip(NEXT) | instid1(VALU_DEP_1)
	v_dual_mov_b32 v7, 0 :: v_dual_add_nc_u32 v6, v5, v2
	v_lshlrev_b64_e32 v[6:7], 2, v[6:7]
	s_wait_kmcnt 0x0
	s_delay_alu instid0(VALU_DEP_1) | instskip(SKIP_1) | instid1(VALU_DEP_2)
	v_add_co_u32 v6, s3, s8, v6
	s_wait_alu 0xf1ff
	v_add_co_ci_u32_e64 v7, null, s9, v7, s3
	global_store_b32 v[6:7], v76, off
	s_wait_alu 0xfffe
	s_or_b32 exec_lo, exec_lo, s5
	s_and_saveexec_b32 s5, s1
	s_cbranch_execz .LBB135_54
.LBB135_80:
	v_dual_mov_b32 v7, 0 :: v_dual_add_nc_u32 v6, v5, v3
	s_delay_alu instid0(VALU_DEP_1) | instskip(SKIP_1) | instid1(VALU_DEP_1)
	v_lshlrev_b64_e32 v[6:7], 2, v[6:7]
	s_wait_kmcnt 0x0
	v_add_co_u32 v6, s3, s8, v6
	s_wait_alu 0xf1ff
	s_delay_alu instid0(VALU_DEP_2)
	v_add_co_ci_u32_e64 v7, null, s9, v7, s3
	global_store_b32 v[6:7], v75, off
	s_wait_alu 0xfffe
	s_or_b32 exec_lo, exec_lo, s5
	s_and_saveexec_b32 s5, s2
	s_cbranch_execnz .LBB135_55
	s_branch .LBB135_56
.LBB135_81:
	s_delay_alu instid0(VALU_DEP_1) | instskip(NEXT) | instid1(VALU_DEP_1)
	v_dual_mov_b32 v6, 0 :: v_dual_add_nc_u32 v5, v1, v0
	v_lshlrev_b64_e32 v[5:6], 2, v[5:6]
	s_wait_kmcnt 0x0
	s_delay_alu instid0(VALU_DEP_1) | instskip(SKIP_1) | instid1(VALU_DEP_2)
	v_add_co_u32 v5, vcc_lo, s8, v5
	s_wait_alu 0xfffd
	v_add_co_ci_u32_e64 v6, null, s9, v6, vcc_lo
	global_store_b32 v[5:6], v73, off
	s_wait_alu 0xfffe
	s_or_b32 exec_lo, exec_lo, s3
	s_and_saveexec_b32 s3, s0
	s_cbranch_execz .LBB135_59
.LBB135_82:
	s_delay_alu instid0(VALU_DEP_1) | instskip(NEXT) | instid1(VALU_DEP_1)
	v_dual_mov_b32 v6, 0 :: v_dual_add_nc_u32 v5, v1, v2
	v_lshlrev_b64_e32 v[5:6], 2, v[5:6]
	s_wait_kmcnt 0x0
	s_delay_alu instid0(VALU_DEP_1) | instskip(SKIP_1) | instid1(VALU_DEP_2)
	v_add_co_u32 v5, vcc_lo, s8, v5
	s_wait_alu 0xfffd
	v_add_co_ci_u32_e64 v6, null, s9, v6, vcc_lo
	global_store_b32 v[5:6], v72, off
	s_wait_alu 0xfffe
	s_or_b32 exec_lo, exec_lo, s3
	s_and_saveexec_b32 s0, s1
	s_cbranch_execz .LBB135_60
.LBB135_83:
	v_dual_mov_b32 v3, 0 :: v_dual_add_nc_u32 v2, v1, v3
	s_delay_alu instid0(VALU_DEP_1) | instskip(SKIP_1) | instid1(VALU_DEP_1)
	v_lshlrev_b64_e32 v[2:3], 2, v[2:3]
	s_wait_kmcnt 0x0
	v_add_co_u32 v2, vcc_lo, s8, v2
	s_wait_alu 0xfffd
	s_delay_alu instid0(VALU_DEP_2) | instskip(SKIP_3) | instid1(SALU_CYCLE_1)
	v_add_co_ci_u32_e64 v3, null, s9, v3, vcc_lo
	global_store_b32 v[2:3], v71, off
	s_wait_alu 0xfffe
	s_or_b32 exec_lo, exec_lo, s0
	s_and_b32 exec_lo, exec_lo, s2
	s_cbranch_execnz .LBB135_61
	s_branch .LBB135_62
	.section	.rodata,"a",@progbits
	.p2align	6, 0x0
	.amdhsa_kernel _ZL12mul_mat_q6_KIfLb0EEvPKvS1_PT_iiiii
		.amdhsa_group_segment_fixed_size 45136
		.amdhsa_private_segment_fixed_size 12
		.amdhsa_kernarg_size 44
		.amdhsa_user_sgpr_count 2
		.amdhsa_user_sgpr_dispatch_ptr 0
		.amdhsa_user_sgpr_queue_ptr 0
		.amdhsa_user_sgpr_kernarg_segment_ptr 1
		.amdhsa_user_sgpr_dispatch_id 0
		.amdhsa_user_sgpr_private_segment_size 0
		.amdhsa_wavefront_size32 1
		.amdhsa_uses_dynamic_stack 0
		.amdhsa_enable_private_segment 1
		.amdhsa_system_sgpr_workgroup_id_x 1
		.amdhsa_system_sgpr_workgroup_id_y 1
		.amdhsa_system_sgpr_workgroup_id_z 0
		.amdhsa_system_sgpr_workgroup_info 0
		.amdhsa_system_vgpr_workitem_id 1
		.amdhsa_next_free_vgpr 256
		.amdhsa_next_free_sgpr 18
		.amdhsa_reserve_vcc 1
		.amdhsa_float_round_mode_32 0
		.amdhsa_float_round_mode_16_64 0
		.amdhsa_float_denorm_mode_32 3
		.amdhsa_float_denorm_mode_16_64 3
		.amdhsa_fp16_overflow 0
		.amdhsa_workgroup_processor_mode 1
		.amdhsa_memory_ordered 1
		.amdhsa_forward_progress 1
		.amdhsa_inst_pref_size 255
		.amdhsa_round_robin_scheduling 0
		.amdhsa_exception_fp_ieee_invalid_op 0
		.amdhsa_exception_fp_denorm_src 0
		.amdhsa_exception_fp_ieee_div_zero 0
		.amdhsa_exception_fp_ieee_overflow 0
		.amdhsa_exception_fp_ieee_underflow 0
		.amdhsa_exception_fp_ieee_inexact 0
		.amdhsa_exception_int_div_zero 0
	.end_amdhsa_kernel
	.section	.text._ZL12mul_mat_q6_KIfLb0EEvPKvS1_PT_iiiii,"axG",@progbits,_ZL12mul_mat_q6_KIfLb0EEvPKvS1_PT_iiiii,comdat
.Lfunc_end135:
	.size	_ZL12mul_mat_q6_KIfLb0EEvPKvS1_PT_iiiii, .Lfunc_end135-_ZL12mul_mat_q6_KIfLb0EEvPKvS1_PT_iiiii
                                        ; -- End function
	.set _ZL12mul_mat_q6_KIfLb0EEvPKvS1_PT_iiiii.num_vgpr, 256
	.set _ZL12mul_mat_q6_KIfLb0EEvPKvS1_PT_iiiii.num_agpr, 0
	.set _ZL12mul_mat_q6_KIfLb0EEvPKvS1_PT_iiiii.numbered_sgpr, 18
	.set _ZL12mul_mat_q6_KIfLb0EEvPKvS1_PT_iiiii.num_named_barrier, 0
	.set _ZL12mul_mat_q6_KIfLb0EEvPKvS1_PT_iiiii.private_seg_size, 12
	.set _ZL12mul_mat_q6_KIfLb0EEvPKvS1_PT_iiiii.uses_vcc, 1
	.set _ZL12mul_mat_q6_KIfLb0EEvPKvS1_PT_iiiii.uses_flat_scratch, 1
	.set _ZL12mul_mat_q6_KIfLb0EEvPKvS1_PT_iiiii.has_dyn_sized_stack, 0
	.set _ZL12mul_mat_q6_KIfLb0EEvPKvS1_PT_iiiii.has_recursion, 0
	.set _ZL12mul_mat_q6_KIfLb0EEvPKvS1_PT_iiiii.has_indirect_call, 0
	.section	.AMDGPU.csdata,"",@progbits
; Kernel info:
; codeLenInByte = 37548
; TotalNumSgprs: 20
; NumVgprs: 256
; ScratchSize: 12
; MemoryBound: 0
; FloatMode: 240
; IeeeMode: 1
; LDSByteSize: 45136 bytes/workgroup (compile time only)
; SGPRBlocks: 0
; VGPRBlocks: 31
; NumSGPRsForWavesPerEU: 20
; NumVGPRsForWavesPerEU: 256
; Occupancy: 4
; WaveLimiterHint : 0
; COMPUTE_PGM_RSRC2:SCRATCH_EN: 1
; COMPUTE_PGM_RSRC2:USER_SGPR: 2
; COMPUTE_PGM_RSRC2:TRAP_HANDLER: 0
; COMPUTE_PGM_RSRC2:TGID_X_EN: 1
; COMPUTE_PGM_RSRC2:TGID_Y_EN: 1
; COMPUTE_PGM_RSRC2:TGID_Z_EN: 0
; COMPUTE_PGM_RSRC2:TIDIG_COMP_CNT: 1
	.section	.text._ZL12mul_mat_q6_KIfLb1EEvPKvS1_PT_iiiii,"axG",@progbits,_ZL12mul_mat_q6_KIfLb1EEvPKvS1_PT_iiiii,comdat
	.globl	_ZL12mul_mat_q6_KIfLb1EEvPKvS1_PT_iiiii ; -- Begin function _ZL12mul_mat_q6_KIfLb1EEvPKvS1_PT_iiiii
	.p2align	8
	.type	_ZL12mul_mat_q6_KIfLb1EEvPKvS1_PT_iiiii,@function
_ZL12mul_mat_q6_KIfLb1EEvPKvS1_PT_iiiii: ; @_ZL12mul_mat_q6_KIfLb1EEvPKvS1_PT_iiiii
; %bb.0:
	s_clause 0x1
	s_load_b128 s[4:7], s[0:1], 0x18
	s_load_b32 s12, s[0:1], 0x28
	v_bfe_u32 v101, v0, 10, 10
	v_and_b32_e32 v43, 0x3ff, v0
	s_lshl_b32 s13, ttmp7, 6
	s_wait_kmcnt 0x0
	s_cmp_gt_i32 s4, 0xff
	s_cbranch_scc1 .LBB136_2
; %bb.1:
	v_bfe_u32 v1, v0, 10, 10
	v_and_b32_e32 v2, 0x3ff, v0
	s_mov_b32 s2, 0
	s_delay_alu instid0(VALU_DEP_2)
	v_add_nc_u32_e32 v3, s13, v1
	s_branch .LBB136_3
.LBB136_2:
	s_mov_b32 s2, -1
                                        ; implicit-def: $vgpr1
                                        ; implicit-def: $vgpr2
                                        ; implicit-def: $vgpr3
.LBB136_3:
	s_load_b64 s[8:9], s[0:1], 0x10
	v_dual_mov_b32 v79, 0 :: v_dual_mov_b32 v98, 0
	v_dual_mov_b32 v83, 0 :: v_dual_mov_b32 v118, 0
	;; [unrolled: 1-line block ×16, first 2 shown]
	s_and_not1_b32 vcc_lo, exec_lo, s2
	s_lshl_b32 s14, ttmp9, 7
	s_cbranch_vccnz .LBB136_11
; %bb.4:
	v_and_b32_e32 v1, 31, v0
	s_ashr_i32 s10, s4, 31
	s_ashr_i32 s11, s7, 31
	s_lshr_b32 s10, s10, 24
	v_dual_mov_b32 v85, 0 :: v_dual_add_nc_u32 v34, 8, v101
	v_dual_mov_b32 v117, 0 :: v_dual_lshlrev_b32 v2, 1, v1
	v_cmp_gt_u32_e32 vcc_lo, 16, v1
	s_add_co_i32 s4, s4, s10
	s_lshr_b32 s10, s11, 27
	s_delay_alu instid0(VALU_DEP_2)
	v_add_nc_u32_e32 v4, 0xe0, v2
	s_ashr_i32 s15, s4, 8
	s_add_co_i32 s4, s7, s10
	s_not_b32 s7, s14
	v_dual_mov_b32 v122, 0 :: v_dual_add_nc_u32 v35, 16, v101
	v_cndmask_b32_e32 v4, v4, v2, vcc_lo
	v_add_nc_u16 v3, v1, -16
	s_add_co_i32 s5, s5, s7
	v_dual_mov_b32 v94, 0 :: v_dual_lshlrev_b32 v103, 2, v1
	s_delay_alu instid0(VALU_DEP_3) | instskip(NEXT) | instid1(VALU_DEP_3)
	v_dual_mov_b32 v97, 0 :: v_dual_and_b32 v4, 0xfe, v4
	v_cndmask_b32_e32 v3, v3, v1, vcc_lo
	v_dual_mov_b32 v81, 0 :: v_dual_add_nc_u32 v36, 24, v101
	s_delay_alu instid0(VALU_DEP_3)
	v_sub_nc_u32_e32 v1, v2, v4
	v_and_b32_e32 v2, 15, v0
	v_min_i32_e32 v4, s5, v101
	v_cmp_lt_u16_e32 vcc_lo, 7, v3
	v_min_i32_e32 v3, s5, v35
	v_dual_mov_b32 v92, 0 :: v_dual_add_nc_u32 v37, 32, v101
	v_add_lshl_u32 v1, v1, v2, 2
	v_mul_lo_u32 v2, v4, s15
	v_dual_mov_b32 v115, 0 :: v_dual_add_nc_u32 v38, 40, v101
	v_dual_mov_b32 v123, 0 :: v_dual_add_nc_u32 v24, s13, v101
	v_dual_mov_b32 v86, 0 :: v_dual_add_nc_u32 v39, 48, v101
	s_add_co_i32 s7, s6, -1
	s_clause 0x1
	scratch_store_b32 off, v2, off
	scratch_store_b32 off, v43, off offset:12
	v_min_i32_e32 v2, s5, v34
	v_lshrrev_b32_e32 v5, 1, v0
	v_dual_mov_b32 v107, 0 :: v_dual_and_b32 v6, 7, v0
	v_dual_mov_b32 v93, 0 :: v_dual_add_nc_u32 v8, 16, v24
	s_delay_alu instid0(VALU_DEP_4)
	v_mad_co_u64_u32 v[89:90], null, 0x104, v4, v[1:2]
	v_mul_lo_u32 v106, v2, s15
	v_mad_co_u64_u32 v[90:91], null, 0x104, v2, v[1:2]
	v_min_i32_e32 v2, s5, v36
	v_mul_lo_u32 v4, v3, s15
	v_and_or_b32 v5, v5, 8, v6
	v_dual_mov_b32 v111, 0 :: v_dual_add_nc_u32 v6, 8, v24
	s_delay_alu instid0(VALU_DEP_4)
	v_mad_co_u64_u32 v[108:109], null, 0x104, v3, v[1:2]
	v_mul_lo_u32 v3, v2, s15
	v_mad_co_u64_u32 v[109:110], null, 0x104, v2, v[1:2]
	s_clause 0x1
	scratch_store_b32 off, v4, off offset:4
	scratch_store_b32 off, v24, off offset:16
	v_min_i32_e32 v2, s5, v38
	v_dual_mov_b32 v95, 0 :: v_dual_add_nc_u32 v10, 24, v24
	v_mov_b32_e32 v87, 0
	scratch_store_b32 off, v3, off offset:8 ; 4-byte Folded Spill
	v_min_i32_e32 v3, s5, v37
	v_mul_lo_u32 v113, v2, s15
	v_dual_mov_b32 v83, 0 :: v_dual_add_nc_u32 v12, 32, v24
	v_dual_mov_b32 v79, 0 :: v_dual_add_nc_u32 v14, 40, v24
	s_delay_alu instid0(VALU_DEP_4)
	v_mad_co_u64_u32 v[20:21], null, 0x104, v3, v[1:2]
	v_mul_lo_u32 v112, v3, s15
	v_min_i32_e32 v3, s5, v39
	v_mad_co_u64_u32 v[21:22], null, 0x104, v2, v[1:2]
	v_add_nc_u32_e32 v2, 64, v101
	v_dual_mov_b32 v99, 0 :: v_dual_add_nc_u32 v40, 56, v101
	s_delay_alu instid0(VALU_DEP_4) | instskip(SKIP_1) | instid1(VALU_DEP_4)
	v_mul_lo_u32 v114, v3, s15
	v_add_nc_u32_e32 v16, 48, v24
	v_mad_co_u64_u32 v[22:23], null, 0x104, v3, v[1:2]
	v_min_i32_e32 v25, s5, v2
	v_cvt_f64_i32_e32 v[2:3], s7
	v_dual_mov_b32 v121, 0 :: v_dual_lshlrev_b32 v104, 2, v5
	v_cvt_f64_u32_e32 v[4:5], v24
	v_cvt_f64_u32_e32 v[6:7], v6
	;; [unrolled: 1-line block ×6, first 2 shown]
	v_min_i32_e32 v18, s5, v40
	v_dual_mov_b32 v82, 0 :: v_dual_add_nc_u32 v19, 0x48, v101
	v_cvt_f64_u32_e32 v[16:17], v16
	v_add_nc_u32_e32 v26, 56, v24
	s_delay_alu instid0(VALU_DEP_4) | instskip(NEXT) | instid1(VALU_DEP_4)
	v_mul_lo_u32 v119, v18, s15
	v_min_i32_e32 v27, s5, v19
	v_add_nc_u32_e32 v28, 0x50, v101
	v_dual_mov_b32 v132, 0 :: v_dual_add_nc_u32 v29, 0x58, v101
	v_add_nc_u32_e32 v30, 0x60, v101
	v_mul_lo_u32 v124, v25, s15
	s_delay_alu instid0(VALU_DEP_4) | instskip(NEXT) | instid1(VALU_DEP_4)
	v_min_i32_e32 v28, s5, v28
	v_min_i32_e32 v29, s5, v29
	v_mul_lo_u32 v125, v27, s15
	v_min_i32_e32 v30, s5, v30
	v_lshlrev_b32_e32 v128, 5, v101
	v_mul_lo_u32 v126, v28, s15
	v_mul_lo_u32 v127, v29, s15
	v_dual_mov_b32 v116, 0 :: v_dual_add_nc_u32 v31, 0x68, v101
	s_delay_alu instid0(VALU_DEP_4)
	v_add_nc_u32_e32 v32, v128, v43
	v_mul_lo_u32 v129, v30, s15
	v_mov_b32_e32 v102, 0
	s_load_b128 s[0:3], s[0:1], 0x0
	s_ashr_i32 s4, s4, 5
	v_lshlrev_b32_e32 v140, 2, v43
	v_bfe_u32 v100, v0, 5, 5
	s_mul_i32 s10, s15, s14
	v_mad_co_u64_u32 v[23:24], null, 0x104, v18, v[1:2]
	v_cvt_f64_u32_e32 v[18:19], v26
	v_min_num_f64_e32 v[4:5], v[4:5], v[2:3]
	v_min_num_f64_e32 v[6:7], v[6:7], v[2:3]
	;; [unrolled: 1-line block ×6, first 2 shown]
	v_mad_co_u64_u32 v[24:25], null, 0x104, v25, v[1:2]
	v_mad_co_u64_u32 v[25:26], null, 0x104, v27, v[1:2]
	v_min_num_f64_e32 v[16:17], v[16:17], v[2:3]
	v_mad_co_u64_u32 v[26:27], null, 0x104, v28, v[1:2]
	v_mad_co_u64_u32 v[27:28], null, 0x104, v29, v[1:2]
	;; [unrolled: 1-line block ×3, first 2 shown]
	v_and_b32_e32 v30, 0x7f, v32
	v_min_i32_e32 v29, s5, v31
	v_add_nc_u32_e32 v31, 0x70, v101
	v_add_nc_u32_e32 v32, 0x78, v101
	v_mov_b32_e32 v96, 0
	v_min_i32_e32 v33, s5, v30
	v_bfe_u32 v30, v0, 2, 8
	v_min_i32_e32 v31, s5, v31
	v_min_i32_e32 v32, s5, v32
	v_mul_lo_u32 v131, v29, s15
	v_mul_lo_u32 v135, v33, s15
	s_ashr_i32 s11, s10, 31
	v_mul_lo_u32 v133, v31, s15
	v_mul_lo_u32 v134, v32, s15
	v_cndmask_b32_e64 v105, 0, 2, vcc_lo
	v_bfe_u32 v153, v0, 3, 7
	v_lshlrev_b32_e32 v158, 5, v34
	v_lshlrev_b32_e32 v159, 5, v35
	;; [unrolled: 1-line block ×4, first 2 shown]
	v_min_num_f64_e32 v[2:3], v[18:19], v[2:3]
	v_cvt_i32_f64_e32 v4, v[4:5]
	v_cvt_i32_f64_e32 v5, v[6:7]
	;; [unrolled: 1-line block ×6, first 2 shown]
	v_lshl_add_u32 v19, v101, 3, v30
	v_ashrrev_i32_e32 v18, 31, v33
	v_lshlrev_b32_e32 v14, 2, v33
	v_lshlrev_b32_e32 v162, 5, v38
	v_cvt_i32_f64_e32 v13, v[16:17]
	v_and_b32_e32 v41, 0x7f, v19
	v_lshrrev_b32_e32 v18, 27, v18
	v_and_b32_e32 v16, 28, v140
	v_or_b32_e32 v17, 0x8200, v103
	v_lshlrev_b32_e32 v163, 5, v39
	v_min_i32_e32 v42, s5, v41
	v_xor_b32_e32 v41, 64, v41
	v_add_nc_u32_e32 v18, v33, v18
	v_lshlrev_b32_e32 v164, 5, v40
	v_mul_u32_u24_e32 v165, 0x104, v43
	v_mul_lo_u32 v138, v42, s15
	v_mov_b32_e32 v130, 0
	v_ashrrev_i32_e32 v18, 5, v18
	v_dual_mov_b32 v91, 0 :: v_dual_mov_b32 v88, 0
	v_mov_b32_e32 v118, 0
	v_mov_b32_e32 v98, 0
	s_delay_alu instid0(VALU_DEP_4)
	v_lshlrev_b32_e32 v8, 2, v18
	v_lshlrev_b32_e32 v18, 2, v100
	s_mul_u64 s[10:11], s[10:11], 0xd2
	v_mov_b32_e32 v120, 0
	s_wait_kmcnt 0x0
	s_add_nc_u64 s[0:1], s[0:1], s[10:11]
	v_add3_u32 v137, v8, v14, 0xae40
	v_and_b32_e32 v8, 63, v19
	v_add3_u32 v154, v18, v140, 0xae40
	v_mov_b32_e32 v84, 0
	v_mad_co_u64_u32 v[29:30], null, 0x104, v29, v[1:2]
	v_mad_co_u64_u32 v[30:31], null, 0x104, v31, v[1:2]
	;; [unrolled: 1-line block ×3, first 2 shown]
	v_cvt_i32_f64_e32 v2, v[2:3]
	v_min_i32_e32 v32, s5, v41
	v_ashrrev_i32_e32 v1, 31, v42
	v_or_b32_e32 v14, s13, v8
	s_wait_alu 0xfffe
	v_mul_lo_u32 v147, s4, v12
	v_add_nc_u32_e32 v12, 64, v43
	v_ashrrev_i32_e32 v6, 31, v32
	v_lshrrev_b32_e32 v1, 29, v1
	v_mul_lo_u32 v146, s4, v11
	v_mul_lo_u32 v148, s4, v13
	v_add_nc_u32_e32 v11, 32, v43
	v_lshrrev_b32_e32 v6, 29, v6
	v_add_nc_u32_e32 v10, v42, v1
	v_and_b32_e32 v1, 3, v0
	v_add_nc_u32_e32 v13, 0x60, v43
	v_min_i32_e32 v14, s7, v14
	v_add_nc_u32_e32 v6, v32, v6
	v_ashrrev_i32_e32 v10, 3, v10
	v_lshlrev_b32_e32 v136, 2, v1
	v_lshrrev_b32_e32 v151, 3, v12
	v_lshrrev_b32_e32 v150, 3, v11
	v_ashrrev_i32_e32 v6, 3, v6
	v_lshlrev_b32_e32 v3, 2, v10
	v_lshl_or_b32 v8, v8, 4, v136
	v_lshrrev_b32_e32 v152, 3, v13
	v_mul_lo_u32 v139, v32, s15
	v_lshlrev_b32_e32 v6, 2, v6
	v_lshlrev_b32_e32 v15, 4, v32
	v_mul_lo_u32 v142, s4, v4
	v_mul_lo_u32 v143, s4, v5
	;; [unrolled: 1-line block ×4, first 2 shown]
	v_add3_u32 v3, v3, v136, 0xa200
	v_lshlrev_b32_e32 v10, 4, v42
	v_add3_u32 v6, v6, v136, 0xa200
	v_add_nc_u32_e32 v141, 0xaa40, v8
	v_lshlrev_b32_e32 v4, 7, v34
	v_lshlrev_b32_e32 v5, 7, v35
	v_mad_co_u64_u32 v[32:33], null, v14, s4, v[1:2]
	v_mul_lo_u32 v149, s4, v2
	s_movk_i32 s4, 0x2080
	v_and_b32_e32 v33, 60, v151
	s_wait_alu 0xfffe
	v_mad_u32_u24 v167, 0x104, v43, s4
	s_movk_i32 s4, 0x4100
	v_dual_mov_b32 v80, 0 :: v_dual_lshlrev_b32 v1, 7, v101
	v_lshlrev_b32_e32 v7, 7, v36
	v_lshlrev_b32_e32 v8, 7, v37
	;; [unrolled: 1-line block ×5, first 2 shown]
	v_and_b32_e32 v19, 60, v150
	v_and_b32_e32 v41, 60, v152
	s_wait_alu 0xfffe
	v_mad_u32_u24 v169, 0x104, v43, s4
	s_movk_i32 s4, 0x6180
	v_add3_u32 v156, v140, v33, 0xae40
	s_wait_alu 0xfffe
	v_mad_u32_u24 v171, 0x104, v43, s4
	v_add_co_u32 v33, s4, s2, v16
	v_add3_u32 v155, v140, v19, 0xae40
	v_add3_u32 v157, v140, v41, 0xae40
	v_lshlrev_b32_e32 v166, 4, v11
	v_lshlrev_b32_e32 v168, 4, v12
	;; [unrolled: 1-line block ×3, first 2 shown]
	s_wait_alu 0xf1ff
	v_add_co_ci_u32_e64 v34, null, s3, 0, s4
	v_add_nc_u32_e32 v172, v3, v10
	v_add_nc_u32_e32 v173, v6, v15
	;; [unrolled: 1-line block ×10, first 2 shown]
	s_mov_b32 s5, 0
	s_wait_alu 0xfffe
	s_mov_b32 s4, s5
.LBB136_5:                              ; =>This Loop Header: Depth=1
                                        ;     Child Loop BB136_6 Depth 2
                                        ;     Child Loop BB136_8 Depth 2
	s_clause 0x2
	scratch_load_b32 v2, off, off
	scratch_load_b32 v6, off, off offset:4
	scratch_load_b32 v14, off, off offset:8
	s_wait_alu 0xfffe
	s_mul_u64 s[10:11], s[4:5], 0xd2
	s_lshl_b32 s7, s4, 3
	s_wait_alu 0xfffe
	s_add_nc_u64 s[10:11], s[0:1], s[10:11]
	s_mov_b32 s16, 0
	s_wait_alu 0xfffe
	v_mad_co_u64_u32 v[0:1], null, 0xd2, v100, s[10:11]
	s_delay_alu instid0(VALU_DEP_1)
	v_mad_co_i64_i32 v[4:5], null, 0xd2, v106, v[0:1]
	v_mad_co_i64_i32 v[16:17], null, 0xd2, v112, v[0:1]
	s_wait_loadcnt 0x2
	v_mad_co_i64_i32 v[2:3], null, 0xd2, v2, v[0:1]
	s_wait_loadcnt 0x1
	;; [unrolled: 2-line block ×3, first 2 shown]
	v_mad_co_i64_i32 v[14:15], null, 0xd2, v14, v[0:1]
	s_delay_alu instid0(VALU_DEP_3) | instskip(SKIP_1) | instid1(VALU_DEP_4)
	v_add_co_u32 v8, vcc_lo, v2, v103
	s_wait_alu 0xfffd
	v_add_co_ci_u32_e64 v9, null, 0, v3, vcc_lo
	v_add_co_u32 v2, vcc_lo, v2, v104
	s_wait_alu 0xfffd
	v_add_co_ci_u32_e64 v3, null, 0, v3, vcc_lo
	;; [unrolled: 3-line block ×9, first 2 shown]
	s_clause 0x8
	global_load_b32 v39, v[8:9], off
	global_load_b32 v40, v[2:3], off offset:128
	global_load_b32 v41, v[10:11], off
	global_load_b32 v42, v[4:5], off offset:128
	;; [unrolled: 2-line block ×4, first 2 shown]
	global_load_b32 v47, v[35:36], off
	v_mad_co_i64_i32 v[2:3], null, 0xd2, v113, v[0:1]
	v_mad_co_i64_i32 v[6:7], null, 0xd2, v114, v[0:1]
	v_add_co_u32 v4, vcc_lo, v16, v104
	s_wait_alu 0xfffd
	v_add_co_ci_u32_e64 v5, null, 0, v17, vcc_lo
	s_delay_alu instid0(VALU_DEP_4)
	v_add_co_u32 v8, vcc_lo, v2, v103
	s_wait_alu 0xfffd
	v_add_co_ci_u32_e64 v9, null, 0, v3, vcc_lo
	v_add_co_u32 v2, vcc_lo, v2, v104
	s_wait_alu 0xfffd
	v_add_co_ci_u32_e64 v3, null, 0, v3, vcc_lo
	;; [unrolled: 3-line block ×4, first 2 shown]
	s_clause 0x4
	global_load_b32 v48, v[4:5], off offset:128
	global_load_b32 v49, v[8:9], off
	global_load_b32 v50, v[2:3], off offset:128
	global_load_b32 v51, v[10:11], off
	global_load_b32 v52, v[6:7], off offset:128
	v_mad_co_i64_i32 v[2:3], null, 0xd2, v119, v[0:1]
	v_mad_co_i64_i32 v[4:5], null, 0xd2, v124, v[0:1]
	;; [unrolled: 1-line block ×4, first 2 shown]
	s_delay_alu instid0(VALU_DEP_4)
	v_add_co_u32 v14, vcc_lo, v2, v103
	s_wait_alu 0xfffd
	v_add_co_ci_u32_e64 v15, null, 0, v3, vcc_lo
	v_add_co_u32 v2, vcc_lo, v2, v104
	s_wait_alu 0xfffd
	v_add_co_ci_u32_e64 v3, null, 0, v3, vcc_lo
	s_clause 0x1
	global_load_b32 v53, v[14:15], off
	global_load_b32 v54, v[2:3], off offset:128
	v_add_co_u32 v16, vcc_lo, v4, v103
	s_wait_alu 0xfffd
	v_add_co_ci_u32_e64 v17, null, 0, v5, vcc_lo
	v_add_co_u32 v4, vcc_lo, v4, v104
	v_mad_co_i64_i32 v[10:11], null, 0xd2, v127, v[0:1]
	s_wait_alu 0xfffd
	v_add_co_ci_u32_e64 v5, null, 0, v5, vcc_lo
	v_add_co_u32 v2, vcc_lo, v6, v103
	s_wait_alu 0xfffd
	v_add_co_ci_u32_e64 v3, null, 0, v7, vcc_lo
	v_add_co_u32 v6, vcc_lo, v6, v104
	v_mad_co_i64_i32 v[12:13], null, 0xd2, v129, v[0:1]
	s_wait_alu 0xfffd
	v_add_co_ci_u32_e64 v7, null, 0, v7, vcc_lo
	v_add_co_u32 v14, vcc_lo, v8, v103
	s_wait_alu 0xfffd
	v_add_co_ci_u32_e64 v15, null, 0, v9, vcc_lo
	v_add_co_u32 v18, vcc_lo, v8, v104
	;; [unrolled: 3-line block ×6, first 2 shown]
	s_wait_alu 0xfffd
	v_add_co_ci_u32_e64 v13, null, 0, v13, vcc_lo
	s_clause 0x9
	global_load_b32 v16, v[16:17], off
	global_load_b32 v17, v[4:5], off offset:128
	global_load_b32 v8, v[2:3], off
	global_load_b32 v9, v[6:7], off offset:128
	;; [unrolled: 2-line block ×5, first 2 shown]
	s_wait_loadcnt 0x19
	v_lshrrev_b32_e32 v11, 4, v39
	s_wait_loadcnt 0x18
	v_ashrrev_i32_e32 v12, v105, v40
	s_wait_loadcnt 0x17
	v_lshrrev_b32_e32 v14, 4, v41
	s_wait_loadcnt 0x16
	v_ashrrev_i32_e32 v15, v105, v42
	;; [unrolled: 4-line block ×4, first 2 shown]
	v_and_b32_e32 v13, 0xf0f0f0f, v41
	s_wait_loadcnt 0x11
	v_lshrrev_b32_e32 v40, 4, v47
	v_and_b32_e32 v10, 0xf0f0f0f, v39
	v_and_b32_e32 v11, 0xf0f0f0f, v11
	;; [unrolled: 1-line block ×9, first 2 shown]
	v_and_or_b32 v11, 0x30303030, v12, v11
	s_wait_loadcnt 0x10
	v_ashrrev_i32_e32 v41, v105, v48
	v_lshlrev_b32_e32 v48, 4, v12
	s_wait_loadcnt 0xe
	v_ashrrev_i32_e32 v44, v105, v50
	v_and_b32_e32 v42, 0xf0f0f0f, v49
	v_lshrrev_b32_e32 v43, 4, v49
	v_lshlrev_b32_e32 v49, 4, v15
	s_wait_loadcnt 0xc
	v_ashrrev_i32_e32 v47, v105, v52
	v_lshlrev_b32_e32 v50, 4, v35
	v_and_b32_e32 v45, 0xf0f0f0f, v51
	v_lshrrev_b32_e32 v46, 4, v51
	v_lshlrev_b32_e32 v51, 4, v38
	v_lshlrev_b32_e32 v52, 4, v41
	;; [unrolled: 1-line block ×3, first 2 shown]
	v_and_or_b32 v10, 0x30303030, v48, v10
	v_and_b32_e32 v43, 0xf0f0f0f, v43
	v_and_or_b32 v12, 0x30303030, v49, v13
	v_and_or_b32 v13, 0x30303030, v15, v14
	v_lshlrev_b32_e32 v56, 4, v47
	v_and_or_b32 v14, 0x30303030, v50, v18
	v_and_or_b32 v15, 0x30303030, v35, v19
	;; [unrolled: 1-line block ×7, first 2 shown]
	v_lshrrev_b32_e32 v40, 16, v10
	v_and_b32_e32 v41, 0x3f00, v10
	v_lshlrev_b16 v10, 8, v10
	v_lshrrev_b32_e32 v42, 16, v11
	v_and_or_b32 v38, 0x30303030, v44, v43
	v_and_b32_e32 v43, 0x3f00, v11
	v_lshlrev_b16 v11, 8, v11
	v_lshrrev_b32_e32 v44, 16, v12
	v_lshrrev_b32_e32 v48, 16, v13
	v_and_or_b32 v39, 0x30303030, v56, v45
	v_and_b32_e32 v45, 0x3f00, v12
	v_lshlrev_b16 v12, 8, v12
	v_lshrrev_b32_e32 v50, 16, v14
	v_lshrrev_b32_e32 v52, 16, v15
	v_and_b32_e32 v49, 0x3f00, v13
	v_lshlrev_b16 v13, 8, v13
	v_lshrrev_b32_e32 v56, 16, v18
	v_lshrrev_b32_e32 v58, 16, v19
	;; [unrolled: 4-line block ×3, first 2 shown]
	v_add_nc_u16 v10, 0xe000, v10
	v_and_b32_e32 v70, 0x3f00, v40
	v_lshlrev_b16 v40, 8, v40
	v_and_b32_e32 v71, 0x3f00, v42
	v_lshlrev_b16 v42, 8, v42
	v_add_nc_u16 v11, 0xe000, v11
	v_and_b32_e32 v72, 0x3f00, v44
	v_lshlrev_b16 v44, 8, v44
	v_and_b32_e32 v73, 0x3f00, v48
	v_lshlrev_b16 v48, 8, v48
	v_and_b32_e32 v55, 0x3f00, v15
	v_lshlrev_b16 v15, 8, v15
	v_add_nc_u16 v12, 0xe000, v12
	v_and_b32_e32 v74, 0x3f00, v50
	v_lshlrev_b16 v50, 8, v50
	v_and_b32_e32 v75, 0x3f00, v52
	v_lshlrev_b16 v52, 8, v52
	v_and_b32_e32 v57, 0x3f00, v18
	v_lshlrev_b16 v18, 8, v18
	v_and_b32_e32 v59, 0x3f00, v19
	v_lshlrev_b16 v19, 8, v19
	v_add_nc_u16 v13, 0xe000, v13
	v_and_b32_e32 v76, 0x3f00, v56
	v_lshlrev_b16 v56, 8, v56
	;; [unrolled: 9-line block ×3, first 2 shown]
	v_and_b32_e32 v182, 0x3f00, v62
	v_lshlrev_b16 v62, 8, v62
	v_lshrrev_b16 v10, 8, v10
	v_add_nc_u16 v40, 0xe000, v40
	v_add_nc_u16 v42, 0xe000, v42
	v_lshrrev_b16 v11, 8, v11
	v_add_nc_u16 v44, 0xe000, v44
	v_add_nc_u16 v48, 0xe000, v48
	v_add_nc_u16 v15, 0xe000, v15
	v_lshrrev_b16 v12, 8, v12
	v_add_nc_u16 v50, 0xe000, v50
	v_add_nc_u16 v52, 0xe000, v52
	v_add_nc_u16 v18, 0xe000, v18
	v_add_nc_u16 v19, 0xe000, v19
	v_lshrrev_b16 v13, 8, v13
	v_add_nc_u16 v56, 0xe000, v56
	;; [unrolled: 5-line block ×3, first 2 shown]
	v_add_nc_u16 v62, 0xe000, v62
	v_or_b32_e32 v10, v41, v10
	v_lshrrev_b16 v40, 8, v40
	v_lshrrev_b16 v41, 8, v42
	v_or_b32_e32 v11, v43, v11
	v_lshrrev_b16 v42, 8, v44
	v_lshrrev_b16 v43, 8, v48
	v_lshrrev_b16 v15, 8, v15
	v_or_b32_e32 v12, v45, v12
	v_lshrrev_b16 v44, 8, v50
	v_lshrrev_b16 v45, 8, v52
	v_lshrrev_b16 v18, 8, v18
	v_lshrrev_b16 v19, 8, v19
	v_or_b32_e32 v13, v49, v13
	v_lshrrev_b16 v48, 8, v56
	;; [unrolled: 5-line block ×3, first 2 shown]
	v_lshrrev_b16 v51, 8, v62
	v_or_b32_e32 v40, v70, v40
	v_or_b32_e32 v41, v71, v41
	;; [unrolled: 1-line block ×15, first 2 shown]
	v_lshrrev_b32_e32 v64, 16, v37
	v_add_nc_u16 v10, 0xe000, v10
	v_add_nc_u16 v11, 0xe000, v11
	;; [unrolled: 1-line block ×12, first 2 shown]
	v_lshrrev_b32_e32 v66, 16, v38
	v_add_nc_u16 v18, 0xe000, v18
	v_add_nc_u16 v19, 0xe000, v19
	;; [unrolled: 1-line block ×8, first 2 shown]
	v_and_b32_e32 v65, 0x3f00, v37
	v_lshlrev_b16 v37, 8, v37
	v_and_b32_e32 v183, 0x3f00, v64
	v_lshlrev_b16 v64, 8, v64
	v_and_b32_e32 v10, 0xffff, v10
	v_and_b32_e32 v11, 0xffff, v11
	v_lshlrev_b32_e32 v40, 16, v40
	v_lshlrev_b32_e32 v41, 16, v41
	v_and_b32_e32 v12, 0xffff, v12
	v_and_b32_e32 v13, 0xffff, v13
	v_lshlrev_b32_e32 v42, 16, v42
	v_lshlrev_b32_e32 v43, 16, v43
	;; [unrolled: 4-line block ×3, first 2 shown]
	v_and_b32_e32 v67, 0x3f00, v38
	v_lshlrev_b16 v38, 8, v38
	v_and_b32_e32 v184, 0x3f00, v66
	v_lshlrev_b16 v66, 8, v66
	v_and_b32_e32 v18, 0xffff, v18
	v_and_b32_e32 v19, 0xffff, v19
	v_lshlrev_b32_e32 v48, 16, v48
	v_lshlrev_b32_e32 v49, 16, v49
	v_and_b32_e32 v35, 0xffff, v35
	v_and_b32_e32 v36, 0xffff, v36
	v_lshlrev_b32_e32 v50, 16, v50
	v_lshlrev_b32_e32 v51, 16, v51
	v_lshrrev_b32_e32 v68, 16, v39
	v_add_nc_u16 v37, 0xe000, v37
	v_add_nc_u16 v64, 0xe000, v64
	v_or_b32_e32 v10, v10, v40
	v_or_b32_e32 v11, v11, v41
	v_or_b32_e32 v12, v12, v42
	v_or_b32_e32 v13, v13, v43
	v_or_b32_e32 v14, v14, v44
	v_or_b32_e32 v15, v15, v45
	v_add_nc_u16 v38, 0xe000, v38
	v_add_nc_u16 v66, 0xe000, v66
	v_or_b32_e32 v18, v18, v48
	v_or_b32_e32 v19, v19, v49
	;; [unrolled: 1-line block ×4, first 2 shown]
	v_lshrrev_b16 v37, 8, v37
	v_lshrrev_b16 v52, 8, v64
	ds_store_2addr_b32 v89, v10, v11 offset1:16
	ds_store_2addr_b32 v90, v12, v13 offset1:16
	;; [unrolled: 1-line block ×5, first 2 shown]
	v_lshlrev_b16 v10, 8, v68
	v_lshrrev_b16 v38, 8, v38
	v_lshrrev_b16 v55, 8, v66
	v_lshlrev_b16 v69, 8, v39
	v_or_b32_e32 v37, v65, v37
	v_or_b32_e32 v52, v183, v52
	v_add_nc_u16 v18, 0xe000, v10
	v_mad_co_i64_i32 v[10:11], null, 0xd2, v131, v[0:1]
	v_or_b32_e32 v38, v67, v38
	v_or_b32_e32 v55, v184, v55
	v_and_b32_e32 v12, 0xf0f0f0f, v46
	v_add_nc_u16 v37, 0xe000, v37
	v_add_nc_u16 v52, 0xe000, v52
	;; [unrolled: 1-line block ×5, first 2 shown]
	v_and_or_b32 v19, 0x30303030, v47, v12
	v_add_co_u32 v12, vcc_lo, v10, v103
	v_and_b32_e32 v37, 0xffff, v37
	v_lshlrev_b32_e32 v52, 16, v52
	v_lshrrev_b16 v36, 8, v13
	s_wait_alu 0xfffd
	v_add_co_ci_u32_e64 v13, null, 0, v11, vcc_lo
	v_add_co_u32 v10, vcc_lo, v10, v104
	s_wait_alu 0xfffd
	v_add_co_ci_u32_e64 v11, null, 0, v11, vcc_lo
	v_and_b32_e32 v38, 0xffff, v38
	v_lshlrev_b32_e32 v55, 16, v55
	v_or_b32_e32 v14, v37, v52
	v_and_b32_e32 v35, 0x3f00, v39
	v_and_b32_e32 v37, 0x3f00, v68
	v_lshrrev_b16 v18, 8, v18
	s_clause 0x1
	global_load_b32 v41, v[12:13], off
	global_load_b32 v42, v[10:11], off offset:128
	v_or_b32_e32 v15, v38, v55
	v_lshlrev_b16 v38, 8, v19
	v_or_b32_e32 v35, v35, v36
	v_or_b32_e32 v18, v37, v18
	v_and_b32_e32 v12, 0x3f00, v19
	ds_store_2addr_b32 v21, v14, v15 offset1:16
	v_add_nc_u16 v36, 0xe000, v38
	v_add_nc_u16 v10, 0xe000, v35
	;; [unrolled: 1-line block ×3, first 2 shown]
	v_lshrrev_b32_e32 v18, 16, v19
	s_wait_loadcnt 0xc
	v_ashrrev_i32_e32 v19, v105, v54
	v_lshrrev_b16 v13, 8, v36
	v_and_b32_e32 v10, 0xffff, v10
	v_lshlrev_b32_e32 v11, 16, v11
	v_and_b32_e32 v35, 0xf0f0f0f, v53
	v_lshlrev_b32_e32 v36, 4, v19
	v_or_b32_e32 v12, v12, v13
	v_lshlrev_b16 v13, 8, v18
	v_or_b32_e32 v14, v10, v11
	v_mad_co_i64_i32 v[10:11], null, 0xd2, v133, v[0:1]
	s_delay_alu instid0(VALU_DEP_4) | instskip(NEXT) | instid1(VALU_DEP_4)
	v_add_nc_u16 v12, 0xe000, v12
	v_add_nc_u16 v13, 0xe000, v13
	v_and_or_b32 v15, 0x30303030, v36, v35
	v_lshrrev_b32_e32 v37, 4, v53
	v_and_b32_e32 v18, 0x3f00, v18
	v_and_b32_e32 v35, 0xffff, v12
	v_add_co_u32 v12, vcc_lo, v10, v103
	v_lshrrev_b16 v36, 8, v13
	s_wait_alu 0xfffd
	v_add_co_ci_u32_e64 v13, null, 0, v11, vcc_lo
	v_add_co_u32 v10, vcc_lo, v10, v104
	s_wait_alu 0xfffd
	v_add_co_ci_u32_e64 v11, null, 0, v11, vcc_lo
	s_clause 0x1
	global_load_b32 v43, v[12:13], off
	global_load_b32 v44, v[10:11], off offset:128
	v_and_b32_e32 v37, 0xf0f0f0f, v37
	v_lshrrev_b32_e32 v38, 16, v15
	v_or_b32_e32 v11, v18, v36
	v_lshlrev_b16 v39, 8, v15
	v_mad_co_i64_i32 v[0:1], null, 0xd2, v134, v[0:1]
	v_and_or_b32 v10, 0x30303030, v19, v37
	v_lshlrev_b16 v40, 8, v38
	v_add_nc_u16 v11, 0xe000, v11
	v_add_nc_u16 v39, 0xe000, v39
	v_and_b32_e32 v19, 0x3f00, v38
	v_lshlrev_b16 v18, 8, v10
	v_add_nc_u16 v13, 0xe000, v40
	v_lshrrev_b32_e32 v36, 16, v10
	v_and_b32_e32 v10, 0x3f00, v10
	v_lshlrev_b32_e32 v11, 16, v11
	v_add_nc_u16 v18, 0xe000, v18
	v_lshrrev_b16 v13, 8, v13
	v_and_b32_e32 v12, 0x3f00, v15
	v_lshrrev_b16 v15, 8, v39
	s_wait_loadcnt 0xc
	v_ashrrev_i32_e32 v17, v105, v17
	v_lshrrev_b16 v18, 8, v18
	v_or_b32_e32 v13, v19, v13
	v_or_b32_e32 v19, v35, v11
	;; [unrolled: 1-line block ×3, first 2 shown]
	v_lshlrev_b16 v15, 8, v36
	v_or_b32_e32 v10, v10, v18
	v_and_b32_e32 v18, 0x3f00, v36
	v_add_nc_u16 v13, 0xe000, v13
	v_add_nc_u16 v12, 0xe000, v12
	;; [unrolled: 1-line block ×4, first 2 shown]
	v_add_co_u32 v10, vcc_lo, v0, v103
	s_wait_alu 0xfffd
	v_add_co_ci_u32_e64 v11, null, 0, v1, vcc_lo
	v_add_co_u32 v0, vcc_lo, v0, v104
	s_wait_alu 0xfffd
	v_add_co_ci_u32_e64 v1, null, 0, v1, vcc_lo
	s_clause 0x1
	global_load_b32 v45, v[10:11], off
	global_load_b32 v46, v[0:1], off offset:128
	v_lshrrev_b16 v15, 8, v15
	v_lshlrev_b32_e32 v36, 4, v17
	v_and_b32_e32 v0, 0xffff, v35
	v_and_b32_e32 v12, 0xffff, v12
	v_lshlrev_b32_e32 v13, 16, v13
	v_or_b32_e32 v15, v18, v15
	v_and_b32_e32 v18, 0xf0f0f0f, v16
	v_lshrrev_b32_e32 v10, 4, v16
	ds_store_2addr_b32 v22, v14, v19 offset1:16
	v_or_b32_e32 v48, v12, v13
	v_add_nc_u16 v15, 0xe000, v15
	v_and_or_b32 v47, 0x30303030, v36, v18
	v_mad_co_i64_i32 v[12:13], null, 0xd2, v139, s[10:11]
	v_and_b32_e32 v14, 0xf0f0f0f, v10
	s_delay_alu instid0(VALU_DEP_4) | instskip(NEXT) | instid1(VALU_DEP_4)
	v_lshlrev_b32_e32 v1, 16, v15
	v_lshlrev_b16 v11, 8, v47
	v_add_nc_u32_e32 v35, s7, v153
	v_add_nc_u32_e32 v77, s7, v32
	v_and_or_b32 v52, 0x30303030, v17, v14
	v_or_b32_e32 v49, v0, v1
	v_mad_co_i64_i32 v[0:1], null, 0xd2, v138, s[10:11]
	v_add_nc_u16 v51, 0xe000, v11
	v_mad_co_i64_i32 v[10:11], null, 0xd2, v135, s[10:11]
	v_add_nc_u32_e32 v14, v35, v142
	v_add_nc_u32_e32 v16, v35, v146
	v_mad_co_u64_u32 v[18:19], null, v77, 36, s[2:3]
	v_add_co_u32 v0, vcc_lo, v0, v136
	s_wait_alu 0xfffd
	v_add_co_ci_u32_e64 v1, null, 0, v1, vcc_lo
	v_add_co_u32 v12, vcc_lo, v12, v136
	s_wait_alu 0xfffd
	v_add_co_ci_u32_e64 v13, null, 0, v13, vcc_lo
	s_clause 0x2
	global_load_u16 v53, v[10:11], off offset:208
	global_load_b32 v54, v[0:1], off offset:192
	global_load_b32 v55, v[12:13], off offset:192
	v_add_nc_u32_e32 v10, v35, v143
	v_add_nc_u32_e32 v12, v35, v144
	v_mad_co_i64_i32 v[0:1], null, v14, 36, v[33:34]
	v_add_nc_u32_e32 v14, v35, v145
	v_add_nc_u32_e32 v36, v35, v147
	v_mad_co_i64_i32 v[10:11], null, v10, 36, v[33:34]
	v_add_nc_u32_e32 v37, v35, v148
	v_mad_co_i64_i32 v[12:13], null, v12, 36, v[33:34]
	;; [unrolled: 2-line block ×3, first 2 shown]
	v_mad_co_i64_i32 v[16:17], null, v16, 36, v[33:34]
	v_mad_co_i64_i32 v[35:36], null, v36, 36, v[33:34]
	;; [unrolled: 1-line block ×4, first 2 shown]
	s_clause 0x8
	global_load_b32 v18, v[18:19], off
	global_load_b32 v0, v[0:1], off offset:4
	global_load_b32 v1, v[10:11], off offset:4
	global_load_b32 v10, v[12:13], off offset:4
	global_load_b32 v11, v[14:15], off offset:4
	global_load_b32 v12, v[16:17], off offset:4
	global_load_b32 v13, v[35:36], off offset:4
	global_load_b32 v14, v[37:38], off offset:4
	global_load_b32 v15, v[39:40], off offset:4
	v_lshrrev_b32_e32 v50, 16, v47
	v_lshrrev_b32_e32 v35, 16, v52
	v_lshlrev_b16 v36, 8, v52
	v_and_b32_e32 v16, 0x3f00, v47
	v_lshrrev_b16 v19, 8, v51
	v_lshlrev_b16 v17, 8, v50
	v_lshlrev_b16 v37, 8, v35
	v_add_nc_u16 v36, 0xe000, v36
	v_and_b32_e32 v38, 0x3f00, v52
	v_or_b32_e32 v16, v16, v19
	v_add_nc_u16 v17, 0xe000, v17
	v_and_b32_e32 v19, 0x3f00, v50
	v_add_nc_u16 v37, 0xe000, v37
	v_lshrrev_b16 v36, 8, v36
	s_wait_loadcnt 0x18
	v_ashrrev_i32_e32 v9, v105, v9
	v_lshrrev_b16 v17, 8, v17
	v_add_nc_u16 v16, 0xe000, v16
	ds_store_2addr_b32 v23, v48, v49 offset1:16
	v_or_b32_e32 v36, v38, v36
	v_lshlrev_b32_e32 v38, 4, v9
	v_or_b32_e32 v17, v19, v17
	v_and_b32_e32 v19, 0x3f00, v35
	v_lshrrev_b16 v35, 8, v37
	v_and_b32_e32 v37, 0xf0f0f0f, v8
	v_lshrrev_b32_e32 v8, 4, v8
	v_add_nc_u16 v17, 0xe000, v17
	v_and_b32_e32 v16, 0xffff, v16
	v_or_b32_e32 v19, v19, v35
	v_add_nc_u16 v35, 0xe000, v36
	v_and_or_b32 v36, 0x30303030, v38, v37
	v_lshlrev_b32_e32 v17, 16, v17
	v_and_b32_e32 v8, 0xf0f0f0f, v8
	v_add_nc_u16 v19, 0xe000, v19
	v_and_b32_e32 v35, 0xffff, v35
	v_lshrrev_b32_e32 v37, 16, v36
	v_lshlrev_b16 v38, 8, v36
	v_or_b32_e32 v16, v16, v17
	v_lshlrev_b32_e32 v19, 16, v19
	v_and_or_b32 v8, 0x30303030, v9, v8
	v_lshlrev_b16 v17, 8, v37
	v_add_nc_u16 v38, 0xe000, v38
	v_and_b32_e32 v9, 0x3f00, v36
	v_or_b32_e32 v19, v35, v19
	v_and_b32_e32 v36, 0x3f00, v37
	v_add_nc_u16 v17, 0xe000, v17
	v_lshrrev_b16 v35, 8, v38
	v_lshrrev_b32_e32 v37, 16, v8
	v_lshlrev_b16 v38, 8, v8
	ds_store_2addr_b32 v24, v16, v19 offset1:16
	v_lshrrev_b16 v17, 8, v17
	s_wait_loadcnt 0x16
	v_ashrrev_i32_e32 v7, v105, v7
	v_lshlrev_b16 v16, 8, v37
	v_add_nc_u16 v19, 0xe000, v38
	v_or_b32_e32 v9, v9, v35
	v_or_b32_e32 v17, v36, v17
	v_and_b32_e32 v8, 0x3f00, v8
	v_add_nc_u16 v16, 0xe000, v16
	v_lshrrev_b16 v19, 8, v19
	v_and_b32_e32 v35, 0x3f00, v37
	v_and_b32_e32 v36, 0xf0f0f0f, v6
	v_lshlrev_b32_e32 v37, 4, v7
	v_lshrrev_b16 v16, 8, v16
	v_or_b32_e32 v8, v8, v19
	v_lshrrev_b32_e32 v6, 4, v6
	v_add_nc_u16 v9, 0xe000, v9
	v_and_or_b32 v19, 0x30303030, v37, v36
	v_or_b32_e32 v16, v35, v16
	v_add_nc_u16 v17, 0xe000, v17
	v_add_nc_u16 v8, 0xe000, v8
	v_and_b32_e32 v6, 0xf0f0f0f, v6
	v_lshlrev_b16 v35, 8, v19
	v_add_nc_u16 v16, 0xe000, v16
	v_lshrrev_b32_e32 v36, 16, v19
	v_and_b32_e32 v9, 0xffff, v9
	v_lshlrev_b32_e32 v17, 16, v17
	v_add_nc_u16 v35, 0xe000, v35
	v_and_b32_e32 v8, 0xffff, v8
	v_lshlrev_b32_e32 v16, 16, v16
	v_and_b32_e32 v19, 0x3f00, v19
	v_lshlrev_b16 v37, 8, v36
	v_lshrrev_b16 v35, 8, v35
	v_and_or_b32 v6, 0x30303030, v7, v6
	v_or_b32_e32 v9, v9, v17
	v_or_b32_e32 v7, v8, v16
	v_add_nc_u16 v8, 0xe000, v37
	v_or_b32_e32 v16, v19, v35
	v_lshrrev_b32_e32 v19, 16, v6
	v_lshlrev_b16 v35, 8, v6
	v_and_b32_e32 v17, 0x3f00, v36
	v_lshrrev_b16 v8, 8, v8
	ds_store_2addr_b32 v25, v9, v7 offset1:16
	v_add_nc_u16 v7, 0xe000, v16
	v_lshlrev_b16 v9, 8, v19
	v_add_nc_u16 v16, 0xe000, v35
	s_wait_loadcnt 0x14
	v_ashrrev_i32_e32 v5, v105, v5
	v_or_b32_e32 v8, v17, v8
	v_and_b32_e32 v6, 0x3f00, v6
	v_add_nc_u16 v9, 0xe000, v9
	v_lshrrev_b16 v16, 8, v16
	v_and_b32_e32 v17, 0x3f00, v19
	v_and_b32_e32 v19, 0xf0f0f0f, v4
	v_lshlrev_b32_e32 v35, 4, v5
	v_lshrrev_b16 v9, 8, v9
	v_or_b32_e32 v6, v6, v16
	v_lshrrev_b32_e32 v4, 4, v4
	v_add_nc_u16 v8, 0xe000, v8
	v_and_or_b32 v16, 0x30303030, v35, v19
	v_or_b32_e32 v9, v17, v9
	v_and_b32_e32 v7, 0xffff, v7
	v_and_b32_e32 v4, 0xf0f0f0f, v4
	v_add_nc_u16 v6, 0xe000, v6
	v_lshlrev_b16 v17, 8, v16
	v_lshlrev_b32_e32 v8, 16, v8
	v_add_nc_u16 v9, 0xe000, v9
	v_lshrrev_b32_e32 v19, 16, v16
	v_and_or_b32 v4, 0x30303030, v5, v4
	v_add_nc_u16 v17, 0xe000, v17
	v_and_b32_e32 v6, 0xffff, v6
	v_lshlrev_b32_e32 v9, 16, v9
	v_and_b32_e32 v16, 0x3f00, v16
	v_lshlrev_b16 v5, 8, v19
	v_lshrrev_b16 v17, 8, v17
	v_or_b32_e32 v7, v7, v8
	v_lshrrev_b32_e32 v8, 16, v4
	v_or_b32_e32 v6, v6, v9
	v_add_nc_u16 v5, 0xe000, v5
	v_or_b32_e32 v9, v16, v17
	v_lshlrev_b16 v16, 8, v4
	v_and_b32_e32 v17, 0x3f00, v19
	v_lshlrev_b16 v19, 8, v8
	s_wait_loadcnt 0x12
	v_ashrrev_i32_e32 v3, v105, v3
	v_lshrrev_b16 v5, 8, v5
	v_add_nc_u16 v16, 0xe000, v16
	v_and_b32_e32 v35, 0xf0f0f0f, v2
	v_add_nc_u16 v19, 0xe000, v19
	v_lshlrev_b32_e32 v36, 4, v3
	v_and_b32_e32 v4, 0x3f00, v4
	v_lshrrev_b16 v16, 8, v16
	v_and_b32_e32 v8, 0x3f00, v8
	v_lshrrev_b16 v19, 8, v19
	v_or_b32_e32 v5, v17, v5
	v_and_or_b32 v17, 0x30303030, v36, v35
	v_or_b32_e32 v4, v4, v16
	v_lshrrev_b32_e32 v2, 4, v2
	v_or_b32_e32 v8, v8, v19
	v_add_nc_u16 v9, 0xe000, v9
	v_lshlrev_b16 v16, 8, v17
	v_add_nc_u16 v4, 0xe000, v4
	v_add_nc_u16 v5, 0xe000, v5
	;; [unrolled: 1-line block ×3, first 2 shown]
	v_and_b32_e32 v19, 0x3f00, v17
	v_add_nc_u16 v16, 0xe000, v16
	v_and_b32_e32 v4, 0xffff, v4
	v_and_b32_e32 v2, 0xf0f0f0f, v2
	v_lshlrev_b32_e32 v8, 16, v8
	v_and_b32_e32 v9, 0xffff, v9
	v_lshrrev_b16 v16, 8, v16
	v_lshlrev_b32_e32 v5, 16, v5
	v_lshrrev_b32_e32 v17, 16, v17
	v_or_b32_e32 v4, v4, v8
	v_and_or_b32 v2, 0x30303030, v3, v2
	v_or_b32_e32 v8, v19, v16
	v_or_b32_e32 v5, v9, v5
	v_lshlrev_b16 v9, 8, v17
	ds_store_2addr_b32 v26, v7, v6 offset1:16
	ds_store_2addr_b32 v27, v5, v4 offset1:16
	v_add_nc_u16 v3, 0xe000, v8
	v_lshlrev_b16 v5, 8, v2
	v_lshrrev_b32_e32 v6, 16, v2
	v_add_nc_u16 v4, 0xe000, v9
	v_and_b32_e32 v7, 0x3f00, v17
	v_and_b32_e32 v2, 0x3f00, v2
	v_add_nc_u16 v5, 0xe000, v5
	s_wait_loadcnt 0x10
	v_ashrrev_i32_e32 v8, v105, v42
	v_lshlrev_b16 v9, 8, v6
	v_and_b32_e32 v16, 0xf0f0f0f, v41
	v_lshrrev_b16 v4, 8, v4
	v_lshrrev_b16 v5, 8, v5
	v_lshlrev_b32_e32 v17, 4, v8
	v_add_nc_u16 v9, 0xe000, v9
	v_and_b32_e32 v3, 0xffff, v3
	v_or_b32_e32 v4, v7, v4
	v_or_b32_e32 v2, v2, v5
	v_and_or_b32 v16, 0x30303030, v17, v16
	v_and_b32_e32 v5, 0x3f00, v6
	v_lshrrev_b16 v6, 8, v9
	v_add_nc_u16 v4, 0xe000, v4
	v_add_nc_u16 v2, 0xe000, v2
	v_lshrrev_b32_e32 v7, 16, v16
	v_lshlrev_b16 v9, 8, v16
	v_or_b32_e32 v5, v5, v6
	v_lshrrev_b32_e32 v17, 4, v41
	v_lshlrev_b32_e32 v4, 16, v4
	v_lshlrev_b16 v6, 8, v7
	v_add_nc_u16 v9, 0xe000, v9
	v_add_nc_u16 v5, 0xe000, v5
	v_and_b32_e32 v2, 0xffff, v2
	v_and_b32_e32 v16, 0x3f00, v16
	v_add_nc_u16 v6, 0xe000, v6
	v_lshrrev_b16 v9, 8, v9
	v_and_b32_e32 v7, 0x3f00, v7
	v_and_b32_e32 v17, 0xf0f0f0f, v17
	v_lshlrev_b32_e32 v5, 16, v5
	v_lshrrev_b16 v6, 8, v6
	v_or_b32_e32 v3, v3, v4
	v_or_b32_e32 v4, v16, v9
	s_mov_b32 s10, -1
	v_or_b32_e32 v2, v2, v5
	v_or_b32_e32 v6, v7, v6
	v_and_or_b32 v7, 0x30303030, v8, v17
	v_add_nc_u16 v4, 0xe000, v4
	s_wait_loadcnt 0xf
	v_and_b32_e32 v9, 0xf0f0f0f, v43
	s_wait_loadcnt 0xe
	v_ashrrev_i32_e32 v5, v105, v44
	v_add_nc_u16 v6, 0xe000, v6
	v_lshlrev_b16 v8, 8, v7
	v_and_b32_e32 v4, 0xffff, v4
	v_lshrrev_b32_e32 v17, 16, v7
	v_lshlrev_b32_e32 v16, 4, v5
	v_lshlrev_b32_e32 v6, 16, v6
	v_add_nc_u16 v8, 0xe000, v8
	v_and_b32_e32 v7, 0x3f00, v7
	v_lshrrev_b32_e32 v19, 4, v43
	v_and_or_b32 v9, 0x30303030, v16, v9
	v_lshlrev_b16 v16, 8, v17
	v_lshrrev_b16 v8, 8, v8
	v_or_b32_e32 v4, v4, v6
	ds_store_2addr_b32 v28, v3, v2 offset1:16
	v_lshlrev_b16 v6, 8, v9
	v_add_nc_u16 v16, 0xe000, v16
	v_or_b32_e32 v7, v7, v8
	v_and_b32_e32 v8, 0x3f00, v17
	v_and_b32_e32 v17, 0xf0f0f0f, v19
	v_add_nc_u16 v6, 0xe000, v6
	v_lshrrev_b32_e32 v19, 16, v9
	v_lshrrev_b16 v16, 8, v16
	v_and_b32_e32 v9, 0x3f00, v9
	v_and_or_b32 v5, 0x30303030, v5, v17
	v_lshrrev_b16 v6, 8, v6
	v_lshlrev_b16 v17, 8, v19
	v_or_b32_e32 v8, v8, v16
	v_add_nc_u16 v7, 0xe000, v7
	s_delay_alu instid0(VALU_DEP_4)
	v_or_b32_e32 v6, v9, v6
	v_lshlrev_b16 v9, 8, v5
	v_add_nc_u16 v16, 0xe000, v17
	v_and_b32_e32 v17, 0x3f00, v19
	v_and_b32_e32 v19, 0x3f00, v5
	v_lshrrev_b32_e32 v5, 16, v5
	v_add_nc_u16 v9, 0xe000, v9
	v_lshrrev_b16 v16, 8, v16
	v_add_nc_u16 v8, 0xe000, v8
	v_add_nc_u16 v6, 0xe000, v6
	v_lshlrev_b16 v37, 8, v5
	v_lshrrev_b16 v9, 8, v9
	v_or_b32_e32 v16, v17, v16
	s_wait_loadcnt 0xc
	v_ashrrev_i32_e32 v17, v105, v46
	v_lshrrev_b32_e32 v35, 4, v45
	v_and_b32_e32 v5, 0x3f00, v5
	v_or_b32_e32 v9, v19, v9
	v_and_b32_e32 v19, 0xf0f0f0f, v45
	v_lshlrev_b32_e32 v36, 4, v17
	v_and_b32_e32 v35, 0xf0f0f0f, v35
	v_add_nc_u16 v16, 0xe000, v16
	v_add_nc_u16 v9, 0xe000, v9
	v_and_b32_e32 v7, 0xffff, v7
	v_and_or_b32 v19, 0x30303030, v36, v19
	v_and_or_b32 v17, 0x30303030, v17, v35
	v_add_nc_u16 v36, 0xe000, v37
	v_lshlrev_b32_e32 v8, 16, v8
	v_and_b32_e32 v6, 0xffff, v6
	v_lshrrev_b32_e32 v35, 16, v19
	v_lshrrev_b32_e32 v38, 16, v17
	v_lshlrev_b16 v37, 8, v19
	v_lshlrev_b16 v40, 8, v17
	v_lshrrev_b16 v36, 8, v36
	v_lshlrev_b16 v39, 8, v35
	v_lshlrev_b16 v41, 8, v38
	v_add_nc_u16 v37, 0xe000, v37
	v_add_nc_u16 v40, 0xe000, v40
	v_and_b32_e32 v19, 0x3f00, v19
	v_add_nc_u16 v39, 0xe000, v39
	v_add_nc_u16 v41, 0xe000, v41
	v_lshrrev_b16 v37, 8, v37
	v_and_b32_e32 v35, 0x3f00, v35
	v_and_b32_e32 v17, 0x3f00, v17
	v_lshrrev_b16 v39, 8, v39
	v_lshrrev_b16 v40, 8, v40
	v_and_b32_e32 v38, 0x3f00, v38
	v_lshrrev_b16 v41, 8, v41
	v_or_b32_e32 v5, v5, v36
	v_or_b32_e32 v19, v19, v37
	;; [unrolled: 1-line block ×5, first 2 shown]
	v_add_nc_u16 v5, 0xe000, v5
	v_add_nc_u16 v19, 0xe000, v19
	;; [unrolled: 1-line block ×5, first 2 shown]
	v_lshlrev_b32_e32 v16, 16, v16
	v_and_b32_e32 v9, 0xffff, v9
	v_lshlrev_b32_e32 v5, 16, v5
	v_and_b32_e32 v19, 0xffff, v19
	v_lshlrev_b32_e32 v35, 16, v35
	v_and_b32_e32 v17, 0xffff, v17
	v_lshlrev_b32_e32 v36, 16, v36
	v_or_b32_e32 v7, v7, v8
	s_wait_loadcnt 0xb
	v_cvt_f32_f16_e32 v2, v53
	v_or_b32_e32 v6, v6, v16
	v_or_b32_e32 v5, v9, v5
	;; [unrolled: 1-line block ×4, first 2 shown]
	ds_store_2addr_b32 v29, v4, v7 offset1:16
	ds_store_2addr_b32 v30, v6, v5 offset1:16
	;; [unrolled: 1-line block ×3, first 2 shown]
	s_wait_loadcnt 0x8
	v_cvt_f32_f16_e32 v3, v18
	ds_store_b32 v137, v2
	ds_store_b32 v172, v54
	;; [unrolled: 1-line block ×3, first 2 shown]
	s_wait_loadcnt 0x6
	ds_store_b32 v175, v1
	s_wait_loadcnt 0x4
	ds_store_b32 v177, v11
	;; [unrolled: 2-line block ×4, first 2 shown]
	ds_store_b32 v174, v0
	ds_store_b32 v176, v10
	;; [unrolled: 1-line block ×5, first 2 shown]
	s_wait_storecnt_dscnt 0x0
	s_barrier_signal -1
	s_barrier_wait -1
	global_inv scope:SCOPE_SE
	ds_load_b32 v78, v154
	ds_load_b32 v187, v155 offset:128
	ds_load_b32 v188, v156 offset:256
	;; [unrolled: 1-line block ×3, first 2 shown]
.LBB136_6:                              ;   Parent Loop BB136_5 Depth=1
                                        ; =>  This Inner Loop Header: Depth=2
	s_wait_alu 0xfffe
	s_lshl_b32 s11, s16, 1
	v_lshlrev_b32_e32 v183, 2, v140
	s_wait_alu 0xfffe
	v_or_b32_e32 v0, s11, v128
	s_lshr_b32 s17, s16, 1
	s_lshl_b32 s16, s16, 3
	s_wait_alu 0xfffe
	s_add_co_i32 s17, s17, 0xa200
	v_lshlrev_b32_e32 v184, 2, v150
	v_lshlrev_b32_e32 v1, 2, v0
	v_lshrrev_b32_e32 v0, 1, v0
	v_lshlrev_b32_e32 v185, 2, v151
	v_lshlrev_b32_e32 v186, 2, v152
	v_add_nc_u32_e32 v69, s16, v171
	ds_load_b128 v[231:234], v1 offset:33280
	ds_load_b128 v[190:193], v1 offset:33296
	;; [unrolled: 1-line block ×4, first 2 shown]
	ds_load_b64 v[16:17], v0 offset:43584
	v_lshlrev_b32_e32 v182, 2, v153
	v_add_nc_u32_e32 v37, s16, v165
	s_and_b32 vcc_lo, exec_lo, s10
	ds_load_2addr_b32 v[39:40], v37 offset0:6 offset1:7
	ds_load_2addr_b32 v[43:44], v37 offset0:4 offset1:5
	s_wait_alu 0xfffe
	v_add3_u32 v0, s17, v182, v183
	ds_load_2addr_b32 v[35:36], v37 offset0:2 offset1:3
	ds_load_2addr_b32 v[41:42], v37 offset1:1
	ds_load_b32 v46, v0
	ds_load_u16 v229, v37 offset:32
	ds_load_b128 v[0:3], v37 offset:34
	ds_load_b64 v[67:68], v37 offset:50
	ds_load_u16 v230, v37 offset:58
	ds_load_b32 v224, v37 offset:60
	s_mov_b32 s10, 0
	s_wait_dscnt 0xe
	v_lshrrev_b16 v5, 8, v232
	s_wait_dscnt 0xd
	v_lshrrev_b16 v4, 8, v191
	s_wait_dscnt 0xc
	v_bfe_i32 v9, v195, 16, 8
	s_wait_dscnt 0xb
	v_bfe_i32 v7, v236, 16, 8
	v_bfe_i32 v48, v237, 16, 8
	v_ashrrev_i32_e32 v50, 24, v236
	v_bfe_i32 v49, v237, 0, 8
	v_bfe_i32 v6, v237, 8, 8
	;; [unrolled: 1-line block ×4, first 2 shown]
	s_wait_dscnt 0x9
	v_bfe_i32 v57, v40, 8, 8
	s_wait_dscnt 0x8
	v_lshrrev_b16 v38, 8, v44
	v_ashrrev_i32_e32 v55, 24, v192
	v_bfe_i32 v56, v192, 16, 8
	s_wait_dscnt 0x3
	v_bfe_i32 v227, v2, 0, 8
	s_wait_dscnt 0x2
	;; [unrolled: 2-line block ×3, first 2 shown]
	v_lshrrev_b16 v51, 8, v230
	v_bfe_i32 v52, v230, 0, 8
	v_bfe_i32 v54, v68, 8, 8
	;; [unrolled: 1-line block ×3, first 2 shown]
	v_mul_i32_i24_e32 v7, v47, v7
	v_ashrrev_i32_e32 v47, 24, v237
	v_bfe_i32 v51, v51, 0, 8
	v_mul_i32_i24_e32 v48, v52, v48
	v_perm_b32 v52, v238, v236, 0xc0c0600
	v_mul_i32_i24_e32 v50, v54, v50
	v_mul_i32_i24_e32 v49, v53, v49
	;; [unrolled: 1-line block ×3, first 2 shown]
	s_wait_dscnt 0x0
	v_perm_b32 v51, v224, v67, 0xc0c0602
	v_ashrrev_i32_e32 v37, 24, v68
	v_bfe_i32 v226, v2, 8, 8
	v_ashrrev_i32_e32 v225, 24, v1
	v_bfe_i32 v53, v193, 8, 8
	v_dot4_i32_iu8 v48, v51, v52, v48 neg_lo:[1,1,0]
	v_perm_b32 v51, v224, v67, 0xc0c0400
	v_perm_b32 v52, v238, v235, 0xc0c0402
	v_bfe_i32 v38, v38, 0, 8
	v_bfe_i32 v54, v193, 0, 8
	;; [unrolled: 1-line block ×3, first 2 shown]
	v_ashrrev_i32_e32 v59, 24, v39
	v_dot4_i32_iu8 v50, v51, v52, v50 neg_lo:[1,1,0]
	v_perm_b32 v51, v224, v67, 0xc0c0703
	v_perm_b32 v52, v238, v236, 0xc0c0701
	v_bfe_i32 v60, v39, 16, 8
	v_mul_i32_i24_e32 v53, v57, v53
	v_add_nc_u32_e32 v48, v50, v48
	v_bfe_i32 v50, v235, 0, 8
	v_dot4_i32_iu8 v47, v51, v52, v47 neg_lo:[1,1,0]
	v_perm_b32 v51, v224, v67, 0xc0c0501
	v_perm_b32 v52, v238, v235, 0xc0c0503
	v_mul_i32_i24_e32 v4, v38, v4
	v_mul_i32_i24_e32 v56, v60, v56
	;; [unrolled: 1-line block ×4, first 2 shown]
	v_dot4_i32_iu8 v49, v51, v52, v49 neg_lo:[1,1,0]
	v_ashrrev_i32_e32 v51, 24, v3
	v_bfe_i32 v52, v3, 16, 8
	v_bfe_i32 v12, v193, 16, 8
	;; [unrolled: 1-line block ×3, first 2 shown]
	v_add_nc_u32_e32 v47, v49, v47
	v_bfe_i32 v49, v235, 8, 8
	v_mul_i32_i24_e32 v50, v52, v50
	v_bfe_i32 v52, v44, 16, 8
	v_bfe_i32 v10, v192, 8, 8
	;; [unrolled: 1-line block ×3, first 2 shown]
	v_mul_i32_i24_e32 v49, v51, v49
	v_mad_i32_i24 v6, v37, v6, v50
	v_bfe_i32 v37, v196, 16, 8
	v_bfe_i32 v50, v1, 8, 8
	;; [unrolled: 1-line block ×3, first 2 shown]
	v_add3_u32 v47, v48, v47, v49
	v_ashrrev_i32_e32 v48, 24, v195
	v_bfe_i32 v49, v1, 16, 8
	v_mul_i32_i24_e32 v37, v227, v37
	v_bfe_i32 v38, v39, 0, 8
	v_add3_u32 v6, v47, v6, v7
	v_bfe_i32 v47, v196, 0, 8
	v_bfe_i32 v7, v1, 0, 8
	v_mul_i32_i24_e32 v48, v50, v48
	v_perm_b32 v50, v197, v195, 0xc0c0600
	v_mul_i32_i24_e32 v12, v57, v12
	v_mul_i32_i24_e32 v47, v49, v47
	v_perm_b32 v49, v3, v0, 0xc0c0402
	v_mul_i32_i24_e32 v7, v7, v9
	v_ashrrev_i32_e32 v9, 24, v196
	v_ashrrev_i32_e32 v13, 24, v193
	v_lshrrev_b16 v45, 8, v42
	v_dot4_i32_iu8 v37, v49, v50, v37 neg_lo:[1,1,0]
	v_perm_b32 v49, v2, v0, 0xc0c0600
	v_perm_b32 v50, v197, v194, 0xc0c0402
	v_mul_i32_i24_e32 v9, v226, v9
	v_ashrrev_i32_e32 v57, 24, v40
	v_bfe_i32 v5, v5, 0, 8
	v_bfe_i32 v45, v45, 0, 8
	v_dot4_i32_iu8 v48, v49, v50, v48 neg_lo:[1,1,0]
	v_perm_b32 v49, v3, v0, 0xc0c0503
	v_perm_b32 v50, v197, v195, 0xc0c0701
	v_mul_i32_i24_e32 v13, v57, v13
	v_mul_i32_i24_e32 v5, v45, v5
	v_add_nc_u32_e32 v37, v48, v37
	v_bfe_i32 v48, v194, 0, 8
	v_dot4_i32_iu8 v9, v49, v50, v9 neg_lo:[1,1,0]
	v_perm_b32 v49, v2, v0, 0xc0c0701
	v_perm_b32 v50, v197, v194, 0xc0c0503
	v_bfe_i32 v18, v234, 16, 8
	v_bfe_i32 v14, v233, 8, 8
	;; [unrolled: 1-line block ×4, first 2 shown]
	v_dot4_i32_iu8 v47, v49, v50, v47 neg_lo:[1,1,0]
	v_lshrrev_b16 v49, 8, v229
	v_ashrrev_i32_e32 v50, 24, v44
	v_ashrrev_i32_e32 v19, 24, v234
	v_bfe_i32 v209, v46, 8, 8
	v_add_nc_u32_e32 v9, v47, v9
	v_bfe_i32 v47, v194, 8, 8
	v_bfe_i32 v228, v49, 0, 8
	;; [unrolled: 1-line block ×5, first 2 shown]
	v_ashrrev_i32_e32 v221, 24, v46
	v_mul_i32_i24_e32 v47, v228, v47
	v_mul_i32_i24_e32 v48, v49, v48
	v_bfe_i32 v49, v191, 16, 8
	v_perm_b32 v239, v191, v190, 0x6040503
	v_perm_b32 v240, v232, v231, 0x6040503
	v_add3_u32 v9, v37, v9, v47
	v_mad_i32_i24 v8, v225, v8, v48
	v_ashrrev_i32_e32 v47, 24, v43
	v_bfe_i32 v37, v190, 16, 8
	v_bfe_i32 v48, v43, 16, 8
	v_mad_i32_i24 v49, v52, v49, v54
	v_add3_u32 v7, v9, v8, v7
	v_ashrrev_i32_e32 v9, 24, v190
	v_bfe_i32 v8, v39, 8, 8
	v_mul_i32_i24_e32 v37, v48, v37
	v_bfe_i32 v48, v191, 0, 8
	v_bfe_i32 v52, v36, 8, 8
	v_mul_i32_i24_e32 v9, v47, v9
	v_ashrrev_i32_e32 v47, 24, v191
	v_ashrrev_i32_e32 v54, 24, v35
	v_mad_i32_i24 v48, v51, v48, v56
	v_bfe_i32 v51, v233, 16, 8
	v_perm_b32 v191, v192, v191, 0x7060403
	v_mad_i32_i24 v47, v50, v47, v53
	v_bfe_i32 v50, v43, 0, 8
	v_bfe_i32 v53, v36, 0, 8
	s_delay_alu instid0(VALU_DEP_3) | instskip(SKIP_2) | instid1(VALU_DEP_3)
	v_add3_u32 v4, v4, v55, v47
	v_bfe_i32 v47, v190, 8, 8
	v_bfe_i32 v55, v35, 16, 8
	v_add3_u32 v4, v48, v49, v4
	v_bfe_i32 v49, v43, 8, 8
	v_bfe_i32 v48, v190, 0, 8
	s_delay_alu instid0(VALU_DEP_4) | instskip(NEXT) | instid1(VALU_DEP_3)
	v_mul_i32_i24_e32 v51, v55, v51
	v_mul_i32_i24_e32 v47, v49, v47
	s_delay_alu instid0(VALU_DEP_3) | instskip(SKIP_2) | instid1(VALU_DEP_4)
	v_mul_i32_i24_e32 v48, v50, v48
	v_bfe_i32 v49, v234, 0, 8
	v_ashrrev_i32_e32 v50, 24, v233
	v_mad_i32_i24 v8, v8, v10, v47
	v_mad_i32_i24 v10, v38, v11, v12
	v_ashrrev_i32_e32 v11, 24, v41
	v_bfe_i32 v12, v41, 16, 8
	v_bfe_i32 v38, v42, 0, 8
	v_add3_u32 v4, v4, v48, v8
	v_add3_u32 v8, v37, v9, v10
	v_ashrrev_i32_e32 v9, 24, v231
	v_bfe_i32 v48, v234, 8, 8
	v_bfe_i32 v10, v231, 16, 8
	v_ashrrev_i32_e32 v37, 24, v42
	v_add3_u32 v4, v4, v8, v13
	v_mul_i32_i24_e32 v9, v11, v9
	v_ashrrev_i32_e32 v11, 24, v232
	v_mul_i32_i24_e32 v48, v52, v48
	v_mul_i32_i24_e32 v10, v12, v10
	v_bfe_i32 v12, v232, 0, 8
	v_bfe_i32 v13, v232, 16, 8
	;; [unrolled: 1-line block ×3, first 2 shown]
	v_mul_i32_i24_e32 v50, v54, v50
	v_mul_i32_i24_e32 v49, v53, v49
	v_mad_i32_i24 v11, v37, v11, v48
	v_mad_i32_i24 v12, v38, v12, v51
	v_bfe_i32 v52, v36, 16, 8
	v_bfe_i32 v8, v35, 8, 8
	v_mad_i32_i24 v13, v47, v13, v49
	v_add3_u32 v5, v5, v50, v11
	v_bfe_i32 v11, v231, 8, 8
	v_mul_i32_i24_e32 v18, v52, v18
	v_bfe_i32 v37, v41, 0, 8
	v_ashrrev_i32_e32 v52, 24, v36
	v_add3_u32 v5, v12, v13, v5
	v_bfe_i32 v13, v41, 8, 8
	v_bfe_i32 v12, v231, 0, 8
	v_mul_lo_u32 v4, v4, v209
	v_mul_i32_i24_e32 v19, v52, v19
	v_perm_b32 v232, v233, v232, 0x7060403
	v_mul_i32_i24_e32 v11, v13, v11
	v_mul_i32_i24_e32 v12, v37, v12
	s_delay_alu instid0(VALU_DEP_2) | instskip(SKIP_2) | instid1(VALU_DEP_3)
	v_mad_i32_i24 v8, v8, v14, v11
	v_mad_i32_i24 v11, v45, v15, v18
	v_perm_b32 v18, v237, v236, 0x7060403
	v_add3_u32 v5, v5, v12, v8
	s_delay_alu instid0(VALU_DEP_3) | instskip(NEXT) | instid1(VALU_DEP_1)
	v_add3_u32 v8, v10, v9, v11
	v_add3_u32 v5, v5, v8, v19
	v_perm_b32 v19, v196, v195, 0x7060403
	s_delay_alu instid0(VALU_DEP_2) | instskip(NEXT) | instid1(VALU_DEP_1)
	v_mad_co_u64_u32 v[4:5], null, v5, v219, v[4:5]
	v_cvt_f32_i32_e32 v4, v4
	s_delay_alu instid0(VALU_DEP_1) | instskip(SKIP_1) | instid1(VALU_DEP_1)
	v_fma_f32 v8, v16, v4, 0
	v_mul_lo_u32 v4, v7, v220
	v_mad_co_u64_u32 v[4:5], null, v6, v221, v[4:5]
	v_add_nc_u32_e32 v5, s16, v167
	s_delay_alu instid0(VALU_DEP_2) | instskip(NEXT) | instid1(VALU_DEP_1)
	v_cvt_f32_i32_e32 v4, v4
	v_fmac_f32_e32 v8, v17, v4
	v_add3_u32 v4, s17, v184, v166
	s_delay_alu instid0(VALU_DEP_2)
	v_fmac_f32_e32 v94, v78, v8
	ds_load_2addr_b32 v[53:54], v5 offset0:6 offset1:7
	ds_load_2addr_b32 v[10:11], v5 offset0:4 offset1:5
	;; [unrolled: 1-line block ×3, first 2 shown]
	ds_load_2addr_b32 v[6:7], v5 offset1:1
	ds_load_b32 v8, v4
	ds_load_2addr_b32 v[63:64], v5 offset0:14 offset1:15
	ds_load_2addr_b32 v[73:74], v5 offset0:12 offset1:13
	;; [unrolled: 1-line block ×4, first 2 shown]
	s_wait_dscnt 0x7
	v_perm_b32 v206, v11, v10, 0x6040503
	v_perm_b32 v207, v53, v11, 0x7060403
	s_wait_dscnt 0x6
	v_perm_b32 v11, v231, v51, 0x6050401
	s_wait_dscnt 0x5
	;; [unrolled: 2-line block ×4, first 2 shown]
	v_perm_b32 v4, v73, v237, 0x6040501
	v_perm_b32 v12, v74, v235, 0x6040503
	;; [unrolled: 1-line block ×3, first 2 shown]
	s_wait_dscnt 0x1
	v_perm_b32 v5, v194, v65, 0x6040501
	s_wait_dscnt 0x0
	v_perm_b32 v223, v65, v76, 0x7060403
	v_dot4_i32_iu8 v4, v9, v4, 0 neg_lo:[1,1,0]
	v_perm_b32 v9, v236, v73, 0x6040503
	v_perm_b32 v212, v51, v7, 0x7060403
	v_bfe_i32 v208, v8, 8, 8
	v_bfe_i32 v213, v8, 0, 8
	;; [unrolled: 1-line block ×3, first 2 shown]
	v_dot4_i32_iu8 v4, v12, v9, v4 neg_lo:[1,1,0]
	v_perm_b32 v12, v76, v194, 0x6040503
	v_ashrrev_i32_e32 v215, 24, v8
	s_delay_alu instid0(VALU_DEP_3) | instskip(NEXT) | instid1(VALU_DEP_1)
	v_dot4_i32_iu8 v4, v18, v222, v4 neg_lo:[1,1,0]
	v_dot4_i32_iu8 v9, v238, v64, v4 neg_lo:[1,1,0]
	v_perm_b32 v4, v75, v196, 0x6040501
	s_delay_alu instid0(VALU_DEP_1) | instskip(SKIP_1) | instid1(VALU_DEP_1)
	v_dot4_i32_iu8 v4, v5, v4, 0 neg_lo:[1,1,0]
	v_perm_b32 v5, v195, v75, 0x6040503
	v_dot4_i32_iu8 v4, v12, v5, v4 neg_lo:[1,1,0]
	v_perm_b32 v5, v190, v53, 0x6050401
	s_delay_alu instid0(VALU_DEP_2) | instskip(NEXT) | instid1(VALU_DEP_1)
	v_dot4_i32_iu8 v4, v19, v223, v4 neg_lo:[1,1,0]
	v_dot4_i32_iu8 v12, v197, v66, v4 neg_lo:[1,1,0]
	v_perm_b32 v4, v10, v192, 0x6050401
	s_delay_alu instid0(VALU_DEP_1) | instskip(SKIP_1) | instid1(VALU_DEP_2)
	v_dot4_i32_iu8 v4, v5, v4, 0 neg_lo:[1,1,0]
	v_perm_b32 v5, v6, v233, 0x6050401
	v_dot4_i32_iu8 v4, v239, v206, v4 neg_lo:[1,1,0]
	s_delay_alu instid0(VALU_DEP_2) | instskip(NEXT) | instid1(VALU_DEP_2)
	v_dot4_i32_iu8 v5, v11, v5, 0 neg_lo:[1,1,0]
	v_dot4_i32_iu8 v4, v191, v207, v4 neg_lo:[1,1,0]
	s_delay_alu instid0(VALU_DEP_2) | instskip(NEXT) | instid1(VALU_DEP_2)
	v_dot4_i32_iu8 v5, v240, v210, v5 neg_lo:[1,1,0]
	;; [unrolled: 3-line block ×3, first 2 shown]
	v_mul_lo_u32 v4, v4, v208
	s_delay_alu instid0(VALU_DEP_2) | instskip(NEXT) | instid1(VALU_DEP_1)
	v_dot4_i32_iu8 v5, v52, v234, v5 neg_lo:[1,1,0]
	v_mad_co_u64_u32 v[4:5], null, v5, v213, v[4:5]
	s_delay_alu instid0(VALU_DEP_1) | instskip(NEXT) | instid1(VALU_DEP_1)
	v_cvt_f32_i32_e32 v4, v4
	v_fma_f32 v7, v16, v4, 0
	v_mul_lo_u32 v4, v12, v214
	s_delay_alu instid0(VALU_DEP_1) | instskip(SKIP_2) | instid1(VALU_DEP_2)
	v_mad_co_u64_u32 v[4:5], null, v9, v215, v[4:5]
	v_add_nc_u32_e32 v5, s16, v169
	s_mov_b32 s16, 8
	v_cvt_f32_i32_e32 v4, v4
	s_delay_alu instid0(VALU_DEP_1) | instskip(SKIP_1) | instid1(VALU_DEP_2)
	v_fmac_f32_e32 v7, v17, v4
	v_add3_u32 v4, s17, v185, v168
	v_fmac_f32_e32 v132, v187, v7
	ds_load_2addr_b32 v[49:50], v5 offset0:6 offset1:7
	ds_load_2addr_b32 v[11:12], v5 offset0:4 offset1:5
	;; [unrolled: 1-line block ×3, first 2 shown]
	ds_load_2addr_b32 v[7:8], v5 offset1:1
	ds_load_b32 v9, v4
	ds_load_2addr_b32 v[59:60], v5 offset0:14 offset1:15
	ds_load_2addr_b32 v[14:15], v5 offset0:12 offset1:13
	;; [unrolled: 1-line block ×4, first 2 shown]
	s_wait_dscnt 0x7
	v_perm_b32 v198, v12, v11, 0x6040503
	v_perm_b32 v199, v49, v12, 0x7060403
	s_wait_dscnt 0x6
	v_perm_b32 v12, v231, v47, 0x6050401
	s_wait_dscnt 0x5
	;; [unrolled: 2-line block ×4, first 2 shown]
	v_perm_b32 v4, v14, v237, 0x6040501
	v_perm_b32 v37, v15, v235, 0x6040503
	;; [unrolled: 1-line block ×3, first 2 shown]
	s_wait_dscnt 0x1
	v_perm_b32 v5, v194, v61, 0x6040501
	s_wait_dscnt 0x0
	v_perm_b32 v218, v61, v72, 0x7060403
	v_dot4_i32_iu8 v4, v13, v4, 0 neg_lo:[1,1,0]
	v_perm_b32 v13, v236, v14, 0x6040503
	v_perm_b32 v202, v47, v8, 0x7060403
	v_bfe_i32 v200, v9, 8, 8
	v_bfe_i32 v203, v9, 0, 8
	;; [unrolled: 1-line block ×3, first 2 shown]
	v_dot4_i32_iu8 v4, v37, v13, v4 neg_lo:[1,1,0]
	v_perm_b32 v37, v72, v194, 0x6040503
	v_ashrrev_i32_e32 v205, 24, v9
	v_perm_b32 v59, v14, v59, 0x6040501
	v_perm_b32 v61, v71, v61, 0x6040501
	v_dot4_i32_iu8 v4, v18, v217, v4 neg_lo:[1,1,0]
	v_perm_b32 v47, v7, v47, 0x6050401
	s_delay_alu instid0(VALU_DEP_2) | instskip(SKIP_1) | instid1(VALU_DEP_1)
	v_dot4_i32_iu8 v13, v238, v60, v4 neg_lo:[1,1,0]
	v_perm_b32 v4, v71, v196, 0x6040501
	v_dot4_i32_iu8 v4, v5, v4, 0 neg_lo:[1,1,0]
	v_perm_b32 v5, v195, v71, 0x6040503
	v_perm_b32 v71, v72, v71, 0x6040503
	s_delay_alu instid0(VALU_DEP_2) | instskip(SKIP_2) | instid1(VALU_DEP_3)
	v_dot4_i32_iu8 v4, v37, v5, v4 neg_lo:[1,1,0]
	v_perm_b32 v5, v190, v49, 0x6050401
	v_perm_b32 v49, v11, v49, 0x6050401
	v_dot4_i32_iu8 v4, v19, v218, v4 neg_lo:[1,1,0]
	s_delay_alu instid0(VALU_DEP_1) | instskip(SKIP_1) | instid1(VALU_DEP_1)
	v_dot4_i32_iu8 v37, v197, v62, v4 neg_lo:[1,1,0]
	v_perm_b32 v4, v11, v192, 0x6050401
	v_dot4_i32_iu8 v4, v5, v4, 0 neg_lo:[1,1,0]
	v_perm_b32 v5, v7, v233, 0x6050401
	s_delay_alu instid0(VALU_DEP_2) | instskip(NEXT) | instid1(VALU_DEP_2)
	v_dot4_i32_iu8 v4, v239, v198, v4 neg_lo:[1,1,0]
	v_dot4_i32_iu8 v5, v12, v5, 0 neg_lo:[1,1,0]
	v_add3_u32 v12, s17, v186, v170
	s_delay_alu instid0(VALU_DEP_3) | instskip(NEXT) | instid1(VALU_DEP_3)
	v_dot4_i32_iu8 v4, v191, v199, v4 neg_lo:[1,1,0]
	v_dot4_i32_iu8 v5, v240, v201, v5 neg_lo:[1,1,0]
	s_delay_alu instid0(VALU_DEP_2) | instskip(NEXT) | instid1(VALU_DEP_2)
	v_dot4_i32_iu8 v4, v50, v193, v4 neg_lo:[1,1,0]
	v_dot4_i32_iu8 v5, v232, v202, v5 neg_lo:[1,1,0]
	s_delay_alu instid0(VALU_DEP_2) | instskip(NEXT) | instid1(VALU_DEP_2)
	v_mul_lo_u32 v4, v4, v200
	v_dot4_i32_iu8 v5, v48, v234, v5 neg_lo:[1,1,0]
	s_delay_alu instid0(VALU_DEP_1) | instskip(NEXT) | instid1(VALU_DEP_1)
	v_mad_co_u64_u32 v[4:5], null, v5, v203, v[4:5]
	v_cvt_f32_i32_e32 v4, v4
	s_delay_alu instid0(VALU_DEP_1) | instskip(SKIP_1) | instid1(VALU_DEP_1)
	v_fma_f32 v8, v16, v4, 0
	v_mul_lo_u32 v4, v37, v204
	v_mad_co_u64_u32 v[4:5], null, v13, v205, v[4:5]
	s_delay_alu instid0(VALU_DEP_1) | instskip(NEXT) | instid1(VALU_DEP_1)
	v_cvt_f32_i32_e32 v4, v4
	v_fmac_f32_e32 v8, v17, v4
	s_delay_alu instid0(VALU_DEP_1)
	v_fmac_f32_e32 v130, v188, v8
	ds_load_2addr_b32 v[45:46], v69 offset0:6 offset1:7
	ds_load_2addr_b32 v[8:9], v69 offset0:4 offset1:5
	;; [unrolled: 1-line block ×3, first 2 shown]
	ds_load_2addr_b32 v[4:5], v69 offset1:1
	ds_load_b32 v241, v12
	ds_load_2addr_b32 v[55:56], v69 offset0:14 offset1:15
	ds_load_2addr_b32 v[12:13], v69 offset0:12 offset1:13
	s_wait_dscnt 0x1
	v_perm_b32 v58, v235, v55, 0x6040501
	s_wait_dscnt 0x0
	v_perm_b32 v57, v12, v237, 0x6040501
	v_perm_b32 v70, v13, v235, 0x6040503
	;; [unrolled: 1-line block ×5, first 2 shown]
	v_dot4_i32_iu8 v57, v58, v57, 0 neg_lo:[1,1,0]
	v_perm_b32 v58, v236, v12, 0x6040503
	s_delay_alu instid0(VALU_DEP_1) | instskip(NEXT) | instid1(VALU_DEP_1)
	v_dot4_i32_iu8 v57, v70, v58, v57 neg_lo:[1,1,0]
	v_dot4_i32_iu8 v18, v18, v211, v57 neg_lo:[1,1,0]
	ds_load_2addr_b32 v[57:58], v69 offset0:10 offset1:11
	ds_load_2addr_b32 v[69:70], v69 offset0:8 offset1:9
	v_dot4_i32_iu8 v235, v238, v56, v18 neg_lo:[1,1,0]
	v_perm_b32 v238, v1, v0, 0x6050402
	s_wait_dscnt 0x0
	v_perm_b32 v18, v69, v196, 0x6040501
	v_perm_b32 v196, v194, v57, 0x6040501
	;; [unrolled: 1-line block ×5, first 2 shown]
	s_delay_alu instid0(VALU_DEP_4) | instskip(SKIP_1) | instid1(VALU_DEP_2)
	v_dot4_i32_iu8 v18, v196, v18, 0 neg_lo:[1,1,0]
	v_perm_b32 v196, v45, v9, 0x7060403
	v_dot4_i32_iu8 v18, v194, v195, v18 neg_lo:[1,1,0]
	v_perm_b32 v194, v5, v4, 0x6040503
	v_bfe_i32 v195, v241, 8, 8
	s_delay_alu instid0(VALU_DEP_3) | instskip(SKIP_2) | instid1(VALU_DEP_3)
	v_dot4_i32_iu8 v18, v19, v216, v18 neg_lo:[1,1,0]
	v_perm_b32 v19, v190, v45, 0x6050401
	v_bfe_i32 v190, v241, 16, 8
	v_dot4_i32_iu8 v236, v197, v58, v18 neg_lo:[1,1,0]
	v_perm_b32 v18, v8, v192, 0x6050401
	v_perm_b32 v197, v9, v8, 0x6040503
	v_ashrrev_i32_e32 v192, 24, v241
	s_delay_alu instid0(VALU_DEP_3) | instskip(SKIP_1) | instid1(VALU_DEP_2)
	v_dot4_i32_iu8 v18, v19, v18, 0 neg_lo:[1,1,0]
	v_perm_b32 v19, v231, v37, 0x6050401
	v_dot4_i32_iu8 v18, v239, v197, v18 neg_lo:[1,1,0]
	v_perm_b32 v239, v3, v2, 0x5040203
	s_delay_alu instid0(VALU_DEP_2)
	v_dot4_i32_iu8 v9, v191, v196, v18 neg_lo:[1,1,0]
	v_perm_b32 v18, v4, v233, 0x6050401
	v_bfe_i32 v191, v241, 0, 8
	v_perm_b32 v233, v73, v63, 0x6040501
	v_perm_b32 v73, v74, v73, 0x6040503
	v_dot4_i32_iu8 v9, v46, v193, v9 neg_lo:[1,1,0]
	v_dot4_i32_iu8 v18, v19, v18, 0 neg_lo:[1,1,0]
	v_perm_b32 v193, v37, v5, 0x7060403
	v_perm_b32 v74, v75, v65, 0x6040501
	;; [unrolled: 1-line block ×3, first 2 shown]
	v_mul_lo_u32 v9, v9, v195
	v_dot4_i32_iu8 v18, v240, v194, v18 neg_lo:[1,1,0]
	v_perm_b32 v63, v10, v53, 0x6050401
	v_perm_b32 v65, v6, v51, 0x6050401
	;; [unrolled: 1-line block ×4, first 2 shown]
	v_dot4_i32_iu8 v5, v232, v193, v18 neg_lo:[1,1,0]
	v_perm_b32 v55, v69, v57, 0x6040501
	v_perm_b32 v57, v70, v69, 0x6040503
	;; [unrolled: 1-line block ×3, first 2 shown]
	s_delay_alu instid0(VALU_DEP_4) | instskip(SKIP_1) | instid1(VALU_DEP_2)
	v_dot4_i32_iu8 v5, v38, v234, v5 neg_lo:[1,1,0]
	v_perm_b32 v234, v67, v3, 0x402030c
	v_mad_co_u64_u32 v[18:19], null, v5, v191, v[9:10]
	s_delay_alu instid0(VALU_DEP_1) | instskip(NEXT) | instid1(VALU_DEP_1)
	v_cvt_f32_i32_e32 v5, v18
	v_fma_f32 v9, v16, v5, 0
	v_mul_lo_u32 v5, v236, v190
	v_perm_b32 v236, v230, v68, 0x5040201
	v_perm_b32 v230, v39, v44, 0x7060403
	s_delay_alu instid0(VALU_DEP_3) | instskip(SKIP_1) | instid1(VALU_DEP_2)
	v_mad_co_u64_u32 v[18:19], null, v235, v192, v[5:6]
	v_perm_b32 v235, v68, v67, 0x4020301
	v_cvt_f32_i32_e32 v5, v18
	s_delay_alu instid0(VALU_DEP_1) | instskip(SKIP_1) | instid1(VALU_DEP_2)
	v_fmac_f32_e32 v9, v17, v5
	v_or_b32_e32 v5, s11, v158
	v_fmac_f32_e32 v123, v189, v9
	s_delay_alu instid0(VALU_DEP_2)
	v_lshlrev_b32_e32 v9, 2, v5
	v_lshrrev_b32_e32 v5, 1, v5
	ds_load_b128 v[240:243], v9 offset:33280
	ds_load_b128 v[244:247], v9 offset:33296
	;; [unrolled: 1-line block ×4, first 2 shown]
	ds_load_b64 v[16:17], v5 offset:43584
	s_wait_dscnt 0x4
	v_perm_b32 v10, v240, v242, 0x6050401
	s_wait_dscnt 0x3
	v_perm_b32 v3, v245, v244, 0x6040503
	s_wait_dscnt 0x2
	v_bfe_i32 v5, v250, 8, 8
	v_bfe_i32 v9, v248, 8, 8
	;; [unrolled: 1-line block ×3, first 2 shown]
	v_ashrrev_i32_e32 v19, 24, v250
	v_perm_b32 v1, v251, v251, 0x3020001
	v_mul_i32_i24_e32 v5, v5, v225
	s_wait_dscnt 0x1
	v_perm_b32 v232, v254, v254, 0xc0c0c01
	v_mul_i32_i24_e32 v18, v227, v18
	v_mul_i32_i24_e32 v19, v226, v19
	v_perm_b32 v231, v252, v68, 0x6040503
	v_mad_i32_i24 v5, v228, v9, v5
	v_perm_b32 v9, v249, v248, 0x5030200
	v_or_b32_e32 v232, v234, v232
	v_perm_b32 v110, v253, v252, 0x6040503
	v_perm_b32 v253, v254, v253, 0x7060403
	;; [unrolled: 1-line block ×3, first 2 shown]
	v_dot4_i32_iu8 v5, v237, v9, v5 neg_lo:[1,1,0]
	v_perm_b32 v9, v250, v249, 0x4030200
	v_dot4_i32_iu8 v231, v232, v231, 0 neg_lo:[1,1,0]
	v_perm_b32 v232, v35, v42, 0x7060403
	v_perm_b32 v76, v250, v249, 0x7060403
	s_delay_alu instid0(VALU_DEP_4)
	v_dot4_i32_iu8 v0, v238, v9, v5 neg_lo:[1,1,0]
	v_perm_b32 v9, v41, v242, 0x6050401
	v_perm_b32 v5, v246, v245, 0x7060403
	v_dot4_i32_iu8 v67, v110, v235, v231 neg_lo:[1,1,0]
	v_perm_b32 v231, v42, v41, 0x6040503
	v_add3_u32 v0, v0, v18, v19
	v_perm_b32 v18, v242, v241, 0x7060403
	v_perm_b32 v42, v248, v250, 0x6040501
	v_dot4_i32_iu8 v67, v236, v253, v67 neg_lo:[1,1,0]
	s_delay_alu instid0(VALU_DEP_4) | instskip(SKIP_2) | instid1(VALU_DEP_4)
	v_dot4_i32_iu8 v2, v239, v1, v0 neg_lo:[1,1,0]
	v_perm_b32 v0, v244, v39, 0x6050401
	v_perm_b32 v1, v43, v246, 0x6050401
	v_dot4_i32_iu8 v67, v224, v255, v67 neg_lo:[1,1,0]
	s_delay_alu instid0(VALU_DEP_2) | instskip(SKIP_1) | instid1(VALU_DEP_2)
	v_dot4_i32_iu8 v0, v1, v0, 0 neg_lo:[1,1,0]
	v_perm_b32 v1, v240, v35, 0x6050401
	v_dot4_i32_iu8 v0, v229, v3, v0 neg_lo:[1,1,0]
	s_delay_alu instid0(VALU_DEP_2) | instskip(SKIP_2) | instid1(VALU_DEP_4)
	v_dot4_i32_iu8 v1, v9, v1, 0 neg_lo:[1,1,0]
	v_perm_b32 v9, v241, v240, 0x6040503
	v_perm_b32 v241, v244, v246, 0x6050401
	v_dot4_i32_iu8 v0, v230, v5, v0 neg_lo:[1,1,0]
	s_delay_alu instid0(VALU_DEP_3) | instskip(NEXT) | instid1(VALU_DEP_2)
	v_dot4_i32_iu8 v1, v231, v9, v1 neg_lo:[1,1,0]
	v_dot4_i32_iu8 v0, v247, v40, v0 neg_lo:[1,1,0]
	s_delay_alu instid0(VALU_DEP_2) | instskip(NEXT) | instid1(VALU_DEP_2)
	v_dot4_i32_iu8 v1, v232, v18, v1 neg_lo:[1,1,0]
	v_mul_lo_u32 v0, v0, v209
	s_delay_alu instid0(VALU_DEP_2) | instskip(NEXT) | instid1(VALU_DEP_1)
	v_dot4_i32_iu8 v1, v243, v36, v1 neg_lo:[1,1,0]
	v_mad_co_u64_u32 v[0:1], null, v1, v219, v[0:1]
	s_delay_alu instid0(VALU_DEP_1) | instskip(SKIP_1) | instid1(VALU_DEP_1)
	v_cvt_f32_i32_e32 v0, v0
	s_wait_dscnt 0x0
	v_fma_f32 v19, v16, v0, 0
	v_mul_lo_u32 v0, v67, v221
	s_delay_alu instid0(VALU_DEP_1) | instskip(SKIP_2) | instid1(VALU_DEP_3)
	v_mad_co_u64_u32 v[0:1], null, v2, v220, v[0:1]
	v_perm_b32 v2, v252, v254, 0x6040501
	v_dot4_i32_iu8 v1, v10, v65, 0 neg_lo:[1,1,0]
	v_cvt_f32_i32_e32 v0, v0
	s_delay_alu instid0(VALU_DEP_2) | instskip(NEXT) | instid1(VALU_DEP_2)
	v_dot4_i32_iu8 v1, v9, v210, v1 neg_lo:[1,1,0]
	v_fmac_f32_e32 v19, v17, v0
	v_dot4_i32_iu8 v0, v2, v233, 0 neg_lo:[1,1,0]
	s_delay_alu instid0(VALU_DEP_3) | instskip(NEXT) | instid1(VALU_DEP_3)
	v_dot4_i32_iu8 v1, v18, v212, v1 neg_lo:[1,1,0]
	v_fmac_f32_e32 v122, v78, v19
	s_delay_alu instid0(VALU_DEP_3) | instskip(NEXT) | instid1(VALU_DEP_3)
	v_dot4_i32_iu8 v0, v110, v73, v0 neg_lo:[1,1,0]
	v_dot4_i32_iu8 v1, v243, v52, v1 neg_lo:[1,1,0]
	s_delay_alu instid0(VALU_DEP_2) | instskip(NEXT) | instid1(VALU_DEP_1)
	v_dot4_i32_iu8 v0, v253, v222, v0 neg_lo:[1,1,0]
	v_dot4_i32_iu8 v19, v255, v64, v0 neg_lo:[1,1,0]
	;; [unrolled: 1-line block ×3, first 2 shown]
	s_delay_alu instid0(VALU_DEP_1) | instskip(NEXT) | instid1(VALU_DEP_1)
	v_dot4_i32_iu8 v0, v44, v75, v0 neg_lo:[1,1,0]
	v_dot4_i32_iu8 v0, v76, v223, v0 neg_lo:[1,1,0]
	s_delay_alu instid0(VALU_DEP_1) | instskip(SKIP_1) | instid1(VALU_DEP_1)
	v_dot4_i32_iu8 v67, v251, v66, v0 neg_lo:[1,1,0]
	v_dot4_i32_iu8 v0, v241, v63, 0 neg_lo:[1,1,0]
	;; [unrolled: 1-line block ×3, first 2 shown]
	s_delay_alu instid0(VALU_DEP_1) | instskip(NEXT) | instid1(VALU_DEP_1)
	v_dot4_i32_iu8 v0, v5, v207, v0 neg_lo:[1,1,0]
	v_dot4_i32_iu8 v0, v247, v54, v0 neg_lo:[1,1,0]
	s_delay_alu instid0(VALU_DEP_1) | instskip(NEXT) | instid1(VALU_DEP_1)
	v_mul_lo_u32 v0, v0, v208
	v_mad_co_u64_u32 v[0:1], null, v1, v213, v[0:1]
	s_delay_alu instid0(VALU_DEP_1) | instskip(NEXT) | instid1(VALU_DEP_1)
	v_cvt_f32_i32_e32 v0, v0
	v_fma_f32 v6, v16, v0, 0
	v_mul_lo_u32 v0, v19, v215
	s_delay_alu instid0(VALU_DEP_1) | instskip(SKIP_2) | instid1(VALU_DEP_3)
	v_mad_co_u64_u32 v[0:1], null, v67, v214, v[0:1]
	v_perm_b32 v67, v15, v14, 0x6040503
	v_dot4_i32_iu8 v1, v10, v47, 0 neg_lo:[1,1,0]
	v_cvt_f32_i32_e32 v0, v0
	s_delay_alu instid0(VALU_DEP_2) | instskip(NEXT) | instid1(VALU_DEP_2)
	v_dot4_i32_iu8 v1, v9, v201, v1 neg_lo:[1,1,0]
	v_fmac_f32_e32 v6, v17, v0
	v_dot4_i32_iu8 v0, v2, v59, 0 neg_lo:[1,1,0]
	s_delay_alu instid0(VALU_DEP_3) | instskip(NEXT) | instid1(VALU_DEP_3)
	v_dot4_i32_iu8 v1, v18, v202, v1 neg_lo:[1,1,0]
	v_fmac_f32_e32 v121, v187, v6
	s_delay_alu instid0(VALU_DEP_3) | instskip(NEXT) | instid1(VALU_DEP_3)
	v_dot4_i32_iu8 v0, v110, v67, v0 neg_lo:[1,1,0]
	v_dot4_i32_iu8 v1, v243, v48, v1 neg_lo:[1,1,0]
	s_delay_alu instid0(VALU_DEP_2) | instskip(NEXT) | instid1(VALU_DEP_1)
	v_dot4_i32_iu8 v0, v253, v217, v0 neg_lo:[1,1,0]
	v_dot4_i32_iu8 v6, v255, v60, v0 neg_lo:[1,1,0]
	;; [unrolled: 1-line block ×3, first 2 shown]
	s_delay_alu instid0(VALU_DEP_1) | instskip(NEXT) | instid1(VALU_DEP_1)
	v_dot4_i32_iu8 v0, v44, v71, v0 neg_lo:[1,1,0]
	v_dot4_i32_iu8 v0, v76, v218, v0 neg_lo:[1,1,0]
	s_delay_alu instid0(VALU_DEP_1) | instskip(SKIP_1) | instid1(VALU_DEP_1)
	v_dot4_i32_iu8 v14, v251, v62, v0 neg_lo:[1,1,0]
	v_dot4_i32_iu8 v0, v241, v49, 0 neg_lo:[1,1,0]
	v_dot4_i32_iu8 v0, v3, v198, v0 neg_lo:[1,1,0]
	s_delay_alu instid0(VALU_DEP_1) | instskip(NEXT) | instid1(VALU_DEP_1)
	v_dot4_i32_iu8 v0, v5, v199, v0 neg_lo:[1,1,0]
	v_dot4_i32_iu8 v0, v247, v50, v0 neg_lo:[1,1,0]
	s_delay_alu instid0(VALU_DEP_1) | instskip(NEXT) | instid1(VALU_DEP_1)
	v_mul_lo_u32 v0, v0, v200
	v_mad_co_u64_u32 v[0:1], null, v1, v203, v[0:1]
	s_delay_alu instid0(VALU_DEP_1) | instskip(NEXT) | instid1(VALU_DEP_1)
	v_cvt_f32_i32_e32 v0, v0
	v_fma_f32 v7, v16, v0, 0
	v_mul_lo_u32 v0, v6, v205
	s_delay_alu instid0(VALU_DEP_1) | instskip(SKIP_1) | instid1(VALU_DEP_1)
	v_mad_co_u64_u32 v[0:1], null, v14, v204, v[0:1]
	v_dot4_i32_iu8 v1, v10, v37, 0 neg_lo:[1,1,0]
	v_dot4_i32_iu8 v1, v9, v194, v1 neg_lo:[1,1,0]
	s_delay_alu instid0(VALU_DEP_3) | instskip(NEXT) | instid1(VALU_DEP_2)
	v_cvt_f32_i32_e32 v0, v0
	v_dot4_i32_iu8 v1, v18, v193, v1 neg_lo:[1,1,0]
	s_delay_alu instid0(VALU_DEP_2) | instskip(SKIP_1) | instid1(VALU_DEP_3)
	v_fmac_f32_e32 v7, v17, v0
	v_dot4_i32_iu8 v0, v2, v51, 0 neg_lo:[1,1,0]
	v_dot4_i32_iu8 v1, v243, v38, v1 neg_lo:[1,1,0]
	s_delay_alu instid0(VALU_DEP_3) | instskip(NEXT) | instid1(VALU_DEP_3)
	v_fmac_f32_e32 v120, v188, v7
	v_dot4_i32_iu8 v0, v110, v53, v0 neg_lo:[1,1,0]
	s_delay_alu instid0(VALU_DEP_1) | instskip(NEXT) | instid1(VALU_DEP_1)
	v_dot4_i32_iu8 v0, v253, v211, v0 neg_lo:[1,1,0]
	v_dot4_i32_iu8 v2, v255, v56, v0 neg_lo:[1,1,0]
	;; [unrolled: 1-line block ×3, first 2 shown]
	v_perm_b32 v42, v8, v45, 0x6050401
	s_delay_alu instid0(VALU_DEP_2) | instskip(NEXT) | instid1(VALU_DEP_1)
	v_dot4_i32_iu8 v0, v44, v57, v0 neg_lo:[1,1,0]
	v_dot4_i32_iu8 v0, v76, v216, v0 neg_lo:[1,1,0]
	s_delay_alu instid0(VALU_DEP_1) | instskip(NEXT) | instid1(VALU_DEP_4)
	v_dot4_i32_iu8 v6, v251, v58, v0 neg_lo:[1,1,0]
	v_dot4_i32_iu8 v0, v241, v42, 0 neg_lo:[1,1,0]
	s_delay_alu instid0(VALU_DEP_1) | instskip(NEXT) | instid1(VALU_DEP_1)
	v_dot4_i32_iu8 v0, v3, v197, v0 neg_lo:[1,1,0]
	v_dot4_i32_iu8 v0, v5, v196, v0 neg_lo:[1,1,0]
	s_delay_alu instid0(VALU_DEP_1) | instskip(NEXT) | instid1(VALU_DEP_1)
	v_dot4_i32_iu8 v0, v247, v46, v0 neg_lo:[1,1,0]
	v_mul_lo_u32 v0, v0, v195
	s_delay_alu instid0(VALU_DEP_1) | instskip(NEXT) | instid1(VALU_DEP_1)
	v_mad_co_u64_u32 v[0:1], null, v1, v191, v[0:1]
	v_cvt_f32_i32_e32 v0, v0
	s_delay_alu instid0(VALU_DEP_1) | instskip(SKIP_1) | instid1(VALU_DEP_1)
	v_fma_f32 v3, v16, v0, 0
	v_mul_lo_u32 v0, v2, v192
	v_mad_co_u64_u32 v[0:1], null, v6, v190, v[0:1]
	s_delay_alu instid0(VALU_DEP_1) | instskip(NEXT) | instid1(VALU_DEP_1)
	v_cvt_f32_i32_e32 v0, v0
	v_fmac_f32_e32 v3, v17, v0
	v_or_b32_e32 v0, s11, v159
	s_delay_alu instid0(VALU_DEP_2) | instskip(NEXT) | instid1(VALU_DEP_2)
	v_fmac_f32_e32 v118, v189, v3
	v_lshlrev_b32_e32 v12, 2, v0
	v_lshrrev_b32_e32 v16, 1, v0
	ds_load_b128 v[0:3], v12 offset:33280
	ds_load_b128 v[4:7], v12 offset:33296
	;; [unrolled: 1-line block ×4, first 2 shown]
	ds_load_b64 v[16:17], v16 offset:43584
	s_wait_dscnt 0x4
	v_perm_b32 v76, v1, v0, 0x6040503
	s_wait_dscnt 0x3
	v_perm_b32 v72, v6, v5, 0x7060403
	s_wait_dscnt 0x2
	v_bfe_i32 v18, v10, 8, 8
	v_bfe_i32 v19, v8, 8, 8
	;; [unrolled: 1-line block ×3, first 2 shown]
	v_ashrrev_i32_e32 v45, 24, v10
	s_wait_dscnt 0x1
	v_perm_b32 v70, v14, v14, 0xc0c0c01
	v_mul_i32_i24_e32 v18, v18, v225
	v_perm_b32 v110, v2, v1, 0x7060403
	v_mul_i32_i24_e32 v44, v227, v44
	v_mul_i32_i24_e32 v45, v226, v45
	v_perm_b32 v69, v12, v68, 0x6040503
	v_mad_i32_i24 v18, v228, v19, v18
	v_perm_b32 v19, v9, v8, 0x5030200
	v_or_b32_e32 v70, v234, v70
	s_delay_alu instid0(VALU_DEP_2) | instskip(SKIP_1) | instid1(VALU_DEP_3)
	v_dot4_i32_iu8 v18, v237, v19, v18 neg_lo:[1,1,0]
	v_perm_b32 v19, v10, v9, 0x4030200
	v_dot4_i32_iu8 v69, v70, v69, 0 neg_lo:[1,1,0]
	v_perm_b32 v70, v13, v12, 0x6040503
	v_perm_b32 v13, v14, v13, 0x7060403
	s_delay_alu instid0(VALU_DEP_4) | instskip(SKIP_1) | instid1(VALU_DEP_4)
	v_dot4_i32_iu8 v18, v238, v19, v18 neg_lo:[1,1,0]
	v_perm_b32 v19, v11, v11, 0x3020001
	v_dot4_i32_iu8 v69, v70, v235, v69 neg_lo:[1,1,0]
	s_delay_alu instid0(VALU_DEP_3) | instskip(SKIP_1) | instid1(VALU_DEP_3)
	v_add3_u32 v18, v18, v44, v45
	v_perm_b32 v45, v5, v4, 0x6040503
	v_dot4_i32_iu8 v69, v236, v13, v69 neg_lo:[1,1,0]
	s_delay_alu instid0(VALU_DEP_3) | instskip(SKIP_2) | instid1(VALU_DEP_4)
	v_dot4_i32_iu8 v44, v239, v19, v18 neg_lo:[1,1,0]
	v_perm_b32 v18, v4, v39, 0x6050401
	v_perm_b32 v19, v43, v6, 0x6050401
	v_dot4_i32_iu8 v69, v224, v15, v69 neg_lo:[1,1,0]
	v_perm_b32 v4, v4, v6, 0x6050401
	s_delay_alu instid0(VALU_DEP_3) | instskip(SKIP_1) | instid1(VALU_DEP_2)
	v_dot4_i32_iu8 v18, v19, v18, 0 neg_lo:[1,1,0]
	v_perm_b32 v19, v41, v2, 0x6050401
	v_dot4_i32_iu8 v18, v229, v45, v18 neg_lo:[1,1,0]
	s_delay_alu instid0(VALU_DEP_1) | instskip(SKIP_1) | instid1(VALU_DEP_2)
	v_dot4_i32_iu8 v5, v230, v72, v18 neg_lo:[1,1,0]
	v_perm_b32 v18, v0, v35, 0x6050401
	v_dot4_i32_iu8 v5, v7, v40, v5 neg_lo:[1,1,0]
	s_delay_alu instid0(VALU_DEP_2) | instskip(NEXT) | instid1(VALU_DEP_2)
	v_dot4_i32_iu8 v18, v19, v18, 0 neg_lo:[1,1,0]
	v_mul_lo_u32 v5, v5, v209
	s_delay_alu instid0(VALU_DEP_2) | instskip(NEXT) | instid1(VALU_DEP_1)
	v_dot4_i32_iu8 v18, v231, v76, v18 neg_lo:[1,1,0]
	v_dot4_i32_iu8 v1, v232, v110, v18 neg_lo:[1,1,0]
	s_delay_alu instid0(VALU_DEP_1) | instskip(NEXT) | instid1(VALU_DEP_1)
	v_dot4_i32_iu8 v1, v3, v36, v1 neg_lo:[1,1,0]
	v_mad_co_u64_u32 v[18:19], null, v1, v219, v[5:6]
	s_delay_alu instid0(VALU_DEP_1) | instskip(SKIP_1) | instid1(VALU_DEP_1)
	v_cvt_f32_i32_e32 v1, v18
	s_wait_dscnt 0x0
	v_fma_f32 v5, v16, v1, 0
	v_mul_lo_u32 v1, v69, v221
	s_delay_alu instid0(VALU_DEP_1) | instskip(SKIP_1) | instid1(VALU_DEP_1)
	v_mad_co_u64_u32 v[18:19], null, v44, v220, v[1:2]
	v_perm_b32 v2, v0, v2, 0x6050401
	v_dot4_i32_iu8 v0, v2, v65, 0 neg_lo:[1,1,0]
	s_delay_alu instid0(VALU_DEP_3) | instskip(NEXT) | instid1(VALU_DEP_2)
	v_cvt_f32_i32_e32 v1, v18
	v_dot4_i32_iu8 v0, v76, v210, v0 neg_lo:[1,1,0]
	s_delay_alu instid0(VALU_DEP_2) | instskip(NEXT) | instid1(VALU_DEP_2)
	v_fmac_f32_e32 v5, v17, v1
	v_dot4_i32_iu8 v0, v110, v212, v0 neg_lo:[1,1,0]
	s_delay_alu instid0(VALU_DEP_2)
	v_fmac_f32_e32 v117, v78, v5
	v_perm_b32 v5, v12, v14, 0x6040501
	v_perm_b32 v14, v8, v10, 0x6040501
	;; [unrolled: 1-line block ×4, first 2 shown]
	v_dot4_i32_iu8 v0, v3, v52, v0 neg_lo:[1,1,0]
	v_dot4_i32_iu8 v1, v5, v233, 0 neg_lo:[1,1,0]
	s_delay_alu instid0(VALU_DEP_1) | instskip(NEXT) | instid1(VALU_DEP_1)
	v_dot4_i32_iu8 v1, v70, v73, v1 neg_lo:[1,1,0]
	v_dot4_i32_iu8 v1, v13, v222, v1 neg_lo:[1,1,0]
	s_delay_alu instid0(VALU_DEP_1) | instskip(SKIP_1) | instid1(VALU_DEP_1)
	v_dot4_i32_iu8 v12, v15, v64, v1 neg_lo:[1,1,0]
	v_dot4_i32_iu8 v1, v14, v74, 0 neg_lo:[1,1,0]
	;; [unrolled: 1-line block ×3, first 2 shown]
	s_delay_alu instid0(VALU_DEP_1) | instskip(NEXT) | instid1(VALU_DEP_1)
	v_dot4_i32_iu8 v1, v9, v223, v1 neg_lo:[1,1,0]
	v_dot4_i32_iu8 v10, v11, v66, v1 neg_lo:[1,1,0]
	;; [unrolled: 1-line block ×3, first 2 shown]
	s_delay_alu instid0(VALU_DEP_1) | instskip(NEXT) | instid1(VALU_DEP_1)
	v_dot4_i32_iu8 v1, v45, v206, v1 neg_lo:[1,1,0]
	v_dot4_i32_iu8 v1, v72, v207, v1 neg_lo:[1,1,0]
	s_delay_alu instid0(VALU_DEP_1) | instskip(NEXT) | instid1(VALU_DEP_1)
	v_dot4_i32_iu8 v1, v7, v54, v1 neg_lo:[1,1,0]
	v_mul_lo_u32 v1, v1, v208
	s_delay_alu instid0(VALU_DEP_1) | instskip(NEXT) | instid1(VALU_DEP_1)
	v_mad_co_u64_u32 v[0:1], null, v0, v213, v[1:2]
	v_cvt_f32_i32_e32 v0, v0
	s_delay_alu instid0(VALU_DEP_1) | instskip(SKIP_1) | instid1(VALU_DEP_1)
	v_fma_f32 v6, v16, v0, 0
	v_mul_lo_u32 v0, v12, v215
	v_mad_co_u64_u32 v[0:1], null, v10, v214, v[0:1]
	v_dot4_i32_iu8 v1, v2, v47, 0 neg_lo:[1,1,0]
	s_delay_alu instid0(VALU_DEP_1) | instskip(NEXT) | instid1(VALU_DEP_3)
	v_dot4_i32_iu8 v1, v76, v201, v1 neg_lo:[1,1,0]
	v_cvt_f32_i32_e32 v0, v0
	s_delay_alu instid0(VALU_DEP_2) | instskip(NEXT) | instid1(VALU_DEP_2)
	v_dot4_i32_iu8 v1, v110, v202, v1 neg_lo:[1,1,0]
	v_fmac_f32_e32 v6, v17, v0
	v_dot4_i32_iu8 v0, v5, v59, 0 neg_lo:[1,1,0]
	s_delay_alu instid0(VALU_DEP_3) | instskip(NEXT) | instid1(VALU_DEP_3)
	v_dot4_i32_iu8 v1, v3, v48, v1 neg_lo:[1,1,0]
	v_fmac_f32_e32 v116, v187, v6
	s_delay_alu instid0(VALU_DEP_3) | instskip(NEXT) | instid1(VALU_DEP_1)
	v_dot4_i32_iu8 v0, v70, v67, v0 neg_lo:[1,1,0]
	v_dot4_i32_iu8 v0, v13, v217, v0 neg_lo:[1,1,0]
	s_delay_alu instid0(VALU_DEP_1) | instskip(SKIP_1) | instid1(VALU_DEP_1)
	v_dot4_i32_iu8 v6, v15, v60, v0 neg_lo:[1,1,0]
	v_dot4_i32_iu8 v0, v14, v61, 0 neg_lo:[1,1,0]
	v_dot4_i32_iu8 v0, v8, v71, v0 neg_lo:[1,1,0]
	s_delay_alu instid0(VALU_DEP_1) | instskip(NEXT) | instid1(VALU_DEP_1)
	v_dot4_i32_iu8 v0, v9, v218, v0 neg_lo:[1,1,0]
	v_dot4_i32_iu8 v10, v11, v62, v0 neg_lo:[1,1,0]
	;; [unrolled: 1-line block ×3, first 2 shown]
	s_delay_alu instid0(VALU_DEP_1) | instskip(NEXT) | instid1(VALU_DEP_1)
	v_dot4_i32_iu8 v0, v45, v198, v0 neg_lo:[1,1,0]
	v_dot4_i32_iu8 v0, v72, v199, v0 neg_lo:[1,1,0]
	s_delay_alu instid0(VALU_DEP_1) | instskip(NEXT) | instid1(VALU_DEP_1)
	v_dot4_i32_iu8 v0, v7, v50, v0 neg_lo:[1,1,0]
	v_mul_lo_u32 v0, v0, v200
	s_delay_alu instid0(VALU_DEP_1) | instskip(NEXT) | instid1(VALU_DEP_1)
	v_mad_co_u64_u32 v[0:1], null, v1, v203, v[0:1]
	v_cvt_f32_i32_e32 v0, v0
	s_delay_alu instid0(VALU_DEP_1) | instskip(SKIP_1) | instid1(VALU_DEP_1)
	v_fma_f32 v12, v16, v0, 0
	v_mul_lo_u32 v0, v6, v205
	v_mad_co_u64_u32 v[0:1], null, v10, v204, v[0:1]
	v_dot4_i32_iu8 v1, v2, v37, 0 neg_lo:[1,1,0]
	s_delay_alu instid0(VALU_DEP_1) | instskip(NEXT) | instid1(VALU_DEP_3)
	v_dot4_i32_iu8 v1, v76, v194, v1 neg_lo:[1,1,0]
	v_cvt_f32_i32_e32 v0, v0
	s_delay_alu instid0(VALU_DEP_2) | instskip(NEXT) | instid1(VALU_DEP_2)
	v_dot4_i32_iu8 v1, v110, v193, v1 neg_lo:[1,1,0]
	v_fmac_f32_e32 v12, v17, v0
	v_dot4_i32_iu8 v0, v5, v51, 0 neg_lo:[1,1,0]
	s_delay_alu instid0(VALU_DEP_3) | instskip(NEXT) | instid1(VALU_DEP_3)
	v_dot4_i32_iu8 v1, v3, v38, v1 neg_lo:[1,1,0]
	v_fmac_f32_e32 v115, v188, v12
	s_delay_alu instid0(VALU_DEP_3) | instskip(NEXT) | instid1(VALU_DEP_1)
	v_dot4_i32_iu8 v0, v70, v53, v0 neg_lo:[1,1,0]
	v_dot4_i32_iu8 v0, v13, v211, v0 neg_lo:[1,1,0]
	s_delay_alu instid0(VALU_DEP_1) | instskip(SKIP_1) | instid1(VALU_DEP_1)
	v_dot4_i32_iu8 v5, v15, v56, v0 neg_lo:[1,1,0]
	v_dot4_i32_iu8 v0, v14, v55, 0 neg_lo:[1,1,0]
	;; [unrolled: 1-line block ×3, first 2 shown]
	s_delay_alu instid0(VALU_DEP_1) | instskip(NEXT) | instid1(VALU_DEP_1)
	v_dot4_i32_iu8 v0, v9, v216, v0 neg_lo:[1,1,0]
	v_dot4_i32_iu8 v6, v11, v58, v0 neg_lo:[1,1,0]
	;; [unrolled: 1-line block ×3, first 2 shown]
	s_delay_alu instid0(VALU_DEP_1) | instskip(NEXT) | instid1(VALU_DEP_1)
	v_dot4_i32_iu8 v0, v45, v197, v0 neg_lo:[1,1,0]
	v_dot4_i32_iu8 v0, v72, v196, v0 neg_lo:[1,1,0]
	s_delay_alu instid0(VALU_DEP_1) | instskip(NEXT) | instid1(VALU_DEP_1)
	v_dot4_i32_iu8 v0, v7, v46, v0 neg_lo:[1,1,0]
	v_mul_lo_u32 v0, v0, v195
	s_delay_alu instid0(VALU_DEP_1) | instskip(NEXT) | instid1(VALU_DEP_1)
	v_mad_co_u64_u32 v[0:1], null, v1, v191, v[0:1]
	v_cvt_f32_i32_e32 v0, v0
	s_delay_alu instid0(VALU_DEP_1) | instskip(SKIP_1) | instid1(VALU_DEP_1)
	v_fma_f32 v2, v16, v0, 0
	v_mul_lo_u32 v0, v5, v192
	v_mad_co_u64_u32 v[0:1], null, v6, v190, v[0:1]
	s_delay_alu instid0(VALU_DEP_1) | instskip(NEXT) | instid1(VALU_DEP_1)
	v_cvt_f32_i32_e32 v0, v0
	v_fmac_f32_e32 v2, v17, v0
	v_or_b32_e32 v0, s11, v160
	s_delay_alu instid0(VALU_DEP_1)
	v_dual_fmac_f32 v111, v189, v2 :: v_dual_lshlrev_b32 v12, 2, v0
	v_lshrrev_b32_e32 v16, 1, v0
	ds_load_b128 v[0:3], v12 offset:33280
	ds_load_b128 v[4:7], v12 offset:33296
	ds_load_b128 v[8:11], v12 offset:33312
	ds_load_b128 v[12:15], v12 offset:33328
	ds_load_b64 v[16:17], v16 offset:43584
	s_wait_dscnt 0x4
	v_perm_b32 v76, v1, v0, 0x6040503
	s_wait_dscnt 0x3
	v_perm_b32 v72, v6, v5, 0x7060403
	s_wait_dscnt 0x2
	v_bfe_i32 v18, v10, 8, 8
	v_bfe_i32 v19, v8, 8, 8
	;; [unrolled: 1-line block ×3, first 2 shown]
	v_ashrrev_i32_e32 v45, 24, v10
	s_wait_dscnt 0x1
	v_perm_b32 v70, v14, v14, 0xc0c0c01
	v_mul_i32_i24_e32 v18, v18, v225
	v_perm_b32 v110, v2, v1, 0x7060403
	v_mul_i32_i24_e32 v44, v227, v44
	v_mul_i32_i24_e32 v45, v226, v45
	v_perm_b32 v69, v12, v68, 0x6040503
	v_mad_i32_i24 v18, v228, v19, v18
	v_perm_b32 v19, v9, v8, 0x5030200
	v_or_b32_e32 v70, v234, v70
	s_delay_alu instid0(VALU_DEP_2) | instskip(SKIP_1) | instid1(VALU_DEP_3)
	v_dot4_i32_iu8 v18, v237, v19, v18 neg_lo:[1,1,0]
	v_perm_b32 v19, v10, v9, 0x4030200
	v_dot4_i32_iu8 v69, v70, v69, 0 neg_lo:[1,1,0]
	v_perm_b32 v70, v13, v12, 0x6040503
	v_perm_b32 v13, v14, v13, 0x7060403
	s_delay_alu instid0(VALU_DEP_4) | instskip(SKIP_1) | instid1(VALU_DEP_4)
	v_dot4_i32_iu8 v18, v238, v19, v18 neg_lo:[1,1,0]
	v_perm_b32 v19, v11, v11, 0x3020001
	v_dot4_i32_iu8 v69, v70, v235, v69 neg_lo:[1,1,0]
	s_delay_alu instid0(VALU_DEP_3) | instskip(SKIP_1) | instid1(VALU_DEP_3)
	v_add3_u32 v18, v18, v44, v45
	v_perm_b32 v45, v5, v4, 0x6040503
	v_dot4_i32_iu8 v69, v236, v13, v69 neg_lo:[1,1,0]
	s_delay_alu instid0(VALU_DEP_3) | instskip(SKIP_2) | instid1(VALU_DEP_4)
	v_dot4_i32_iu8 v44, v239, v19, v18 neg_lo:[1,1,0]
	v_perm_b32 v18, v4, v39, 0x6050401
	v_perm_b32 v19, v43, v6, 0x6050401
	v_dot4_i32_iu8 v69, v224, v15, v69 neg_lo:[1,1,0]
	v_perm_b32 v4, v4, v6, 0x6050401
	s_delay_alu instid0(VALU_DEP_3) | instskip(SKIP_1) | instid1(VALU_DEP_2)
	v_dot4_i32_iu8 v18, v19, v18, 0 neg_lo:[1,1,0]
	v_perm_b32 v19, v41, v2, 0x6050401
	v_dot4_i32_iu8 v18, v229, v45, v18 neg_lo:[1,1,0]
	s_delay_alu instid0(VALU_DEP_1) | instskip(SKIP_1) | instid1(VALU_DEP_2)
	v_dot4_i32_iu8 v5, v230, v72, v18 neg_lo:[1,1,0]
	v_perm_b32 v18, v0, v35, 0x6050401
	v_dot4_i32_iu8 v5, v7, v40, v5 neg_lo:[1,1,0]
	s_delay_alu instid0(VALU_DEP_2) | instskip(NEXT) | instid1(VALU_DEP_2)
	v_dot4_i32_iu8 v18, v19, v18, 0 neg_lo:[1,1,0]
	v_mul_lo_u32 v5, v5, v209
	s_delay_alu instid0(VALU_DEP_2) | instskip(NEXT) | instid1(VALU_DEP_1)
	v_dot4_i32_iu8 v18, v231, v76, v18 neg_lo:[1,1,0]
	v_dot4_i32_iu8 v1, v232, v110, v18 neg_lo:[1,1,0]
	s_delay_alu instid0(VALU_DEP_1) | instskip(NEXT) | instid1(VALU_DEP_1)
	v_dot4_i32_iu8 v1, v3, v36, v1 neg_lo:[1,1,0]
	v_mad_co_u64_u32 v[18:19], null, v1, v219, v[5:6]
	s_delay_alu instid0(VALU_DEP_1) | instskip(SKIP_1) | instid1(VALU_DEP_1)
	v_cvt_f32_i32_e32 v1, v18
	s_wait_dscnt 0x0
	v_fma_f32 v5, v16, v1, 0
	v_mul_lo_u32 v1, v69, v221
	s_delay_alu instid0(VALU_DEP_1) | instskip(SKIP_1) | instid1(VALU_DEP_1)
	v_mad_co_u64_u32 v[18:19], null, v44, v220, v[1:2]
	v_perm_b32 v2, v0, v2, 0x6050401
	v_dot4_i32_iu8 v0, v2, v65, 0 neg_lo:[1,1,0]
	s_delay_alu instid0(VALU_DEP_3) | instskip(NEXT) | instid1(VALU_DEP_2)
	v_cvt_f32_i32_e32 v1, v18
	v_dot4_i32_iu8 v0, v76, v210, v0 neg_lo:[1,1,0]
	s_delay_alu instid0(VALU_DEP_2) | instskip(NEXT) | instid1(VALU_DEP_2)
	v_fmac_f32_e32 v5, v17, v1
	v_dot4_i32_iu8 v0, v110, v212, v0 neg_lo:[1,1,0]
	s_delay_alu instid0(VALU_DEP_2)
	v_fmac_f32_e32 v107, v78, v5
	v_perm_b32 v5, v12, v14, 0x6040501
	v_perm_b32 v14, v8, v10, 0x6040501
	;; [unrolled: 1-line block ×4, first 2 shown]
	v_dot4_i32_iu8 v0, v3, v52, v0 neg_lo:[1,1,0]
	v_dot4_i32_iu8 v1, v5, v233, 0 neg_lo:[1,1,0]
	s_delay_alu instid0(VALU_DEP_1) | instskip(NEXT) | instid1(VALU_DEP_1)
	v_dot4_i32_iu8 v1, v70, v73, v1 neg_lo:[1,1,0]
	v_dot4_i32_iu8 v1, v13, v222, v1 neg_lo:[1,1,0]
	s_delay_alu instid0(VALU_DEP_1) | instskip(SKIP_1) | instid1(VALU_DEP_1)
	v_dot4_i32_iu8 v12, v15, v64, v1 neg_lo:[1,1,0]
	v_dot4_i32_iu8 v1, v14, v74, 0 neg_lo:[1,1,0]
	;; [unrolled: 1-line block ×3, first 2 shown]
	s_delay_alu instid0(VALU_DEP_1) | instskip(NEXT) | instid1(VALU_DEP_1)
	v_dot4_i32_iu8 v1, v9, v223, v1 neg_lo:[1,1,0]
	v_dot4_i32_iu8 v10, v11, v66, v1 neg_lo:[1,1,0]
	;; [unrolled: 1-line block ×3, first 2 shown]
	s_delay_alu instid0(VALU_DEP_1) | instskip(NEXT) | instid1(VALU_DEP_1)
	v_dot4_i32_iu8 v1, v45, v206, v1 neg_lo:[1,1,0]
	v_dot4_i32_iu8 v1, v72, v207, v1 neg_lo:[1,1,0]
	s_delay_alu instid0(VALU_DEP_1) | instskip(NEXT) | instid1(VALU_DEP_1)
	v_dot4_i32_iu8 v1, v7, v54, v1 neg_lo:[1,1,0]
	v_mul_lo_u32 v1, v1, v208
	s_delay_alu instid0(VALU_DEP_1) | instskip(NEXT) | instid1(VALU_DEP_1)
	v_mad_co_u64_u32 v[0:1], null, v0, v213, v[1:2]
	v_cvt_f32_i32_e32 v0, v0
	s_delay_alu instid0(VALU_DEP_1) | instskip(SKIP_1) | instid1(VALU_DEP_1)
	v_fma_f32 v6, v16, v0, 0
	v_mul_lo_u32 v0, v12, v215
	v_mad_co_u64_u32 v[0:1], null, v10, v214, v[0:1]
	v_dot4_i32_iu8 v1, v2, v47, 0 neg_lo:[1,1,0]
	s_delay_alu instid0(VALU_DEP_1) | instskip(NEXT) | instid1(VALU_DEP_3)
	v_dot4_i32_iu8 v1, v76, v201, v1 neg_lo:[1,1,0]
	v_cvt_f32_i32_e32 v0, v0
	s_delay_alu instid0(VALU_DEP_2) | instskip(NEXT) | instid1(VALU_DEP_2)
	v_dot4_i32_iu8 v1, v110, v202, v1 neg_lo:[1,1,0]
	v_fmac_f32_e32 v6, v17, v0
	v_dot4_i32_iu8 v0, v5, v59, 0 neg_lo:[1,1,0]
	s_delay_alu instid0(VALU_DEP_3) | instskip(NEXT) | instid1(VALU_DEP_3)
	v_dot4_i32_iu8 v1, v3, v48, v1 neg_lo:[1,1,0]
	v_fmac_f32_e32 v102, v187, v6
	s_delay_alu instid0(VALU_DEP_3) | instskip(NEXT) | instid1(VALU_DEP_1)
	v_dot4_i32_iu8 v0, v70, v67, v0 neg_lo:[1,1,0]
	v_dot4_i32_iu8 v0, v13, v217, v0 neg_lo:[1,1,0]
	s_delay_alu instid0(VALU_DEP_1) | instskip(SKIP_1) | instid1(VALU_DEP_1)
	v_dot4_i32_iu8 v6, v15, v60, v0 neg_lo:[1,1,0]
	v_dot4_i32_iu8 v0, v14, v61, 0 neg_lo:[1,1,0]
	;; [unrolled: 1-line block ×3, first 2 shown]
	s_delay_alu instid0(VALU_DEP_1) | instskip(NEXT) | instid1(VALU_DEP_1)
	v_dot4_i32_iu8 v0, v9, v218, v0 neg_lo:[1,1,0]
	v_dot4_i32_iu8 v10, v11, v62, v0 neg_lo:[1,1,0]
	;; [unrolled: 1-line block ×3, first 2 shown]
	s_delay_alu instid0(VALU_DEP_1) | instskip(NEXT) | instid1(VALU_DEP_1)
	v_dot4_i32_iu8 v0, v45, v198, v0 neg_lo:[1,1,0]
	v_dot4_i32_iu8 v0, v72, v199, v0 neg_lo:[1,1,0]
	s_delay_alu instid0(VALU_DEP_1) | instskip(NEXT) | instid1(VALU_DEP_1)
	v_dot4_i32_iu8 v0, v7, v50, v0 neg_lo:[1,1,0]
	v_mul_lo_u32 v0, v0, v200
	s_delay_alu instid0(VALU_DEP_1) | instskip(NEXT) | instid1(VALU_DEP_1)
	v_mad_co_u64_u32 v[0:1], null, v1, v203, v[0:1]
	v_cvt_f32_i32_e32 v0, v0
	s_delay_alu instid0(VALU_DEP_1) | instskip(SKIP_1) | instid1(VALU_DEP_1)
	v_fma_f32 v12, v16, v0, 0
	v_mul_lo_u32 v0, v6, v205
	v_mad_co_u64_u32 v[0:1], null, v10, v204, v[0:1]
	v_dot4_i32_iu8 v1, v2, v37, 0 neg_lo:[1,1,0]
	s_delay_alu instid0(VALU_DEP_1) | instskip(NEXT) | instid1(VALU_DEP_3)
	v_dot4_i32_iu8 v1, v76, v194, v1 neg_lo:[1,1,0]
	v_cvt_f32_i32_e32 v0, v0
	s_delay_alu instid0(VALU_DEP_2) | instskip(NEXT) | instid1(VALU_DEP_2)
	v_dot4_i32_iu8 v1, v110, v193, v1 neg_lo:[1,1,0]
	v_fmac_f32_e32 v12, v17, v0
	v_dot4_i32_iu8 v0, v5, v51, 0 neg_lo:[1,1,0]
	s_delay_alu instid0(VALU_DEP_3) | instskip(NEXT) | instid1(VALU_DEP_3)
	v_dot4_i32_iu8 v1, v3, v38, v1 neg_lo:[1,1,0]
	v_fmac_f32_e32 v99, v188, v12
	s_delay_alu instid0(VALU_DEP_3) | instskip(NEXT) | instid1(VALU_DEP_1)
	v_dot4_i32_iu8 v0, v70, v53, v0 neg_lo:[1,1,0]
	v_dot4_i32_iu8 v0, v13, v211, v0 neg_lo:[1,1,0]
	s_delay_alu instid0(VALU_DEP_1) | instskip(SKIP_1) | instid1(VALU_DEP_1)
	v_dot4_i32_iu8 v5, v15, v56, v0 neg_lo:[1,1,0]
	v_dot4_i32_iu8 v0, v14, v55, 0 neg_lo:[1,1,0]
	;; [unrolled: 1-line block ×3, first 2 shown]
	s_delay_alu instid0(VALU_DEP_1) | instskip(NEXT) | instid1(VALU_DEP_1)
	v_dot4_i32_iu8 v0, v9, v216, v0 neg_lo:[1,1,0]
	v_dot4_i32_iu8 v6, v11, v58, v0 neg_lo:[1,1,0]
	;; [unrolled: 1-line block ×3, first 2 shown]
	s_delay_alu instid0(VALU_DEP_1) | instskip(NEXT) | instid1(VALU_DEP_1)
	v_dot4_i32_iu8 v0, v45, v197, v0 neg_lo:[1,1,0]
	v_dot4_i32_iu8 v0, v72, v196, v0 neg_lo:[1,1,0]
	s_delay_alu instid0(VALU_DEP_1) | instskip(NEXT) | instid1(VALU_DEP_1)
	v_dot4_i32_iu8 v0, v7, v46, v0 neg_lo:[1,1,0]
	v_mul_lo_u32 v0, v0, v195
	s_delay_alu instid0(VALU_DEP_1) | instskip(NEXT) | instid1(VALU_DEP_1)
	v_mad_co_u64_u32 v[0:1], null, v1, v191, v[0:1]
	v_cvt_f32_i32_e32 v0, v0
	s_delay_alu instid0(VALU_DEP_1) | instskip(SKIP_1) | instid1(VALU_DEP_1)
	v_fma_f32 v2, v16, v0, 0
	v_mul_lo_u32 v0, v5, v192
	v_mad_co_u64_u32 v[0:1], null, v6, v190, v[0:1]
	s_delay_alu instid0(VALU_DEP_1) | instskip(NEXT) | instid1(VALU_DEP_1)
	v_cvt_f32_i32_e32 v0, v0
	v_fmac_f32_e32 v2, v17, v0
	v_or_b32_e32 v0, s11, v161
	s_delay_alu instid0(VALU_DEP_2) | instskip(NEXT) | instid1(VALU_DEP_2)
	v_fmac_f32_e32 v98, v189, v2
	v_lshlrev_b32_e32 v12, 2, v0
	v_lshrrev_b32_e32 v16, 1, v0
	ds_load_b128 v[0:3], v12 offset:33280
	ds_load_b128 v[4:7], v12 offset:33296
	;; [unrolled: 1-line block ×4, first 2 shown]
	ds_load_b64 v[16:17], v16 offset:43584
	s_wait_dscnt 0x4
	v_perm_b32 v76, v1, v0, 0x6040503
	s_wait_dscnt 0x3
	v_perm_b32 v72, v6, v5, 0x7060403
	s_wait_dscnt 0x2
	v_bfe_i32 v18, v10, 8, 8
	v_bfe_i32 v19, v8, 8, 8
	;; [unrolled: 1-line block ×3, first 2 shown]
	v_ashrrev_i32_e32 v45, 24, v10
	s_wait_dscnt 0x1
	v_perm_b32 v70, v14, v14, 0xc0c0c01
	v_mul_i32_i24_e32 v18, v18, v225
	v_perm_b32 v110, v2, v1, 0x7060403
	v_mul_i32_i24_e32 v44, v227, v44
	v_mul_i32_i24_e32 v45, v226, v45
	v_perm_b32 v69, v12, v68, 0x6040503
	v_mad_i32_i24 v18, v228, v19, v18
	v_perm_b32 v19, v9, v8, 0x5030200
	v_or_b32_e32 v70, v234, v70
	s_delay_alu instid0(VALU_DEP_2) | instskip(SKIP_1) | instid1(VALU_DEP_3)
	v_dot4_i32_iu8 v18, v237, v19, v18 neg_lo:[1,1,0]
	v_perm_b32 v19, v10, v9, 0x4030200
	v_dot4_i32_iu8 v69, v70, v69, 0 neg_lo:[1,1,0]
	v_perm_b32 v70, v13, v12, 0x6040503
	v_perm_b32 v13, v14, v13, 0x7060403
	s_delay_alu instid0(VALU_DEP_4) | instskip(SKIP_1) | instid1(VALU_DEP_4)
	v_dot4_i32_iu8 v18, v238, v19, v18 neg_lo:[1,1,0]
	v_perm_b32 v19, v11, v11, 0x3020001
	v_dot4_i32_iu8 v69, v70, v235, v69 neg_lo:[1,1,0]
	s_delay_alu instid0(VALU_DEP_3) | instskip(SKIP_1) | instid1(VALU_DEP_3)
	v_add3_u32 v18, v18, v44, v45
	v_perm_b32 v45, v5, v4, 0x6040503
	v_dot4_i32_iu8 v69, v236, v13, v69 neg_lo:[1,1,0]
	s_delay_alu instid0(VALU_DEP_3) | instskip(SKIP_2) | instid1(VALU_DEP_4)
	v_dot4_i32_iu8 v44, v239, v19, v18 neg_lo:[1,1,0]
	v_perm_b32 v18, v4, v39, 0x6050401
	v_perm_b32 v19, v43, v6, 0x6050401
	v_dot4_i32_iu8 v69, v224, v15, v69 neg_lo:[1,1,0]
	v_perm_b32 v4, v4, v6, 0x6050401
	s_delay_alu instid0(VALU_DEP_3) | instskip(SKIP_1) | instid1(VALU_DEP_2)
	v_dot4_i32_iu8 v18, v19, v18, 0 neg_lo:[1,1,0]
	v_perm_b32 v19, v41, v2, 0x6050401
	v_dot4_i32_iu8 v18, v229, v45, v18 neg_lo:[1,1,0]
	s_delay_alu instid0(VALU_DEP_1) | instskip(SKIP_1) | instid1(VALU_DEP_2)
	v_dot4_i32_iu8 v5, v230, v72, v18 neg_lo:[1,1,0]
	v_perm_b32 v18, v0, v35, 0x6050401
	v_dot4_i32_iu8 v5, v7, v40, v5 neg_lo:[1,1,0]
	s_delay_alu instid0(VALU_DEP_2) | instskip(NEXT) | instid1(VALU_DEP_2)
	v_dot4_i32_iu8 v18, v19, v18, 0 neg_lo:[1,1,0]
	v_mul_lo_u32 v5, v5, v209
	s_delay_alu instid0(VALU_DEP_2) | instskip(NEXT) | instid1(VALU_DEP_1)
	v_dot4_i32_iu8 v18, v231, v76, v18 neg_lo:[1,1,0]
	v_dot4_i32_iu8 v1, v232, v110, v18 neg_lo:[1,1,0]
	s_delay_alu instid0(VALU_DEP_1) | instskip(NEXT) | instid1(VALU_DEP_1)
	v_dot4_i32_iu8 v1, v3, v36, v1 neg_lo:[1,1,0]
	v_mad_co_u64_u32 v[18:19], null, v1, v219, v[5:6]
	s_delay_alu instid0(VALU_DEP_1) | instskip(SKIP_1) | instid1(VALU_DEP_1)
	v_cvt_f32_i32_e32 v1, v18
	s_wait_dscnt 0x0
	v_fma_f32 v5, v16, v1, 0
	v_mul_lo_u32 v1, v69, v221
	s_delay_alu instid0(VALU_DEP_1) | instskip(SKIP_1) | instid1(VALU_DEP_1)
	v_mad_co_u64_u32 v[18:19], null, v44, v220, v[1:2]
	v_perm_b32 v2, v0, v2, 0x6050401
	v_dot4_i32_iu8 v0, v2, v65, 0 neg_lo:[1,1,0]
	s_delay_alu instid0(VALU_DEP_3) | instskip(NEXT) | instid1(VALU_DEP_2)
	v_cvt_f32_i32_e32 v1, v18
	v_dot4_i32_iu8 v0, v76, v210, v0 neg_lo:[1,1,0]
	s_delay_alu instid0(VALU_DEP_2) | instskip(NEXT) | instid1(VALU_DEP_2)
	v_fmac_f32_e32 v5, v17, v1
	v_dot4_i32_iu8 v0, v110, v212, v0 neg_lo:[1,1,0]
	s_delay_alu instid0(VALU_DEP_2)
	v_fmac_f32_e32 v97, v78, v5
	v_perm_b32 v5, v12, v14, 0x6040501
	v_perm_b32 v14, v8, v10, 0x6040501
	;; [unrolled: 1-line block ×4, first 2 shown]
	v_dot4_i32_iu8 v0, v3, v52, v0 neg_lo:[1,1,0]
	v_dot4_i32_iu8 v1, v5, v233, 0 neg_lo:[1,1,0]
	s_delay_alu instid0(VALU_DEP_1) | instskip(NEXT) | instid1(VALU_DEP_1)
	v_dot4_i32_iu8 v1, v70, v73, v1 neg_lo:[1,1,0]
	v_dot4_i32_iu8 v1, v13, v222, v1 neg_lo:[1,1,0]
	s_delay_alu instid0(VALU_DEP_1) | instskip(SKIP_1) | instid1(VALU_DEP_1)
	v_dot4_i32_iu8 v12, v15, v64, v1 neg_lo:[1,1,0]
	v_dot4_i32_iu8 v1, v14, v74, 0 neg_lo:[1,1,0]
	;; [unrolled: 1-line block ×3, first 2 shown]
	s_delay_alu instid0(VALU_DEP_1) | instskip(NEXT) | instid1(VALU_DEP_1)
	v_dot4_i32_iu8 v1, v9, v223, v1 neg_lo:[1,1,0]
	v_dot4_i32_iu8 v10, v11, v66, v1 neg_lo:[1,1,0]
	;; [unrolled: 1-line block ×3, first 2 shown]
	s_delay_alu instid0(VALU_DEP_1) | instskip(NEXT) | instid1(VALU_DEP_1)
	v_dot4_i32_iu8 v1, v45, v206, v1 neg_lo:[1,1,0]
	v_dot4_i32_iu8 v1, v72, v207, v1 neg_lo:[1,1,0]
	s_delay_alu instid0(VALU_DEP_1) | instskip(NEXT) | instid1(VALU_DEP_1)
	v_dot4_i32_iu8 v1, v7, v54, v1 neg_lo:[1,1,0]
	v_mul_lo_u32 v1, v1, v208
	s_delay_alu instid0(VALU_DEP_1) | instskip(NEXT) | instid1(VALU_DEP_1)
	v_mad_co_u64_u32 v[0:1], null, v0, v213, v[1:2]
	v_cvt_f32_i32_e32 v0, v0
	s_delay_alu instid0(VALU_DEP_1) | instskip(SKIP_1) | instid1(VALU_DEP_1)
	v_fma_f32 v6, v16, v0, 0
	v_mul_lo_u32 v0, v12, v215
	v_mad_co_u64_u32 v[0:1], null, v10, v214, v[0:1]
	v_dot4_i32_iu8 v1, v2, v47, 0 neg_lo:[1,1,0]
	s_delay_alu instid0(VALU_DEP_1) | instskip(NEXT) | instid1(VALU_DEP_3)
	v_dot4_i32_iu8 v1, v76, v201, v1 neg_lo:[1,1,0]
	v_cvt_f32_i32_e32 v0, v0
	s_delay_alu instid0(VALU_DEP_2) | instskip(NEXT) | instid1(VALU_DEP_2)
	v_dot4_i32_iu8 v1, v110, v202, v1 neg_lo:[1,1,0]
	v_fmac_f32_e32 v6, v17, v0
	v_dot4_i32_iu8 v0, v5, v59, 0 neg_lo:[1,1,0]
	s_delay_alu instid0(VALU_DEP_3) | instskip(NEXT) | instid1(VALU_DEP_3)
	v_dot4_i32_iu8 v1, v3, v48, v1 neg_lo:[1,1,0]
	v_fmac_f32_e32 v96, v187, v6
	s_delay_alu instid0(VALU_DEP_3) | instskip(NEXT) | instid1(VALU_DEP_1)
	v_dot4_i32_iu8 v0, v70, v67, v0 neg_lo:[1,1,0]
	v_dot4_i32_iu8 v0, v13, v217, v0 neg_lo:[1,1,0]
	s_delay_alu instid0(VALU_DEP_1) | instskip(SKIP_1) | instid1(VALU_DEP_1)
	v_dot4_i32_iu8 v6, v15, v60, v0 neg_lo:[1,1,0]
	v_dot4_i32_iu8 v0, v14, v61, 0 neg_lo:[1,1,0]
	;; [unrolled: 1-line block ×3, first 2 shown]
	s_delay_alu instid0(VALU_DEP_1) | instskip(NEXT) | instid1(VALU_DEP_1)
	v_dot4_i32_iu8 v0, v9, v218, v0 neg_lo:[1,1,0]
	v_dot4_i32_iu8 v10, v11, v62, v0 neg_lo:[1,1,0]
	;; [unrolled: 1-line block ×3, first 2 shown]
	s_delay_alu instid0(VALU_DEP_1) | instskip(NEXT) | instid1(VALU_DEP_1)
	v_dot4_i32_iu8 v0, v45, v198, v0 neg_lo:[1,1,0]
	v_dot4_i32_iu8 v0, v72, v199, v0 neg_lo:[1,1,0]
	s_delay_alu instid0(VALU_DEP_1) | instskip(NEXT) | instid1(VALU_DEP_1)
	v_dot4_i32_iu8 v0, v7, v50, v0 neg_lo:[1,1,0]
	v_mul_lo_u32 v0, v0, v200
	s_delay_alu instid0(VALU_DEP_1) | instskip(NEXT) | instid1(VALU_DEP_1)
	v_mad_co_u64_u32 v[0:1], null, v1, v203, v[0:1]
	v_cvt_f32_i32_e32 v0, v0
	s_delay_alu instid0(VALU_DEP_1) | instskip(SKIP_1) | instid1(VALU_DEP_1)
	v_fma_f32 v12, v16, v0, 0
	v_mul_lo_u32 v0, v6, v205
	v_mad_co_u64_u32 v[0:1], null, v10, v204, v[0:1]
	v_dot4_i32_iu8 v1, v2, v37, 0 neg_lo:[1,1,0]
	s_delay_alu instid0(VALU_DEP_1) | instskip(NEXT) | instid1(VALU_DEP_3)
	v_dot4_i32_iu8 v1, v76, v194, v1 neg_lo:[1,1,0]
	v_cvt_f32_i32_e32 v0, v0
	s_delay_alu instid0(VALU_DEP_2) | instskip(NEXT) | instid1(VALU_DEP_2)
	v_dot4_i32_iu8 v1, v110, v193, v1 neg_lo:[1,1,0]
	v_fmac_f32_e32 v12, v17, v0
	v_dot4_i32_iu8 v0, v5, v51, 0 neg_lo:[1,1,0]
	s_delay_alu instid0(VALU_DEP_3) | instskip(NEXT) | instid1(VALU_DEP_3)
	v_dot4_i32_iu8 v1, v3, v38, v1 neg_lo:[1,1,0]
	v_fmac_f32_e32 v95, v188, v12
	s_delay_alu instid0(VALU_DEP_3) | instskip(NEXT) | instid1(VALU_DEP_1)
	v_dot4_i32_iu8 v0, v70, v53, v0 neg_lo:[1,1,0]
	v_dot4_i32_iu8 v0, v13, v211, v0 neg_lo:[1,1,0]
	s_delay_alu instid0(VALU_DEP_1) | instskip(SKIP_1) | instid1(VALU_DEP_1)
	v_dot4_i32_iu8 v5, v15, v56, v0 neg_lo:[1,1,0]
	v_dot4_i32_iu8 v0, v14, v55, 0 neg_lo:[1,1,0]
	;; [unrolled: 1-line block ×3, first 2 shown]
	s_delay_alu instid0(VALU_DEP_1) | instskip(NEXT) | instid1(VALU_DEP_1)
	v_dot4_i32_iu8 v0, v9, v216, v0 neg_lo:[1,1,0]
	v_dot4_i32_iu8 v6, v11, v58, v0 neg_lo:[1,1,0]
	;; [unrolled: 1-line block ×3, first 2 shown]
	s_delay_alu instid0(VALU_DEP_1) | instskip(NEXT) | instid1(VALU_DEP_1)
	v_dot4_i32_iu8 v0, v45, v197, v0 neg_lo:[1,1,0]
	v_dot4_i32_iu8 v0, v72, v196, v0 neg_lo:[1,1,0]
	s_delay_alu instid0(VALU_DEP_1) | instskip(NEXT) | instid1(VALU_DEP_1)
	v_dot4_i32_iu8 v0, v7, v46, v0 neg_lo:[1,1,0]
	v_mul_lo_u32 v0, v0, v195
	s_delay_alu instid0(VALU_DEP_1) | instskip(NEXT) | instid1(VALU_DEP_1)
	v_mad_co_u64_u32 v[0:1], null, v1, v191, v[0:1]
	v_cvt_f32_i32_e32 v0, v0
	s_delay_alu instid0(VALU_DEP_1) | instskip(SKIP_1) | instid1(VALU_DEP_1)
	v_fma_f32 v2, v16, v0, 0
	v_mul_lo_u32 v0, v5, v192
	v_mad_co_u64_u32 v[0:1], null, v6, v190, v[0:1]
	s_delay_alu instid0(VALU_DEP_1) | instskip(NEXT) | instid1(VALU_DEP_1)
	v_cvt_f32_i32_e32 v0, v0
	v_fmac_f32_e32 v2, v17, v0
	v_or_b32_e32 v0, s11, v162
	s_delay_alu instid0(VALU_DEP_1)
	v_dual_fmac_f32 v93, v189, v2 :: v_dual_lshlrev_b32 v12, 2, v0
	v_lshrrev_b32_e32 v16, 1, v0
	ds_load_b128 v[0:3], v12 offset:33280
	ds_load_b128 v[4:7], v12 offset:33296
	;; [unrolled: 1-line block ×4, first 2 shown]
	ds_load_b64 v[16:17], v16 offset:43584
	s_wait_dscnt 0x4
	v_perm_b32 v76, v1, v0, 0x6040503
	s_wait_dscnt 0x3
	v_perm_b32 v72, v6, v5, 0x7060403
	s_wait_dscnt 0x2
	v_bfe_i32 v18, v10, 8, 8
	v_bfe_i32 v19, v8, 8, 8
	;; [unrolled: 1-line block ×3, first 2 shown]
	v_ashrrev_i32_e32 v45, 24, v10
	s_wait_dscnt 0x1
	v_perm_b32 v70, v14, v14, 0xc0c0c01
	v_mul_i32_i24_e32 v18, v18, v225
	v_perm_b32 v110, v2, v1, 0x7060403
	v_mul_i32_i24_e32 v44, v227, v44
	v_mul_i32_i24_e32 v45, v226, v45
	v_perm_b32 v69, v12, v68, 0x6040503
	v_mad_i32_i24 v18, v228, v19, v18
	v_perm_b32 v19, v9, v8, 0x5030200
	v_or_b32_e32 v70, v234, v70
	s_delay_alu instid0(VALU_DEP_2) | instskip(SKIP_1) | instid1(VALU_DEP_3)
	v_dot4_i32_iu8 v18, v237, v19, v18 neg_lo:[1,1,0]
	v_perm_b32 v19, v10, v9, 0x4030200
	v_dot4_i32_iu8 v69, v70, v69, 0 neg_lo:[1,1,0]
	v_perm_b32 v70, v13, v12, 0x6040503
	v_perm_b32 v13, v14, v13, 0x7060403
	s_delay_alu instid0(VALU_DEP_4) | instskip(SKIP_1) | instid1(VALU_DEP_4)
	v_dot4_i32_iu8 v18, v238, v19, v18 neg_lo:[1,1,0]
	v_perm_b32 v19, v11, v11, 0x3020001
	v_dot4_i32_iu8 v69, v70, v235, v69 neg_lo:[1,1,0]
	s_delay_alu instid0(VALU_DEP_3) | instskip(SKIP_1) | instid1(VALU_DEP_3)
	v_add3_u32 v18, v18, v44, v45
	v_perm_b32 v45, v5, v4, 0x6040503
	v_dot4_i32_iu8 v69, v236, v13, v69 neg_lo:[1,1,0]
	s_delay_alu instid0(VALU_DEP_3) | instskip(SKIP_2) | instid1(VALU_DEP_4)
	v_dot4_i32_iu8 v44, v239, v19, v18 neg_lo:[1,1,0]
	v_perm_b32 v18, v4, v39, 0x6050401
	v_perm_b32 v19, v43, v6, 0x6050401
	v_dot4_i32_iu8 v69, v224, v15, v69 neg_lo:[1,1,0]
	v_perm_b32 v4, v4, v6, 0x6050401
	s_delay_alu instid0(VALU_DEP_3) | instskip(SKIP_1) | instid1(VALU_DEP_2)
	v_dot4_i32_iu8 v18, v19, v18, 0 neg_lo:[1,1,0]
	v_perm_b32 v19, v41, v2, 0x6050401
	v_dot4_i32_iu8 v18, v229, v45, v18 neg_lo:[1,1,0]
	s_delay_alu instid0(VALU_DEP_1) | instskip(SKIP_1) | instid1(VALU_DEP_2)
	v_dot4_i32_iu8 v5, v230, v72, v18 neg_lo:[1,1,0]
	v_perm_b32 v18, v0, v35, 0x6050401
	v_dot4_i32_iu8 v5, v7, v40, v5 neg_lo:[1,1,0]
	s_delay_alu instid0(VALU_DEP_2) | instskip(NEXT) | instid1(VALU_DEP_2)
	v_dot4_i32_iu8 v18, v19, v18, 0 neg_lo:[1,1,0]
	v_mul_lo_u32 v5, v5, v209
	s_delay_alu instid0(VALU_DEP_2) | instskip(NEXT) | instid1(VALU_DEP_1)
	v_dot4_i32_iu8 v18, v231, v76, v18 neg_lo:[1,1,0]
	v_dot4_i32_iu8 v1, v232, v110, v18 neg_lo:[1,1,0]
	s_delay_alu instid0(VALU_DEP_1) | instskip(NEXT) | instid1(VALU_DEP_1)
	v_dot4_i32_iu8 v1, v3, v36, v1 neg_lo:[1,1,0]
	v_mad_co_u64_u32 v[18:19], null, v1, v219, v[5:6]
	s_delay_alu instid0(VALU_DEP_1) | instskip(SKIP_1) | instid1(VALU_DEP_1)
	v_cvt_f32_i32_e32 v1, v18
	s_wait_dscnt 0x0
	v_fma_f32 v5, v16, v1, 0
	v_mul_lo_u32 v1, v69, v221
	s_delay_alu instid0(VALU_DEP_1) | instskip(SKIP_1) | instid1(VALU_DEP_1)
	v_mad_co_u64_u32 v[18:19], null, v44, v220, v[1:2]
	v_perm_b32 v2, v0, v2, 0x6050401
	v_dot4_i32_iu8 v0, v2, v65, 0 neg_lo:[1,1,0]
	s_delay_alu instid0(VALU_DEP_3) | instskip(NEXT) | instid1(VALU_DEP_2)
	v_cvt_f32_i32_e32 v1, v18
	v_dot4_i32_iu8 v0, v76, v210, v0 neg_lo:[1,1,0]
	s_delay_alu instid0(VALU_DEP_2) | instskip(NEXT) | instid1(VALU_DEP_2)
	v_fmac_f32_e32 v5, v17, v1
	v_dot4_i32_iu8 v0, v110, v212, v0 neg_lo:[1,1,0]
	s_delay_alu instid0(VALU_DEP_2)
	v_fmac_f32_e32 v92, v78, v5
	v_perm_b32 v5, v12, v14, 0x6040501
	v_perm_b32 v14, v8, v10, 0x6040501
	v_perm_b32 v8, v9, v8, 0x6040503
	v_perm_b32 v9, v10, v9, 0x7060403
	v_dot4_i32_iu8 v0, v3, v52, v0 neg_lo:[1,1,0]
	v_dot4_i32_iu8 v1, v5, v233, 0 neg_lo:[1,1,0]
	s_delay_alu instid0(VALU_DEP_1) | instskip(NEXT) | instid1(VALU_DEP_1)
	v_dot4_i32_iu8 v1, v70, v73, v1 neg_lo:[1,1,0]
	v_dot4_i32_iu8 v1, v13, v222, v1 neg_lo:[1,1,0]
	s_delay_alu instid0(VALU_DEP_1) | instskip(SKIP_1) | instid1(VALU_DEP_1)
	v_dot4_i32_iu8 v12, v15, v64, v1 neg_lo:[1,1,0]
	v_dot4_i32_iu8 v1, v14, v74, 0 neg_lo:[1,1,0]
	v_dot4_i32_iu8 v1, v8, v75, v1 neg_lo:[1,1,0]
	s_delay_alu instid0(VALU_DEP_1) | instskip(NEXT) | instid1(VALU_DEP_1)
	v_dot4_i32_iu8 v1, v9, v223, v1 neg_lo:[1,1,0]
	v_dot4_i32_iu8 v10, v11, v66, v1 neg_lo:[1,1,0]
	;; [unrolled: 1-line block ×3, first 2 shown]
	s_delay_alu instid0(VALU_DEP_1) | instskip(NEXT) | instid1(VALU_DEP_1)
	v_dot4_i32_iu8 v1, v45, v206, v1 neg_lo:[1,1,0]
	v_dot4_i32_iu8 v1, v72, v207, v1 neg_lo:[1,1,0]
	s_delay_alu instid0(VALU_DEP_1) | instskip(NEXT) | instid1(VALU_DEP_1)
	v_dot4_i32_iu8 v1, v7, v54, v1 neg_lo:[1,1,0]
	v_mul_lo_u32 v1, v1, v208
	s_delay_alu instid0(VALU_DEP_1) | instskip(NEXT) | instid1(VALU_DEP_1)
	v_mad_co_u64_u32 v[0:1], null, v0, v213, v[1:2]
	v_cvt_f32_i32_e32 v0, v0
	s_delay_alu instid0(VALU_DEP_1) | instskip(SKIP_1) | instid1(VALU_DEP_1)
	v_fma_f32 v6, v16, v0, 0
	v_mul_lo_u32 v0, v12, v215
	v_mad_co_u64_u32 v[0:1], null, v10, v214, v[0:1]
	v_dot4_i32_iu8 v1, v2, v47, 0 neg_lo:[1,1,0]
	s_delay_alu instid0(VALU_DEP_1) | instskip(NEXT) | instid1(VALU_DEP_3)
	v_dot4_i32_iu8 v1, v76, v201, v1 neg_lo:[1,1,0]
	v_cvt_f32_i32_e32 v0, v0
	s_delay_alu instid0(VALU_DEP_2) | instskip(NEXT) | instid1(VALU_DEP_2)
	v_dot4_i32_iu8 v1, v110, v202, v1 neg_lo:[1,1,0]
	v_fmac_f32_e32 v6, v17, v0
	v_dot4_i32_iu8 v0, v5, v59, 0 neg_lo:[1,1,0]
	s_delay_alu instid0(VALU_DEP_3) | instskip(NEXT) | instid1(VALU_DEP_3)
	v_dot4_i32_iu8 v1, v3, v48, v1 neg_lo:[1,1,0]
	v_fmac_f32_e32 v91, v187, v6
	s_delay_alu instid0(VALU_DEP_3) | instskip(NEXT) | instid1(VALU_DEP_1)
	v_dot4_i32_iu8 v0, v70, v67, v0 neg_lo:[1,1,0]
	v_dot4_i32_iu8 v0, v13, v217, v0 neg_lo:[1,1,0]
	s_delay_alu instid0(VALU_DEP_1) | instskip(SKIP_1) | instid1(VALU_DEP_1)
	v_dot4_i32_iu8 v6, v15, v60, v0 neg_lo:[1,1,0]
	v_dot4_i32_iu8 v0, v14, v61, 0 neg_lo:[1,1,0]
	;; [unrolled: 1-line block ×3, first 2 shown]
	s_delay_alu instid0(VALU_DEP_1) | instskip(NEXT) | instid1(VALU_DEP_1)
	v_dot4_i32_iu8 v0, v9, v218, v0 neg_lo:[1,1,0]
	v_dot4_i32_iu8 v10, v11, v62, v0 neg_lo:[1,1,0]
	;; [unrolled: 1-line block ×3, first 2 shown]
	s_delay_alu instid0(VALU_DEP_1) | instskip(NEXT) | instid1(VALU_DEP_1)
	v_dot4_i32_iu8 v0, v45, v198, v0 neg_lo:[1,1,0]
	v_dot4_i32_iu8 v0, v72, v199, v0 neg_lo:[1,1,0]
	s_delay_alu instid0(VALU_DEP_1) | instskip(NEXT) | instid1(VALU_DEP_1)
	v_dot4_i32_iu8 v0, v7, v50, v0 neg_lo:[1,1,0]
	v_mul_lo_u32 v0, v0, v200
	s_delay_alu instid0(VALU_DEP_1) | instskip(NEXT) | instid1(VALU_DEP_1)
	v_mad_co_u64_u32 v[0:1], null, v1, v203, v[0:1]
	v_cvt_f32_i32_e32 v0, v0
	s_delay_alu instid0(VALU_DEP_1) | instskip(SKIP_1) | instid1(VALU_DEP_1)
	v_fma_f32 v12, v16, v0, 0
	v_mul_lo_u32 v0, v6, v205
	v_mad_co_u64_u32 v[0:1], null, v10, v204, v[0:1]
	v_dot4_i32_iu8 v1, v2, v37, 0 neg_lo:[1,1,0]
	s_delay_alu instid0(VALU_DEP_1) | instskip(NEXT) | instid1(VALU_DEP_3)
	v_dot4_i32_iu8 v1, v76, v194, v1 neg_lo:[1,1,0]
	v_cvt_f32_i32_e32 v0, v0
	s_delay_alu instid0(VALU_DEP_2) | instskip(NEXT) | instid1(VALU_DEP_2)
	v_dot4_i32_iu8 v1, v110, v193, v1 neg_lo:[1,1,0]
	v_fmac_f32_e32 v12, v17, v0
	v_dot4_i32_iu8 v0, v5, v51, 0 neg_lo:[1,1,0]
	s_delay_alu instid0(VALU_DEP_3) | instskip(NEXT) | instid1(VALU_DEP_3)
	v_dot4_i32_iu8 v1, v3, v38, v1 neg_lo:[1,1,0]
	v_fmac_f32_e32 v88, v188, v12
	s_delay_alu instid0(VALU_DEP_3) | instskip(NEXT) | instid1(VALU_DEP_1)
	v_dot4_i32_iu8 v0, v70, v53, v0 neg_lo:[1,1,0]
	v_dot4_i32_iu8 v0, v13, v211, v0 neg_lo:[1,1,0]
	s_delay_alu instid0(VALU_DEP_1) | instskip(SKIP_1) | instid1(VALU_DEP_1)
	v_dot4_i32_iu8 v5, v15, v56, v0 neg_lo:[1,1,0]
	v_dot4_i32_iu8 v0, v14, v55, 0 neg_lo:[1,1,0]
	;; [unrolled: 1-line block ×3, first 2 shown]
	s_delay_alu instid0(VALU_DEP_1) | instskip(NEXT) | instid1(VALU_DEP_1)
	v_dot4_i32_iu8 v0, v9, v216, v0 neg_lo:[1,1,0]
	v_dot4_i32_iu8 v6, v11, v58, v0 neg_lo:[1,1,0]
	;; [unrolled: 1-line block ×3, first 2 shown]
	s_delay_alu instid0(VALU_DEP_1) | instskip(NEXT) | instid1(VALU_DEP_1)
	v_dot4_i32_iu8 v0, v45, v197, v0 neg_lo:[1,1,0]
	v_dot4_i32_iu8 v0, v72, v196, v0 neg_lo:[1,1,0]
	s_delay_alu instid0(VALU_DEP_1) | instskip(NEXT) | instid1(VALU_DEP_1)
	v_dot4_i32_iu8 v0, v7, v46, v0 neg_lo:[1,1,0]
	v_mul_lo_u32 v0, v0, v195
	s_delay_alu instid0(VALU_DEP_1) | instskip(NEXT) | instid1(VALU_DEP_1)
	v_mad_co_u64_u32 v[0:1], null, v1, v191, v[0:1]
	v_cvt_f32_i32_e32 v0, v0
	s_delay_alu instid0(VALU_DEP_1) | instskip(SKIP_1) | instid1(VALU_DEP_1)
	v_fma_f32 v2, v16, v0, 0
	v_mul_lo_u32 v0, v5, v192
	v_mad_co_u64_u32 v[0:1], null, v6, v190, v[0:1]
	s_delay_alu instid0(VALU_DEP_1) | instskip(NEXT) | instid1(VALU_DEP_1)
	v_cvt_f32_i32_e32 v0, v0
	v_fmac_f32_e32 v2, v17, v0
	v_or_b32_e32 v0, s11, v163
	s_delay_alu instid0(VALU_DEP_1)
	v_dual_fmac_f32 v87, v189, v2 :: v_dual_lshlrev_b32 v12, 2, v0
	v_lshrrev_b32_e32 v16, 1, v0
	ds_load_b128 v[0:3], v12 offset:33280
	ds_load_b128 v[4:7], v12 offset:33296
	;; [unrolled: 1-line block ×4, first 2 shown]
	ds_load_b64 v[16:17], v16 offset:43584
	s_wait_dscnt 0x4
	v_perm_b32 v76, v1, v0, 0x6040503
	s_wait_dscnt 0x3
	v_perm_b32 v72, v6, v5, 0x7060403
	s_wait_dscnt 0x2
	v_bfe_i32 v18, v10, 8, 8
	v_bfe_i32 v19, v8, 8, 8
	;; [unrolled: 1-line block ×3, first 2 shown]
	v_ashrrev_i32_e32 v45, 24, v10
	s_wait_dscnt 0x1
	v_perm_b32 v70, v14, v14, 0xc0c0c01
	v_mul_i32_i24_e32 v18, v18, v225
	v_perm_b32 v110, v2, v1, 0x7060403
	v_mul_i32_i24_e32 v44, v227, v44
	v_mul_i32_i24_e32 v45, v226, v45
	v_perm_b32 v69, v12, v68, 0x6040503
	v_mad_i32_i24 v18, v228, v19, v18
	v_perm_b32 v19, v9, v8, 0x5030200
	v_or_b32_e32 v70, v234, v70
	s_delay_alu instid0(VALU_DEP_2) | instskip(SKIP_1) | instid1(VALU_DEP_3)
	v_dot4_i32_iu8 v18, v237, v19, v18 neg_lo:[1,1,0]
	v_perm_b32 v19, v10, v9, 0x4030200
	v_dot4_i32_iu8 v69, v70, v69, 0 neg_lo:[1,1,0]
	v_perm_b32 v70, v13, v12, 0x6040503
	v_perm_b32 v13, v14, v13, 0x7060403
	s_delay_alu instid0(VALU_DEP_4) | instskip(SKIP_1) | instid1(VALU_DEP_4)
	v_dot4_i32_iu8 v18, v238, v19, v18 neg_lo:[1,1,0]
	v_perm_b32 v19, v11, v11, 0x3020001
	v_dot4_i32_iu8 v69, v70, v235, v69 neg_lo:[1,1,0]
	s_delay_alu instid0(VALU_DEP_3) | instskip(SKIP_1) | instid1(VALU_DEP_3)
	v_add3_u32 v18, v18, v44, v45
	v_perm_b32 v45, v5, v4, 0x6040503
	v_dot4_i32_iu8 v69, v236, v13, v69 neg_lo:[1,1,0]
	s_delay_alu instid0(VALU_DEP_3) | instskip(SKIP_2) | instid1(VALU_DEP_4)
	v_dot4_i32_iu8 v44, v239, v19, v18 neg_lo:[1,1,0]
	v_perm_b32 v18, v4, v39, 0x6050401
	v_perm_b32 v19, v43, v6, 0x6050401
	v_dot4_i32_iu8 v69, v224, v15, v69 neg_lo:[1,1,0]
	v_perm_b32 v4, v4, v6, 0x6050401
	s_delay_alu instid0(VALU_DEP_3) | instskip(SKIP_1) | instid1(VALU_DEP_2)
	v_dot4_i32_iu8 v18, v19, v18, 0 neg_lo:[1,1,0]
	v_perm_b32 v19, v41, v2, 0x6050401
	v_dot4_i32_iu8 v18, v229, v45, v18 neg_lo:[1,1,0]
	s_delay_alu instid0(VALU_DEP_1) | instskip(SKIP_1) | instid1(VALU_DEP_2)
	v_dot4_i32_iu8 v5, v230, v72, v18 neg_lo:[1,1,0]
	v_perm_b32 v18, v0, v35, 0x6050401
	v_dot4_i32_iu8 v5, v7, v40, v5 neg_lo:[1,1,0]
	s_delay_alu instid0(VALU_DEP_2) | instskip(NEXT) | instid1(VALU_DEP_2)
	v_dot4_i32_iu8 v18, v19, v18, 0 neg_lo:[1,1,0]
	v_mul_lo_u32 v5, v5, v209
	s_delay_alu instid0(VALU_DEP_2) | instskip(NEXT) | instid1(VALU_DEP_1)
	v_dot4_i32_iu8 v18, v231, v76, v18 neg_lo:[1,1,0]
	v_dot4_i32_iu8 v1, v232, v110, v18 neg_lo:[1,1,0]
	s_delay_alu instid0(VALU_DEP_1) | instskip(NEXT) | instid1(VALU_DEP_1)
	v_dot4_i32_iu8 v1, v3, v36, v1 neg_lo:[1,1,0]
	v_mad_co_u64_u32 v[18:19], null, v1, v219, v[5:6]
	s_delay_alu instid0(VALU_DEP_1) | instskip(SKIP_1) | instid1(VALU_DEP_1)
	v_cvt_f32_i32_e32 v1, v18
	s_wait_dscnt 0x0
	v_fma_f32 v5, v16, v1, 0
	v_mul_lo_u32 v1, v69, v221
	s_delay_alu instid0(VALU_DEP_1) | instskip(SKIP_1) | instid1(VALU_DEP_1)
	v_mad_co_u64_u32 v[18:19], null, v44, v220, v[1:2]
	v_perm_b32 v2, v0, v2, 0x6050401
	v_dot4_i32_iu8 v0, v2, v65, 0 neg_lo:[1,1,0]
	s_delay_alu instid0(VALU_DEP_3) | instskip(NEXT) | instid1(VALU_DEP_2)
	v_cvt_f32_i32_e32 v1, v18
	v_dot4_i32_iu8 v0, v76, v210, v0 neg_lo:[1,1,0]
	s_delay_alu instid0(VALU_DEP_2) | instskip(NEXT) | instid1(VALU_DEP_2)
	v_fmac_f32_e32 v5, v17, v1
	v_dot4_i32_iu8 v0, v110, v212, v0 neg_lo:[1,1,0]
	s_delay_alu instid0(VALU_DEP_2)
	v_fmac_f32_e32 v86, v78, v5
	v_perm_b32 v5, v12, v14, 0x6040501
	v_perm_b32 v14, v8, v10, 0x6040501
	;; [unrolled: 1-line block ×4, first 2 shown]
	v_dot4_i32_iu8 v0, v3, v52, v0 neg_lo:[1,1,0]
	v_dot4_i32_iu8 v1, v5, v233, 0 neg_lo:[1,1,0]
	s_delay_alu instid0(VALU_DEP_1) | instskip(NEXT) | instid1(VALU_DEP_1)
	v_dot4_i32_iu8 v1, v70, v73, v1 neg_lo:[1,1,0]
	v_dot4_i32_iu8 v1, v13, v222, v1 neg_lo:[1,1,0]
	s_delay_alu instid0(VALU_DEP_1) | instskip(SKIP_1) | instid1(VALU_DEP_1)
	v_dot4_i32_iu8 v12, v15, v64, v1 neg_lo:[1,1,0]
	v_dot4_i32_iu8 v1, v14, v74, 0 neg_lo:[1,1,0]
	;; [unrolled: 1-line block ×3, first 2 shown]
	s_delay_alu instid0(VALU_DEP_1) | instskip(NEXT) | instid1(VALU_DEP_1)
	v_dot4_i32_iu8 v1, v9, v223, v1 neg_lo:[1,1,0]
	v_dot4_i32_iu8 v10, v11, v66, v1 neg_lo:[1,1,0]
	;; [unrolled: 1-line block ×3, first 2 shown]
	s_delay_alu instid0(VALU_DEP_1) | instskip(NEXT) | instid1(VALU_DEP_1)
	v_dot4_i32_iu8 v1, v45, v206, v1 neg_lo:[1,1,0]
	v_dot4_i32_iu8 v1, v72, v207, v1 neg_lo:[1,1,0]
	s_delay_alu instid0(VALU_DEP_1) | instskip(NEXT) | instid1(VALU_DEP_1)
	v_dot4_i32_iu8 v1, v7, v54, v1 neg_lo:[1,1,0]
	v_mul_lo_u32 v1, v1, v208
	s_delay_alu instid0(VALU_DEP_1) | instskip(NEXT) | instid1(VALU_DEP_1)
	v_mad_co_u64_u32 v[0:1], null, v0, v213, v[1:2]
	v_cvt_f32_i32_e32 v0, v0
	s_delay_alu instid0(VALU_DEP_1) | instskip(SKIP_1) | instid1(VALU_DEP_1)
	v_fma_f32 v6, v16, v0, 0
	v_mul_lo_u32 v0, v12, v215
	v_mad_co_u64_u32 v[0:1], null, v10, v214, v[0:1]
	v_dot4_i32_iu8 v1, v2, v47, 0 neg_lo:[1,1,0]
	s_delay_alu instid0(VALU_DEP_1) | instskip(NEXT) | instid1(VALU_DEP_3)
	v_dot4_i32_iu8 v1, v76, v201, v1 neg_lo:[1,1,0]
	v_cvt_f32_i32_e32 v0, v0
	s_delay_alu instid0(VALU_DEP_2) | instskip(NEXT) | instid1(VALU_DEP_2)
	v_dot4_i32_iu8 v1, v110, v202, v1 neg_lo:[1,1,0]
	v_fmac_f32_e32 v6, v17, v0
	v_dot4_i32_iu8 v0, v5, v59, 0 neg_lo:[1,1,0]
	s_delay_alu instid0(VALU_DEP_3) | instskip(NEXT) | instid1(VALU_DEP_3)
	v_dot4_i32_iu8 v1, v3, v48, v1 neg_lo:[1,1,0]
	v_fmac_f32_e32 v85, v187, v6
	s_delay_alu instid0(VALU_DEP_3) | instskip(NEXT) | instid1(VALU_DEP_1)
	v_dot4_i32_iu8 v0, v70, v67, v0 neg_lo:[1,1,0]
	v_dot4_i32_iu8 v0, v13, v217, v0 neg_lo:[1,1,0]
	s_delay_alu instid0(VALU_DEP_1) | instskip(SKIP_1) | instid1(VALU_DEP_1)
	v_dot4_i32_iu8 v6, v15, v60, v0 neg_lo:[1,1,0]
	v_dot4_i32_iu8 v0, v14, v61, 0 neg_lo:[1,1,0]
	;; [unrolled: 1-line block ×3, first 2 shown]
	s_delay_alu instid0(VALU_DEP_1) | instskip(NEXT) | instid1(VALU_DEP_1)
	v_dot4_i32_iu8 v0, v9, v218, v0 neg_lo:[1,1,0]
	v_dot4_i32_iu8 v10, v11, v62, v0 neg_lo:[1,1,0]
	;; [unrolled: 1-line block ×3, first 2 shown]
	s_delay_alu instid0(VALU_DEP_1) | instskip(NEXT) | instid1(VALU_DEP_1)
	v_dot4_i32_iu8 v0, v45, v198, v0 neg_lo:[1,1,0]
	v_dot4_i32_iu8 v0, v72, v199, v0 neg_lo:[1,1,0]
	s_delay_alu instid0(VALU_DEP_1) | instskip(NEXT) | instid1(VALU_DEP_1)
	v_dot4_i32_iu8 v0, v7, v50, v0 neg_lo:[1,1,0]
	v_mul_lo_u32 v0, v0, v200
	s_delay_alu instid0(VALU_DEP_1) | instskip(NEXT) | instid1(VALU_DEP_1)
	v_mad_co_u64_u32 v[0:1], null, v1, v203, v[0:1]
	v_cvt_f32_i32_e32 v0, v0
	s_delay_alu instid0(VALU_DEP_1) | instskip(SKIP_1) | instid1(VALU_DEP_1)
	v_fma_f32 v12, v16, v0, 0
	v_mul_lo_u32 v0, v6, v205
	v_mad_co_u64_u32 v[0:1], null, v10, v204, v[0:1]
	v_dot4_i32_iu8 v1, v2, v37, 0 neg_lo:[1,1,0]
	s_delay_alu instid0(VALU_DEP_1) | instskip(NEXT) | instid1(VALU_DEP_3)
	v_dot4_i32_iu8 v1, v76, v194, v1 neg_lo:[1,1,0]
	v_cvt_f32_i32_e32 v0, v0
	s_delay_alu instid0(VALU_DEP_2) | instskip(NEXT) | instid1(VALU_DEP_2)
	v_dot4_i32_iu8 v1, v110, v193, v1 neg_lo:[1,1,0]
	v_fmac_f32_e32 v12, v17, v0
	v_dot4_i32_iu8 v0, v5, v51, 0 neg_lo:[1,1,0]
	s_delay_alu instid0(VALU_DEP_3) | instskip(NEXT) | instid1(VALU_DEP_3)
	v_dot4_i32_iu8 v1, v3, v38, v1 neg_lo:[1,1,0]
	v_fmac_f32_e32 v84, v188, v12
	s_delay_alu instid0(VALU_DEP_3) | instskip(NEXT) | instid1(VALU_DEP_1)
	v_dot4_i32_iu8 v0, v70, v53, v0 neg_lo:[1,1,0]
	v_dot4_i32_iu8 v0, v13, v211, v0 neg_lo:[1,1,0]
	s_delay_alu instid0(VALU_DEP_1) | instskip(SKIP_1) | instid1(VALU_DEP_1)
	v_dot4_i32_iu8 v5, v15, v56, v0 neg_lo:[1,1,0]
	v_dot4_i32_iu8 v0, v14, v55, 0 neg_lo:[1,1,0]
	v_dot4_i32_iu8 v0, v8, v57, v0 neg_lo:[1,1,0]
	s_delay_alu instid0(VALU_DEP_1) | instskip(NEXT) | instid1(VALU_DEP_1)
	v_dot4_i32_iu8 v0, v9, v216, v0 neg_lo:[1,1,0]
	v_dot4_i32_iu8 v6, v11, v58, v0 neg_lo:[1,1,0]
	;; [unrolled: 1-line block ×3, first 2 shown]
	s_delay_alu instid0(VALU_DEP_1) | instskip(NEXT) | instid1(VALU_DEP_1)
	v_dot4_i32_iu8 v0, v45, v197, v0 neg_lo:[1,1,0]
	v_dot4_i32_iu8 v0, v72, v196, v0 neg_lo:[1,1,0]
	s_delay_alu instid0(VALU_DEP_1) | instskip(NEXT) | instid1(VALU_DEP_1)
	v_dot4_i32_iu8 v0, v7, v46, v0 neg_lo:[1,1,0]
	v_mul_lo_u32 v0, v0, v195
	s_delay_alu instid0(VALU_DEP_1) | instskip(NEXT) | instid1(VALU_DEP_1)
	v_mad_co_u64_u32 v[0:1], null, v1, v191, v[0:1]
	v_cvt_f32_i32_e32 v0, v0
	s_delay_alu instid0(VALU_DEP_1) | instskip(SKIP_1) | instid1(VALU_DEP_1)
	v_fma_f32 v2, v16, v0, 0
	v_mul_lo_u32 v0, v5, v192
	v_mad_co_u64_u32 v[0:1], null, v6, v190, v[0:1]
	s_delay_alu instid0(VALU_DEP_1) | instskip(NEXT) | instid1(VALU_DEP_1)
	v_cvt_f32_i32_e32 v0, v0
	v_fmac_f32_e32 v2, v17, v0
	v_or_b32_e32 v0, s11, v164
	s_delay_alu instid0(VALU_DEP_1)
	v_dual_fmac_f32 v83, v189, v2 :: v_dual_lshlrev_b32 v12, 2, v0
	v_lshrrev_b32_e32 v16, 1, v0
	ds_load_b128 v[0:3], v12 offset:33280
	ds_load_b128 v[4:7], v12 offset:33296
	;; [unrolled: 1-line block ×4, first 2 shown]
	ds_load_b64 v[44:45], v16 offset:43584
	s_wait_dscnt 0x2
	v_bfe_i32 v16, v10, 8, 8
	v_bfe_i32 v17, v8, 8, 8
	;; [unrolled: 1-line block ×3, first 2 shown]
	v_ashrrev_i32_e32 v19, 24, v10
	s_wait_dscnt 0x1
	v_perm_b32 v69, v14, v14, 0xc0c0c01
	v_mul_i32_i24_e32 v16, v16, v225
	v_perm_b32 v68, v12, v68, 0x6040503
	v_mul_i32_i24_e32 v18, v227, v18
	v_mul_i32_i24_e32 v19, v226, v19
	v_or_b32_e32 v69, v234, v69
	v_mad_i32_i24 v16, v228, v17, v16
	v_perm_b32 v17, v9, v8, 0x5030200
	s_delay_alu instid0(VALU_DEP_3) | instskip(SKIP_1) | instid1(VALU_DEP_3)
	v_dot4_i32_iu8 v69, v69, v68, 0 neg_lo:[1,1,0]
	v_perm_b32 v68, v13, v12, 0x6040503
	v_dot4_i32_iu8 v16, v237, v17, v16 neg_lo:[1,1,0]
	v_perm_b32 v17, v10, v9, 0x4030200
	v_perm_b32 v13, v14, v13, 0x7060403
	s_delay_alu instid0(VALU_DEP_4) | instskip(NEXT) | instid1(VALU_DEP_3)
	v_dot4_i32_iu8 v69, v68, v235, v69 neg_lo:[1,1,0]
	v_dot4_i32_iu8 v16, v238, v17, v16 neg_lo:[1,1,0]
	v_perm_b32 v17, v11, v11, 0x3020001
	s_delay_alu instid0(VALU_DEP_3) | instskip(NEXT) | instid1(VALU_DEP_3)
	v_dot4_i32_iu8 v69, v236, v13, v69 neg_lo:[1,1,0]
	v_add3_u32 v16, v16, v18, v19
	v_perm_b32 v19, v5, v4, 0x6040503
	s_delay_alu instid0(VALU_DEP_3) | instskip(NEXT) | instid1(VALU_DEP_3)
	v_dot4_i32_iu8 v69, v224, v15, v69 neg_lo:[1,1,0]
	v_dot4_i32_iu8 v18, v239, v17, v16 neg_lo:[1,1,0]
	v_perm_b32 v16, v4, v39, 0x6050401
	v_perm_b32 v17, v43, v6, 0x6050401
	;; [unrolled: 1-line block ×4, first 2 shown]
	s_delay_alu instid0(VALU_DEP_3) | instskip(SKIP_1) | instid1(VALU_DEP_2)
	v_dot4_i32_iu8 v16, v17, v16, 0 neg_lo:[1,1,0]
	v_perm_b32 v17, v41, v2, 0x6050401
	v_dot4_i32_iu8 v16, v229, v19, v16 neg_lo:[1,1,0]
	s_delay_alu instid0(VALU_DEP_1) | instskip(SKIP_2) | instid1(VALU_DEP_3)
	v_dot4_i32_iu8 v5, v230, v39, v16 neg_lo:[1,1,0]
	v_perm_b32 v16, v0, v35, 0x6050401
	v_perm_b32 v35, v1, v0, 0x6040503
	v_dot4_i32_iu8 v5, v7, v40, v5 neg_lo:[1,1,0]
	s_delay_alu instid0(VALU_DEP_3) | instskip(SKIP_1) | instid1(VALU_DEP_3)
	v_dot4_i32_iu8 v16, v17, v16, 0 neg_lo:[1,1,0]
	v_perm_b32 v40, v2, v1, 0x7060403
	v_mul_lo_u32 v5, v5, v209
	s_delay_alu instid0(VALU_DEP_3) | instskip(NEXT) | instid1(VALU_DEP_1)
	v_dot4_i32_iu8 v16, v231, v35, v16 neg_lo:[1,1,0]
	v_dot4_i32_iu8 v1, v232, v40, v16 neg_lo:[1,1,0]
	s_delay_alu instid0(VALU_DEP_1) | instskip(NEXT) | instid1(VALU_DEP_1)
	v_dot4_i32_iu8 v1, v3, v36, v1 neg_lo:[1,1,0]
	v_mad_co_u64_u32 v[16:17], null, v1, v219, v[5:6]
	v_perm_b32 v6, v0, v2, 0x6050401
	s_delay_alu instid0(VALU_DEP_1) | instskip(NEXT) | instid1(VALU_DEP_3)
	v_dot4_i32_iu8 v0, v6, v65, 0 neg_lo:[1,1,0]
	v_cvt_f32_i32_e32 v1, v16
	s_delay_alu instid0(VALU_DEP_2) | instskip(SKIP_1) | instid1(VALU_DEP_2)
	v_dot4_i32_iu8 v0, v35, v210, v0 neg_lo:[1,1,0]
	s_wait_dscnt 0x0
	v_fma_f32 v5, v44, v1, 0
	v_mul_lo_u32 v1, v69, v221
	s_delay_alu instid0(VALU_DEP_3) | instskip(NEXT) | instid1(VALU_DEP_2)
	v_dot4_i32_iu8 v0, v40, v212, v0 neg_lo:[1,1,0]
	v_mad_co_u64_u32 v[16:17], null, v18, v220, v[1:2]
	s_delay_alu instid0(VALU_DEP_2) | instskip(NEXT) | instid1(VALU_DEP_2)
	v_dot4_i32_iu8 v0, v3, v52, v0 neg_lo:[1,1,0]
	v_cvt_f32_i32_e32 v1, v16
	s_delay_alu instid0(VALU_DEP_1) | instskip(NEXT) | instid1(VALU_DEP_1)
	v_fmac_f32_e32 v5, v45, v1
	v_fmac_f32_e32 v82, v78, v5
	v_perm_b32 v5, v12, v14, 0x6040501
	v_perm_b32 v14, v8, v10, 0x6040501
	v_perm_b32 v8, v9, v8, 0x6040503
	v_perm_b32 v9, v10, v9, 0x7060403
	s_delay_alu instid0(VALU_DEP_4) | instskip(NEXT) | instid1(VALU_DEP_1)
	v_dot4_i32_iu8 v1, v5, v233, 0 neg_lo:[1,1,0]
	v_dot4_i32_iu8 v1, v68, v73, v1 neg_lo:[1,1,0]
	s_delay_alu instid0(VALU_DEP_1) | instskip(NEXT) | instid1(VALU_DEP_1)
	v_dot4_i32_iu8 v1, v13, v222, v1 neg_lo:[1,1,0]
	v_dot4_i32_iu8 v12, v15, v64, v1 neg_lo:[1,1,0]
	v_dot4_i32_iu8 v1, v14, v74, 0 neg_lo:[1,1,0]
	s_delay_alu instid0(VALU_DEP_1) | instskip(NEXT) | instid1(VALU_DEP_1)
	v_dot4_i32_iu8 v1, v8, v75, v1 neg_lo:[1,1,0]
	v_dot4_i32_iu8 v1, v9, v223, v1 neg_lo:[1,1,0]
	s_delay_alu instid0(VALU_DEP_1) | instskip(SKIP_1) | instid1(VALU_DEP_1)
	v_dot4_i32_iu8 v10, v11, v66, v1 neg_lo:[1,1,0]
	v_dot4_i32_iu8 v1, v4, v63, 0 neg_lo:[1,1,0]
	;; [unrolled: 1-line block ×3, first 2 shown]
	s_delay_alu instid0(VALU_DEP_1) | instskip(NEXT) | instid1(VALU_DEP_1)
	v_dot4_i32_iu8 v1, v39, v207, v1 neg_lo:[1,1,0]
	v_dot4_i32_iu8 v1, v7, v54, v1 neg_lo:[1,1,0]
	s_delay_alu instid0(VALU_DEP_1) | instskip(NEXT) | instid1(VALU_DEP_1)
	v_mul_lo_u32 v1, v1, v208
	v_mad_co_u64_u32 v[0:1], null, v0, v213, v[1:2]
	s_delay_alu instid0(VALU_DEP_1) | instskip(NEXT) | instid1(VALU_DEP_1)
	v_cvt_f32_i32_e32 v0, v0
	v_fma_f32 v2, v44, v0, 0
	v_mul_lo_u32 v0, v12, v215
	s_delay_alu instid0(VALU_DEP_1) | instskip(SKIP_1) | instid1(VALU_DEP_1)
	v_mad_co_u64_u32 v[0:1], null, v10, v214, v[0:1]
	v_dot4_i32_iu8 v1, v6, v47, 0 neg_lo:[1,1,0]
	v_dot4_i32_iu8 v1, v35, v201, v1 neg_lo:[1,1,0]
	s_delay_alu instid0(VALU_DEP_3) | instskip(NEXT) | instid1(VALU_DEP_2)
	v_cvt_f32_i32_e32 v0, v0
	v_dot4_i32_iu8 v1, v40, v202, v1 neg_lo:[1,1,0]
	s_delay_alu instid0(VALU_DEP_2) | instskip(SKIP_1) | instid1(VALU_DEP_3)
	v_fmac_f32_e32 v2, v45, v0
	v_dot4_i32_iu8 v0, v5, v59, 0 neg_lo:[1,1,0]
	v_dot4_i32_iu8 v1, v3, v48, v1 neg_lo:[1,1,0]
	s_delay_alu instid0(VALU_DEP_3) | instskip(NEXT) | instid1(VALU_DEP_3)
	v_fmac_f32_e32 v81, v187, v2
	v_dot4_i32_iu8 v0, v68, v67, v0 neg_lo:[1,1,0]
	s_delay_alu instid0(VALU_DEP_1) | instskip(NEXT) | instid1(VALU_DEP_1)
	v_dot4_i32_iu8 v0, v13, v217, v0 neg_lo:[1,1,0]
	v_dot4_i32_iu8 v2, v15, v60, v0 neg_lo:[1,1,0]
	;; [unrolled: 1-line block ×3, first 2 shown]
	s_delay_alu instid0(VALU_DEP_1) | instskip(NEXT) | instid1(VALU_DEP_1)
	v_dot4_i32_iu8 v0, v8, v71, v0 neg_lo:[1,1,0]
	v_dot4_i32_iu8 v0, v9, v218, v0 neg_lo:[1,1,0]
	s_delay_alu instid0(VALU_DEP_1) | instskip(SKIP_1) | instid1(VALU_DEP_1)
	v_dot4_i32_iu8 v10, v11, v62, v0 neg_lo:[1,1,0]
	v_dot4_i32_iu8 v0, v4, v49, 0 neg_lo:[1,1,0]
	;; [unrolled: 1-line block ×3, first 2 shown]
	s_delay_alu instid0(VALU_DEP_1) | instskip(NEXT) | instid1(VALU_DEP_1)
	v_dot4_i32_iu8 v0, v39, v199, v0 neg_lo:[1,1,0]
	v_dot4_i32_iu8 v0, v7, v50, v0 neg_lo:[1,1,0]
	s_delay_alu instid0(VALU_DEP_1) | instskip(NEXT) | instid1(VALU_DEP_1)
	v_mul_lo_u32 v0, v0, v200
	v_mad_co_u64_u32 v[0:1], null, v1, v203, v[0:1]
	s_delay_alu instid0(VALU_DEP_1) | instskip(NEXT) | instid1(VALU_DEP_1)
	v_cvt_f32_i32_e32 v0, v0
	v_fma_f32 v12, v44, v0, 0
	v_mul_lo_u32 v0, v2, v205
	s_delay_alu instid0(VALU_DEP_1) | instskip(NEXT) | instid1(VALU_DEP_1)
	v_mad_co_u64_u32 v[0:1], null, v10, v204, v[0:1]
	v_cvt_f32_i32_e32 v0, v0
	s_delay_alu instid0(VALU_DEP_1) | instskip(SKIP_1) | instid1(VALU_DEP_2)
	v_fmac_f32_e32 v12, v45, v0
	v_dot4_i32_iu8 v0, v5, v51, 0 neg_lo:[1,1,0]
	v_fmac_f32_e32 v80, v188, v12
	s_delay_alu instid0(VALU_DEP_2) | instskip(NEXT) | instid1(VALU_DEP_1)
	v_dot4_i32_iu8 v0, v68, v53, v0 neg_lo:[1,1,0]
	v_dot4_i32_iu8 v0, v13, v211, v0 neg_lo:[1,1,0]
	s_delay_alu instid0(VALU_DEP_1) | instskip(SKIP_1) | instid1(VALU_DEP_1)
	v_dot4_i32_iu8 v1, v15, v56, v0 neg_lo:[1,1,0]
	v_dot4_i32_iu8 v0, v14, v55, 0 neg_lo:[1,1,0]
	;; [unrolled: 1-line block ×3, first 2 shown]
	s_delay_alu instid0(VALU_DEP_1) | instskip(NEXT) | instid1(VALU_DEP_1)
	v_dot4_i32_iu8 v0, v9, v216, v0 neg_lo:[1,1,0]
	v_dot4_i32_iu8 v2, v11, v58, v0 neg_lo:[1,1,0]
	v_dot4_i32_iu8 v0, v4, v42, 0 neg_lo:[1,1,0]
	v_dot4_i32_iu8 v4, v6, v37, 0 neg_lo:[1,1,0]
	s_delay_alu instid0(VALU_DEP_2) | instskip(NEXT) | instid1(VALU_DEP_2)
	v_dot4_i32_iu8 v0, v19, v197, v0 neg_lo:[1,1,0]
	v_dot4_i32_iu8 v4, v35, v194, v4 neg_lo:[1,1,0]
	s_delay_alu instid0(VALU_DEP_2) | instskip(NEXT) | instid1(VALU_DEP_2)
	v_dot4_i32_iu8 v0, v39, v196, v0 neg_lo:[1,1,0]
	v_dot4_i32_iu8 v4, v40, v193, v4 neg_lo:[1,1,0]
	;; [unrolled: 3-line block ×3, first 2 shown]
	s_delay_alu instid0(VALU_DEP_2) | instskip(NEXT) | instid1(VALU_DEP_1)
	v_mul_lo_u32 v0, v0, v195
	v_mad_co_u64_u32 v[3:4], null, v3, v191, v[0:1]
	s_delay_alu instid0(VALU_DEP_1) | instskip(NEXT) | instid1(VALU_DEP_1)
	v_cvt_f32_i32_e32 v0, v3
	v_fma_f32 v3, v44, v0, 0
	v_mul_lo_u32 v0, v1, v192
	s_delay_alu instid0(VALU_DEP_1) | instskip(NEXT) | instid1(VALU_DEP_1)
	v_mad_co_u64_u32 v[0:1], null, v2, v190, v[0:1]
	v_cvt_f32_i32_e32 v0, v0
	s_delay_alu instid0(VALU_DEP_1) | instskip(NEXT) | instid1(VALU_DEP_1)
	v_fmac_f32_e32 v3, v45, v0
	v_fmac_f32_e32 v79, v189, v3
	s_cbranch_vccnz .LBB136_6
; %bb.7:                                ;   in Loop: Header=BB136_5 Depth=1
	v_add_nc_u32_e32 v8, s7, v150
	v_add_nc_u32_e32 v9, 4, v77
	s_wait_loadcnt 0x0
	s_barrier_signal -1
	s_barrier_wait -1
	v_add_nc_u32_e32 v10, v8, v149
	v_add_nc_u32_e32 v0, v8, v142
	v_add_nc_u32_e32 v2, v8, v143
	v_add_nc_u32_e32 v4, v8, v144
	v_add_nc_u32_e32 v6, v8, v145
	v_add_nc_u32_e32 v12, v8, v146
	v_add_nc_u32_e32 v14, v8, v147
	v_add_nc_u32_e32 v16, v8, v148
	v_mad_co_u64_u32 v[8:9], null, v9, 36, s[2:3]
	v_mad_co_i64_i32 v[10:11], null, v10, 36, v[33:34]
	v_mad_co_i64_i32 v[0:1], null, v0, 36, v[33:34]
	v_mad_co_i64_i32 v[2:3], null, v2, 36, v[33:34]
	v_mad_co_i64_i32 v[4:5], null, v4, 36, v[33:34]
	v_mad_co_i64_i32 v[6:7], null, v6, 36, v[33:34]
	v_mad_co_i64_i32 v[12:13], null, v12, 36, v[33:34]
	v_mad_co_i64_i32 v[14:15], null, v14, 36, v[33:34]
	global_inv scope:SCOPE_SE
	v_mad_co_i64_i32 v[16:17], null, v16, 36, v[33:34]
	s_clause 0x8
	global_load_b32 v8, v[8:9], off
	global_load_b32 v9, v[10:11], off offset:4
	global_load_b32 v0, v[0:1], off offset:4
	;; [unrolled: 1-line block ×8, first 2 shown]
	s_mov_b32 s7, 16
	s_wait_loadcnt 0x8
	v_cvt_f32_f16_e32 v7, v8
	s_wait_loadcnt 0x7
	ds_store_b32 v181, v9
	s_wait_loadcnt 0x6
	ds_store_b32 v174, v0
	;; [unrolled: 2-line block ×8, first 2 shown]
	ds_store_b32 v141, v7
	s_wait_dscnt 0x0
	s_barrier_signal -1
	s_barrier_wait -1
	global_inv scope:SCOPE_SE
	ds_load_b32 v187, v154
	ds_load_b32 v188, v155 offset:128
	ds_load_b32 v189, v156 offset:256
	;; [unrolled: 1-line block ×3, first 2 shown]
.LBB136_8:                              ;   Parent Loop BB136_5 Depth=1
                                        ; =>  This Inner Loop Header: Depth=2
	s_wait_alu 0xfffe
	s_lshl_b32 s10, s7, 1
	s_lshr_b32 s11, s7, 1
	s_wait_alu 0xfffe
	s_and_b32 s10, s10, 16
	s_add_co_i32 s11, s11, 0xa200
	s_wait_alu 0xfffe
	v_or_b32_e32 v0, s10, v128
	s_lshl_b32 s16, s7, 3
	s_delay_alu instid0(VALU_DEP_1)
	v_lshlrev_b32_e32 v1, 2, v0
	v_lshrrev_b32_e32 v0, 1, v0
	ds_load_b128 v[232:235], v1 offset:33280
	ds_load_b128 v[191:194], v1 offset:33296
	;; [unrolled: 1-line block ×4, first 2 shown]
	ds_load_b64 v[16:17], v0 offset:43584
	v_add3_u32 v0, s11, v182, v183
	s_wait_alu 0xfffe
	v_add_nc_u32_e32 v35, s16, v165
	ds_load_2addr_b32 v[39:40], v35 offset0:6 offset1:7
	ds_load_2addr_b32 v[43:44], v35 offset0:4 offset1:5
	;; [unrolled: 1-line block ×3, first 2 shown]
	ds_load_2addr_b32 v[41:42], v35 offset1:1
	ds_load_b32 v46, v0
	ds_load_u16 v230, v35 offset:32
	ds_load_b128 v[0:3], v35 offset:34
	ds_load_b64 v[67:68], v35 offset:50
	ds_load_u16 v231, v35 offset:58
	ds_load_b32 v225, v35 offset:60
	s_wait_dscnt 0xe
	v_lshrrev_b16 v5, 8, v233
	s_wait_dscnt 0xd
	v_lshrrev_b16 v4, 8, v192
	s_wait_dscnt 0xc
	v_bfe_i32 v9, v196, 16, 8
	s_wait_dscnt 0xb
	v_bfe_i32 v7, v237, 16, 8
	v_bfe_i32 v48, v238, 16, 8
	v_ashrrev_i32_e32 v50, 24, v237
	v_bfe_i32 v49, v238, 0, 8
	v_bfe_i32 v6, v238, 8, 8
	;; [unrolled: 1-line block ×4, first 2 shown]
	s_wait_dscnt 0x3
	v_bfe_i32 v228, v2, 0, 8
	s_wait_dscnt 0x2
	v_bfe_i32 v47, v68, 0, 8
	s_wait_dscnt 0x1
	v_lshrrev_b16 v51, 8, v231
	v_bfe_i32 v52, v231, 0, 8
	v_bfe_i32 v54, v68, 8, 8
	;; [unrolled: 1-line block ×3, first 2 shown]
	v_mul_i32_i24_e32 v7, v47, v7
	v_ashrrev_i32_e32 v47, 24, v238
	v_bfe_i32 v51, v51, 0, 8
	v_mul_i32_i24_e32 v48, v52, v48
	v_perm_b32 v52, v239, v237, 0xc0c0600
	v_mul_i32_i24_e32 v50, v54, v50
	v_mul_i32_i24_e32 v49, v53, v49
	;; [unrolled: 1-line block ×3, first 2 shown]
	s_wait_dscnt 0x0
	v_perm_b32 v51, v225, v67, 0xc0c0602
	v_ashrrev_i32_e32 v35, 24, v68
	v_bfe_i32 v227, v2, 8, 8
	v_ashrrev_i32_e32 v226, 24, v1
	v_lshrrev_b16 v36, 8, v44
	v_dot4_i32_iu8 v48, v51, v52, v48 neg_lo:[1,1,0]
	v_perm_b32 v51, v225, v67, 0xc0c0400
	v_perm_b32 v52, v239, v236, 0xc0c0402
	v_bfe_i32 v53, v194, 8, 8
	v_bfe_i32 v57, v40, 8, 8
	;; [unrolled: 1-line block ×4, first 2 shown]
	v_dot4_i32_iu8 v50, v51, v52, v50 neg_lo:[1,1,0]
	v_perm_b32 v51, v225, v67, 0xc0c0703
	v_perm_b32 v52, v239, v237, 0xc0c0701
	v_ashrrev_i32_e32 v55, 24, v193
	v_bfe_i32 v56, v193, 16, 8
	v_add_nc_u32_e32 v48, v50, v48
	v_bfe_i32 v50, v236, 0, 8
	v_dot4_i32_iu8 v47, v51, v52, v47 neg_lo:[1,1,0]
	v_perm_b32 v51, v225, v67, 0xc0c0501
	v_perm_b32 v52, v239, v236, 0xc0c0503
	v_bfe_i32 v58, v40, 0, 8
	v_ashrrev_i32_e32 v59, 24, v39
	v_bfe_i32 v60, v39, 16, 8
	v_mul_i32_i24_e32 v53, v57, v53
	v_dot4_i32_iu8 v49, v51, v52, v49 neg_lo:[1,1,0]
	v_ashrrev_i32_e32 v51, 24, v3
	v_bfe_i32 v52, v3, 16, 8
	v_mul_i32_i24_e32 v4, v36, v4
	v_mul_i32_i24_e32 v56, v60, v56
	v_add_nc_u32_e32 v47, v49, v47
	v_bfe_i32 v49, v236, 8, 8
	v_mul_i32_i24_e32 v50, v52, v50
	v_bfe_i32 v52, v44, 16, 8
	v_mul_i32_i24_e32 v55, v59, v55
	v_mul_i32_i24_e32 v54, v58, v54
	;; [unrolled: 1-line block ×3, first 2 shown]
	v_mad_i32_i24 v6, v35, v6, v50
	v_bfe_i32 v35, v197, 16, 8
	v_bfe_i32 v50, v1, 8, 8
	;; [unrolled: 1-line block ×3, first 2 shown]
	v_add3_u32 v47, v48, v47, v49
	v_ashrrev_i32_e32 v48, 24, v196
	v_bfe_i32 v49, v1, 16, 8
	v_mul_i32_i24_e32 v35, v228, v35
	v_bfe_i32 v12, v194, 16, 8
	v_add3_u32 v6, v47, v6, v7
	v_bfe_i32 v47, v197, 0, 8
	v_bfe_i32 v7, v1, 0, 8
	v_mul_i32_i24_e32 v48, v50, v48
	v_perm_b32 v50, v198, v196, 0xc0c0600
	v_bfe_i32 v57, v40, 16, 8
	v_mul_i32_i24_e32 v47, v49, v47
	v_perm_b32 v49, v3, v0, 0xc0c0402
	v_mul_i32_i24_e32 v7, v7, v9
	v_ashrrev_i32_e32 v9, 24, v197
	v_bfe_i32 v10, v193, 8, 8
	v_bfe_i32 v11, v193, 0, 8
	v_dot4_i32_iu8 v35, v49, v50, v35 neg_lo:[1,1,0]
	v_perm_b32 v49, v2, v0, 0xc0c0600
	v_perm_b32 v50, v198, v195, 0xc0c0402
	v_mul_i32_i24_e32 v9, v227, v9
	v_bfe_i32 v36, v39, 0, 8
	v_mul_i32_i24_e32 v12, v57, v12
	v_ashrrev_i32_e32 v13, 24, v194
	v_dot4_i32_iu8 v48, v49, v50, v48 neg_lo:[1,1,0]
	v_perm_b32 v49, v3, v0, 0xc0c0503
	v_perm_b32 v50, v198, v196, 0xc0c0701
	v_lshrrev_b16 v45, 8, v42
	v_ashrrev_i32_e32 v57, 24, v40
	v_add_nc_u32_e32 v35, v48, v35
	v_bfe_i32 v48, v195, 0, 8
	v_dot4_i32_iu8 v9, v49, v50, v9 neg_lo:[1,1,0]
	v_perm_b32 v49, v2, v0, 0xc0c0701
	v_perm_b32 v50, v198, v195, 0xc0c0503
	v_mul_i32_i24_e32 v13, v57, v13
	v_bfe_i32 v5, v5, 0, 8
	v_bfe_i32 v45, v45, 0, 8
	v_bfe_i32 v18, v235, 16, 8
	v_dot4_i32_iu8 v47, v49, v50, v47 neg_lo:[1,1,0]
	v_lshrrev_b16 v49, 8, v230
	v_ashrrev_i32_e32 v50, 24, v44
	v_mul_i32_i24_e32 v5, v45, v5
	v_bfe_i32 v14, v234, 8, 8
	v_add_nc_u32_e32 v9, v47, v9
	v_bfe_i32 v47, v195, 8, 8
	v_bfe_i32 v229, v49, 0, 8
	v_bfe_i32 v49, v230, 0, 8
	v_bfe_i32 v15, v234, 0, 8
	v_bfe_i32 v45, v37, 0, 8
	v_ashrrev_i32_e32 v19, 24, v235
	v_mul_i32_i24_e32 v47, v229, v47
	v_mul_i32_i24_e32 v48, v49, v48
	v_bfe_i32 v49, v192, 16, 8
	v_bfe_i32 v212, v46, 8, 8
	;; [unrolled: 1-line block ×3, first 2 shown]
	v_add3_u32 v9, v35, v9, v47
	v_mad_i32_i24 v8, v226, v8, v48
	v_ashrrev_i32_e32 v47, 24, v43
	v_bfe_i32 v35, v191, 16, 8
	v_bfe_i32 v48, v43, 16, 8
	v_mad_i32_i24 v49, v52, v49, v54
	v_add3_u32 v7, v9, v8, v7
	v_ashrrev_i32_e32 v9, 24, v191
	v_bfe_i32 v8, v39, 8, 8
	v_mul_i32_i24_e32 v35, v48, v35
	v_bfe_i32 v48, v192, 0, 8
	v_bfe_i32 v52, v38, 8, 8
	v_mul_i32_i24_e32 v9, v47, v9
	v_ashrrev_i32_e32 v47, 24, v192
	v_ashrrev_i32_e32 v54, 24, v37
	v_mad_i32_i24 v48, v51, v48, v56
	v_bfe_i32 v51, v234, 16, 8
	v_bfe_i32 v221, v46, 16, 8
	v_mad_i32_i24 v47, v50, v47, v53
	v_bfe_i32 v50, v43, 0, 8
	v_bfe_i32 v53, v38, 0, 8
	v_ashrrev_i32_e32 v222, 24, v46
	v_perm_b32 v110, v192, v191, 0x6040503
	v_add3_u32 v4, v4, v55, v47
	v_bfe_i32 v47, v191, 8, 8
	v_bfe_i32 v55, v37, 16, 8
	v_perm_b32 v192, v193, v192, 0x7060403
	v_perm_b32 v240, v233, v232, 0x6040503
	v_add3_u32 v4, v48, v49, v4
	v_bfe_i32 v49, v43, 8, 8
	v_bfe_i32 v48, v191, 0, 8
	v_mul_i32_i24_e32 v51, v55, v51
	s_delay_alu instid0(VALU_DEP_3) | instskip(NEXT) | instid1(VALU_DEP_3)
	v_mul_i32_i24_e32 v47, v49, v47
	v_mul_i32_i24_e32 v48, v50, v48
	v_bfe_i32 v49, v235, 0, 8
	v_ashrrev_i32_e32 v50, 24, v234
	s_delay_alu instid0(VALU_DEP_4)
	v_mad_i32_i24 v8, v8, v10, v47
	v_mad_i32_i24 v10, v36, v11, v12
	v_ashrrev_i32_e32 v11, 24, v41
	v_bfe_i32 v12, v41, 16, 8
	v_bfe_i32 v36, v42, 0, 8
	v_add3_u32 v4, v4, v48, v8
	v_add3_u32 v8, v35, v9, v10
	v_ashrrev_i32_e32 v9, 24, v232
	v_bfe_i32 v48, v235, 8, 8
	v_bfe_i32 v10, v232, 16, 8
	v_ashrrev_i32_e32 v35, 24, v42
	v_add3_u32 v4, v4, v8, v13
	v_mul_i32_i24_e32 v9, v11, v9
	v_ashrrev_i32_e32 v11, 24, v233
	v_mul_i32_i24_e32 v48, v52, v48
	v_mul_i32_i24_e32 v10, v12, v10
	v_bfe_i32 v12, v233, 0, 8
	v_bfe_i32 v13, v233, 16, 8
	;; [unrolled: 1-line block ×3, first 2 shown]
	v_mul_i32_i24_e32 v50, v54, v50
	v_mul_i32_i24_e32 v49, v53, v49
	v_mad_i32_i24 v11, v35, v11, v48
	v_mad_i32_i24 v12, v36, v12, v51
	v_bfe_i32 v52, v38, 16, 8
	v_bfe_i32 v8, v37, 8, 8
	v_mad_i32_i24 v13, v47, v13, v49
	v_add3_u32 v5, v5, v50, v11
	v_bfe_i32 v11, v232, 8, 8
	v_mul_i32_i24_e32 v18, v52, v18
	v_bfe_i32 v35, v41, 0, 8
	v_ashrrev_i32_e32 v52, 24, v38
	v_add3_u32 v5, v12, v13, v5
	v_bfe_i32 v13, v41, 8, 8
	v_bfe_i32 v12, v232, 0, 8
	v_mul_lo_u32 v4, v4, v212
	v_mul_i32_i24_e32 v19, v52, v19
	v_perm_b32 v233, v234, v233, 0x7060403
	v_mul_i32_i24_e32 v11, v13, v11
	v_mul_i32_i24_e32 v12, v35, v12
	s_delay_alu instid0(VALU_DEP_2) | instskip(SKIP_2) | instid1(VALU_DEP_3)
	v_mad_i32_i24 v8, v8, v14, v11
	v_mad_i32_i24 v11, v45, v15, v18
	v_perm_b32 v18, v238, v237, 0x7060403
	v_add3_u32 v5, v5, v12, v8
	s_delay_alu instid0(VALU_DEP_3) | instskip(NEXT) | instid1(VALU_DEP_1)
	v_add3_u32 v8, v10, v9, v11
	v_add3_u32 v5, v5, v8, v19
	v_perm_b32 v19, v197, v196, 0x7060403
	s_delay_alu instid0(VALU_DEP_2) | instskip(NEXT) | instid1(VALU_DEP_1)
	v_mad_co_u64_u32 v[4:5], null, v5, v220, v[4:5]
	v_cvt_f32_i32_e32 v4, v4
	s_delay_alu instid0(VALU_DEP_1) | instskip(SKIP_1) | instid1(VALU_DEP_1)
	v_fma_f32 v8, v16, v4, 0
	v_mul_lo_u32 v4, v7, v221
	v_mad_co_u64_u32 v[4:5], null, v6, v222, v[4:5]
	v_add_nc_u32_e32 v5, s16, v167
	s_delay_alu instid0(VALU_DEP_2) | instskip(NEXT) | instid1(VALU_DEP_1)
	v_cvt_f32_i32_e32 v4, v4
	v_fmac_f32_e32 v8, v17, v4
	v_add3_u32 v4, s11, v184, v166
	ds_load_2addr_b32 v[53:54], v5 offset0:6 offset1:7
	ds_load_2addr_b32 v[13:14], v5 offset0:4 offset1:5
	ds_load_2addr_b32 v[51:52], v5 offset0:2 offset1:3
	ds_load_2addr_b32 v[10:11], v5 offset1:1
	ds_load_b32 v6, v4
	ds_load_2addr_b32 v[63:64], v5 offset0:14 offset1:15
	ds_load_2addr_b32 v[75:76], v5 offset0:12 offset1:13
	ds_load_2addr_b32 v[65:66], v5 offset0:10 offset1:11
	ds_load_2addr_b32 v[77:78], v5 offset0:8 offset1:9
	v_fmac_f32_e32 v94, v187, v8
	s_wait_dscnt 0x7
	v_perm_b32 v207, v14, v13, 0x6040503
	s_wait_dscnt 0x6
	v_perm_b32 v9, v232, v51, 0x6050401
	v_perm_b32 v208, v53, v14, 0x7060403
	s_wait_dscnt 0x5
	v_perm_b32 v211, v11, v10, 0x6040503
	s_wait_dscnt 0x3
	;; [unrolled: 2-line block ×3, first 2 shown]
	v_perm_b32 v4, v75, v238, 0x6040501
	v_perm_b32 v8, v76, v236, 0x6040503
	;; [unrolled: 1-line block ×3, first 2 shown]
	s_wait_dscnt 0x1
	v_perm_b32 v5, v195, v65, 0x6040501
	s_wait_dscnt 0x0
	v_perm_b32 v224, v65, v78, 0x7060403
	v_dot4_i32_iu8 v4, v7, v4, 0 neg_lo:[1,1,0]
	v_perm_b32 v7, v237, v75, 0x6040503
	v_perm_b32 v213, v51, v11, 0x7060403
	v_bfe_i32 v209, v6, 8, 8
	v_bfe_i32 v214, v6, 0, 8
	;; [unrolled: 1-line block ×3, first 2 shown]
	v_dot4_i32_iu8 v4, v8, v7, v4 neg_lo:[1,1,0]
	v_perm_b32 v8, v78, v195, 0x6040503
	v_ashrrev_i32_e32 v217, 24, v6
	s_delay_alu instid0(VALU_DEP_3) | instskip(NEXT) | instid1(VALU_DEP_1)
	v_dot4_i32_iu8 v4, v18, v223, v4 neg_lo:[1,1,0]
	v_dot4_i32_iu8 v7, v239, v64, v4 neg_lo:[1,1,0]
	v_perm_b32 v4, v77, v197, 0x6040501
	s_delay_alu instid0(VALU_DEP_1) | instskip(SKIP_1) | instid1(VALU_DEP_1)
	v_dot4_i32_iu8 v4, v5, v4, 0 neg_lo:[1,1,0]
	v_perm_b32 v5, v196, v77, 0x6040503
	v_dot4_i32_iu8 v4, v8, v5, v4 neg_lo:[1,1,0]
	v_perm_b32 v5, v191, v53, 0x6050401
	s_delay_alu instid0(VALU_DEP_2) | instskip(NEXT) | instid1(VALU_DEP_1)
	v_dot4_i32_iu8 v4, v19, v224, v4 neg_lo:[1,1,0]
	v_dot4_i32_iu8 v8, v198, v66, v4 neg_lo:[1,1,0]
	v_perm_b32 v4, v13, v193, 0x6050401
	s_delay_alu instid0(VALU_DEP_1) | instskip(SKIP_1) | instid1(VALU_DEP_2)
	v_dot4_i32_iu8 v4, v5, v4, 0 neg_lo:[1,1,0]
	v_perm_b32 v5, v10, v234, 0x6050401
	v_dot4_i32_iu8 v4, v110, v207, v4 neg_lo:[1,1,0]
	s_delay_alu instid0(VALU_DEP_2) | instskip(NEXT) | instid1(VALU_DEP_2)
	v_dot4_i32_iu8 v5, v9, v5, 0 neg_lo:[1,1,0]
	v_dot4_i32_iu8 v4, v192, v208, v4 neg_lo:[1,1,0]
	s_delay_alu instid0(VALU_DEP_2) | instskip(NEXT) | instid1(VALU_DEP_2)
	v_dot4_i32_iu8 v5, v240, v211, v5 neg_lo:[1,1,0]
	;; [unrolled: 3-line block ×3, first 2 shown]
	v_mul_lo_u32 v4, v4, v209
	s_delay_alu instid0(VALU_DEP_2) | instskip(NEXT) | instid1(VALU_DEP_1)
	v_dot4_i32_iu8 v5, v52, v235, v5 neg_lo:[1,1,0]
	v_mad_co_u64_u32 v[4:5], null, v5, v214, v[4:5]
	s_delay_alu instid0(VALU_DEP_1) | instskip(NEXT) | instid1(VALU_DEP_1)
	v_cvt_f32_i32_e32 v4, v4
	v_fma_f32 v9, v16, v4, 0
	v_mul_lo_u32 v4, v8, v215
	s_delay_alu instid0(VALU_DEP_1) | instskip(SKIP_1) | instid1(VALU_DEP_2)
	v_mad_co_u64_u32 v[4:5], null, v7, v217, v[4:5]
	v_add_nc_u32_e32 v5, s16, v169
	v_cvt_f32_i32_e32 v4, v4
	s_delay_alu instid0(VALU_DEP_1) | instskip(SKIP_1) | instid1(VALU_DEP_2)
	v_fmac_f32_e32 v9, v17, v4
	v_add3_u32 v4, s11, v185, v168
	v_fmac_f32_e32 v132, v188, v9
	ds_load_2addr_b32 v[49:50], v5 offset0:6 offset1:7
	ds_load_2addr_b32 v[11:12], v5 offset0:4 offset1:5
	;; [unrolled: 1-line block ×3, first 2 shown]
	ds_load_2addr_b32 v[8:9], v5 offset1:1
	ds_load_b32 v6, v4
	ds_load_2addr_b32 v[59:60], v5 offset0:14 offset1:15
	ds_load_2addr_b32 v[71:72], v5 offset0:12 offset1:13
	;; [unrolled: 1-line block ×4, first 2 shown]
	s_wait_dscnt 0x7
	v_perm_b32 v199, v12, v11, 0x6040503
	v_perm_b32 v200, v49, v12, 0x7060403
	s_wait_dscnt 0x6
	v_perm_b32 v12, v232, v47, 0x6050401
	s_wait_dscnt 0x5
	;; [unrolled: 2-line block ×4, first 2 shown]
	v_perm_b32 v4, v71, v238, 0x6040501
	v_perm_b32 v14, v72, v236, 0x6040503
	;; [unrolled: 1-line block ×3, first 2 shown]
	s_wait_dscnt 0x1
	v_perm_b32 v5, v195, v61, 0x6040501
	s_wait_dscnt 0x0
	v_perm_b32 v219, v61, v74, 0x7060403
	v_dot4_i32_iu8 v4, v7, v4, 0 neg_lo:[1,1,0]
	v_perm_b32 v7, v237, v71, 0x6040503
	v_perm_b32 v203, v47, v9, 0x7060403
	v_bfe_i32 v201, v6, 8, 8
	v_bfe_i32 v204, v6, 0, 8
	;; [unrolled: 1-line block ×3, first 2 shown]
	v_dot4_i32_iu8 v4, v14, v7, v4 neg_lo:[1,1,0]
	v_perm_b32 v14, v74, v195, 0x6040503
	v_ashrrev_i32_e32 v206, 24, v6
	v_perm_b32 v59, v71, v59, 0x6040501
	v_perm_b32 v61, v73, v61, 0x6040501
	v_dot4_i32_iu8 v4, v18, v218, v4 neg_lo:[1,1,0]
	v_perm_b32 v47, v8, v47, 0x6050401
	s_delay_alu instid0(VALU_DEP_2) | instskip(SKIP_1) | instid1(VALU_DEP_1)
	v_dot4_i32_iu8 v7, v239, v60, v4 neg_lo:[1,1,0]
	v_perm_b32 v4, v73, v197, 0x6040501
	v_dot4_i32_iu8 v4, v5, v4, 0 neg_lo:[1,1,0]
	v_perm_b32 v5, v196, v73, 0x6040503
	s_delay_alu instid0(VALU_DEP_1) | instskip(SKIP_2) | instid1(VALU_DEP_3)
	v_dot4_i32_iu8 v4, v14, v5, v4 neg_lo:[1,1,0]
	v_perm_b32 v5, v191, v49, 0x6050401
	v_perm_b32 v49, v11, v49, 0x6050401
	v_dot4_i32_iu8 v4, v19, v219, v4 neg_lo:[1,1,0]
	s_delay_alu instid0(VALU_DEP_1) | instskip(SKIP_1) | instid1(VALU_DEP_1)
	v_dot4_i32_iu8 v14, v198, v62, v4 neg_lo:[1,1,0]
	v_perm_b32 v4, v11, v193, 0x6050401
	v_dot4_i32_iu8 v4, v5, v4, 0 neg_lo:[1,1,0]
	v_perm_b32 v5, v8, v234, 0x6050401
	s_delay_alu instid0(VALU_DEP_2) | instskip(NEXT) | instid1(VALU_DEP_2)
	v_dot4_i32_iu8 v4, v110, v199, v4 neg_lo:[1,1,0]
	v_dot4_i32_iu8 v5, v12, v5, 0 neg_lo:[1,1,0]
	v_add_nc_u32_e32 v12, s16, v171
	s_delay_alu instid0(VALU_DEP_3) | instskip(NEXT) | instid1(VALU_DEP_3)
	v_dot4_i32_iu8 v4, v192, v200, v4 neg_lo:[1,1,0]
	v_dot4_i32_iu8 v5, v240, v202, v5 neg_lo:[1,1,0]
	s_delay_alu instid0(VALU_DEP_2) | instskip(NEXT) | instid1(VALU_DEP_2)
	v_dot4_i32_iu8 v4, v50, v194, v4 neg_lo:[1,1,0]
	v_dot4_i32_iu8 v5, v233, v203, v5 neg_lo:[1,1,0]
	s_delay_alu instid0(VALU_DEP_2) | instskip(NEXT) | instid1(VALU_DEP_2)
	v_mul_lo_u32 v4, v4, v201
	v_dot4_i32_iu8 v5, v48, v235, v5 neg_lo:[1,1,0]
	s_delay_alu instid0(VALU_DEP_1) | instskip(NEXT) | instid1(VALU_DEP_1)
	v_mad_co_u64_u32 v[4:5], null, v5, v204, v[4:5]
	v_cvt_f32_i32_e32 v4, v4
	s_delay_alu instid0(VALU_DEP_1) | instskip(SKIP_1) | instid1(VALU_DEP_1)
	v_fma_f32 v9, v16, v4, 0
	v_mul_lo_u32 v4, v14, v205
	v_mad_co_u64_u32 v[4:5], null, v7, v206, v[4:5]
	s_delay_alu instid0(VALU_DEP_1) | instskip(NEXT) | instid1(VALU_DEP_1)
	v_cvt_f32_i32_e32 v4, v4
	v_fmac_f32_e32 v9, v17, v4
	s_delay_alu instid0(VALU_DEP_1)
	v_fmac_f32_e32 v130, v189, v9
	v_add3_u32 v9, s11, v186, v170
	ds_load_2addr_b32 v[45:46], v12 offset0:6 offset1:7
	ds_load_2addr_b32 v[6:7], v12 offset0:4 offset1:5
	;; [unrolled: 1-line block ×3, first 2 shown]
	ds_load_2addr_b32 v[4:5], v12 offset1:1
	ds_load_b32 v9, v9
	ds_load_2addr_b32 v[55:56], v12 offset0:14 offset1:15
	ds_load_2addr_b32 v[14:15], v12 offset0:12 offset1:13
	s_wait_dscnt 0x1
	v_perm_b32 v58, v236, v55, 0x6040501
	s_wait_dscnt 0x0
	v_perm_b32 v57, v14, v238, 0x6040501
	v_perm_b32 v69, v15, v236, 0x6040503
	;; [unrolled: 1-line block ×5, first 2 shown]
	v_dot4_i32_iu8 v57, v58, v57, 0 neg_lo:[1,1,0]
	v_perm_b32 v58, v237, v14, 0x6040503
	v_perm_b32 v237, v231, v68, 0x5040201
	;; [unrolled: 1-line block ×3, first 2 shown]
	s_delay_alu instid0(VALU_DEP_3) | instskip(NEXT) | instid1(VALU_DEP_1)
	v_dot4_i32_iu8 v57, v69, v58, v57 neg_lo:[1,1,0]
	v_dot4_i32_iu8 v18, v18, v210, v57 neg_lo:[1,1,0]
	ds_load_2addr_b32 v[57:58], v12 offset0:10 offset1:11
	ds_load_2addr_b32 v[69:70], v12 offset0:8 offset1:9
	v_dot4_i32_iu8 v236, v239, v56, v18 neg_lo:[1,1,0]
	v_perm_b32 v239, v1, v0, 0x6050402
	s_wait_dscnt 0x1
	v_perm_b32 v18, v195, v57, 0x6040501
	s_wait_dscnt 0x0
	v_perm_b32 v12, v69, v197, 0x6040501
	v_perm_b32 v195, v70, v195, 0x6040503
	v_perm_b32 v216, v57, v70, 0x7060403
	v_perm_b32 v197, v45, v7, 0x7060403
	s_delay_alu instid0(VALU_DEP_4) | instskip(SKIP_2) | instid1(VALU_DEP_2)
	v_dot4_i32_iu8 v12, v18, v12, 0 neg_lo:[1,1,0]
	v_perm_b32 v18, v196, v69, 0x6040503
	v_bfe_i32 v196, v9, 8, 8
	v_dot4_i32_iu8 v12, v195, v18, v12 neg_lo:[1,1,0]
	v_perm_b32 v18, v6, v193, 0x6050401
	v_perm_b32 v195, v5, v4, 0x6040503
	v_bfe_i32 v193, v9, 0, 8
	s_delay_alu instid0(VALU_DEP_4) | instskip(SKIP_2) | instid1(VALU_DEP_3)
	v_dot4_i32_iu8 v12, v19, v216, v12 neg_lo:[1,1,0]
	v_perm_b32 v19, v191, v45, 0x6050401
	v_bfe_i32 v191, v9, 16, 8
	v_dot4_i32_iu8 v12, v198, v58, v12 neg_lo:[1,1,0]
	s_delay_alu instid0(VALU_DEP_3) | instskip(SKIP_2) | instid1(VALU_DEP_2)
	v_dot4_i32_iu8 v18, v19, v18, 0 neg_lo:[1,1,0]
	v_perm_b32 v198, v7, v6, 0x6040503
	v_perm_b32 v19, v232, v35, 0x6050401
	v_dot4_i32_iu8 v18, v110, v198, v18 neg_lo:[1,1,0]
	s_delay_alu instid0(VALU_DEP_1)
	v_dot4_i32_iu8 v7, v192, v197, v18 neg_lo:[1,1,0]
	v_perm_b32 v18, v4, v234, 0x6050401
	v_ashrrev_i32_e32 v192, 24, v9
	v_perm_b32 v234, v75, v63, 0x6040501
	v_perm_b32 v75, v76, v75, 0x6040503
	v_dot4_i32_iu8 v7, v46, v194, v7 neg_lo:[1,1,0]
	v_dot4_i32_iu8 v18, v19, v18, 0 neg_lo:[1,1,0]
	v_perm_b32 v194, v35, v5, 0x7060403
	v_perm_b32 v76, v77, v65, 0x6040501
	;; [unrolled: 1-line block ×3, first 2 shown]
	v_mul_lo_u32 v7, v7, v196
	v_dot4_i32_iu8 v18, v240, v195, v18 neg_lo:[1,1,0]
	v_perm_b32 v240, v3, v2, 0x5040203
	v_perm_b32 v63, v13, v53, 0x6050401
	;; [unrolled: 1-line block ×4, first 2 shown]
	v_dot4_i32_iu8 v5, v233, v194, v18 neg_lo:[1,1,0]
	v_perm_b32 v233, v37, v42, 0x7060403
	v_perm_b32 v35, v4, v35, 0x6050401
	s_delay_alu instid0(VALU_DEP_3) | instskip(SKIP_1) | instid1(VALU_DEP_2)
	v_dot4_i32_iu8 v5, v36, v235, v5 neg_lo:[1,1,0]
	v_perm_b32 v235, v67, v3, 0x402030c
	v_mad_co_u64_u32 v[18:19], null, v5, v193, v[7:8]
	s_delay_alu instid0(VALU_DEP_1) | instskip(NEXT) | instid1(VALU_DEP_1)
	v_cvt_f32_i32_e32 v5, v18
	v_fma_f32 v7, v16, v5, 0
	v_mul_lo_u32 v5, v12, v191
	s_delay_alu instid0(VALU_DEP_1) | instskip(SKIP_1) | instid1(VALU_DEP_2)
	v_mad_co_u64_u32 v[18:19], null, v236, v192, v[5:6]
	v_perm_b32 v236, v68, v67, 0x4020301
	v_cvt_f32_i32_e32 v5, v18
	s_delay_alu instid0(VALU_DEP_1) | instskip(SKIP_1) | instid1(VALU_DEP_2)
	v_fmac_f32_e32 v7, v17, v5
	v_or_b32_e32 v5, s10, v158
	v_fmac_f32_e32 v123, v190, v7
	s_delay_alu instid0(VALU_DEP_2)
	v_lshlrev_b32_e32 v7, 2, v5
	v_lshrrev_b32_e32 v5, 1, v5
	ds_load_b128 v[241:244], v7 offset:33280
	ds_load_b128 v[245:248], v7 offset:33296
	ds_load_b128 v[249:252], v7 offset:33312
	ds_load_b128 v[16:19], v7 offset:33328
	ds_load_b64 v[253:254], v5 offset:43584
	s_wait_dscnt 0x4
	v_perm_b32 v10, v241, v243, 0x6050401
	s_wait_dscnt 0x3
	v_perm_b32 v3, v246, v245, 0x6040503
	s_wait_dscnt 0x2
	v_bfe_i32 v5, v251, 8, 8
	v_bfe_i32 v7, v249, 8, 8
	;; [unrolled: 1-line block ×3, first 2 shown]
	v_ashrrev_i32_e32 v12, 24, v251
	v_perm_b32 v0, v251, v250, 0x4030200
	v_mul_i32_i24_e32 v5, v5, v226
	v_perm_b32 v1, v252, v252, 0x3020001
	v_mul_i32_i24_e32 v9, v228, v9
	v_mul_i32_i24_e32 v12, v227, v12
	s_wait_dscnt 0x1
	v_perm_b32 v232, v18, v18, 0xc0c0c01
	v_mad_i32_i24 v5, v229, v7, v5
	v_perm_b32 v7, v250, v249, 0x5030200
	v_perm_b32 v110, v16, v68, 0x6040503
	;; [unrolled: 1-line block ×3, first 2 shown]
	v_or_b32_e32 v232, v235, v232
	v_perm_b32 v17, v18, v17, 0x7060403
	v_dot4_i32_iu8 v5, v238, v7, v5 neg_lo:[1,1,0]
	v_perm_b32 v7, v41, v243, 0x6050401
	v_perm_b32 v13, v245, v247, 0x6050401
	v_dot4_i32_iu8 v110, v232, v110, 0 neg_lo:[1,1,0]
	v_perm_b32 v232, v42, v41, 0x6040503
	v_dot4_i32_iu8 v0, v239, v0, v5 neg_lo:[1,1,0]
	v_perm_b32 v5, v247, v246, 0x7060403
	v_perm_b32 v42, v251, v250, 0x7060403
	v_dot4_i32_iu8 v67, v255, v236, v110 neg_lo:[1,1,0]
	s_delay_alu instid0(VALU_DEP_4) | instskip(SKIP_1) | instid1(VALU_DEP_3)
	v_add3_u32 v0, v0, v9, v12
	v_perm_b32 v9, v243, v242, 0x7060403
	v_dot4_i32_iu8 v67, v237, v17, v67 neg_lo:[1,1,0]
	s_delay_alu instid0(VALU_DEP_3) | instskip(SKIP_2) | instid1(VALU_DEP_4)
	v_dot4_i32_iu8 v2, v240, v1, v0 neg_lo:[1,1,0]
	v_perm_b32 v0, v245, v39, 0x6050401
	v_perm_b32 v1, v43, v247, 0x6050401
	v_dot4_i32_iu8 v67, v225, v19, v67 neg_lo:[1,1,0]
	s_delay_alu instid0(VALU_DEP_2) | instskip(SKIP_1) | instid1(VALU_DEP_2)
	v_dot4_i32_iu8 v0, v1, v0, 0 neg_lo:[1,1,0]
	v_perm_b32 v1, v241, v37, 0x6050401
	v_dot4_i32_iu8 v0, v230, v3, v0 neg_lo:[1,1,0]
	s_delay_alu instid0(VALU_DEP_2) | instskip(SKIP_1) | instid1(VALU_DEP_3)
	v_dot4_i32_iu8 v1, v7, v1, 0 neg_lo:[1,1,0]
	v_perm_b32 v7, v242, v241, 0x6040503
	v_dot4_i32_iu8 v0, v231, v5, v0 neg_lo:[1,1,0]
	s_delay_alu instid0(VALU_DEP_2) | instskip(NEXT) | instid1(VALU_DEP_2)
	v_dot4_i32_iu8 v1, v232, v7, v1 neg_lo:[1,1,0]
	v_dot4_i32_iu8 v0, v248, v40, v0 neg_lo:[1,1,0]
	s_delay_alu instid0(VALU_DEP_2) | instskip(NEXT) | instid1(VALU_DEP_2)
	v_dot4_i32_iu8 v1, v233, v9, v1 neg_lo:[1,1,0]
	v_mul_lo_u32 v0, v0, v212
	s_delay_alu instid0(VALU_DEP_2) | instskip(NEXT) | instid1(VALU_DEP_1)
	v_dot4_i32_iu8 v1, v244, v38, v1 neg_lo:[1,1,0]
	v_mad_co_u64_u32 v[0:1], null, v1, v220, v[0:1]
	s_delay_alu instid0(VALU_DEP_1) | instskip(SKIP_1) | instid1(VALU_DEP_1)
	v_cvt_f32_i32_e32 v0, v0
	s_wait_dscnt 0x0
	v_fma_f32 v12, v253, v0, 0
	v_mul_lo_u32 v0, v67, v222
	v_perm_b32 v67, v72, v71, 0x6040503
	v_perm_b32 v71, v74, v73, 0x6040503
	s_delay_alu instid0(VALU_DEP_3)
	v_mad_co_u64_u32 v[0:1], null, v2, v221, v[0:1]
	v_perm_b32 v2, v16, v18, 0x6040501
	v_perm_b32 v16, v249, v251, 0x6040501
	;; [unrolled: 1-line block ×3, first 2 shown]
	v_dot4_i32_iu8 v1, v10, v65, 0 neg_lo:[1,1,0]
	v_cvt_f32_i32_e32 v0, v0
	s_delay_alu instid0(VALU_DEP_2) | instskip(NEXT) | instid1(VALU_DEP_2)
	v_dot4_i32_iu8 v1, v7, v211, v1 neg_lo:[1,1,0]
	v_fmac_f32_e32 v12, v254, v0
	v_dot4_i32_iu8 v0, v2, v234, 0 neg_lo:[1,1,0]
	s_delay_alu instid0(VALU_DEP_3) | instskip(NEXT) | instid1(VALU_DEP_3)
	v_dot4_i32_iu8 v1, v9, v213, v1 neg_lo:[1,1,0]
	v_fmac_f32_e32 v122, v187, v12
	s_delay_alu instid0(VALU_DEP_3) | instskip(NEXT) | instid1(VALU_DEP_3)
	v_dot4_i32_iu8 v0, v255, v75, v0 neg_lo:[1,1,0]
	v_dot4_i32_iu8 v1, v244, v52, v1 neg_lo:[1,1,0]
	s_delay_alu instid0(VALU_DEP_2) | instskip(NEXT) | instid1(VALU_DEP_1)
	v_dot4_i32_iu8 v0, v17, v223, v0 neg_lo:[1,1,0]
	v_dot4_i32_iu8 v12, v19, v64, v0 neg_lo:[1,1,0]
	;; [unrolled: 1-line block ×3, first 2 shown]
	s_delay_alu instid0(VALU_DEP_1) | instskip(NEXT) | instid1(VALU_DEP_1)
	v_dot4_i32_iu8 v0, v18, v77, v0 neg_lo:[1,1,0]
	v_dot4_i32_iu8 v0, v42, v224, v0 neg_lo:[1,1,0]
	s_delay_alu instid0(VALU_DEP_1) | instskip(SKIP_1) | instid1(VALU_DEP_1)
	v_dot4_i32_iu8 v44, v252, v66, v0 neg_lo:[1,1,0]
	v_dot4_i32_iu8 v0, v13, v63, 0 neg_lo:[1,1,0]
	;; [unrolled: 1-line block ×3, first 2 shown]
	s_delay_alu instid0(VALU_DEP_1) | instskip(NEXT) | instid1(VALU_DEP_1)
	v_dot4_i32_iu8 v0, v5, v208, v0 neg_lo:[1,1,0]
	v_dot4_i32_iu8 v0, v248, v54, v0 neg_lo:[1,1,0]
	s_delay_alu instid0(VALU_DEP_1) | instskip(NEXT) | instid1(VALU_DEP_1)
	v_mul_lo_u32 v0, v0, v209
	v_mad_co_u64_u32 v[0:1], null, v1, v214, v[0:1]
	s_delay_alu instid0(VALU_DEP_1) | instskip(NEXT) | instid1(VALU_DEP_1)
	v_cvt_f32_i32_e32 v0, v0
	v_fma_f32 v51, v253, v0, 0
	v_mul_lo_u32 v0, v12, v217
	s_delay_alu instid0(VALU_DEP_1) | instskip(SKIP_1) | instid1(VALU_DEP_1)
	v_mad_co_u64_u32 v[0:1], null, v44, v215, v[0:1]
	v_dot4_i32_iu8 v1, v10, v47, 0 neg_lo:[1,1,0]
	v_dot4_i32_iu8 v1, v7, v202, v1 neg_lo:[1,1,0]
	s_delay_alu instid0(VALU_DEP_3) | instskip(NEXT) | instid1(VALU_DEP_2)
	v_cvt_f32_i32_e32 v0, v0
	v_dot4_i32_iu8 v1, v9, v203, v1 neg_lo:[1,1,0]
	s_delay_alu instid0(VALU_DEP_2) | instskip(SKIP_1) | instid1(VALU_DEP_3)
	v_fmac_f32_e32 v51, v254, v0
	v_dot4_i32_iu8 v0, v2, v59, 0 neg_lo:[1,1,0]
	v_dot4_i32_iu8 v1, v244, v48, v1 neg_lo:[1,1,0]
	s_delay_alu instid0(VALU_DEP_3) | instskip(NEXT) | instid1(VALU_DEP_3)
	v_fmac_f32_e32 v121, v188, v51
	v_dot4_i32_iu8 v0, v255, v67, v0 neg_lo:[1,1,0]
	v_perm_b32 v51, v14, v55, 0x6040501
	v_perm_b32 v55, v69, v57, 0x6040501
	;; [unrolled: 1-line block ×3, first 2 shown]
	s_delay_alu instid0(VALU_DEP_4) | instskip(NEXT) | instid1(VALU_DEP_1)
	v_dot4_i32_iu8 v0, v17, v218, v0 neg_lo:[1,1,0]
	v_dot4_i32_iu8 v12, v19, v60, v0 neg_lo:[1,1,0]
	;; [unrolled: 1-line block ×3, first 2 shown]
	s_delay_alu instid0(VALU_DEP_1) | instskip(NEXT) | instid1(VALU_DEP_1)
	v_dot4_i32_iu8 v0, v18, v71, v0 neg_lo:[1,1,0]
	v_dot4_i32_iu8 v0, v42, v219, v0 neg_lo:[1,1,0]
	s_delay_alu instid0(VALU_DEP_1) | instskip(SKIP_1) | instid1(VALU_DEP_1)
	v_dot4_i32_iu8 v44, v252, v62, v0 neg_lo:[1,1,0]
	v_dot4_i32_iu8 v0, v13, v49, 0 neg_lo:[1,1,0]
	;; [unrolled: 1-line block ×3, first 2 shown]
	s_delay_alu instid0(VALU_DEP_1) | instskip(NEXT) | instid1(VALU_DEP_1)
	v_dot4_i32_iu8 v0, v5, v200, v0 neg_lo:[1,1,0]
	v_dot4_i32_iu8 v0, v248, v50, v0 neg_lo:[1,1,0]
	s_delay_alu instid0(VALU_DEP_1) | instskip(NEXT) | instid1(VALU_DEP_1)
	v_mul_lo_u32 v0, v0, v201
	v_mad_co_u64_u32 v[0:1], null, v1, v204, v[0:1]
	s_delay_alu instid0(VALU_DEP_1) | instskip(NEXT) | instid1(VALU_DEP_1)
	v_cvt_f32_i32_e32 v0, v0
	v_fma_f32 v8, v253, v0, 0
	v_mul_lo_u32 v0, v12, v206
	s_delay_alu instid0(VALU_DEP_1) | instskip(SKIP_1) | instid1(VALU_DEP_1)
	v_mad_co_u64_u32 v[0:1], null, v44, v205, v[0:1]
	v_dot4_i32_iu8 v1, v10, v35, 0 neg_lo:[1,1,0]
	v_dot4_i32_iu8 v1, v7, v195, v1 neg_lo:[1,1,0]
	s_delay_alu instid0(VALU_DEP_3) | instskip(NEXT) | instid1(VALU_DEP_2)
	v_cvt_f32_i32_e32 v0, v0
	v_dot4_i32_iu8 v1, v9, v194, v1 neg_lo:[1,1,0]
	s_delay_alu instid0(VALU_DEP_2) | instskip(SKIP_1) | instid1(VALU_DEP_3)
	v_fmac_f32_e32 v8, v254, v0
	v_dot4_i32_iu8 v0, v2, v51, 0 neg_lo:[1,1,0]
	v_dot4_i32_iu8 v1, v244, v36, v1 neg_lo:[1,1,0]
	s_delay_alu instid0(VALU_DEP_3) | instskip(NEXT) | instid1(VALU_DEP_3)
	v_fmac_f32_e32 v120, v189, v8
	v_dot4_i32_iu8 v0, v255, v53, v0 neg_lo:[1,1,0]
	s_delay_alu instid0(VALU_DEP_1) | instskip(NEXT) | instid1(VALU_DEP_1)
	v_dot4_i32_iu8 v0, v17, v210, v0 neg_lo:[1,1,0]
	v_dot4_i32_iu8 v2, v19, v56, v0 neg_lo:[1,1,0]
	;; [unrolled: 1-line block ×3, first 2 shown]
	s_delay_alu instid0(VALU_DEP_1) | instskip(NEXT) | instid1(VALU_DEP_1)
	v_dot4_i32_iu8 v0, v18, v57, v0 neg_lo:[1,1,0]
	v_dot4_i32_iu8 v0, v42, v216, v0 neg_lo:[1,1,0]
	v_perm_b32 v42, v6, v45, 0x6050401
	s_delay_alu instid0(VALU_DEP_2) | instskip(NEXT) | instid1(VALU_DEP_2)
	v_dot4_i32_iu8 v8, v252, v58, v0 neg_lo:[1,1,0]
	v_dot4_i32_iu8 v0, v13, v42, 0 neg_lo:[1,1,0]
	s_delay_alu instid0(VALU_DEP_1) | instskip(NEXT) | instid1(VALU_DEP_1)
	v_dot4_i32_iu8 v0, v3, v198, v0 neg_lo:[1,1,0]
	v_dot4_i32_iu8 v0, v5, v197, v0 neg_lo:[1,1,0]
	s_delay_alu instid0(VALU_DEP_1) | instskip(NEXT) | instid1(VALU_DEP_1)
	v_dot4_i32_iu8 v0, v248, v46, v0 neg_lo:[1,1,0]
	v_mul_lo_u32 v0, v0, v196
	s_delay_alu instid0(VALU_DEP_1) | instskip(NEXT) | instid1(VALU_DEP_1)
	v_mad_co_u64_u32 v[0:1], null, v1, v193, v[0:1]
	v_cvt_f32_i32_e32 v0, v0
	s_delay_alu instid0(VALU_DEP_1) | instskip(SKIP_1) | instid1(VALU_DEP_1)
	v_fma_f32 v3, v253, v0, 0
	v_mul_lo_u32 v0, v2, v192
	v_mad_co_u64_u32 v[0:1], null, v8, v191, v[0:1]
	s_delay_alu instid0(VALU_DEP_1) | instskip(NEXT) | instid1(VALU_DEP_1)
	v_cvt_f32_i32_e32 v0, v0
	v_fmac_f32_e32 v3, v254, v0
	v_or_b32_e32 v0, s10, v159
	s_delay_alu instid0(VALU_DEP_2) | instskip(NEXT) | instid1(VALU_DEP_2)
	v_fmac_f32_e32 v118, v190, v3
	v_lshlrev_b32_e32 v12, 2, v0
	v_lshrrev_b32_e32 v16, 1, v0
	ds_load_b128 v[0:3], v12 offset:33280
	ds_load_b128 v[4:7], v12 offset:33296
	;; [unrolled: 1-line block ×4, first 2 shown]
	ds_load_b64 v[16:17], v16 offset:43584
	s_wait_dscnt 0x4
	v_perm_b32 v73, v1, v0, 0x6040503
	s_wait_dscnt 0x3
	v_perm_b32 v72, v6, v5, 0x7060403
	s_wait_dscnt 0x2
	v_bfe_i32 v18, v10, 8, 8
	v_bfe_i32 v19, v8, 8, 8
	;; [unrolled: 1-line block ×3, first 2 shown]
	v_ashrrev_i32_e32 v45, 24, v10
	s_wait_dscnt 0x1
	v_perm_b32 v70, v14, v14, 0xc0c0c01
	v_mul_i32_i24_e32 v18, v18, v226
	v_perm_b32 v74, v2, v1, 0x7060403
	v_mul_i32_i24_e32 v44, v228, v44
	v_mul_i32_i24_e32 v45, v227, v45
	v_perm_b32 v69, v12, v68, 0x6040503
	v_mad_i32_i24 v18, v229, v19, v18
	v_perm_b32 v19, v9, v8, 0x5030200
	v_or_b32_e32 v70, v235, v70
	s_delay_alu instid0(VALU_DEP_2) | instskip(SKIP_1) | instid1(VALU_DEP_3)
	v_dot4_i32_iu8 v18, v238, v19, v18 neg_lo:[1,1,0]
	v_perm_b32 v19, v10, v9, 0x4030200
	v_dot4_i32_iu8 v69, v70, v69, 0 neg_lo:[1,1,0]
	v_perm_b32 v70, v13, v12, 0x6040503
	v_perm_b32 v13, v14, v13, 0x7060403
	s_delay_alu instid0(VALU_DEP_4) | instskip(SKIP_1) | instid1(VALU_DEP_4)
	v_dot4_i32_iu8 v18, v239, v19, v18 neg_lo:[1,1,0]
	v_perm_b32 v19, v11, v11, 0x3020001
	v_dot4_i32_iu8 v69, v70, v236, v69 neg_lo:[1,1,0]
	s_delay_alu instid0(VALU_DEP_3) | instskip(SKIP_1) | instid1(VALU_DEP_3)
	v_add3_u32 v18, v18, v44, v45
	v_perm_b32 v45, v5, v4, 0x6040503
	v_dot4_i32_iu8 v69, v237, v13, v69 neg_lo:[1,1,0]
	s_delay_alu instid0(VALU_DEP_3) | instskip(SKIP_2) | instid1(VALU_DEP_4)
	v_dot4_i32_iu8 v44, v240, v19, v18 neg_lo:[1,1,0]
	v_perm_b32 v18, v4, v39, 0x6050401
	v_perm_b32 v19, v43, v6, 0x6050401
	v_dot4_i32_iu8 v69, v225, v15, v69 neg_lo:[1,1,0]
	v_perm_b32 v4, v4, v6, 0x6050401
	s_delay_alu instid0(VALU_DEP_3) | instskip(SKIP_1) | instid1(VALU_DEP_2)
	v_dot4_i32_iu8 v18, v19, v18, 0 neg_lo:[1,1,0]
	v_perm_b32 v19, v41, v2, 0x6050401
	v_dot4_i32_iu8 v18, v230, v45, v18 neg_lo:[1,1,0]
	s_delay_alu instid0(VALU_DEP_1) | instskip(SKIP_1) | instid1(VALU_DEP_2)
	v_dot4_i32_iu8 v5, v231, v72, v18 neg_lo:[1,1,0]
	v_perm_b32 v18, v0, v37, 0x6050401
	v_dot4_i32_iu8 v5, v7, v40, v5 neg_lo:[1,1,0]
	s_delay_alu instid0(VALU_DEP_2) | instskip(NEXT) | instid1(VALU_DEP_2)
	v_dot4_i32_iu8 v18, v19, v18, 0 neg_lo:[1,1,0]
	v_mul_lo_u32 v5, v5, v212
	s_delay_alu instid0(VALU_DEP_2) | instskip(NEXT) | instid1(VALU_DEP_1)
	v_dot4_i32_iu8 v18, v232, v73, v18 neg_lo:[1,1,0]
	v_dot4_i32_iu8 v1, v233, v74, v18 neg_lo:[1,1,0]
	s_delay_alu instid0(VALU_DEP_1) | instskip(NEXT) | instid1(VALU_DEP_1)
	v_dot4_i32_iu8 v1, v3, v38, v1 neg_lo:[1,1,0]
	v_mad_co_u64_u32 v[18:19], null, v1, v220, v[5:6]
	s_delay_alu instid0(VALU_DEP_1) | instskip(SKIP_1) | instid1(VALU_DEP_1)
	v_cvt_f32_i32_e32 v1, v18
	s_wait_dscnt 0x0
	v_fma_f32 v5, v16, v1, 0
	v_mul_lo_u32 v1, v69, v222
	s_delay_alu instid0(VALU_DEP_1) | instskip(SKIP_1) | instid1(VALU_DEP_1)
	v_mad_co_u64_u32 v[18:19], null, v44, v221, v[1:2]
	v_perm_b32 v2, v0, v2, 0x6050401
	v_dot4_i32_iu8 v0, v2, v65, 0 neg_lo:[1,1,0]
	s_delay_alu instid0(VALU_DEP_3) | instskip(NEXT) | instid1(VALU_DEP_2)
	v_cvt_f32_i32_e32 v1, v18
	v_dot4_i32_iu8 v0, v73, v211, v0 neg_lo:[1,1,0]
	s_delay_alu instid0(VALU_DEP_2) | instskip(NEXT) | instid1(VALU_DEP_2)
	v_fmac_f32_e32 v5, v17, v1
	v_dot4_i32_iu8 v0, v74, v213, v0 neg_lo:[1,1,0]
	s_delay_alu instid0(VALU_DEP_2)
	v_fmac_f32_e32 v117, v187, v5
	v_perm_b32 v5, v12, v14, 0x6040501
	v_perm_b32 v14, v8, v10, 0x6040501
	;; [unrolled: 1-line block ×4, first 2 shown]
	v_dot4_i32_iu8 v0, v3, v52, v0 neg_lo:[1,1,0]
	v_dot4_i32_iu8 v1, v5, v234, 0 neg_lo:[1,1,0]
	s_delay_alu instid0(VALU_DEP_1) | instskip(NEXT) | instid1(VALU_DEP_1)
	v_dot4_i32_iu8 v1, v70, v75, v1 neg_lo:[1,1,0]
	v_dot4_i32_iu8 v1, v13, v223, v1 neg_lo:[1,1,0]
	s_delay_alu instid0(VALU_DEP_1) | instskip(SKIP_1) | instid1(VALU_DEP_1)
	v_dot4_i32_iu8 v12, v15, v64, v1 neg_lo:[1,1,0]
	v_dot4_i32_iu8 v1, v14, v76, 0 neg_lo:[1,1,0]
	;; [unrolled: 1-line block ×3, first 2 shown]
	s_delay_alu instid0(VALU_DEP_1) | instskip(NEXT) | instid1(VALU_DEP_1)
	v_dot4_i32_iu8 v1, v9, v224, v1 neg_lo:[1,1,0]
	v_dot4_i32_iu8 v10, v11, v66, v1 neg_lo:[1,1,0]
	;; [unrolled: 1-line block ×3, first 2 shown]
	s_delay_alu instid0(VALU_DEP_1) | instskip(NEXT) | instid1(VALU_DEP_1)
	v_dot4_i32_iu8 v1, v45, v207, v1 neg_lo:[1,1,0]
	v_dot4_i32_iu8 v1, v72, v208, v1 neg_lo:[1,1,0]
	s_delay_alu instid0(VALU_DEP_1) | instskip(NEXT) | instid1(VALU_DEP_1)
	v_dot4_i32_iu8 v1, v7, v54, v1 neg_lo:[1,1,0]
	v_mul_lo_u32 v1, v1, v209
	s_delay_alu instid0(VALU_DEP_1) | instskip(NEXT) | instid1(VALU_DEP_1)
	v_mad_co_u64_u32 v[0:1], null, v0, v214, v[1:2]
	v_cvt_f32_i32_e32 v0, v0
	s_delay_alu instid0(VALU_DEP_1) | instskip(SKIP_1) | instid1(VALU_DEP_1)
	v_fma_f32 v6, v16, v0, 0
	v_mul_lo_u32 v0, v12, v217
	v_mad_co_u64_u32 v[0:1], null, v10, v215, v[0:1]
	v_dot4_i32_iu8 v1, v2, v47, 0 neg_lo:[1,1,0]
	s_delay_alu instid0(VALU_DEP_1) | instskip(NEXT) | instid1(VALU_DEP_3)
	v_dot4_i32_iu8 v1, v73, v202, v1 neg_lo:[1,1,0]
	v_cvt_f32_i32_e32 v0, v0
	s_delay_alu instid0(VALU_DEP_2) | instskip(NEXT) | instid1(VALU_DEP_2)
	v_dot4_i32_iu8 v1, v74, v203, v1 neg_lo:[1,1,0]
	v_fmac_f32_e32 v6, v17, v0
	v_dot4_i32_iu8 v0, v5, v59, 0 neg_lo:[1,1,0]
	s_delay_alu instid0(VALU_DEP_3) | instskip(NEXT) | instid1(VALU_DEP_3)
	v_dot4_i32_iu8 v1, v3, v48, v1 neg_lo:[1,1,0]
	v_fmac_f32_e32 v116, v188, v6
	s_delay_alu instid0(VALU_DEP_3) | instskip(NEXT) | instid1(VALU_DEP_1)
	v_dot4_i32_iu8 v0, v70, v67, v0 neg_lo:[1,1,0]
	v_dot4_i32_iu8 v0, v13, v218, v0 neg_lo:[1,1,0]
	s_delay_alu instid0(VALU_DEP_1) | instskip(SKIP_1) | instid1(VALU_DEP_1)
	v_dot4_i32_iu8 v6, v15, v60, v0 neg_lo:[1,1,0]
	v_dot4_i32_iu8 v0, v14, v61, 0 neg_lo:[1,1,0]
	v_dot4_i32_iu8 v0, v8, v71, v0 neg_lo:[1,1,0]
	s_delay_alu instid0(VALU_DEP_1) | instskip(NEXT) | instid1(VALU_DEP_1)
	v_dot4_i32_iu8 v0, v9, v219, v0 neg_lo:[1,1,0]
	v_dot4_i32_iu8 v10, v11, v62, v0 neg_lo:[1,1,0]
	;; [unrolled: 1-line block ×3, first 2 shown]
	s_delay_alu instid0(VALU_DEP_1) | instskip(NEXT) | instid1(VALU_DEP_1)
	v_dot4_i32_iu8 v0, v45, v199, v0 neg_lo:[1,1,0]
	v_dot4_i32_iu8 v0, v72, v200, v0 neg_lo:[1,1,0]
	s_delay_alu instid0(VALU_DEP_1) | instskip(NEXT) | instid1(VALU_DEP_1)
	v_dot4_i32_iu8 v0, v7, v50, v0 neg_lo:[1,1,0]
	v_mul_lo_u32 v0, v0, v201
	s_delay_alu instid0(VALU_DEP_1) | instskip(NEXT) | instid1(VALU_DEP_1)
	v_mad_co_u64_u32 v[0:1], null, v1, v204, v[0:1]
	v_cvt_f32_i32_e32 v0, v0
	s_delay_alu instid0(VALU_DEP_1) | instskip(SKIP_1) | instid1(VALU_DEP_1)
	v_fma_f32 v12, v16, v0, 0
	v_mul_lo_u32 v0, v6, v206
	v_mad_co_u64_u32 v[0:1], null, v10, v205, v[0:1]
	v_dot4_i32_iu8 v1, v2, v35, 0 neg_lo:[1,1,0]
	s_delay_alu instid0(VALU_DEP_1) | instskip(NEXT) | instid1(VALU_DEP_3)
	v_dot4_i32_iu8 v1, v73, v195, v1 neg_lo:[1,1,0]
	v_cvt_f32_i32_e32 v0, v0
	s_delay_alu instid0(VALU_DEP_2) | instskip(NEXT) | instid1(VALU_DEP_2)
	v_dot4_i32_iu8 v1, v74, v194, v1 neg_lo:[1,1,0]
	v_fmac_f32_e32 v12, v17, v0
	v_dot4_i32_iu8 v0, v5, v51, 0 neg_lo:[1,1,0]
	s_delay_alu instid0(VALU_DEP_3) | instskip(NEXT) | instid1(VALU_DEP_3)
	v_dot4_i32_iu8 v1, v3, v36, v1 neg_lo:[1,1,0]
	v_fmac_f32_e32 v115, v189, v12
	s_delay_alu instid0(VALU_DEP_3) | instskip(NEXT) | instid1(VALU_DEP_1)
	v_dot4_i32_iu8 v0, v70, v53, v0 neg_lo:[1,1,0]
	v_dot4_i32_iu8 v0, v13, v210, v0 neg_lo:[1,1,0]
	s_delay_alu instid0(VALU_DEP_1) | instskip(SKIP_1) | instid1(VALU_DEP_1)
	v_dot4_i32_iu8 v5, v15, v56, v0 neg_lo:[1,1,0]
	v_dot4_i32_iu8 v0, v14, v55, 0 neg_lo:[1,1,0]
	;; [unrolled: 1-line block ×3, first 2 shown]
	s_delay_alu instid0(VALU_DEP_1) | instskip(NEXT) | instid1(VALU_DEP_1)
	v_dot4_i32_iu8 v0, v9, v216, v0 neg_lo:[1,1,0]
	v_dot4_i32_iu8 v6, v11, v58, v0 neg_lo:[1,1,0]
	;; [unrolled: 1-line block ×3, first 2 shown]
	s_delay_alu instid0(VALU_DEP_1) | instskip(NEXT) | instid1(VALU_DEP_1)
	v_dot4_i32_iu8 v0, v45, v198, v0 neg_lo:[1,1,0]
	v_dot4_i32_iu8 v0, v72, v197, v0 neg_lo:[1,1,0]
	s_delay_alu instid0(VALU_DEP_1) | instskip(NEXT) | instid1(VALU_DEP_1)
	v_dot4_i32_iu8 v0, v7, v46, v0 neg_lo:[1,1,0]
	v_mul_lo_u32 v0, v0, v196
	s_delay_alu instid0(VALU_DEP_1) | instskip(NEXT) | instid1(VALU_DEP_1)
	v_mad_co_u64_u32 v[0:1], null, v1, v193, v[0:1]
	v_cvt_f32_i32_e32 v0, v0
	s_delay_alu instid0(VALU_DEP_1) | instskip(SKIP_1) | instid1(VALU_DEP_1)
	v_fma_f32 v2, v16, v0, 0
	v_mul_lo_u32 v0, v5, v192
	v_mad_co_u64_u32 v[0:1], null, v6, v191, v[0:1]
	s_delay_alu instid0(VALU_DEP_1) | instskip(NEXT) | instid1(VALU_DEP_1)
	v_cvt_f32_i32_e32 v0, v0
	v_fmac_f32_e32 v2, v17, v0
	v_or_b32_e32 v0, s10, v160
	s_delay_alu instid0(VALU_DEP_1)
	v_dual_fmac_f32 v111, v190, v2 :: v_dual_lshlrev_b32 v12, 2, v0
	v_lshrrev_b32_e32 v16, 1, v0
	ds_load_b128 v[0:3], v12 offset:33280
	ds_load_b128 v[4:7], v12 offset:33296
	;; [unrolled: 1-line block ×4, first 2 shown]
	ds_load_b64 v[16:17], v16 offset:43584
	s_wait_dscnt 0x4
	v_perm_b32 v73, v1, v0, 0x6040503
	s_wait_dscnt 0x3
	v_perm_b32 v72, v6, v5, 0x7060403
	s_wait_dscnt 0x2
	v_bfe_i32 v18, v10, 8, 8
	v_bfe_i32 v19, v8, 8, 8
	;; [unrolled: 1-line block ×3, first 2 shown]
	v_ashrrev_i32_e32 v45, 24, v10
	s_wait_dscnt 0x1
	v_perm_b32 v70, v14, v14, 0xc0c0c01
	v_mul_i32_i24_e32 v18, v18, v226
	v_perm_b32 v74, v2, v1, 0x7060403
	v_mul_i32_i24_e32 v44, v228, v44
	v_mul_i32_i24_e32 v45, v227, v45
	v_perm_b32 v69, v12, v68, 0x6040503
	v_mad_i32_i24 v18, v229, v19, v18
	v_perm_b32 v19, v9, v8, 0x5030200
	v_or_b32_e32 v70, v235, v70
	s_delay_alu instid0(VALU_DEP_2) | instskip(SKIP_1) | instid1(VALU_DEP_3)
	v_dot4_i32_iu8 v18, v238, v19, v18 neg_lo:[1,1,0]
	v_perm_b32 v19, v10, v9, 0x4030200
	v_dot4_i32_iu8 v69, v70, v69, 0 neg_lo:[1,1,0]
	v_perm_b32 v70, v13, v12, 0x6040503
	v_perm_b32 v13, v14, v13, 0x7060403
	s_delay_alu instid0(VALU_DEP_4) | instskip(SKIP_1) | instid1(VALU_DEP_4)
	v_dot4_i32_iu8 v18, v239, v19, v18 neg_lo:[1,1,0]
	v_perm_b32 v19, v11, v11, 0x3020001
	v_dot4_i32_iu8 v69, v70, v236, v69 neg_lo:[1,1,0]
	s_delay_alu instid0(VALU_DEP_3) | instskip(SKIP_1) | instid1(VALU_DEP_3)
	v_add3_u32 v18, v18, v44, v45
	v_perm_b32 v45, v5, v4, 0x6040503
	v_dot4_i32_iu8 v69, v237, v13, v69 neg_lo:[1,1,0]
	s_delay_alu instid0(VALU_DEP_3) | instskip(SKIP_2) | instid1(VALU_DEP_4)
	v_dot4_i32_iu8 v44, v240, v19, v18 neg_lo:[1,1,0]
	v_perm_b32 v18, v4, v39, 0x6050401
	v_perm_b32 v19, v43, v6, 0x6050401
	v_dot4_i32_iu8 v69, v225, v15, v69 neg_lo:[1,1,0]
	v_perm_b32 v4, v4, v6, 0x6050401
	s_delay_alu instid0(VALU_DEP_3) | instskip(SKIP_1) | instid1(VALU_DEP_2)
	v_dot4_i32_iu8 v18, v19, v18, 0 neg_lo:[1,1,0]
	v_perm_b32 v19, v41, v2, 0x6050401
	v_dot4_i32_iu8 v18, v230, v45, v18 neg_lo:[1,1,0]
	s_delay_alu instid0(VALU_DEP_1) | instskip(SKIP_1) | instid1(VALU_DEP_2)
	v_dot4_i32_iu8 v5, v231, v72, v18 neg_lo:[1,1,0]
	v_perm_b32 v18, v0, v37, 0x6050401
	v_dot4_i32_iu8 v5, v7, v40, v5 neg_lo:[1,1,0]
	s_delay_alu instid0(VALU_DEP_2) | instskip(NEXT) | instid1(VALU_DEP_2)
	v_dot4_i32_iu8 v18, v19, v18, 0 neg_lo:[1,1,0]
	v_mul_lo_u32 v5, v5, v212
	s_delay_alu instid0(VALU_DEP_2) | instskip(NEXT) | instid1(VALU_DEP_1)
	v_dot4_i32_iu8 v18, v232, v73, v18 neg_lo:[1,1,0]
	v_dot4_i32_iu8 v1, v233, v74, v18 neg_lo:[1,1,0]
	s_delay_alu instid0(VALU_DEP_1) | instskip(NEXT) | instid1(VALU_DEP_1)
	v_dot4_i32_iu8 v1, v3, v38, v1 neg_lo:[1,1,0]
	v_mad_co_u64_u32 v[18:19], null, v1, v220, v[5:6]
	s_delay_alu instid0(VALU_DEP_1) | instskip(SKIP_1) | instid1(VALU_DEP_1)
	v_cvt_f32_i32_e32 v1, v18
	s_wait_dscnt 0x0
	v_fma_f32 v5, v16, v1, 0
	v_mul_lo_u32 v1, v69, v222
	s_delay_alu instid0(VALU_DEP_1) | instskip(SKIP_1) | instid1(VALU_DEP_1)
	v_mad_co_u64_u32 v[18:19], null, v44, v221, v[1:2]
	v_perm_b32 v2, v0, v2, 0x6050401
	v_dot4_i32_iu8 v0, v2, v65, 0 neg_lo:[1,1,0]
	s_delay_alu instid0(VALU_DEP_3) | instskip(NEXT) | instid1(VALU_DEP_2)
	v_cvt_f32_i32_e32 v1, v18
	v_dot4_i32_iu8 v0, v73, v211, v0 neg_lo:[1,1,0]
	s_delay_alu instid0(VALU_DEP_2) | instskip(NEXT) | instid1(VALU_DEP_2)
	v_fmac_f32_e32 v5, v17, v1
	v_dot4_i32_iu8 v0, v74, v213, v0 neg_lo:[1,1,0]
	s_delay_alu instid0(VALU_DEP_2)
	v_fmac_f32_e32 v107, v187, v5
	v_perm_b32 v5, v12, v14, 0x6040501
	v_perm_b32 v14, v8, v10, 0x6040501
	;; [unrolled: 1-line block ×4, first 2 shown]
	v_dot4_i32_iu8 v0, v3, v52, v0 neg_lo:[1,1,0]
	v_dot4_i32_iu8 v1, v5, v234, 0 neg_lo:[1,1,0]
	s_delay_alu instid0(VALU_DEP_1) | instskip(NEXT) | instid1(VALU_DEP_1)
	v_dot4_i32_iu8 v1, v70, v75, v1 neg_lo:[1,1,0]
	v_dot4_i32_iu8 v1, v13, v223, v1 neg_lo:[1,1,0]
	s_delay_alu instid0(VALU_DEP_1) | instskip(SKIP_1) | instid1(VALU_DEP_1)
	v_dot4_i32_iu8 v12, v15, v64, v1 neg_lo:[1,1,0]
	v_dot4_i32_iu8 v1, v14, v76, 0 neg_lo:[1,1,0]
	;; [unrolled: 1-line block ×3, first 2 shown]
	s_delay_alu instid0(VALU_DEP_1) | instskip(NEXT) | instid1(VALU_DEP_1)
	v_dot4_i32_iu8 v1, v9, v224, v1 neg_lo:[1,1,0]
	v_dot4_i32_iu8 v10, v11, v66, v1 neg_lo:[1,1,0]
	;; [unrolled: 1-line block ×3, first 2 shown]
	s_delay_alu instid0(VALU_DEP_1) | instskip(NEXT) | instid1(VALU_DEP_1)
	v_dot4_i32_iu8 v1, v45, v207, v1 neg_lo:[1,1,0]
	v_dot4_i32_iu8 v1, v72, v208, v1 neg_lo:[1,1,0]
	s_delay_alu instid0(VALU_DEP_1) | instskip(NEXT) | instid1(VALU_DEP_1)
	v_dot4_i32_iu8 v1, v7, v54, v1 neg_lo:[1,1,0]
	v_mul_lo_u32 v1, v1, v209
	s_delay_alu instid0(VALU_DEP_1) | instskip(NEXT) | instid1(VALU_DEP_1)
	v_mad_co_u64_u32 v[0:1], null, v0, v214, v[1:2]
	v_cvt_f32_i32_e32 v0, v0
	s_delay_alu instid0(VALU_DEP_1) | instskip(SKIP_1) | instid1(VALU_DEP_1)
	v_fma_f32 v6, v16, v0, 0
	v_mul_lo_u32 v0, v12, v217
	v_mad_co_u64_u32 v[0:1], null, v10, v215, v[0:1]
	v_dot4_i32_iu8 v1, v2, v47, 0 neg_lo:[1,1,0]
	s_delay_alu instid0(VALU_DEP_1) | instskip(NEXT) | instid1(VALU_DEP_3)
	v_dot4_i32_iu8 v1, v73, v202, v1 neg_lo:[1,1,0]
	v_cvt_f32_i32_e32 v0, v0
	s_delay_alu instid0(VALU_DEP_2) | instskip(NEXT) | instid1(VALU_DEP_2)
	v_dot4_i32_iu8 v1, v74, v203, v1 neg_lo:[1,1,0]
	v_fmac_f32_e32 v6, v17, v0
	v_dot4_i32_iu8 v0, v5, v59, 0 neg_lo:[1,1,0]
	s_delay_alu instid0(VALU_DEP_3) | instskip(NEXT) | instid1(VALU_DEP_3)
	v_dot4_i32_iu8 v1, v3, v48, v1 neg_lo:[1,1,0]
	v_fmac_f32_e32 v102, v188, v6
	s_delay_alu instid0(VALU_DEP_3) | instskip(NEXT) | instid1(VALU_DEP_1)
	v_dot4_i32_iu8 v0, v70, v67, v0 neg_lo:[1,1,0]
	v_dot4_i32_iu8 v0, v13, v218, v0 neg_lo:[1,1,0]
	s_delay_alu instid0(VALU_DEP_1) | instskip(SKIP_1) | instid1(VALU_DEP_1)
	v_dot4_i32_iu8 v6, v15, v60, v0 neg_lo:[1,1,0]
	v_dot4_i32_iu8 v0, v14, v61, 0 neg_lo:[1,1,0]
	;; [unrolled: 1-line block ×3, first 2 shown]
	s_delay_alu instid0(VALU_DEP_1) | instskip(NEXT) | instid1(VALU_DEP_1)
	v_dot4_i32_iu8 v0, v9, v219, v0 neg_lo:[1,1,0]
	v_dot4_i32_iu8 v10, v11, v62, v0 neg_lo:[1,1,0]
	;; [unrolled: 1-line block ×3, first 2 shown]
	s_delay_alu instid0(VALU_DEP_1) | instskip(NEXT) | instid1(VALU_DEP_1)
	v_dot4_i32_iu8 v0, v45, v199, v0 neg_lo:[1,1,0]
	v_dot4_i32_iu8 v0, v72, v200, v0 neg_lo:[1,1,0]
	s_delay_alu instid0(VALU_DEP_1) | instskip(NEXT) | instid1(VALU_DEP_1)
	v_dot4_i32_iu8 v0, v7, v50, v0 neg_lo:[1,1,0]
	v_mul_lo_u32 v0, v0, v201
	s_delay_alu instid0(VALU_DEP_1) | instskip(NEXT) | instid1(VALU_DEP_1)
	v_mad_co_u64_u32 v[0:1], null, v1, v204, v[0:1]
	v_cvt_f32_i32_e32 v0, v0
	s_delay_alu instid0(VALU_DEP_1) | instskip(SKIP_1) | instid1(VALU_DEP_1)
	v_fma_f32 v12, v16, v0, 0
	v_mul_lo_u32 v0, v6, v206
	v_mad_co_u64_u32 v[0:1], null, v10, v205, v[0:1]
	v_dot4_i32_iu8 v1, v2, v35, 0 neg_lo:[1,1,0]
	s_delay_alu instid0(VALU_DEP_1) | instskip(NEXT) | instid1(VALU_DEP_3)
	v_dot4_i32_iu8 v1, v73, v195, v1 neg_lo:[1,1,0]
	v_cvt_f32_i32_e32 v0, v0
	s_delay_alu instid0(VALU_DEP_2) | instskip(NEXT) | instid1(VALU_DEP_2)
	v_dot4_i32_iu8 v1, v74, v194, v1 neg_lo:[1,1,0]
	v_fmac_f32_e32 v12, v17, v0
	v_dot4_i32_iu8 v0, v5, v51, 0 neg_lo:[1,1,0]
	s_delay_alu instid0(VALU_DEP_3) | instskip(NEXT) | instid1(VALU_DEP_3)
	v_dot4_i32_iu8 v1, v3, v36, v1 neg_lo:[1,1,0]
	v_fmac_f32_e32 v99, v189, v12
	s_delay_alu instid0(VALU_DEP_3) | instskip(NEXT) | instid1(VALU_DEP_1)
	v_dot4_i32_iu8 v0, v70, v53, v0 neg_lo:[1,1,0]
	v_dot4_i32_iu8 v0, v13, v210, v0 neg_lo:[1,1,0]
	s_delay_alu instid0(VALU_DEP_1) | instskip(SKIP_1) | instid1(VALU_DEP_1)
	v_dot4_i32_iu8 v5, v15, v56, v0 neg_lo:[1,1,0]
	v_dot4_i32_iu8 v0, v14, v55, 0 neg_lo:[1,1,0]
	;; [unrolled: 1-line block ×3, first 2 shown]
	s_delay_alu instid0(VALU_DEP_1) | instskip(NEXT) | instid1(VALU_DEP_1)
	v_dot4_i32_iu8 v0, v9, v216, v0 neg_lo:[1,1,0]
	v_dot4_i32_iu8 v6, v11, v58, v0 neg_lo:[1,1,0]
	;; [unrolled: 1-line block ×3, first 2 shown]
	s_delay_alu instid0(VALU_DEP_1) | instskip(NEXT) | instid1(VALU_DEP_1)
	v_dot4_i32_iu8 v0, v45, v198, v0 neg_lo:[1,1,0]
	v_dot4_i32_iu8 v0, v72, v197, v0 neg_lo:[1,1,0]
	s_delay_alu instid0(VALU_DEP_1) | instskip(NEXT) | instid1(VALU_DEP_1)
	v_dot4_i32_iu8 v0, v7, v46, v0 neg_lo:[1,1,0]
	v_mul_lo_u32 v0, v0, v196
	s_delay_alu instid0(VALU_DEP_1) | instskip(NEXT) | instid1(VALU_DEP_1)
	v_mad_co_u64_u32 v[0:1], null, v1, v193, v[0:1]
	v_cvt_f32_i32_e32 v0, v0
	s_delay_alu instid0(VALU_DEP_1) | instskip(SKIP_1) | instid1(VALU_DEP_1)
	v_fma_f32 v2, v16, v0, 0
	v_mul_lo_u32 v0, v5, v192
	v_mad_co_u64_u32 v[0:1], null, v6, v191, v[0:1]
	s_delay_alu instid0(VALU_DEP_1) | instskip(NEXT) | instid1(VALU_DEP_1)
	v_cvt_f32_i32_e32 v0, v0
	v_fmac_f32_e32 v2, v17, v0
	v_or_b32_e32 v0, s10, v161
	s_delay_alu instid0(VALU_DEP_2) | instskip(NEXT) | instid1(VALU_DEP_2)
	v_fmac_f32_e32 v98, v190, v2
	v_lshlrev_b32_e32 v12, 2, v0
	v_lshrrev_b32_e32 v16, 1, v0
	ds_load_b128 v[0:3], v12 offset:33280
	ds_load_b128 v[4:7], v12 offset:33296
	;; [unrolled: 1-line block ×4, first 2 shown]
	ds_load_b64 v[16:17], v16 offset:43584
	s_wait_dscnt 0x4
	v_perm_b32 v73, v1, v0, 0x6040503
	s_wait_dscnt 0x3
	v_perm_b32 v72, v6, v5, 0x7060403
	s_wait_dscnt 0x2
	v_bfe_i32 v18, v10, 8, 8
	v_bfe_i32 v19, v8, 8, 8
	;; [unrolled: 1-line block ×3, first 2 shown]
	v_ashrrev_i32_e32 v45, 24, v10
	s_wait_dscnt 0x1
	v_perm_b32 v70, v14, v14, 0xc0c0c01
	v_mul_i32_i24_e32 v18, v18, v226
	v_perm_b32 v74, v2, v1, 0x7060403
	v_mul_i32_i24_e32 v44, v228, v44
	v_mul_i32_i24_e32 v45, v227, v45
	v_perm_b32 v69, v12, v68, 0x6040503
	v_mad_i32_i24 v18, v229, v19, v18
	v_perm_b32 v19, v9, v8, 0x5030200
	v_or_b32_e32 v70, v235, v70
	s_delay_alu instid0(VALU_DEP_2) | instskip(SKIP_1) | instid1(VALU_DEP_3)
	v_dot4_i32_iu8 v18, v238, v19, v18 neg_lo:[1,1,0]
	v_perm_b32 v19, v10, v9, 0x4030200
	v_dot4_i32_iu8 v69, v70, v69, 0 neg_lo:[1,1,0]
	v_perm_b32 v70, v13, v12, 0x6040503
	v_perm_b32 v13, v14, v13, 0x7060403
	s_delay_alu instid0(VALU_DEP_4) | instskip(SKIP_1) | instid1(VALU_DEP_4)
	v_dot4_i32_iu8 v18, v239, v19, v18 neg_lo:[1,1,0]
	v_perm_b32 v19, v11, v11, 0x3020001
	v_dot4_i32_iu8 v69, v70, v236, v69 neg_lo:[1,1,0]
	s_delay_alu instid0(VALU_DEP_3) | instskip(SKIP_1) | instid1(VALU_DEP_3)
	v_add3_u32 v18, v18, v44, v45
	v_perm_b32 v45, v5, v4, 0x6040503
	v_dot4_i32_iu8 v69, v237, v13, v69 neg_lo:[1,1,0]
	s_delay_alu instid0(VALU_DEP_3) | instskip(SKIP_2) | instid1(VALU_DEP_4)
	v_dot4_i32_iu8 v44, v240, v19, v18 neg_lo:[1,1,0]
	v_perm_b32 v18, v4, v39, 0x6050401
	v_perm_b32 v19, v43, v6, 0x6050401
	v_dot4_i32_iu8 v69, v225, v15, v69 neg_lo:[1,1,0]
	v_perm_b32 v4, v4, v6, 0x6050401
	s_delay_alu instid0(VALU_DEP_3) | instskip(SKIP_1) | instid1(VALU_DEP_2)
	v_dot4_i32_iu8 v18, v19, v18, 0 neg_lo:[1,1,0]
	v_perm_b32 v19, v41, v2, 0x6050401
	v_dot4_i32_iu8 v18, v230, v45, v18 neg_lo:[1,1,0]
	s_delay_alu instid0(VALU_DEP_1) | instskip(SKIP_1) | instid1(VALU_DEP_2)
	v_dot4_i32_iu8 v5, v231, v72, v18 neg_lo:[1,1,0]
	v_perm_b32 v18, v0, v37, 0x6050401
	v_dot4_i32_iu8 v5, v7, v40, v5 neg_lo:[1,1,0]
	s_delay_alu instid0(VALU_DEP_2) | instskip(NEXT) | instid1(VALU_DEP_2)
	v_dot4_i32_iu8 v18, v19, v18, 0 neg_lo:[1,1,0]
	v_mul_lo_u32 v5, v5, v212
	s_delay_alu instid0(VALU_DEP_2) | instskip(NEXT) | instid1(VALU_DEP_1)
	v_dot4_i32_iu8 v18, v232, v73, v18 neg_lo:[1,1,0]
	v_dot4_i32_iu8 v1, v233, v74, v18 neg_lo:[1,1,0]
	s_delay_alu instid0(VALU_DEP_1) | instskip(NEXT) | instid1(VALU_DEP_1)
	v_dot4_i32_iu8 v1, v3, v38, v1 neg_lo:[1,1,0]
	v_mad_co_u64_u32 v[18:19], null, v1, v220, v[5:6]
	s_delay_alu instid0(VALU_DEP_1) | instskip(SKIP_1) | instid1(VALU_DEP_1)
	v_cvt_f32_i32_e32 v1, v18
	s_wait_dscnt 0x0
	v_fma_f32 v5, v16, v1, 0
	v_mul_lo_u32 v1, v69, v222
	s_delay_alu instid0(VALU_DEP_1) | instskip(SKIP_1) | instid1(VALU_DEP_1)
	v_mad_co_u64_u32 v[18:19], null, v44, v221, v[1:2]
	v_perm_b32 v2, v0, v2, 0x6050401
	v_dot4_i32_iu8 v0, v2, v65, 0 neg_lo:[1,1,0]
	s_delay_alu instid0(VALU_DEP_3) | instskip(NEXT) | instid1(VALU_DEP_2)
	v_cvt_f32_i32_e32 v1, v18
	v_dot4_i32_iu8 v0, v73, v211, v0 neg_lo:[1,1,0]
	s_delay_alu instid0(VALU_DEP_2) | instskip(NEXT) | instid1(VALU_DEP_2)
	v_fmac_f32_e32 v5, v17, v1
	v_dot4_i32_iu8 v0, v74, v213, v0 neg_lo:[1,1,0]
	s_delay_alu instid0(VALU_DEP_2)
	v_fmac_f32_e32 v97, v187, v5
	v_perm_b32 v5, v12, v14, 0x6040501
	v_perm_b32 v14, v8, v10, 0x6040501
	;; [unrolled: 1-line block ×4, first 2 shown]
	v_dot4_i32_iu8 v0, v3, v52, v0 neg_lo:[1,1,0]
	v_dot4_i32_iu8 v1, v5, v234, 0 neg_lo:[1,1,0]
	s_delay_alu instid0(VALU_DEP_1) | instskip(NEXT) | instid1(VALU_DEP_1)
	v_dot4_i32_iu8 v1, v70, v75, v1 neg_lo:[1,1,0]
	v_dot4_i32_iu8 v1, v13, v223, v1 neg_lo:[1,1,0]
	s_delay_alu instid0(VALU_DEP_1) | instskip(SKIP_1) | instid1(VALU_DEP_1)
	v_dot4_i32_iu8 v12, v15, v64, v1 neg_lo:[1,1,0]
	v_dot4_i32_iu8 v1, v14, v76, 0 neg_lo:[1,1,0]
	;; [unrolled: 1-line block ×3, first 2 shown]
	s_delay_alu instid0(VALU_DEP_1) | instskip(NEXT) | instid1(VALU_DEP_1)
	v_dot4_i32_iu8 v1, v9, v224, v1 neg_lo:[1,1,0]
	v_dot4_i32_iu8 v10, v11, v66, v1 neg_lo:[1,1,0]
	;; [unrolled: 1-line block ×3, first 2 shown]
	s_delay_alu instid0(VALU_DEP_1) | instskip(NEXT) | instid1(VALU_DEP_1)
	v_dot4_i32_iu8 v1, v45, v207, v1 neg_lo:[1,1,0]
	v_dot4_i32_iu8 v1, v72, v208, v1 neg_lo:[1,1,0]
	s_delay_alu instid0(VALU_DEP_1) | instskip(NEXT) | instid1(VALU_DEP_1)
	v_dot4_i32_iu8 v1, v7, v54, v1 neg_lo:[1,1,0]
	v_mul_lo_u32 v1, v1, v209
	s_delay_alu instid0(VALU_DEP_1) | instskip(NEXT) | instid1(VALU_DEP_1)
	v_mad_co_u64_u32 v[0:1], null, v0, v214, v[1:2]
	v_cvt_f32_i32_e32 v0, v0
	s_delay_alu instid0(VALU_DEP_1) | instskip(SKIP_1) | instid1(VALU_DEP_1)
	v_fma_f32 v6, v16, v0, 0
	v_mul_lo_u32 v0, v12, v217
	v_mad_co_u64_u32 v[0:1], null, v10, v215, v[0:1]
	v_dot4_i32_iu8 v1, v2, v47, 0 neg_lo:[1,1,0]
	s_delay_alu instid0(VALU_DEP_1) | instskip(NEXT) | instid1(VALU_DEP_3)
	v_dot4_i32_iu8 v1, v73, v202, v1 neg_lo:[1,1,0]
	v_cvt_f32_i32_e32 v0, v0
	s_delay_alu instid0(VALU_DEP_2) | instskip(NEXT) | instid1(VALU_DEP_2)
	v_dot4_i32_iu8 v1, v74, v203, v1 neg_lo:[1,1,0]
	v_fmac_f32_e32 v6, v17, v0
	v_dot4_i32_iu8 v0, v5, v59, 0 neg_lo:[1,1,0]
	s_delay_alu instid0(VALU_DEP_3) | instskip(NEXT) | instid1(VALU_DEP_3)
	v_dot4_i32_iu8 v1, v3, v48, v1 neg_lo:[1,1,0]
	v_fmac_f32_e32 v96, v188, v6
	s_delay_alu instid0(VALU_DEP_3) | instskip(NEXT) | instid1(VALU_DEP_1)
	v_dot4_i32_iu8 v0, v70, v67, v0 neg_lo:[1,1,0]
	v_dot4_i32_iu8 v0, v13, v218, v0 neg_lo:[1,1,0]
	s_delay_alu instid0(VALU_DEP_1) | instskip(SKIP_1) | instid1(VALU_DEP_1)
	v_dot4_i32_iu8 v6, v15, v60, v0 neg_lo:[1,1,0]
	v_dot4_i32_iu8 v0, v14, v61, 0 neg_lo:[1,1,0]
	;; [unrolled: 1-line block ×3, first 2 shown]
	s_delay_alu instid0(VALU_DEP_1) | instskip(NEXT) | instid1(VALU_DEP_1)
	v_dot4_i32_iu8 v0, v9, v219, v0 neg_lo:[1,1,0]
	v_dot4_i32_iu8 v10, v11, v62, v0 neg_lo:[1,1,0]
	;; [unrolled: 1-line block ×3, first 2 shown]
	s_delay_alu instid0(VALU_DEP_1) | instskip(NEXT) | instid1(VALU_DEP_1)
	v_dot4_i32_iu8 v0, v45, v199, v0 neg_lo:[1,1,0]
	v_dot4_i32_iu8 v0, v72, v200, v0 neg_lo:[1,1,0]
	s_delay_alu instid0(VALU_DEP_1) | instskip(NEXT) | instid1(VALU_DEP_1)
	v_dot4_i32_iu8 v0, v7, v50, v0 neg_lo:[1,1,0]
	v_mul_lo_u32 v0, v0, v201
	s_delay_alu instid0(VALU_DEP_1) | instskip(NEXT) | instid1(VALU_DEP_1)
	v_mad_co_u64_u32 v[0:1], null, v1, v204, v[0:1]
	v_cvt_f32_i32_e32 v0, v0
	s_delay_alu instid0(VALU_DEP_1) | instskip(SKIP_1) | instid1(VALU_DEP_1)
	v_fma_f32 v12, v16, v0, 0
	v_mul_lo_u32 v0, v6, v206
	v_mad_co_u64_u32 v[0:1], null, v10, v205, v[0:1]
	v_dot4_i32_iu8 v1, v2, v35, 0 neg_lo:[1,1,0]
	s_delay_alu instid0(VALU_DEP_1) | instskip(NEXT) | instid1(VALU_DEP_3)
	v_dot4_i32_iu8 v1, v73, v195, v1 neg_lo:[1,1,0]
	v_cvt_f32_i32_e32 v0, v0
	s_delay_alu instid0(VALU_DEP_2) | instskip(NEXT) | instid1(VALU_DEP_2)
	v_dot4_i32_iu8 v1, v74, v194, v1 neg_lo:[1,1,0]
	v_fmac_f32_e32 v12, v17, v0
	v_dot4_i32_iu8 v0, v5, v51, 0 neg_lo:[1,1,0]
	s_delay_alu instid0(VALU_DEP_3) | instskip(NEXT) | instid1(VALU_DEP_3)
	v_dot4_i32_iu8 v1, v3, v36, v1 neg_lo:[1,1,0]
	v_fmac_f32_e32 v95, v189, v12
	s_delay_alu instid0(VALU_DEP_3) | instskip(NEXT) | instid1(VALU_DEP_1)
	v_dot4_i32_iu8 v0, v70, v53, v0 neg_lo:[1,1,0]
	v_dot4_i32_iu8 v0, v13, v210, v0 neg_lo:[1,1,0]
	s_delay_alu instid0(VALU_DEP_1) | instskip(SKIP_1) | instid1(VALU_DEP_1)
	v_dot4_i32_iu8 v5, v15, v56, v0 neg_lo:[1,1,0]
	v_dot4_i32_iu8 v0, v14, v55, 0 neg_lo:[1,1,0]
	;; [unrolled: 1-line block ×3, first 2 shown]
	s_delay_alu instid0(VALU_DEP_1) | instskip(NEXT) | instid1(VALU_DEP_1)
	v_dot4_i32_iu8 v0, v9, v216, v0 neg_lo:[1,1,0]
	v_dot4_i32_iu8 v6, v11, v58, v0 neg_lo:[1,1,0]
	v_dot4_i32_iu8 v0, v4, v42, 0 neg_lo:[1,1,0]
	s_delay_alu instid0(VALU_DEP_1) | instskip(NEXT) | instid1(VALU_DEP_1)
	v_dot4_i32_iu8 v0, v45, v198, v0 neg_lo:[1,1,0]
	v_dot4_i32_iu8 v0, v72, v197, v0 neg_lo:[1,1,0]
	s_delay_alu instid0(VALU_DEP_1) | instskip(NEXT) | instid1(VALU_DEP_1)
	v_dot4_i32_iu8 v0, v7, v46, v0 neg_lo:[1,1,0]
	v_mul_lo_u32 v0, v0, v196
	s_delay_alu instid0(VALU_DEP_1) | instskip(NEXT) | instid1(VALU_DEP_1)
	v_mad_co_u64_u32 v[0:1], null, v1, v193, v[0:1]
	v_cvt_f32_i32_e32 v0, v0
	s_delay_alu instid0(VALU_DEP_1) | instskip(SKIP_1) | instid1(VALU_DEP_1)
	v_fma_f32 v2, v16, v0, 0
	v_mul_lo_u32 v0, v5, v192
	v_mad_co_u64_u32 v[0:1], null, v6, v191, v[0:1]
	s_delay_alu instid0(VALU_DEP_1) | instskip(NEXT) | instid1(VALU_DEP_1)
	v_cvt_f32_i32_e32 v0, v0
	v_fmac_f32_e32 v2, v17, v0
	v_or_b32_e32 v0, s10, v162
	s_delay_alu instid0(VALU_DEP_1)
	v_dual_fmac_f32 v93, v190, v2 :: v_dual_lshlrev_b32 v12, 2, v0
	v_lshrrev_b32_e32 v16, 1, v0
	ds_load_b128 v[0:3], v12 offset:33280
	ds_load_b128 v[4:7], v12 offset:33296
	;; [unrolled: 1-line block ×4, first 2 shown]
	ds_load_b64 v[16:17], v16 offset:43584
	s_wait_dscnt 0x4
	v_perm_b32 v73, v1, v0, 0x6040503
	s_wait_dscnt 0x3
	v_perm_b32 v72, v6, v5, 0x7060403
	s_wait_dscnt 0x2
	v_bfe_i32 v18, v10, 8, 8
	v_bfe_i32 v19, v8, 8, 8
	;; [unrolled: 1-line block ×3, first 2 shown]
	v_ashrrev_i32_e32 v45, 24, v10
	s_wait_dscnt 0x1
	v_perm_b32 v70, v14, v14, 0xc0c0c01
	v_mul_i32_i24_e32 v18, v18, v226
	v_perm_b32 v74, v2, v1, 0x7060403
	v_mul_i32_i24_e32 v44, v228, v44
	v_mul_i32_i24_e32 v45, v227, v45
	v_perm_b32 v69, v12, v68, 0x6040503
	v_mad_i32_i24 v18, v229, v19, v18
	v_perm_b32 v19, v9, v8, 0x5030200
	v_or_b32_e32 v70, v235, v70
	s_delay_alu instid0(VALU_DEP_2) | instskip(SKIP_1) | instid1(VALU_DEP_3)
	v_dot4_i32_iu8 v18, v238, v19, v18 neg_lo:[1,1,0]
	v_perm_b32 v19, v10, v9, 0x4030200
	v_dot4_i32_iu8 v69, v70, v69, 0 neg_lo:[1,1,0]
	v_perm_b32 v70, v13, v12, 0x6040503
	v_perm_b32 v13, v14, v13, 0x7060403
	s_delay_alu instid0(VALU_DEP_4) | instskip(SKIP_1) | instid1(VALU_DEP_4)
	v_dot4_i32_iu8 v18, v239, v19, v18 neg_lo:[1,1,0]
	v_perm_b32 v19, v11, v11, 0x3020001
	v_dot4_i32_iu8 v69, v70, v236, v69 neg_lo:[1,1,0]
	s_delay_alu instid0(VALU_DEP_3) | instskip(SKIP_1) | instid1(VALU_DEP_3)
	v_add3_u32 v18, v18, v44, v45
	v_perm_b32 v45, v5, v4, 0x6040503
	v_dot4_i32_iu8 v69, v237, v13, v69 neg_lo:[1,1,0]
	s_delay_alu instid0(VALU_DEP_3) | instskip(SKIP_2) | instid1(VALU_DEP_4)
	v_dot4_i32_iu8 v44, v240, v19, v18 neg_lo:[1,1,0]
	v_perm_b32 v18, v4, v39, 0x6050401
	v_perm_b32 v19, v43, v6, 0x6050401
	v_dot4_i32_iu8 v69, v225, v15, v69 neg_lo:[1,1,0]
	v_perm_b32 v4, v4, v6, 0x6050401
	s_delay_alu instid0(VALU_DEP_3) | instskip(SKIP_1) | instid1(VALU_DEP_2)
	v_dot4_i32_iu8 v18, v19, v18, 0 neg_lo:[1,1,0]
	v_perm_b32 v19, v41, v2, 0x6050401
	v_dot4_i32_iu8 v18, v230, v45, v18 neg_lo:[1,1,0]
	s_delay_alu instid0(VALU_DEP_1) | instskip(SKIP_1) | instid1(VALU_DEP_2)
	v_dot4_i32_iu8 v5, v231, v72, v18 neg_lo:[1,1,0]
	v_perm_b32 v18, v0, v37, 0x6050401
	v_dot4_i32_iu8 v5, v7, v40, v5 neg_lo:[1,1,0]
	s_delay_alu instid0(VALU_DEP_2) | instskip(NEXT) | instid1(VALU_DEP_2)
	v_dot4_i32_iu8 v18, v19, v18, 0 neg_lo:[1,1,0]
	v_mul_lo_u32 v5, v5, v212
	s_delay_alu instid0(VALU_DEP_2) | instskip(NEXT) | instid1(VALU_DEP_1)
	v_dot4_i32_iu8 v18, v232, v73, v18 neg_lo:[1,1,0]
	v_dot4_i32_iu8 v1, v233, v74, v18 neg_lo:[1,1,0]
	s_delay_alu instid0(VALU_DEP_1) | instskip(NEXT) | instid1(VALU_DEP_1)
	v_dot4_i32_iu8 v1, v3, v38, v1 neg_lo:[1,1,0]
	v_mad_co_u64_u32 v[18:19], null, v1, v220, v[5:6]
	s_delay_alu instid0(VALU_DEP_1) | instskip(SKIP_1) | instid1(VALU_DEP_1)
	v_cvt_f32_i32_e32 v1, v18
	s_wait_dscnt 0x0
	v_fma_f32 v5, v16, v1, 0
	v_mul_lo_u32 v1, v69, v222
	s_delay_alu instid0(VALU_DEP_1) | instskip(SKIP_1) | instid1(VALU_DEP_1)
	v_mad_co_u64_u32 v[18:19], null, v44, v221, v[1:2]
	v_perm_b32 v2, v0, v2, 0x6050401
	v_dot4_i32_iu8 v0, v2, v65, 0 neg_lo:[1,1,0]
	s_delay_alu instid0(VALU_DEP_3) | instskip(NEXT) | instid1(VALU_DEP_2)
	v_cvt_f32_i32_e32 v1, v18
	v_dot4_i32_iu8 v0, v73, v211, v0 neg_lo:[1,1,0]
	s_delay_alu instid0(VALU_DEP_2) | instskip(NEXT) | instid1(VALU_DEP_2)
	v_fmac_f32_e32 v5, v17, v1
	v_dot4_i32_iu8 v0, v74, v213, v0 neg_lo:[1,1,0]
	s_delay_alu instid0(VALU_DEP_2)
	v_fmac_f32_e32 v92, v187, v5
	v_perm_b32 v5, v12, v14, 0x6040501
	v_perm_b32 v14, v8, v10, 0x6040501
	;; [unrolled: 1-line block ×4, first 2 shown]
	v_dot4_i32_iu8 v0, v3, v52, v0 neg_lo:[1,1,0]
	v_dot4_i32_iu8 v1, v5, v234, 0 neg_lo:[1,1,0]
	s_delay_alu instid0(VALU_DEP_1) | instskip(NEXT) | instid1(VALU_DEP_1)
	v_dot4_i32_iu8 v1, v70, v75, v1 neg_lo:[1,1,0]
	v_dot4_i32_iu8 v1, v13, v223, v1 neg_lo:[1,1,0]
	s_delay_alu instid0(VALU_DEP_1) | instskip(SKIP_1) | instid1(VALU_DEP_1)
	v_dot4_i32_iu8 v12, v15, v64, v1 neg_lo:[1,1,0]
	v_dot4_i32_iu8 v1, v14, v76, 0 neg_lo:[1,1,0]
	;; [unrolled: 1-line block ×3, first 2 shown]
	s_delay_alu instid0(VALU_DEP_1) | instskip(NEXT) | instid1(VALU_DEP_1)
	v_dot4_i32_iu8 v1, v9, v224, v1 neg_lo:[1,1,0]
	v_dot4_i32_iu8 v10, v11, v66, v1 neg_lo:[1,1,0]
	;; [unrolled: 1-line block ×3, first 2 shown]
	s_delay_alu instid0(VALU_DEP_1) | instskip(NEXT) | instid1(VALU_DEP_1)
	v_dot4_i32_iu8 v1, v45, v207, v1 neg_lo:[1,1,0]
	v_dot4_i32_iu8 v1, v72, v208, v1 neg_lo:[1,1,0]
	s_delay_alu instid0(VALU_DEP_1) | instskip(NEXT) | instid1(VALU_DEP_1)
	v_dot4_i32_iu8 v1, v7, v54, v1 neg_lo:[1,1,0]
	v_mul_lo_u32 v1, v1, v209
	s_delay_alu instid0(VALU_DEP_1) | instskip(NEXT) | instid1(VALU_DEP_1)
	v_mad_co_u64_u32 v[0:1], null, v0, v214, v[1:2]
	v_cvt_f32_i32_e32 v0, v0
	s_delay_alu instid0(VALU_DEP_1) | instskip(SKIP_1) | instid1(VALU_DEP_1)
	v_fma_f32 v6, v16, v0, 0
	v_mul_lo_u32 v0, v12, v217
	v_mad_co_u64_u32 v[0:1], null, v10, v215, v[0:1]
	v_dot4_i32_iu8 v1, v2, v47, 0 neg_lo:[1,1,0]
	s_delay_alu instid0(VALU_DEP_1) | instskip(NEXT) | instid1(VALU_DEP_3)
	v_dot4_i32_iu8 v1, v73, v202, v1 neg_lo:[1,1,0]
	v_cvt_f32_i32_e32 v0, v0
	s_delay_alu instid0(VALU_DEP_2) | instskip(NEXT) | instid1(VALU_DEP_2)
	v_dot4_i32_iu8 v1, v74, v203, v1 neg_lo:[1,1,0]
	v_fmac_f32_e32 v6, v17, v0
	v_dot4_i32_iu8 v0, v5, v59, 0 neg_lo:[1,1,0]
	s_delay_alu instid0(VALU_DEP_3) | instskip(NEXT) | instid1(VALU_DEP_3)
	v_dot4_i32_iu8 v1, v3, v48, v1 neg_lo:[1,1,0]
	v_fmac_f32_e32 v91, v188, v6
	s_delay_alu instid0(VALU_DEP_3) | instskip(NEXT) | instid1(VALU_DEP_1)
	v_dot4_i32_iu8 v0, v70, v67, v0 neg_lo:[1,1,0]
	v_dot4_i32_iu8 v0, v13, v218, v0 neg_lo:[1,1,0]
	s_delay_alu instid0(VALU_DEP_1) | instskip(SKIP_1) | instid1(VALU_DEP_1)
	v_dot4_i32_iu8 v6, v15, v60, v0 neg_lo:[1,1,0]
	v_dot4_i32_iu8 v0, v14, v61, 0 neg_lo:[1,1,0]
	;; [unrolled: 1-line block ×3, first 2 shown]
	s_delay_alu instid0(VALU_DEP_1) | instskip(NEXT) | instid1(VALU_DEP_1)
	v_dot4_i32_iu8 v0, v9, v219, v0 neg_lo:[1,1,0]
	v_dot4_i32_iu8 v10, v11, v62, v0 neg_lo:[1,1,0]
	;; [unrolled: 1-line block ×3, first 2 shown]
	s_delay_alu instid0(VALU_DEP_1) | instskip(NEXT) | instid1(VALU_DEP_1)
	v_dot4_i32_iu8 v0, v45, v199, v0 neg_lo:[1,1,0]
	v_dot4_i32_iu8 v0, v72, v200, v0 neg_lo:[1,1,0]
	s_delay_alu instid0(VALU_DEP_1) | instskip(NEXT) | instid1(VALU_DEP_1)
	v_dot4_i32_iu8 v0, v7, v50, v0 neg_lo:[1,1,0]
	v_mul_lo_u32 v0, v0, v201
	s_delay_alu instid0(VALU_DEP_1) | instskip(NEXT) | instid1(VALU_DEP_1)
	v_mad_co_u64_u32 v[0:1], null, v1, v204, v[0:1]
	v_cvt_f32_i32_e32 v0, v0
	s_delay_alu instid0(VALU_DEP_1) | instskip(SKIP_1) | instid1(VALU_DEP_1)
	v_fma_f32 v12, v16, v0, 0
	v_mul_lo_u32 v0, v6, v206
	v_mad_co_u64_u32 v[0:1], null, v10, v205, v[0:1]
	v_dot4_i32_iu8 v1, v2, v35, 0 neg_lo:[1,1,0]
	s_delay_alu instid0(VALU_DEP_1) | instskip(NEXT) | instid1(VALU_DEP_3)
	v_dot4_i32_iu8 v1, v73, v195, v1 neg_lo:[1,1,0]
	v_cvt_f32_i32_e32 v0, v0
	s_delay_alu instid0(VALU_DEP_2) | instskip(NEXT) | instid1(VALU_DEP_2)
	v_dot4_i32_iu8 v1, v74, v194, v1 neg_lo:[1,1,0]
	v_fmac_f32_e32 v12, v17, v0
	v_dot4_i32_iu8 v0, v5, v51, 0 neg_lo:[1,1,0]
	s_delay_alu instid0(VALU_DEP_3) | instskip(NEXT) | instid1(VALU_DEP_3)
	v_dot4_i32_iu8 v1, v3, v36, v1 neg_lo:[1,1,0]
	v_fmac_f32_e32 v88, v189, v12
	s_delay_alu instid0(VALU_DEP_3) | instskip(NEXT) | instid1(VALU_DEP_1)
	v_dot4_i32_iu8 v0, v70, v53, v0 neg_lo:[1,1,0]
	v_dot4_i32_iu8 v0, v13, v210, v0 neg_lo:[1,1,0]
	s_delay_alu instid0(VALU_DEP_1) | instskip(SKIP_1) | instid1(VALU_DEP_1)
	v_dot4_i32_iu8 v5, v15, v56, v0 neg_lo:[1,1,0]
	v_dot4_i32_iu8 v0, v14, v55, 0 neg_lo:[1,1,0]
	;; [unrolled: 1-line block ×3, first 2 shown]
	s_delay_alu instid0(VALU_DEP_1) | instskip(NEXT) | instid1(VALU_DEP_1)
	v_dot4_i32_iu8 v0, v9, v216, v0 neg_lo:[1,1,0]
	v_dot4_i32_iu8 v6, v11, v58, v0 neg_lo:[1,1,0]
	;; [unrolled: 1-line block ×3, first 2 shown]
	s_delay_alu instid0(VALU_DEP_1) | instskip(NEXT) | instid1(VALU_DEP_1)
	v_dot4_i32_iu8 v0, v45, v198, v0 neg_lo:[1,1,0]
	v_dot4_i32_iu8 v0, v72, v197, v0 neg_lo:[1,1,0]
	s_delay_alu instid0(VALU_DEP_1) | instskip(NEXT) | instid1(VALU_DEP_1)
	v_dot4_i32_iu8 v0, v7, v46, v0 neg_lo:[1,1,0]
	v_mul_lo_u32 v0, v0, v196
	s_delay_alu instid0(VALU_DEP_1) | instskip(NEXT) | instid1(VALU_DEP_1)
	v_mad_co_u64_u32 v[0:1], null, v1, v193, v[0:1]
	v_cvt_f32_i32_e32 v0, v0
	s_delay_alu instid0(VALU_DEP_1) | instskip(SKIP_1) | instid1(VALU_DEP_1)
	v_fma_f32 v2, v16, v0, 0
	v_mul_lo_u32 v0, v5, v192
	v_mad_co_u64_u32 v[0:1], null, v6, v191, v[0:1]
	s_delay_alu instid0(VALU_DEP_1) | instskip(NEXT) | instid1(VALU_DEP_1)
	v_cvt_f32_i32_e32 v0, v0
	v_fmac_f32_e32 v2, v17, v0
	v_or_b32_e32 v0, s10, v163
	s_delay_alu instid0(VALU_DEP_1)
	v_dual_fmac_f32 v87, v190, v2 :: v_dual_lshlrev_b32 v12, 2, v0
	v_lshrrev_b32_e32 v16, 1, v0
	ds_load_b128 v[0:3], v12 offset:33280
	ds_load_b128 v[4:7], v12 offset:33296
	;; [unrolled: 1-line block ×4, first 2 shown]
	ds_load_b64 v[16:17], v16 offset:43584
	s_wait_dscnt 0x4
	v_perm_b32 v73, v1, v0, 0x6040503
	s_wait_dscnt 0x3
	v_perm_b32 v72, v6, v5, 0x7060403
	s_wait_dscnt 0x2
	v_bfe_i32 v18, v10, 8, 8
	v_bfe_i32 v19, v8, 8, 8
	;; [unrolled: 1-line block ×3, first 2 shown]
	v_ashrrev_i32_e32 v45, 24, v10
	s_wait_dscnt 0x1
	v_perm_b32 v70, v14, v14, 0xc0c0c01
	v_mul_i32_i24_e32 v18, v18, v226
	v_perm_b32 v74, v2, v1, 0x7060403
	v_mul_i32_i24_e32 v44, v228, v44
	v_mul_i32_i24_e32 v45, v227, v45
	v_perm_b32 v69, v12, v68, 0x6040503
	v_mad_i32_i24 v18, v229, v19, v18
	v_perm_b32 v19, v9, v8, 0x5030200
	v_or_b32_e32 v70, v235, v70
	s_delay_alu instid0(VALU_DEP_2) | instskip(SKIP_1) | instid1(VALU_DEP_3)
	v_dot4_i32_iu8 v18, v238, v19, v18 neg_lo:[1,1,0]
	v_perm_b32 v19, v10, v9, 0x4030200
	v_dot4_i32_iu8 v69, v70, v69, 0 neg_lo:[1,1,0]
	v_perm_b32 v70, v13, v12, 0x6040503
	v_perm_b32 v13, v14, v13, 0x7060403
	s_delay_alu instid0(VALU_DEP_4) | instskip(SKIP_1) | instid1(VALU_DEP_4)
	v_dot4_i32_iu8 v18, v239, v19, v18 neg_lo:[1,1,0]
	v_perm_b32 v19, v11, v11, 0x3020001
	v_dot4_i32_iu8 v69, v70, v236, v69 neg_lo:[1,1,0]
	s_delay_alu instid0(VALU_DEP_3) | instskip(SKIP_1) | instid1(VALU_DEP_3)
	v_add3_u32 v18, v18, v44, v45
	v_perm_b32 v45, v5, v4, 0x6040503
	v_dot4_i32_iu8 v69, v237, v13, v69 neg_lo:[1,1,0]
	s_delay_alu instid0(VALU_DEP_3) | instskip(SKIP_2) | instid1(VALU_DEP_4)
	v_dot4_i32_iu8 v44, v240, v19, v18 neg_lo:[1,1,0]
	v_perm_b32 v18, v4, v39, 0x6050401
	v_perm_b32 v19, v43, v6, 0x6050401
	v_dot4_i32_iu8 v69, v225, v15, v69 neg_lo:[1,1,0]
	v_perm_b32 v4, v4, v6, 0x6050401
	s_delay_alu instid0(VALU_DEP_3) | instskip(SKIP_1) | instid1(VALU_DEP_2)
	v_dot4_i32_iu8 v18, v19, v18, 0 neg_lo:[1,1,0]
	v_perm_b32 v19, v41, v2, 0x6050401
	v_dot4_i32_iu8 v18, v230, v45, v18 neg_lo:[1,1,0]
	s_delay_alu instid0(VALU_DEP_1) | instskip(SKIP_1) | instid1(VALU_DEP_2)
	v_dot4_i32_iu8 v5, v231, v72, v18 neg_lo:[1,1,0]
	v_perm_b32 v18, v0, v37, 0x6050401
	v_dot4_i32_iu8 v5, v7, v40, v5 neg_lo:[1,1,0]
	s_delay_alu instid0(VALU_DEP_2) | instskip(NEXT) | instid1(VALU_DEP_2)
	v_dot4_i32_iu8 v18, v19, v18, 0 neg_lo:[1,1,0]
	v_mul_lo_u32 v5, v5, v212
	s_delay_alu instid0(VALU_DEP_2) | instskip(NEXT) | instid1(VALU_DEP_1)
	v_dot4_i32_iu8 v18, v232, v73, v18 neg_lo:[1,1,0]
	v_dot4_i32_iu8 v1, v233, v74, v18 neg_lo:[1,1,0]
	s_delay_alu instid0(VALU_DEP_1) | instskip(NEXT) | instid1(VALU_DEP_1)
	v_dot4_i32_iu8 v1, v3, v38, v1 neg_lo:[1,1,0]
	v_mad_co_u64_u32 v[18:19], null, v1, v220, v[5:6]
	s_delay_alu instid0(VALU_DEP_1) | instskip(SKIP_1) | instid1(VALU_DEP_1)
	v_cvt_f32_i32_e32 v1, v18
	s_wait_dscnt 0x0
	v_fma_f32 v5, v16, v1, 0
	v_mul_lo_u32 v1, v69, v222
	s_delay_alu instid0(VALU_DEP_1) | instskip(SKIP_1) | instid1(VALU_DEP_1)
	v_mad_co_u64_u32 v[18:19], null, v44, v221, v[1:2]
	v_perm_b32 v2, v0, v2, 0x6050401
	v_dot4_i32_iu8 v0, v2, v65, 0 neg_lo:[1,1,0]
	s_delay_alu instid0(VALU_DEP_3) | instskip(NEXT) | instid1(VALU_DEP_2)
	v_cvt_f32_i32_e32 v1, v18
	v_dot4_i32_iu8 v0, v73, v211, v0 neg_lo:[1,1,0]
	s_delay_alu instid0(VALU_DEP_2) | instskip(NEXT) | instid1(VALU_DEP_2)
	v_fmac_f32_e32 v5, v17, v1
	v_dot4_i32_iu8 v0, v74, v213, v0 neg_lo:[1,1,0]
	s_delay_alu instid0(VALU_DEP_2)
	v_fmac_f32_e32 v86, v187, v5
	v_perm_b32 v5, v12, v14, 0x6040501
	v_perm_b32 v14, v8, v10, 0x6040501
	;; [unrolled: 1-line block ×4, first 2 shown]
	v_dot4_i32_iu8 v0, v3, v52, v0 neg_lo:[1,1,0]
	v_dot4_i32_iu8 v1, v5, v234, 0 neg_lo:[1,1,0]
	s_delay_alu instid0(VALU_DEP_1) | instskip(NEXT) | instid1(VALU_DEP_1)
	v_dot4_i32_iu8 v1, v70, v75, v1 neg_lo:[1,1,0]
	v_dot4_i32_iu8 v1, v13, v223, v1 neg_lo:[1,1,0]
	s_delay_alu instid0(VALU_DEP_1) | instskip(SKIP_1) | instid1(VALU_DEP_1)
	v_dot4_i32_iu8 v12, v15, v64, v1 neg_lo:[1,1,0]
	v_dot4_i32_iu8 v1, v14, v76, 0 neg_lo:[1,1,0]
	;; [unrolled: 1-line block ×3, first 2 shown]
	s_delay_alu instid0(VALU_DEP_1) | instskip(NEXT) | instid1(VALU_DEP_1)
	v_dot4_i32_iu8 v1, v9, v224, v1 neg_lo:[1,1,0]
	v_dot4_i32_iu8 v10, v11, v66, v1 neg_lo:[1,1,0]
	;; [unrolled: 1-line block ×3, first 2 shown]
	s_delay_alu instid0(VALU_DEP_1) | instskip(NEXT) | instid1(VALU_DEP_1)
	v_dot4_i32_iu8 v1, v45, v207, v1 neg_lo:[1,1,0]
	v_dot4_i32_iu8 v1, v72, v208, v1 neg_lo:[1,1,0]
	s_delay_alu instid0(VALU_DEP_1) | instskip(NEXT) | instid1(VALU_DEP_1)
	v_dot4_i32_iu8 v1, v7, v54, v1 neg_lo:[1,1,0]
	v_mul_lo_u32 v1, v1, v209
	s_delay_alu instid0(VALU_DEP_1) | instskip(NEXT) | instid1(VALU_DEP_1)
	v_mad_co_u64_u32 v[0:1], null, v0, v214, v[1:2]
	v_cvt_f32_i32_e32 v0, v0
	s_delay_alu instid0(VALU_DEP_1) | instskip(SKIP_1) | instid1(VALU_DEP_1)
	v_fma_f32 v6, v16, v0, 0
	v_mul_lo_u32 v0, v12, v217
	v_mad_co_u64_u32 v[0:1], null, v10, v215, v[0:1]
	v_dot4_i32_iu8 v1, v2, v47, 0 neg_lo:[1,1,0]
	s_delay_alu instid0(VALU_DEP_1) | instskip(NEXT) | instid1(VALU_DEP_3)
	v_dot4_i32_iu8 v1, v73, v202, v1 neg_lo:[1,1,0]
	v_cvt_f32_i32_e32 v0, v0
	s_delay_alu instid0(VALU_DEP_2) | instskip(NEXT) | instid1(VALU_DEP_2)
	v_dot4_i32_iu8 v1, v74, v203, v1 neg_lo:[1,1,0]
	v_fmac_f32_e32 v6, v17, v0
	v_dot4_i32_iu8 v0, v5, v59, 0 neg_lo:[1,1,0]
	s_delay_alu instid0(VALU_DEP_3) | instskip(NEXT) | instid1(VALU_DEP_3)
	v_dot4_i32_iu8 v1, v3, v48, v1 neg_lo:[1,1,0]
	v_fmac_f32_e32 v85, v188, v6
	s_delay_alu instid0(VALU_DEP_3) | instskip(NEXT) | instid1(VALU_DEP_1)
	v_dot4_i32_iu8 v0, v70, v67, v0 neg_lo:[1,1,0]
	v_dot4_i32_iu8 v0, v13, v218, v0 neg_lo:[1,1,0]
	s_delay_alu instid0(VALU_DEP_1) | instskip(SKIP_1) | instid1(VALU_DEP_1)
	v_dot4_i32_iu8 v6, v15, v60, v0 neg_lo:[1,1,0]
	v_dot4_i32_iu8 v0, v14, v61, 0 neg_lo:[1,1,0]
	;; [unrolled: 1-line block ×3, first 2 shown]
	s_delay_alu instid0(VALU_DEP_1) | instskip(NEXT) | instid1(VALU_DEP_1)
	v_dot4_i32_iu8 v0, v9, v219, v0 neg_lo:[1,1,0]
	v_dot4_i32_iu8 v10, v11, v62, v0 neg_lo:[1,1,0]
	v_dot4_i32_iu8 v0, v4, v49, 0 neg_lo:[1,1,0]
	s_delay_alu instid0(VALU_DEP_1) | instskip(NEXT) | instid1(VALU_DEP_1)
	v_dot4_i32_iu8 v0, v45, v199, v0 neg_lo:[1,1,0]
	v_dot4_i32_iu8 v0, v72, v200, v0 neg_lo:[1,1,0]
	s_delay_alu instid0(VALU_DEP_1) | instskip(NEXT) | instid1(VALU_DEP_1)
	v_dot4_i32_iu8 v0, v7, v50, v0 neg_lo:[1,1,0]
	v_mul_lo_u32 v0, v0, v201
	s_delay_alu instid0(VALU_DEP_1) | instskip(NEXT) | instid1(VALU_DEP_1)
	v_mad_co_u64_u32 v[0:1], null, v1, v204, v[0:1]
	v_cvt_f32_i32_e32 v0, v0
	s_delay_alu instid0(VALU_DEP_1) | instskip(SKIP_1) | instid1(VALU_DEP_1)
	v_fma_f32 v12, v16, v0, 0
	v_mul_lo_u32 v0, v6, v206
	v_mad_co_u64_u32 v[0:1], null, v10, v205, v[0:1]
	v_dot4_i32_iu8 v1, v2, v35, 0 neg_lo:[1,1,0]
	s_delay_alu instid0(VALU_DEP_1) | instskip(NEXT) | instid1(VALU_DEP_3)
	v_dot4_i32_iu8 v1, v73, v195, v1 neg_lo:[1,1,0]
	v_cvt_f32_i32_e32 v0, v0
	s_delay_alu instid0(VALU_DEP_2) | instskip(NEXT) | instid1(VALU_DEP_2)
	v_dot4_i32_iu8 v1, v74, v194, v1 neg_lo:[1,1,0]
	v_fmac_f32_e32 v12, v17, v0
	v_dot4_i32_iu8 v0, v5, v51, 0 neg_lo:[1,1,0]
	s_delay_alu instid0(VALU_DEP_3) | instskip(NEXT) | instid1(VALU_DEP_3)
	v_dot4_i32_iu8 v1, v3, v36, v1 neg_lo:[1,1,0]
	v_fmac_f32_e32 v84, v189, v12
	s_delay_alu instid0(VALU_DEP_3) | instskip(NEXT) | instid1(VALU_DEP_1)
	v_dot4_i32_iu8 v0, v70, v53, v0 neg_lo:[1,1,0]
	v_dot4_i32_iu8 v0, v13, v210, v0 neg_lo:[1,1,0]
	s_delay_alu instid0(VALU_DEP_1) | instskip(SKIP_1) | instid1(VALU_DEP_1)
	v_dot4_i32_iu8 v5, v15, v56, v0 neg_lo:[1,1,0]
	v_dot4_i32_iu8 v0, v14, v55, 0 neg_lo:[1,1,0]
	;; [unrolled: 1-line block ×3, first 2 shown]
	s_delay_alu instid0(VALU_DEP_1) | instskip(NEXT) | instid1(VALU_DEP_1)
	v_dot4_i32_iu8 v0, v9, v216, v0 neg_lo:[1,1,0]
	v_dot4_i32_iu8 v6, v11, v58, v0 neg_lo:[1,1,0]
	;; [unrolled: 1-line block ×3, first 2 shown]
	s_delay_alu instid0(VALU_DEP_1) | instskip(NEXT) | instid1(VALU_DEP_1)
	v_dot4_i32_iu8 v0, v45, v198, v0 neg_lo:[1,1,0]
	v_dot4_i32_iu8 v0, v72, v197, v0 neg_lo:[1,1,0]
	s_delay_alu instid0(VALU_DEP_1) | instskip(NEXT) | instid1(VALU_DEP_1)
	v_dot4_i32_iu8 v0, v7, v46, v0 neg_lo:[1,1,0]
	v_mul_lo_u32 v0, v0, v196
	s_delay_alu instid0(VALU_DEP_1) | instskip(NEXT) | instid1(VALU_DEP_1)
	v_mad_co_u64_u32 v[0:1], null, v1, v193, v[0:1]
	v_cvt_f32_i32_e32 v0, v0
	s_delay_alu instid0(VALU_DEP_1) | instskip(SKIP_1) | instid1(VALU_DEP_1)
	v_fma_f32 v2, v16, v0, 0
	v_mul_lo_u32 v0, v5, v192
	v_mad_co_u64_u32 v[0:1], null, v6, v191, v[0:1]
	s_delay_alu instid0(VALU_DEP_1) | instskip(NEXT) | instid1(VALU_DEP_1)
	v_cvt_f32_i32_e32 v0, v0
	v_fmac_f32_e32 v2, v17, v0
	v_or_b32_e32 v0, s10, v164
	s_add_co_i32 s10, s7, 8
	s_cmp_lt_u32 s7, 24
	s_wait_alu 0xfffe
	s_mov_b32 s7, s10
	v_dual_fmac_f32 v83, v190, v2 :: v_dual_lshlrev_b32 v12, 2, v0
	v_lshrrev_b32_e32 v16, 1, v0
	ds_load_b128 v[0:3], v12 offset:33280
	ds_load_b128 v[4:7], v12 offset:33296
	;; [unrolled: 1-line block ×4, first 2 shown]
	ds_load_b64 v[44:45], v16 offset:43584
	s_wait_dscnt 0x2
	v_bfe_i32 v16, v10, 8, 8
	v_bfe_i32 v17, v8, 8, 8
	;; [unrolled: 1-line block ×3, first 2 shown]
	v_ashrrev_i32_e32 v19, 24, v10
	s_wait_dscnt 0x1
	v_perm_b32 v69, v14, v14, 0xc0c0c01
	v_mul_i32_i24_e32 v16, v16, v226
	v_perm_b32 v68, v12, v68, 0x6040503
	v_mul_i32_i24_e32 v18, v228, v18
	v_mul_i32_i24_e32 v19, v227, v19
	v_or_b32_e32 v69, v235, v69
	v_mad_i32_i24 v16, v229, v17, v16
	v_perm_b32 v17, v9, v8, 0x5030200
	s_delay_alu instid0(VALU_DEP_3) | instskip(SKIP_1) | instid1(VALU_DEP_3)
	v_dot4_i32_iu8 v69, v69, v68, 0 neg_lo:[1,1,0]
	v_perm_b32 v68, v13, v12, 0x6040503
	v_dot4_i32_iu8 v16, v238, v17, v16 neg_lo:[1,1,0]
	v_perm_b32 v17, v10, v9, 0x4030200
	v_perm_b32 v13, v14, v13, 0x7060403
	s_delay_alu instid0(VALU_DEP_4) | instskip(NEXT) | instid1(VALU_DEP_3)
	v_dot4_i32_iu8 v69, v68, v236, v69 neg_lo:[1,1,0]
	v_dot4_i32_iu8 v16, v239, v17, v16 neg_lo:[1,1,0]
	v_perm_b32 v17, v11, v11, 0x3020001
	s_delay_alu instid0(VALU_DEP_3) | instskip(NEXT) | instid1(VALU_DEP_3)
	v_dot4_i32_iu8 v69, v237, v13, v69 neg_lo:[1,1,0]
	v_add3_u32 v16, v16, v18, v19
	v_perm_b32 v19, v5, v4, 0x6040503
	s_delay_alu instid0(VALU_DEP_3) | instskip(NEXT) | instid1(VALU_DEP_3)
	v_dot4_i32_iu8 v69, v225, v15, v69 neg_lo:[1,1,0]
	v_dot4_i32_iu8 v18, v240, v17, v16 neg_lo:[1,1,0]
	v_perm_b32 v16, v4, v39, 0x6050401
	v_perm_b32 v17, v43, v6, 0x6050401
	;; [unrolled: 1-line block ×4, first 2 shown]
	s_delay_alu instid0(VALU_DEP_3) | instskip(SKIP_1) | instid1(VALU_DEP_2)
	v_dot4_i32_iu8 v16, v17, v16, 0 neg_lo:[1,1,0]
	v_perm_b32 v17, v41, v2, 0x6050401
	v_dot4_i32_iu8 v16, v230, v19, v16 neg_lo:[1,1,0]
	s_delay_alu instid0(VALU_DEP_1) | instskip(SKIP_2) | instid1(VALU_DEP_3)
	v_dot4_i32_iu8 v5, v231, v39, v16 neg_lo:[1,1,0]
	v_perm_b32 v16, v0, v37, 0x6050401
	v_perm_b32 v37, v1, v0, 0x6040503
	v_dot4_i32_iu8 v5, v7, v40, v5 neg_lo:[1,1,0]
	s_delay_alu instid0(VALU_DEP_3) | instskip(SKIP_1) | instid1(VALU_DEP_3)
	v_dot4_i32_iu8 v16, v17, v16, 0 neg_lo:[1,1,0]
	v_perm_b32 v40, v2, v1, 0x7060403
	v_mul_lo_u32 v5, v5, v212
	s_delay_alu instid0(VALU_DEP_3) | instskip(NEXT) | instid1(VALU_DEP_1)
	v_dot4_i32_iu8 v16, v232, v37, v16 neg_lo:[1,1,0]
	v_dot4_i32_iu8 v1, v233, v40, v16 neg_lo:[1,1,0]
	s_delay_alu instid0(VALU_DEP_1) | instskip(NEXT) | instid1(VALU_DEP_1)
	v_dot4_i32_iu8 v1, v3, v38, v1 neg_lo:[1,1,0]
	v_mad_co_u64_u32 v[16:17], null, v1, v220, v[5:6]
	v_perm_b32 v6, v0, v2, 0x6050401
	s_delay_alu instid0(VALU_DEP_1) | instskip(NEXT) | instid1(VALU_DEP_3)
	v_dot4_i32_iu8 v0, v6, v65, 0 neg_lo:[1,1,0]
	v_cvt_f32_i32_e32 v1, v16
	s_delay_alu instid0(VALU_DEP_2) | instskip(SKIP_1) | instid1(VALU_DEP_2)
	v_dot4_i32_iu8 v0, v37, v211, v0 neg_lo:[1,1,0]
	s_wait_dscnt 0x0
	v_fma_f32 v5, v44, v1, 0
	v_mul_lo_u32 v1, v69, v222
	s_delay_alu instid0(VALU_DEP_3) | instskip(NEXT) | instid1(VALU_DEP_2)
	v_dot4_i32_iu8 v0, v40, v213, v0 neg_lo:[1,1,0]
	v_mad_co_u64_u32 v[16:17], null, v18, v221, v[1:2]
	s_delay_alu instid0(VALU_DEP_2) | instskip(NEXT) | instid1(VALU_DEP_2)
	v_dot4_i32_iu8 v0, v3, v52, v0 neg_lo:[1,1,0]
	v_cvt_f32_i32_e32 v1, v16
	s_delay_alu instid0(VALU_DEP_1) | instskip(NEXT) | instid1(VALU_DEP_1)
	v_fmac_f32_e32 v5, v45, v1
	v_fmac_f32_e32 v82, v187, v5
	v_perm_b32 v5, v12, v14, 0x6040501
	v_perm_b32 v14, v8, v10, 0x6040501
	;; [unrolled: 1-line block ×4, first 2 shown]
	s_delay_alu instid0(VALU_DEP_4) | instskip(NEXT) | instid1(VALU_DEP_1)
	v_dot4_i32_iu8 v1, v5, v234, 0 neg_lo:[1,1,0]
	v_dot4_i32_iu8 v1, v68, v75, v1 neg_lo:[1,1,0]
	s_delay_alu instid0(VALU_DEP_1) | instskip(NEXT) | instid1(VALU_DEP_1)
	v_dot4_i32_iu8 v1, v13, v223, v1 neg_lo:[1,1,0]
	v_dot4_i32_iu8 v12, v15, v64, v1 neg_lo:[1,1,0]
	;; [unrolled: 1-line block ×3, first 2 shown]
	s_delay_alu instid0(VALU_DEP_1) | instskip(NEXT) | instid1(VALU_DEP_1)
	v_dot4_i32_iu8 v1, v8, v77, v1 neg_lo:[1,1,0]
	v_dot4_i32_iu8 v1, v9, v224, v1 neg_lo:[1,1,0]
	s_delay_alu instid0(VALU_DEP_1) | instskip(SKIP_1) | instid1(VALU_DEP_1)
	v_dot4_i32_iu8 v10, v11, v66, v1 neg_lo:[1,1,0]
	v_dot4_i32_iu8 v1, v4, v63, 0 neg_lo:[1,1,0]
	;; [unrolled: 1-line block ×3, first 2 shown]
	s_delay_alu instid0(VALU_DEP_1) | instskip(NEXT) | instid1(VALU_DEP_1)
	v_dot4_i32_iu8 v1, v39, v208, v1 neg_lo:[1,1,0]
	v_dot4_i32_iu8 v1, v7, v54, v1 neg_lo:[1,1,0]
	s_delay_alu instid0(VALU_DEP_1) | instskip(NEXT) | instid1(VALU_DEP_1)
	v_mul_lo_u32 v1, v1, v209
	v_mad_co_u64_u32 v[0:1], null, v0, v214, v[1:2]
	s_delay_alu instid0(VALU_DEP_1) | instskip(NEXT) | instid1(VALU_DEP_1)
	v_cvt_f32_i32_e32 v0, v0
	v_fma_f32 v2, v44, v0, 0
	v_mul_lo_u32 v0, v12, v217
	s_delay_alu instid0(VALU_DEP_1) | instskip(SKIP_1) | instid1(VALU_DEP_1)
	v_mad_co_u64_u32 v[0:1], null, v10, v215, v[0:1]
	v_dot4_i32_iu8 v1, v6, v47, 0 neg_lo:[1,1,0]
	v_dot4_i32_iu8 v1, v37, v202, v1 neg_lo:[1,1,0]
	s_delay_alu instid0(VALU_DEP_3) | instskip(NEXT) | instid1(VALU_DEP_2)
	v_cvt_f32_i32_e32 v0, v0
	v_dot4_i32_iu8 v1, v40, v203, v1 neg_lo:[1,1,0]
	s_delay_alu instid0(VALU_DEP_2) | instskip(SKIP_1) | instid1(VALU_DEP_3)
	v_fmac_f32_e32 v2, v45, v0
	v_dot4_i32_iu8 v0, v5, v59, 0 neg_lo:[1,1,0]
	v_dot4_i32_iu8 v1, v3, v48, v1 neg_lo:[1,1,0]
	s_delay_alu instid0(VALU_DEP_3) | instskip(NEXT) | instid1(VALU_DEP_3)
	v_fmac_f32_e32 v81, v188, v2
	v_dot4_i32_iu8 v0, v68, v67, v0 neg_lo:[1,1,0]
	s_delay_alu instid0(VALU_DEP_1) | instskip(NEXT) | instid1(VALU_DEP_1)
	v_dot4_i32_iu8 v0, v13, v218, v0 neg_lo:[1,1,0]
	v_dot4_i32_iu8 v2, v15, v60, v0 neg_lo:[1,1,0]
	;; [unrolled: 1-line block ×3, first 2 shown]
	s_delay_alu instid0(VALU_DEP_1) | instskip(NEXT) | instid1(VALU_DEP_1)
	v_dot4_i32_iu8 v0, v8, v71, v0 neg_lo:[1,1,0]
	v_dot4_i32_iu8 v0, v9, v219, v0 neg_lo:[1,1,0]
	s_delay_alu instid0(VALU_DEP_1) | instskip(SKIP_1) | instid1(VALU_DEP_1)
	v_dot4_i32_iu8 v10, v11, v62, v0 neg_lo:[1,1,0]
	v_dot4_i32_iu8 v0, v4, v49, 0 neg_lo:[1,1,0]
	;; [unrolled: 1-line block ×3, first 2 shown]
	s_delay_alu instid0(VALU_DEP_1) | instskip(NEXT) | instid1(VALU_DEP_1)
	v_dot4_i32_iu8 v0, v39, v200, v0 neg_lo:[1,1,0]
	v_dot4_i32_iu8 v0, v7, v50, v0 neg_lo:[1,1,0]
	s_delay_alu instid0(VALU_DEP_1) | instskip(NEXT) | instid1(VALU_DEP_1)
	v_mul_lo_u32 v0, v0, v201
	v_mad_co_u64_u32 v[0:1], null, v1, v204, v[0:1]
	s_delay_alu instid0(VALU_DEP_1) | instskip(NEXT) | instid1(VALU_DEP_1)
	v_cvt_f32_i32_e32 v0, v0
	v_fma_f32 v12, v44, v0, 0
	v_mul_lo_u32 v0, v2, v206
	s_delay_alu instid0(VALU_DEP_1) | instskip(NEXT) | instid1(VALU_DEP_1)
	v_mad_co_u64_u32 v[0:1], null, v10, v205, v[0:1]
	v_cvt_f32_i32_e32 v0, v0
	s_delay_alu instid0(VALU_DEP_1) | instskip(SKIP_1) | instid1(VALU_DEP_2)
	v_fmac_f32_e32 v12, v45, v0
	v_dot4_i32_iu8 v0, v5, v51, 0 neg_lo:[1,1,0]
	v_fmac_f32_e32 v80, v189, v12
	s_delay_alu instid0(VALU_DEP_2) | instskip(NEXT) | instid1(VALU_DEP_1)
	v_dot4_i32_iu8 v0, v68, v53, v0 neg_lo:[1,1,0]
	v_dot4_i32_iu8 v0, v13, v210, v0 neg_lo:[1,1,0]
	s_delay_alu instid0(VALU_DEP_1) | instskip(SKIP_1) | instid1(VALU_DEP_2)
	v_dot4_i32_iu8 v2, v15, v56, v0 neg_lo:[1,1,0]
	v_dot4_i32_iu8 v0, v14, v55, 0 neg_lo:[1,1,0]
	v_mul_lo_u32 v2, v2, v192
	s_delay_alu instid0(VALU_DEP_2) | instskip(NEXT) | instid1(VALU_DEP_1)
	v_dot4_i32_iu8 v0, v8, v57, v0 neg_lo:[1,1,0]
	v_dot4_i32_iu8 v0, v9, v216, v0 neg_lo:[1,1,0]
	s_delay_alu instid0(VALU_DEP_1) | instskip(SKIP_2) | instid1(VALU_DEP_2)
	v_dot4_i32_iu8 v1, v11, v58, v0 neg_lo:[1,1,0]
	v_dot4_i32_iu8 v0, v4, v42, 0 neg_lo:[1,1,0]
	v_dot4_i32_iu8 v4, v6, v35, 0 neg_lo:[1,1,0]
	v_dot4_i32_iu8 v0, v19, v198, v0 neg_lo:[1,1,0]
	s_delay_alu instid0(VALU_DEP_2) | instskip(NEXT) | instid1(VALU_DEP_2)
	v_dot4_i32_iu8 v4, v37, v195, v4 neg_lo:[1,1,0]
	v_dot4_i32_iu8 v0, v39, v197, v0 neg_lo:[1,1,0]
	s_delay_alu instid0(VALU_DEP_2) | instskip(NEXT) | instid1(VALU_DEP_2)
	v_dot4_i32_iu8 v4, v40, v194, v4 neg_lo:[1,1,0]
	v_dot4_i32_iu8 v0, v7, v46, v0 neg_lo:[1,1,0]
	s_delay_alu instid0(VALU_DEP_2) | instskip(NEXT) | instid1(VALU_DEP_2)
	v_dot4_i32_iu8 v3, v3, v36, v4 neg_lo:[1,1,0]
	v_mul_lo_u32 v0, v0, v196
	s_delay_alu instid0(VALU_DEP_1) | instskip(NEXT) | instid1(VALU_DEP_1)
	v_mad_co_u64_u32 v[3:4], null, v3, v193, v[0:1]
	v_mad_co_u64_u32 v[1:2], null, v1, v191, v[2:3]
	v_cvt_f32_i32_e32 v0, v3
	s_delay_alu instid0(VALU_DEP_1) | instskip(NEXT) | instid1(VALU_DEP_3)
	v_fma_f32 v0, v44, v0, 0
	v_cvt_f32_i32_e32 v1, v1
	s_delay_alu instid0(VALU_DEP_1) | instskip(NEXT) | instid1(VALU_DEP_1)
	v_fmac_f32_e32 v0, v45, v1
	v_fmac_f32_e32 v79, v190, v0
	s_cbranch_scc1 .LBB136_8
; %bb.9:                                ;   in Loop: Header=BB136_5 Depth=1
	s_add_co_i32 s4, s4, 1
	s_wait_loadcnt 0x0
	s_wait_alu 0xfffe
	s_cmp_eq_u32 s4, s15
	s_barrier_signal -1
	s_barrier_wait -1
	global_inv scope:SCOPE_SE
	s_cbranch_scc0 .LBB136_5
; %bb.10:
	s_clause 0x1
	scratch_load_b32 v2, off, off offset:12 th:TH_LOAD_LU
	scratch_load_b32 v3, off, off offset:16
	v_mov_b32_e32 v1, v101
.LBB136_11:
	s_mov_b32 s0, exec_lo
	s_wait_loadcnt 0x0
	v_cmpx_gt_u32_e64 s6, v3
	s_cbranch_execz .LBB136_62
; %bb.12:
	v_add_nc_u32_e32 v0, s14, v2
	v_mul_lo_u32 v5, v3, s12
	s_delay_alu instid0(VALU_DEP_2)
	v_cmp_gt_u32_e32 vcc_lo, s12, v0
	s_and_saveexec_b32 s1, vcc_lo
	s_cbranch_execz .LBB136_14
; %bb.13:
	s_delay_alu instid0(VALU_DEP_2) | instskip(NEXT) | instid1(VALU_DEP_1)
	v_dual_mov_b32 v3, 0 :: v_dual_add_nc_u32 v2, v0, v5
	v_lshlrev_b64_e32 v[2:3], 2, v[2:3]
	s_wait_kmcnt 0x0
	s_delay_alu instid0(VALU_DEP_1) | instskip(NEXT) | instid1(VALU_DEP_1)
	v_add_co_u32 v2, s0, s8, v2
	v_add_co_ci_u32_e64 v3, null, s9, v3, s0
	global_store_b32 v[2:3], v94, off
.LBB136_14:
	s_or_b32 exec_lo, exec_lo, s1
	v_add_nc_u32_e32 v2, 32, v0
	s_delay_alu instid0(VALU_DEP_1)
	v_cmp_gt_u32_e64 s0, s12, v2
	s_and_saveexec_b32 s2, s0
	s_cbranch_execz .LBB136_16
; %bb.15:
	v_dual_mov_b32 v4, 0 :: v_dual_add_nc_u32 v3, v2, v5
	s_delay_alu instid0(VALU_DEP_1) | instskip(SKIP_1) | instid1(VALU_DEP_1)
	v_lshlrev_b64_e32 v[3:4], 2, v[3:4]
	s_wait_kmcnt 0x0
	v_add_co_u32 v3, s1, s8, v3
	s_wait_alu 0xf1ff
	s_delay_alu instid0(VALU_DEP_2)
	v_add_co_ci_u32_e64 v4, null, s9, v4, s1
	global_store_b32 v[3:4], v132, off
.LBB136_16:
	s_wait_alu 0xfffe
	s_or_b32 exec_lo, exec_lo, s2
	v_add_nc_u32_e32 v3, 64, v0
	s_delay_alu instid0(VALU_DEP_1)
	v_cmp_gt_u32_e64 s1, s12, v3
	s_and_saveexec_b32 s3, s1
	s_cbranch_execz .LBB136_18
; %bb.17:
	v_dual_mov_b32 v7, 0 :: v_dual_add_nc_u32 v6, v3, v5
	s_delay_alu instid0(VALU_DEP_1) | instskip(SKIP_1) | instid1(VALU_DEP_1)
	v_lshlrev_b64_e32 v[6:7], 2, v[6:7]
	s_wait_kmcnt 0x0
	v_add_co_u32 v6, s2, s8, v6
	s_wait_alu 0xf1ff
	s_delay_alu instid0(VALU_DEP_2)
	v_add_co_ci_u32_e64 v7, null, s9, v7, s2
	global_store_b32 v[6:7], v130, off
.LBB136_18:
	s_wait_alu 0xfffe
	;; [unrolled: 18-line block ×3, first 2 shown]
	s_or_b32 exec_lo, exec_lo, s4
	v_add3_u32 v5, v1, s13, 8
	s_delay_alu instid0(VALU_DEP_1)
	v_cmp_gt_u32_e64 s3, s6, v5
	s_and_b32 exec_lo, exec_lo, s3
	s_cbranch_execz .LBB136_62
; %bb.21:
	v_mul_lo_u32 v5, v5, s12
	s_and_saveexec_b32 s4, vcc_lo
	s_cbranch_execnz .LBB136_63
; %bb.22:
	s_wait_alu 0xfffe
	s_or_b32 exec_lo, exec_lo, s4
	s_and_saveexec_b32 s4, s0
	s_cbranch_execnz .LBB136_64
.LBB136_23:
	s_wait_alu 0xfffe
	s_or_b32 exec_lo, exec_lo, s4
	s_and_saveexec_b32 s4, s1
	s_cbranch_execnz .LBB136_65
.LBB136_24:
	s_wait_alu 0xfffe
	s_or_b32 exec_lo, exec_lo, s4
	s_and_saveexec_b32 s4, s2
	s_cbranch_execz .LBB136_26
.LBB136_25:
	v_dual_mov_b32 v6, 0 :: v_dual_add_nc_u32 v5, v5, v4
	s_delay_alu instid0(VALU_DEP_1) | instskip(SKIP_1) | instid1(VALU_DEP_1)
	v_lshlrev_b64_e32 v[5:6], 2, v[5:6]
	s_wait_kmcnt 0x0
	v_add_co_u32 v5, s3, s8, v5
	s_wait_alu 0xf1ff
	s_delay_alu instid0(VALU_DEP_2)
	v_add_co_ci_u32_e64 v6, null, s9, v6, s3
	global_store_b32 v[5:6], v118, off
.LBB136_26:
	s_wait_alu 0xfffe
	s_or_b32 exec_lo, exec_lo, s4
	v_add3_u32 v5, v1, s13, 16
	s_delay_alu instid0(VALU_DEP_1)
	v_cmp_gt_u32_e64 s3, s6, v5
	s_and_b32 exec_lo, exec_lo, s3
	s_cbranch_execz .LBB136_62
; %bb.27:
	v_mul_lo_u32 v5, v5, s12
	s_and_saveexec_b32 s4, vcc_lo
	s_cbranch_execnz .LBB136_66
; %bb.28:
	s_wait_alu 0xfffe
	s_or_b32 exec_lo, exec_lo, s4
	s_and_saveexec_b32 s4, s0
	s_cbranch_execnz .LBB136_67
.LBB136_29:
	s_wait_alu 0xfffe
	s_or_b32 exec_lo, exec_lo, s4
	s_and_saveexec_b32 s4, s1
	s_cbranch_execnz .LBB136_68
.LBB136_30:
	s_wait_alu 0xfffe
	s_or_b32 exec_lo, exec_lo, s4
	s_and_saveexec_b32 s4, s2
	s_cbranch_execz .LBB136_32
.LBB136_31:
	v_dual_mov_b32 v6, 0 :: v_dual_add_nc_u32 v5, v5, v4
	s_delay_alu instid0(VALU_DEP_1) | instskip(SKIP_1) | instid1(VALU_DEP_1)
	v_lshlrev_b64_e32 v[5:6], 2, v[5:6]
	s_wait_kmcnt 0x0
	v_add_co_u32 v5, s3, s8, v5
	s_wait_alu 0xf1ff
	s_delay_alu instid0(VALU_DEP_2)
	v_add_co_ci_u32_e64 v6, null, s9, v6, s3
	global_store_b32 v[5:6], v111, off
.LBB136_32:
	s_wait_alu 0xfffe
	s_or_b32 exec_lo, exec_lo, s4
	v_add3_u32 v5, v1, s13, 24
	s_delay_alu instid0(VALU_DEP_1)
	v_cmp_gt_u32_e64 s3, s6, v5
	s_and_b32 exec_lo, exec_lo, s3
	s_cbranch_execz .LBB136_62
; %bb.33:
	v_mul_lo_u32 v5, v5, s12
	s_and_saveexec_b32 s4, vcc_lo
	s_cbranch_execnz .LBB136_69
; %bb.34:
	s_wait_alu 0xfffe
	s_or_b32 exec_lo, exec_lo, s4
	s_and_saveexec_b32 s4, s0
	s_cbranch_execnz .LBB136_70
.LBB136_35:
	s_wait_alu 0xfffe
	s_or_b32 exec_lo, exec_lo, s4
	s_and_saveexec_b32 s4, s1
	s_cbranch_execnz .LBB136_71
.LBB136_36:
	s_wait_alu 0xfffe
	s_or_b32 exec_lo, exec_lo, s4
	s_and_saveexec_b32 s4, s2
	s_cbranch_execz .LBB136_38
.LBB136_37:
	v_dual_mov_b32 v6, 0 :: v_dual_add_nc_u32 v5, v5, v4
	s_delay_alu instid0(VALU_DEP_1) | instskip(SKIP_1) | instid1(VALU_DEP_1)
	v_lshlrev_b64_e32 v[5:6], 2, v[5:6]
	s_wait_kmcnt 0x0
	v_add_co_u32 v5, s3, s8, v5
	s_wait_alu 0xf1ff
	s_delay_alu instid0(VALU_DEP_2)
	v_add_co_ci_u32_e64 v6, null, s9, v6, s3
	global_store_b32 v[5:6], v98, off
.LBB136_38:
	s_wait_alu 0xfffe
	s_or_b32 exec_lo, exec_lo, s4
	v_add3_u32 v5, v1, s13, 32
	s_delay_alu instid0(VALU_DEP_1)
	v_cmp_gt_u32_e64 s3, s6, v5
	s_and_b32 exec_lo, exec_lo, s3
	s_cbranch_execz .LBB136_62
; %bb.39:
	v_mul_lo_u32 v5, v5, s12
	s_and_saveexec_b32 s4, vcc_lo
	s_cbranch_execnz .LBB136_72
; %bb.40:
	s_wait_alu 0xfffe
	s_or_b32 exec_lo, exec_lo, s4
	s_and_saveexec_b32 s4, s0
	s_cbranch_execnz .LBB136_73
.LBB136_41:
	s_wait_alu 0xfffe
	s_or_b32 exec_lo, exec_lo, s4
	s_and_saveexec_b32 s4, s1
	s_cbranch_execnz .LBB136_74
.LBB136_42:
	s_wait_alu 0xfffe
	s_or_b32 exec_lo, exec_lo, s4
	s_and_saveexec_b32 s4, s2
	s_cbranch_execz .LBB136_44
.LBB136_43:
	v_dual_mov_b32 v6, 0 :: v_dual_add_nc_u32 v5, v5, v4
	s_delay_alu instid0(VALU_DEP_1) | instskip(SKIP_1) | instid1(VALU_DEP_1)
	v_lshlrev_b64_e32 v[5:6], 2, v[5:6]
	s_wait_kmcnt 0x0
	v_add_co_u32 v5, s3, s8, v5
	s_wait_alu 0xf1ff
	s_delay_alu instid0(VALU_DEP_2)
	v_add_co_ci_u32_e64 v6, null, s9, v6, s3
	global_store_b32 v[5:6], v93, off
.LBB136_44:
	s_wait_alu 0xfffe
	s_or_b32 exec_lo, exec_lo, s4
	v_add3_u32 v5, v1, s13, 40
	s_delay_alu instid0(VALU_DEP_1)
	v_cmp_gt_u32_e64 s3, s6, v5
	s_and_b32 exec_lo, exec_lo, s3
	s_cbranch_execz .LBB136_62
; %bb.45:
	v_mul_lo_u32 v5, v5, s12
	s_and_saveexec_b32 s4, vcc_lo
	s_cbranch_execnz .LBB136_75
; %bb.46:
	s_wait_alu 0xfffe
	s_or_b32 exec_lo, exec_lo, s4
	s_and_saveexec_b32 s4, s0
	s_cbranch_execnz .LBB136_76
.LBB136_47:
	s_wait_alu 0xfffe
	s_or_b32 exec_lo, exec_lo, s4
	s_and_saveexec_b32 s4, s1
	s_cbranch_execnz .LBB136_77
.LBB136_48:
	s_wait_alu 0xfffe
	s_or_b32 exec_lo, exec_lo, s4
	s_and_saveexec_b32 s4, s2
	s_cbranch_execz .LBB136_50
.LBB136_49:
	v_dual_mov_b32 v6, 0 :: v_dual_add_nc_u32 v5, v5, v4
	s_delay_alu instid0(VALU_DEP_1) | instskip(SKIP_1) | instid1(VALU_DEP_1)
	v_lshlrev_b64_e32 v[5:6], 2, v[5:6]
	s_wait_kmcnt 0x0
	v_add_co_u32 v5, s3, s8, v5
	s_wait_alu 0xf1ff
	s_delay_alu instid0(VALU_DEP_2)
	v_add_co_ci_u32_e64 v6, null, s9, v6, s3
	global_store_b32 v[5:6], v87, off
.LBB136_50:
	s_wait_alu 0xfffe
	s_or_b32 exec_lo, exec_lo, s4
	v_add3_u32 v5, v1, s13, 48
	s_delay_alu instid0(VALU_DEP_1)
	v_cmp_gt_u32_e64 s3, s6, v5
	s_and_b32 exec_lo, exec_lo, s3
	s_cbranch_execz .LBB136_62
; %bb.51:
	v_mul_lo_u32 v5, v5, s12
	s_and_saveexec_b32 s4, vcc_lo
	s_cbranch_execnz .LBB136_78
; %bb.52:
	s_wait_alu 0xfffe
	s_or_b32 exec_lo, exec_lo, s4
	s_and_saveexec_b32 s4, s0
	s_cbranch_execnz .LBB136_79
.LBB136_53:
	s_wait_alu 0xfffe
	s_or_b32 exec_lo, exec_lo, s4
	s_and_saveexec_b32 s4, s1
	s_cbranch_execnz .LBB136_80
.LBB136_54:
	s_wait_alu 0xfffe
	s_or_b32 exec_lo, exec_lo, s4
	s_and_saveexec_b32 s4, s2
	s_cbranch_execz .LBB136_56
.LBB136_55:
	v_dual_mov_b32 v6, 0 :: v_dual_add_nc_u32 v5, v5, v4
	s_delay_alu instid0(VALU_DEP_1) | instskip(SKIP_1) | instid1(VALU_DEP_1)
	v_lshlrev_b64_e32 v[5:6], 2, v[5:6]
	s_wait_kmcnt 0x0
	v_add_co_u32 v5, s3, s8, v5
	s_wait_alu 0xf1ff
	s_delay_alu instid0(VALU_DEP_2)
	v_add_co_ci_u32_e64 v6, null, s9, v6, s3
	global_store_b32 v[5:6], v83, off
.LBB136_56:
	s_wait_alu 0xfffe
	s_or_b32 exec_lo, exec_lo, s4
	v_add3_u32 v1, v1, s13, 56
	s_delay_alu instid0(VALU_DEP_1)
	v_cmp_gt_u32_e64 s3, s6, v1
	s_and_b32 exec_lo, exec_lo, s3
	s_cbranch_execz .LBB136_62
; %bb.57:
	v_mul_lo_u32 v1, v1, s12
	s_and_saveexec_b32 s3, vcc_lo
	s_cbranch_execnz .LBB136_81
; %bb.58:
	s_wait_alu 0xfffe
	s_or_b32 exec_lo, exec_lo, s3
	s_and_saveexec_b32 s3, s0
	s_cbranch_execnz .LBB136_82
.LBB136_59:
	s_wait_alu 0xfffe
	s_or_b32 exec_lo, exec_lo, s3
	s_and_saveexec_b32 s0, s1
	s_cbranch_execnz .LBB136_83
.LBB136_60:
	s_wait_alu 0xfffe
	s_or_b32 exec_lo, exec_lo, s0
	s_delay_alu instid0(SALU_CYCLE_1)
	s_and_b32 exec_lo, exec_lo, s2
	s_cbranch_execz .LBB136_62
.LBB136_61:
	v_dual_mov_b32 v1, 0 :: v_dual_add_nc_u32 v0, v1, v4
	s_delay_alu instid0(VALU_DEP_1) | instskip(SKIP_1) | instid1(VALU_DEP_1)
	v_lshlrev_b64_e32 v[0:1], 2, v[0:1]
	s_wait_kmcnt 0x0
	v_add_co_u32 v0, vcc_lo, s8, v0
	s_wait_alu 0xfffd
	s_delay_alu instid0(VALU_DEP_2)
	v_add_co_ci_u32_e64 v1, null, s9, v1, vcc_lo
	global_store_b32 v[0:1], v79, off
.LBB136_62:
	s_nop 0
	s_sendmsg sendmsg(MSG_DEALLOC_VGPRS)
	s_endpgm
.LBB136_63:
	s_delay_alu instid0(VALU_DEP_1) | instskip(NEXT) | instid1(VALU_DEP_1)
	v_dual_mov_b32 v7, 0 :: v_dual_add_nc_u32 v6, v5, v0
	v_lshlrev_b64_e32 v[6:7], 2, v[6:7]
	s_wait_kmcnt 0x0
	s_delay_alu instid0(VALU_DEP_1) | instskip(SKIP_1) | instid1(VALU_DEP_2)
	v_add_co_u32 v6, s3, s8, v6
	s_wait_alu 0xf1ff
	v_add_co_ci_u32_e64 v7, null, s9, v7, s3
	global_store_b32 v[6:7], v122, off
	s_wait_alu 0xfffe
	s_or_b32 exec_lo, exec_lo, s4
	s_and_saveexec_b32 s4, s0
	s_cbranch_execz .LBB136_23
.LBB136_64:
	s_delay_alu instid0(VALU_DEP_1) | instskip(NEXT) | instid1(VALU_DEP_1)
	v_dual_mov_b32 v7, 0 :: v_dual_add_nc_u32 v6, v5, v2
	v_lshlrev_b64_e32 v[6:7], 2, v[6:7]
	s_wait_kmcnt 0x0
	s_delay_alu instid0(VALU_DEP_1) | instskip(SKIP_1) | instid1(VALU_DEP_2)
	v_add_co_u32 v6, s3, s8, v6
	s_wait_alu 0xf1ff
	v_add_co_ci_u32_e64 v7, null, s9, v7, s3
	global_store_b32 v[6:7], v121, off
	s_wait_alu 0xfffe
	s_or_b32 exec_lo, exec_lo, s4
	s_and_saveexec_b32 s4, s1
	s_cbranch_execz .LBB136_24
.LBB136_65:
	v_dual_mov_b32 v7, 0 :: v_dual_add_nc_u32 v6, v5, v3
	s_delay_alu instid0(VALU_DEP_1) | instskip(SKIP_1) | instid1(VALU_DEP_1)
	v_lshlrev_b64_e32 v[6:7], 2, v[6:7]
	s_wait_kmcnt 0x0
	v_add_co_u32 v6, s3, s8, v6
	s_wait_alu 0xf1ff
	s_delay_alu instid0(VALU_DEP_2)
	v_add_co_ci_u32_e64 v7, null, s9, v7, s3
	global_store_b32 v[6:7], v120, off
	s_wait_alu 0xfffe
	s_or_b32 exec_lo, exec_lo, s4
	s_and_saveexec_b32 s4, s2
	s_cbranch_execnz .LBB136_25
	s_branch .LBB136_26
.LBB136_66:
	s_delay_alu instid0(VALU_DEP_1) | instskip(NEXT) | instid1(VALU_DEP_1)
	v_dual_mov_b32 v7, 0 :: v_dual_add_nc_u32 v6, v5, v0
	v_lshlrev_b64_e32 v[6:7], 2, v[6:7]
	s_wait_kmcnt 0x0
	s_delay_alu instid0(VALU_DEP_1) | instskip(SKIP_1) | instid1(VALU_DEP_2)
	v_add_co_u32 v6, s3, s8, v6
	s_wait_alu 0xf1ff
	v_add_co_ci_u32_e64 v7, null, s9, v7, s3
	global_store_b32 v[6:7], v117, off
	s_wait_alu 0xfffe
	s_or_b32 exec_lo, exec_lo, s4
	s_and_saveexec_b32 s4, s0
	s_cbranch_execz .LBB136_29
.LBB136_67:
	s_delay_alu instid0(VALU_DEP_1) | instskip(NEXT) | instid1(VALU_DEP_1)
	v_dual_mov_b32 v7, 0 :: v_dual_add_nc_u32 v6, v5, v2
	v_lshlrev_b64_e32 v[6:7], 2, v[6:7]
	s_wait_kmcnt 0x0
	s_delay_alu instid0(VALU_DEP_1) | instskip(SKIP_1) | instid1(VALU_DEP_2)
	v_add_co_u32 v6, s3, s8, v6
	s_wait_alu 0xf1ff
	v_add_co_ci_u32_e64 v7, null, s9, v7, s3
	global_store_b32 v[6:7], v116, off
	s_wait_alu 0xfffe
	s_or_b32 exec_lo, exec_lo, s4
	s_and_saveexec_b32 s4, s1
	s_cbranch_execz .LBB136_30
.LBB136_68:
	v_dual_mov_b32 v7, 0 :: v_dual_add_nc_u32 v6, v5, v3
	s_delay_alu instid0(VALU_DEP_1) | instskip(SKIP_1) | instid1(VALU_DEP_1)
	v_lshlrev_b64_e32 v[6:7], 2, v[6:7]
	s_wait_kmcnt 0x0
	v_add_co_u32 v6, s3, s8, v6
	s_wait_alu 0xf1ff
	s_delay_alu instid0(VALU_DEP_2)
	v_add_co_ci_u32_e64 v7, null, s9, v7, s3
	global_store_b32 v[6:7], v115, off
	s_wait_alu 0xfffe
	s_or_b32 exec_lo, exec_lo, s4
	s_and_saveexec_b32 s4, s2
	s_cbranch_execnz .LBB136_31
	s_branch .LBB136_32
.LBB136_69:
	s_delay_alu instid0(VALU_DEP_1) | instskip(NEXT) | instid1(VALU_DEP_1)
	v_dual_mov_b32 v7, 0 :: v_dual_add_nc_u32 v6, v5, v0
	v_lshlrev_b64_e32 v[6:7], 2, v[6:7]
	s_wait_kmcnt 0x0
	s_delay_alu instid0(VALU_DEP_1) | instskip(SKIP_1) | instid1(VALU_DEP_2)
	v_add_co_u32 v6, s3, s8, v6
	s_wait_alu 0xf1ff
	v_add_co_ci_u32_e64 v7, null, s9, v7, s3
	global_store_b32 v[6:7], v107, off
	s_wait_alu 0xfffe
	s_or_b32 exec_lo, exec_lo, s4
	s_and_saveexec_b32 s4, s0
	s_cbranch_execz .LBB136_35
.LBB136_70:
	s_delay_alu instid0(VALU_DEP_1) | instskip(NEXT) | instid1(VALU_DEP_1)
	v_dual_mov_b32 v7, 0 :: v_dual_add_nc_u32 v6, v5, v2
	v_lshlrev_b64_e32 v[6:7], 2, v[6:7]
	s_wait_kmcnt 0x0
	s_delay_alu instid0(VALU_DEP_1) | instskip(SKIP_1) | instid1(VALU_DEP_2)
	v_add_co_u32 v6, s3, s8, v6
	s_wait_alu 0xf1ff
	v_add_co_ci_u32_e64 v7, null, s9, v7, s3
	global_store_b32 v[6:7], v102, off
	s_wait_alu 0xfffe
	s_or_b32 exec_lo, exec_lo, s4
	s_and_saveexec_b32 s4, s1
	s_cbranch_execz .LBB136_36
.LBB136_71:
	v_dual_mov_b32 v7, 0 :: v_dual_add_nc_u32 v6, v5, v3
	s_delay_alu instid0(VALU_DEP_1) | instskip(SKIP_1) | instid1(VALU_DEP_1)
	v_lshlrev_b64_e32 v[6:7], 2, v[6:7]
	s_wait_kmcnt 0x0
	v_add_co_u32 v6, s3, s8, v6
	s_wait_alu 0xf1ff
	s_delay_alu instid0(VALU_DEP_2)
	v_add_co_ci_u32_e64 v7, null, s9, v7, s3
	global_store_b32 v[6:7], v99, off
	s_wait_alu 0xfffe
	s_or_b32 exec_lo, exec_lo, s4
	s_and_saveexec_b32 s4, s2
	s_cbranch_execnz .LBB136_37
	s_branch .LBB136_38
.LBB136_72:
	s_delay_alu instid0(VALU_DEP_1) | instskip(NEXT) | instid1(VALU_DEP_1)
	v_dual_mov_b32 v7, 0 :: v_dual_add_nc_u32 v6, v5, v0
	v_lshlrev_b64_e32 v[6:7], 2, v[6:7]
	s_wait_kmcnt 0x0
	s_delay_alu instid0(VALU_DEP_1) | instskip(SKIP_1) | instid1(VALU_DEP_2)
	v_add_co_u32 v6, s3, s8, v6
	s_wait_alu 0xf1ff
	v_add_co_ci_u32_e64 v7, null, s9, v7, s3
	global_store_b32 v[6:7], v97, off
	s_wait_alu 0xfffe
	s_or_b32 exec_lo, exec_lo, s4
	s_and_saveexec_b32 s4, s0
	s_cbranch_execz .LBB136_41
.LBB136_73:
	s_delay_alu instid0(VALU_DEP_1) | instskip(NEXT) | instid1(VALU_DEP_1)
	v_dual_mov_b32 v7, 0 :: v_dual_add_nc_u32 v6, v5, v2
	v_lshlrev_b64_e32 v[6:7], 2, v[6:7]
	s_wait_kmcnt 0x0
	s_delay_alu instid0(VALU_DEP_1) | instskip(SKIP_1) | instid1(VALU_DEP_2)
	v_add_co_u32 v6, s3, s8, v6
	s_wait_alu 0xf1ff
	v_add_co_ci_u32_e64 v7, null, s9, v7, s3
	global_store_b32 v[6:7], v96, off
	s_wait_alu 0xfffe
	s_or_b32 exec_lo, exec_lo, s4
	s_and_saveexec_b32 s4, s1
	s_cbranch_execz .LBB136_42
.LBB136_74:
	v_dual_mov_b32 v7, 0 :: v_dual_add_nc_u32 v6, v5, v3
	s_delay_alu instid0(VALU_DEP_1) | instskip(SKIP_1) | instid1(VALU_DEP_1)
	v_lshlrev_b64_e32 v[6:7], 2, v[6:7]
	s_wait_kmcnt 0x0
	v_add_co_u32 v6, s3, s8, v6
	s_wait_alu 0xf1ff
	s_delay_alu instid0(VALU_DEP_2)
	v_add_co_ci_u32_e64 v7, null, s9, v7, s3
	global_store_b32 v[6:7], v95, off
	s_wait_alu 0xfffe
	s_or_b32 exec_lo, exec_lo, s4
	s_and_saveexec_b32 s4, s2
	s_cbranch_execnz .LBB136_43
	s_branch .LBB136_44
.LBB136_75:
	s_delay_alu instid0(VALU_DEP_1) | instskip(NEXT) | instid1(VALU_DEP_1)
	v_dual_mov_b32 v7, 0 :: v_dual_add_nc_u32 v6, v5, v0
	v_lshlrev_b64_e32 v[6:7], 2, v[6:7]
	s_wait_kmcnt 0x0
	s_delay_alu instid0(VALU_DEP_1) | instskip(SKIP_1) | instid1(VALU_DEP_2)
	v_add_co_u32 v6, s3, s8, v6
	s_wait_alu 0xf1ff
	v_add_co_ci_u32_e64 v7, null, s9, v7, s3
	global_store_b32 v[6:7], v92, off
	s_wait_alu 0xfffe
	s_or_b32 exec_lo, exec_lo, s4
	s_and_saveexec_b32 s4, s0
	s_cbranch_execz .LBB136_47
.LBB136_76:
	s_delay_alu instid0(VALU_DEP_1) | instskip(NEXT) | instid1(VALU_DEP_1)
	v_dual_mov_b32 v7, 0 :: v_dual_add_nc_u32 v6, v5, v2
	v_lshlrev_b64_e32 v[6:7], 2, v[6:7]
	s_wait_kmcnt 0x0
	s_delay_alu instid0(VALU_DEP_1) | instskip(SKIP_1) | instid1(VALU_DEP_2)
	v_add_co_u32 v6, s3, s8, v6
	s_wait_alu 0xf1ff
	v_add_co_ci_u32_e64 v7, null, s9, v7, s3
	global_store_b32 v[6:7], v91, off
	s_wait_alu 0xfffe
	s_or_b32 exec_lo, exec_lo, s4
	s_and_saveexec_b32 s4, s1
	s_cbranch_execz .LBB136_48
.LBB136_77:
	v_dual_mov_b32 v7, 0 :: v_dual_add_nc_u32 v6, v5, v3
	s_delay_alu instid0(VALU_DEP_1) | instskip(SKIP_1) | instid1(VALU_DEP_1)
	v_lshlrev_b64_e32 v[6:7], 2, v[6:7]
	s_wait_kmcnt 0x0
	v_add_co_u32 v6, s3, s8, v6
	s_wait_alu 0xf1ff
	s_delay_alu instid0(VALU_DEP_2)
	v_add_co_ci_u32_e64 v7, null, s9, v7, s3
	global_store_b32 v[6:7], v88, off
	s_wait_alu 0xfffe
	s_or_b32 exec_lo, exec_lo, s4
	s_and_saveexec_b32 s4, s2
	s_cbranch_execnz .LBB136_49
	s_branch .LBB136_50
.LBB136_78:
	s_delay_alu instid0(VALU_DEP_1) | instskip(NEXT) | instid1(VALU_DEP_1)
	v_dual_mov_b32 v7, 0 :: v_dual_add_nc_u32 v6, v5, v0
	v_lshlrev_b64_e32 v[6:7], 2, v[6:7]
	s_wait_kmcnt 0x0
	s_delay_alu instid0(VALU_DEP_1) | instskip(SKIP_1) | instid1(VALU_DEP_2)
	v_add_co_u32 v6, s3, s8, v6
	s_wait_alu 0xf1ff
	v_add_co_ci_u32_e64 v7, null, s9, v7, s3
	global_store_b32 v[6:7], v86, off
	s_wait_alu 0xfffe
	s_or_b32 exec_lo, exec_lo, s4
	s_and_saveexec_b32 s4, s0
	s_cbranch_execz .LBB136_53
.LBB136_79:
	s_delay_alu instid0(VALU_DEP_1) | instskip(NEXT) | instid1(VALU_DEP_1)
	v_dual_mov_b32 v7, 0 :: v_dual_add_nc_u32 v6, v5, v2
	v_lshlrev_b64_e32 v[6:7], 2, v[6:7]
	s_wait_kmcnt 0x0
	s_delay_alu instid0(VALU_DEP_1) | instskip(SKIP_1) | instid1(VALU_DEP_2)
	v_add_co_u32 v6, s3, s8, v6
	s_wait_alu 0xf1ff
	v_add_co_ci_u32_e64 v7, null, s9, v7, s3
	global_store_b32 v[6:7], v85, off
	s_wait_alu 0xfffe
	s_or_b32 exec_lo, exec_lo, s4
	s_and_saveexec_b32 s4, s1
	s_cbranch_execz .LBB136_54
.LBB136_80:
	v_dual_mov_b32 v7, 0 :: v_dual_add_nc_u32 v6, v5, v3
	s_delay_alu instid0(VALU_DEP_1) | instskip(SKIP_1) | instid1(VALU_DEP_1)
	v_lshlrev_b64_e32 v[6:7], 2, v[6:7]
	s_wait_kmcnt 0x0
	v_add_co_u32 v6, s3, s8, v6
	s_wait_alu 0xf1ff
	s_delay_alu instid0(VALU_DEP_2)
	v_add_co_ci_u32_e64 v7, null, s9, v7, s3
	global_store_b32 v[6:7], v84, off
	s_wait_alu 0xfffe
	s_or_b32 exec_lo, exec_lo, s4
	s_and_saveexec_b32 s4, s2
	s_cbranch_execnz .LBB136_55
	s_branch .LBB136_56
.LBB136_81:
	s_delay_alu instid0(VALU_DEP_1) | instskip(NEXT) | instid1(VALU_DEP_1)
	v_dual_mov_b32 v6, 0 :: v_dual_add_nc_u32 v5, v1, v0
	v_lshlrev_b64_e32 v[5:6], 2, v[5:6]
	s_wait_kmcnt 0x0
	s_delay_alu instid0(VALU_DEP_1) | instskip(SKIP_1) | instid1(VALU_DEP_2)
	v_add_co_u32 v5, vcc_lo, s8, v5
	s_wait_alu 0xfffd
	v_add_co_ci_u32_e64 v6, null, s9, v6, vcc_lo
	global_store_b32 v[5:6], v82, off
	s_wait_alu 0xfffe
	s_or_b32 exec_lo, exec_lo, s3
	s_and_saveexec_b32 s3, s0
	s_cbranch_execz .LBB136_59
.LBB136_82:
	s_delay_alu instid0(VALU_DEP_1) | instskip(NEXT) | instid1(VALU_DEP_1)
	v_dual_mov_b32 v6, 0 :: v_dual_add_nc_u32 v5, v1, v2
	v_lshlrev_b64_e32 v[5:6], 2, v[5:6]
	s_wait_kmcnt 0x0
	s_delay_alu instid0(VALU_DEP_1) | instskip(SKIP_1) | instid1(VALU_DEP_2)
	v_add_co_u32 v5, vcc_lo, s8, v5
	s_wait_alu 0xfffd
	v_add_co_ci_u32_e64 v6, null, s9, v6, vcc_lo
	global_store_b32 v[5:6], v81, off
	s_wait_alu 0xfffe
	s_or_b32 exec_lo, exec_lo, s3
	s_and_saveexec_b32 s0, s1
	s_cbranch_execz .LBB136_60
.LBB136_83:
	v_dual_mov_b32 v3, 0 :: v_dual_add_nc_u32 v2, v1, v3
	s_delay_alu instid0(VALU_DEP_1) | instskip(SKIP_1) | instid1(VALU_DEP_1)
	v_lshlrev_b64_e32 v[2:3], 2, v[2:3]
	s_wait_kmcnt 0x0
	v_add_co_u32 v2, vcc_lo, s8, v2
	s_wait_alu 0xfffd
	s_delay_alu instid0(VALU_DEP_2) | instskip(SKIP_3) | instid1(SALU_CYCLE_1)
	v_add_co_ci_u32_e64 v3, null, s9, v3, vcc_lo
	global_store_b32 v[2:3], v80, off
	s_wait_alu 0xfffe
	s_or_b32 exec_lo, exec_lo, s0
	s_and_b32 exec_lo, exec_lo, s2
	s_cbranch_execnz .LBB136_61
	s_branch .LBB136_62
	.section	.rodata,"a",@progbits
	.p2align	6, 0x0
	.amdhsa_kernel _ZL12mul_mat_q6_KIfLb1EEvPKvS1_PT_iiiii
		.amdhsa_group_segment_fixed_size 45136
		.amdhsa_private_segment_fixed_size 24
		.amdhsa_kernarg_size 44
		.amdhsa_user_sgpr_count 2
		.amdhsa_user_sgpr_dispatch_ptr 0
		.amdhsa_user_sgpr_queue_ptr 0
		.amdhsa_user_sgpr_kernarg_segment_ptr 1
		.amdhsa_user_sgpr_dispatch_id 0
		.amdhsa_user_sgpr_private_segment_size 0
		.amdhsa_wavefront_size32 1
		.amdhsa_uses_dynamic_stack 0
		.amdhsa_enable_private_segment 1
		.amdhsa_system_sgpr_workgroup_id_x 1
		.amdhsa_system_sgpr_workgroup_id_y 1
		.amdhsa_system_sgpr_workgroup_id_z 0
		.amdhsa_system_sgpr_workgroup_info 0
		.amdhsa_system_vgpr_workitem_id 1
		.amdhsa_next_free_vgpr 256
		.amdhsa_next_free_sgpr 18
		.amdhsa_reserve_vcc 1
		.amdhsa_float_round_mode_32 0
		.amdhsa_float_round_mode_16_64 0
		.amdhsa_float_denorm_mode_32 3
		.amdhsa_float_denorm_mode_16_64 3
		.amdhsa_fp16_overflow 0
		.amdhsa_workgroup_processor_mode 1
		.amdhsa_memory_ordered 1
		.amdhsa_forward_progress 1
		.amdhsa_inst_pref_size 255
		.amdhsa_round_robin_scheduling 0
		.amdhsa_exception_fp_ieee_invalid_op 0
		.amdhsa_exception_fp_denorm_src 0
		.amdhsa_exception_fp_ieee_div_zero 0
		.amdhsa_exception_fp_ieee_overflow 0
		.amdhsa_exception_fp_ieee_underflow 0
		.amdhsa_exception_fp_ieee_inexact 0
		.amdhsa_exception_int_div_zero 0
	.end_amdhsa_kernel
	.section	.text._ZL12mul_mat_q6_KIfLb1EEvPKvS1_PT_iiiii,"axG",@progbits,_ZL12mul_mat_q6_KIfLb1EEvPKvS1_PT_iiiii,comdat
.Lfunc_end136:
	.size	_ZL12mul_mat_q6_KIfLb1EEvPKvS1_PT_iiiii, .Lfunc_end136-_ZL12mul_mat_q6_KIfLb1EEvPKvS1_PT_iiiii
                                        ; -- End function
	.set _ZL12mul_mat_q6_KIfLb1EEvPKvS1_PT_iiiii.num_vgpr, 256
	.set _ZL12mul_mat_q6_KIfLb1EEvPKvS1_PT_iiiii.num_agpr, 0
	.set _ZL12mul_mat_q6_KIfLb1EEvPKvS1_PT_iiiii.numbered_sgpr, 18
	.set _ZL12mul_mat_q6_KIfLb1EEvPKvS1_PT_iiiii.num_named_barrier, 0
	.set _ZL12mul_mat_q6_KIfLb1EEvPKvS1_PT_iiiii.private_seg_size, 24
	.set _ZL12mul_mat_q6_KIfLb1EEvPKvS1_PT_iiiii.uses_vcc, 1
	.set _ZL12mul_mat_q6_KIfLb1EEvPKvS1_PT_iiiii.uses_flat_scratch, 1
	.set _ZL12mul_mat_q6_KIfLb1EEvPKvS1_PT_iiiii.has_dyn_sized_stack, 0
	.set _ZL12mul_mat_q6_KIfLb1EEvPKvS1_PT_iiiii.has_recursion, 0
	.set _ZL12mul_mat_q6_KIfLb1EEvPKvS1_PT_iiiii.has_indirect_call, 0
	.section	.AMDGPU.csdata,"",@progbits
; Kernel info:
; codeLenInByte = 37956
; TotalNumSgprs: 20
; NumVgprs: 256
; ScratchSize: 24
; MemoryBound: 0
; FloatMode: 240
; IeeeMode: 1
; LDSByteSize: 45136 bytes/workgroup (compile time only)
; SGPRBlocks: 0
; VGPRBlocks: 31
; NumSGPRsForWavesPerEU: 20
; NumVGPRsForWavesPerEU: 256
; Occupancy: 4
; WaveLimiterHint : 0
; COMPUTE_PGM_RSRC2:SCRATCH_EN: 1
; COMPUTE_PGM_RSRC2:USER_SGPR: 2
; COMPUTE_PGM_RSRC2:TRAP_HANDLER: 0
; COMPUTE_PGM_RSRC2:TGID_X_EN: 1
; COMPUTE_PGM_RSRC2:TGID_Y_EN: 1
; COMPUTE_PGM_RSRC2:TGID_Z_EN: 0
; COMPUTE_PGM_RSRC2:TIDIG_COMP_CNT: 1
	.section	.text._ZL12mul_mat_q4_0IN3c104HalfELb0EEvPKvS3_PT_iiiii,"axG",@progbits,_ZL12mul_mat_q4_0IN3c104HalfELb0EEvPKvS3_PT_iiiii,comdat
	.globl	_ZL12mul_mat_q4_0IN3c104HalfELb0EEvPKvS3_PT_iiiii ; -- Begin function _ZL12mul_mat_q4_0IN3c104HalfELb0EEvPKvS3_PT_iiiii
	.p2align	8
	.type	_ZL12mul_mat_q4_0IN3c104HalfELb0EEvPKvS3_PT_iiiii,@function
_ZL12mul_mat_q4_0IN3c104HalfELb0EEvPKvS3_PT_iiiii: ; @_ZL12mul_mat_q4_0IN3c104HalfELb0EEvPKvS3_PT_iiiii
; %bb.0:
	s_clause 0x1
	s_load_b32 s2, s[0:1], 0x18
	s_load_b96 s[4:6], s[0:1], 0x20
	v_bfe_u32 v16, v0, 10, 10
	v_and_b32_e32 v17, 0x3ff, v0
	s_lshl_b32 s7, ttmp7, 6
	s_wait_kmcnt 0x0
	s_cmp_gt_i32 s2, 31
	s_cbranch_scc1 .LBB137_2
; %bb.1:
	v_bfe_u32 v4, v0, 10, 10
	v_and_b32_e32 v9, 0x3ff, v0
	s_mov_b32 s3, 0
	s_delay_alu instid0(VALU_DEP_2)
	v_add_nc_u32_e32 v10, s7, v4
	s_branch .LBB137_3
.LBB137_2:
	s_mov_b32 s3, -1
                                        ; implicit-def: $vgpr4
                                        ; implicit-def: $vgpr9
                                        ; implicit-def: $vgpr10
.LBB137_3:
	s_load_b64 s[8:9], s[0:1], 0x10
	s_lshl_b32 s14, ttmp9, 7
	s_and_not1_b32 vcc_lo, exec_lo, s3
	s_mov_b32 s11, 0
	s_cbranch_vccnz .LBB137_13
; %bb.4:
	v_add_nc_u32_e32 v11, s7, v16
	s_add_co_i32 s10, s4, -1
	v_bfe_u32 v18, v0, 3, 7
	v_cvt_f64_i32_e32 v[2:3], s10
	v_bfe_u32 v20, v0, 2, 8
	v_add_nc_u32_e32 v1, 8, v11
	v_add_nc_u32_e32 v8, 16, v11
	v_cvt_f64_u32_e32 v[4:5], v11
	scratch_store_b32 off, v11, off offset:108 ; 4-byte Folded Spill
	v_lshl_add_u32 v37, v16, 2, v18
	v_cvt_f64_u32_e32 v[6:7], v1
	v_add_nc_u32_e32 v1, 48, v11
	v_lshl_add_u32 v38, v16, 3, v20
	s_ashr_i32 s13, s5, 31
	v_lshlrev_b32_e32 v72, 5, v37
	s_lshr_b32 s13, s13, 27
	v_cvt_f64_u32_e32 v[26:27], v1
	v_dual_mov_b32 v1, 0 :: v_dual_add_nc_u32 v10, 24, v11
	v_add_nc_u32_e32 v14, 40, v11
	v_add_nc_u32_e32 v12, 32, v11
	v_cvt_f64_u32_e32 v[8:9], v8
	v_add_nc_u32_e32 v19, 56, v11
	v_mov_b32_e32 v83, v1
	v_cvt_f64_u32_e32 v[10:11], v10
	v_cvt_f64_u32_e32 v[14:15], v14
	v_and_b32_e32 v21, 7, v0
	v_and_b32_e32 v31, 31, v0
	v_dual_mov_b32 v92, v1 :: v_dual_lshlrev_b32 v53, 7, v16
	v_and_b32_e32 v41, 0x7fc, v37
	s_delay_alu instid0(VALU_DEP_4) | instskip(NEXT) | instid1(VALU_DEP_4)
	v_lshlrev_b32_e32 v40, 2, v21
	v_lshl_or_b32 v59, v31, 2, 0x4200
	s_delay_alu instid0(VALU_DEP_4) | instskip(SKIP_3) | instid1(VALU_DEP_3)
	v_add_nc_u32_e32 v69, 0x1c00, v53
	v_dual_mov_b32 v96, v1 :: v_dual_and_b32 v43, 3, v0
	v_mov_b32_e32 v78, v1
	s_add_co_i32 s5, s5, s13
	v_add_nc_u32_e32 v95, v59, v69
	v_mov_b32_e32 v69, v1
	v_cvt_f64_u32_e32 v[12:13], v12
	v_lshlrev_b32_e32 v39, 2, v43
	s_ashr_i32 s5, s5, 5
	v_add_nc_u32_e32 v54, 0x60, v17
	v_add_nc_u32_e32 v67, 0x1800, v53
	v_min_num_f64_e32 v[4:5], v[4:5], v[2:3]
	v_add_nc_u32_e32 v55, 64, v17
	v_add_nc_u32_e32 v56, 32, v17
	v_min_num_f64_e32 v[6:7], v[6:7], v[2:3]
	v_dual_mov_b32 v94, v1 :: v_dual_lshlrev_b32 v57, 5, v17
	v_add_nc_u32_e32 v93, v59, v67
	v_mov_b32_e32 v67, v1
	s_ashr_i32 s3, s2, 31
	v_min_num_f64_e32 v[35:36], v[26:27], v[2:3]
	s_lshr_b32 s3, s3, 27
	v_and_b32_e32 v0, 0xfc, v0
	s_add_co_i32 s12, s2, s3
	v_add_nc_u32_e32 v60, 0x400, v53
	v_min_num_f64_e32 v[8:9], v[8:9], v[2:3]
	s_ashr_i32 s15, s12, 5
	v_add_nc_u32_e32 v0, v57, v0
	v_min_num_f64_e32 v[10:11], v[10:11], v[2:3]
	v_min_num_f64_e32 v[14:15], v[14:15], v[2:3]
	s_lshl_b32 s16, s15, 3
	v_add_nc_u32_e32 v62, 0x800, v53
	v_add_nc_u32_e32 v64, 0xc00, v53
	;; [unrolled: 1-line block ×4, first 2 shown]
	v_lshlrev_b32_e32 v30, 2, v17
	v_add_nc_u32_e32 v70, 0x4200, v53
	s_load_b128 s[0:3], s[0:1], 0x0
	v_mul_lo_u32 v33, s15, v37
	v_add_nc_u32_e32 v91, v59, v66
	s_and_b32 s17, s12, 0xffffffe0
	s_mul_i32 s12, s15, s14
	v_mov_b32_e32 v81, v1
	s_ashr_i32 s13, s12, 31
	v_min_num_f64_e32 v[12:13], v[12:13], v[2:3]
	s_mul_u64 s[12:13], s[12:13], 18
	v_dual_mov_b32 v97, v1 :: v_dual_mov_b32 v90, v1
	v_cvt_i32_f64_e32 v5, v[4:5]
	v_add_nc_u32_e32 v4, 64, v37
	v_cvt_i32_f64_e32 v6, v[6:7]
	s_delay_alu instid0(VALU_DEP_2)
	v_lshlrev_b32_e32 v74, 5, v4
	s_wait_kmcnt 0x0
	s_add_nc_u64 s[0:1], s[0:1], s[12:13]
	v_cvt_i32_f64_e32 v7, v[8:9]
	v_cvt_i32_f64_e32 v8, v[10:11]
	;; [unrolled: 1-line block ×3, first 2 shown]
	v_add3_u32 v14, v41, v40, 0x6200
	v_cvt_i32_f64_e32 v11, v[35:36]
	s_delay_alu instid0(VALU_DEP_2)
	v_dual_mov_b32 v72, v1 :: v_dual_add_nc_u32 v79, v14, v72
	v_cvt_f64_u32_e32 v[28:29], v19
	v_mul_lo_u32 v19, s15, v16
	v_cvt_i32_f64_e32 v9, v[12:13]
	v_add_nc_u32_e32 v12, 0x60, v37
	v_and_b32_e32 v13, 63, v38
	s_delay_alu instid0(VALU_DEP_4) | instskip(SKIP_1) | instid1(VALU_DEP_3)
	v_add_nc_u32_e32 v22, s16, v19
	v_add_nc_u32_e32 v38, s17, v33
	v_or_b32_e32 v41, s7, v13
	v_lshl_or_b32 v13, v13, 4, v39
	s_delay_alu instid0(VALU_DEP_4) | instskip(SKIP_1) | instid1(VALU_DEP_1)
	v_add_nc_u32_e32 v24, s16, v22
	v_min_num_f64_e32 v[2:3], v[28:29], v[2:3]
	v_cvt_i32_f64_e32 v2, v[2:3]
	v_add_nc_u32_e32 v3, 32, v37
	s_delay_alu instid0(VALU_DEP_1) | instskip(SKIP_4) | instid1(VALU_DEP_3)
	v_and_b32_e32 v15, 0xffc, v3
	v_lshlrev_b32_e32 v73, 5, v3
	v_and_b32_e32 v3, 0xffc, v4
	v_and_b32_e32 v4, 0xffc, v12
	v_lshlrev_b32_e32 v12, 5, v12
	v_add3_u32 v76, v3, v40, 0x6200
	s_delay_alu instid0(VALU_DEP_3)
	v_add3_u32 v77, v4, v40, 0x6200
	v_min_i32_e32 v3, s10, v41
	v_add_nc_u32_e32 v4, 0x7280, v13
	s_mov_b32 s10, s11
	v_add_nc_u32_e32 v82, v76, v74
	v_add_nc_u32_e32 v84, v77, v12
	v_mov_b32_e32 v77, v1
	v_dual_mov_b32 v76, v1 :: v_dual_add_nc_u32 v25, s16, v24
	v_add_nc_u32_e32 v89, v59, v65
	v_mul_lo_u32 v2, s5, v2
	scratch_store_b32 off, v4, off          ; 4-byte Folded Spill
	v_mad_co_u64_u32 v[3:4], null, v3, s5, v[43:44]
	scratch_store_b32 off, v2, off offset:32 ; 4-byte Folded Spill
	v_and_b32_e32 v2, 0x1fc, v54
	scratch_store_b64 off, v[3:4], off offset:60 ; 8-byte Folded Spill
	v_mul_lo_u32 v3, s5, v5
	scratch_store_b32 off, v18, off offset:56 ; 4-byte Folded Spill
	v_and_b32_e32 v4, 0x1fc, v55
	v_add_nc_u32_e32 v2, v57, v2
	v_mov_b32_e32 v55, v1
	v_dual_mov_b32 v54, v1 :: v_dual_and_b32 v5, 0x1fc, v56
	v_add_nc_u32_e32 v28, s16, v25
	scratch_store_b32 off, v3, off offset:4 ; 4-byte Folded Spill
	v_mul_lo_u32 v3, s5, v6
	v_add_nc_u32_e32 v6, v57, v4
	scratch_store_b32 off, v3, off offset:8 ; 4-byte Folded Spill
	v_mul_lo_u32 v3, s5, v7
	v_add_nc_u32_e32 v7, v57, v5
	v_mov_b32_e32 v57, v1
	scratch_store_b32 off, v3, off offset:12 ; 4-byte Folded Spill
	v_mul_lo_u32 v3, s5, v8
	scratch_store_b32 off, v3, off offset:16 ; 4-byte Folded Spill
	v_mul_lo_u32 v3, s5, v9
	;; [unrolled: 2-line block ×4, first 2 shown]
	scratch_store_b32 off, v3, off offset:28 ; 4-byte Folded Spill
	v_lshrrev_b32_e32 v3, 3, v56
	scratch_store_b32 off, v3, off offset:84 ; 4-byte Folded Spill
	v_add_nc_u32_e32 v3, 0x6e00, v2
	v_add_nc_u32_e32 v2, 0x6e10, v2
	scratch_store_b32 off, v3, off offset:68 ; 4-byte Folded Spill
	v_add_nc_u32_e32 v3, 0x6a00, v6
	scratch_store_b32 off, v3, off offset:72 ; 4-byte Folded Spill
	;; [unrolled: 2-line block ×3, first 2 shown]
	v_add_nc_u32_e32 v3, 0x6200, v0
	v_add_nc_u32_e32 v0, 0x6210, v0
	s_clause 0x1
	scratch_store_b32 off, v3, off offset:80
	scratch_store_b32 off, v16, off offset:104
	v_lshl_add_u32 v3, v16, 4, 0x7280
	scratch_store_b32 off, v0, off offset:100 ; 4-byte Folded Spill
	v_dual_mov_b32 v53, v1 :: v_dual_add_nc_u32 v0, v59, v53
	v_and_b32_e32 v26, 12, v30
	s_clause 0x2
	scratch_store_b32 off, v3, off offset:36
	scratch_store_b32 off, v2, off offset:88
	;; [unrolled: 1-line block ×3, first 2 shown]
	v_add_nc_u32_e32 v2, 0x6a10, v6
	v_add_nc_u32_e32 v0, v59, v60
	v_mad_u32_u24 v27, 0x84, v16, v30
	v_mov_b32_e32 v60, v1
	s_clause 0x1
	scratch_store_b32 off, v2, off offset:92
	scratch_store_b32 off, v0, off offset:44
	v_add_nc_u32_e32 v2, 0x6610, v7
	v_add_nc_u32_e32 v0, v59, v62
	v_mov_b32_e32 v62, v1
	s_clause 0x1
	scratch_store_b32 off, v2, off offset:96
	scratch_store_b32 off, v0, off offset:48
	v_dual_mov_b32 v59, v1 :: v_dual_add_nc_u32 v0, v59, v64
	v_dual_mov_b32 v2, v1 :: v_dual_add_nc_u32 v29, s16, v28
	v_and_b32_e32 v58, 28, v30
	scratch_store_b32 off, v0, off offset:52 ; 4-byte Folded Spill
	v_mov_b32_e32 v0, v1
	v_dual_mov_b32 v13, v2 :: v_dual_add_nc_u32 v30, s16, v29
	v_add3_u32 v15, v15, v40, 0x6200
	v_dual_mov_b32 v11, v2 :: v_dual_add_nc_u32 v40, s17, v38
	s_delay_alu instid0(VALU_DEP_3) | instskip(SKIP_2) | instid1(VALU_DEP_3)
	v_add_nc_u32_e32 v31, s16, v30
	v_add_co_u32 v4, s5, s2, v58
	v_mov_b32_e32 v9, v2
	v_dual_mov_b32 v7, v2 :: v_dual_add_nc_u32 v32, s16, v31
	v_add_nc_u32_e32 v43, s17, v40
	s_wait_alu 0xf1ff
	v_add_co_ci_u32_e64 v5, null, s3, 0, s5
	v_add_nc_u32_e32 v80, v15, v73
	v_add_nc_u32_e32 v34, s16, v32
	v_mov_b32_e32 v58, v1
	v_mov_b32_e32 v64, v1
	;; [unrolled: 1-line block ×3, first 2 shown]
	s_delay_alu instid0(VALU_DEP_4) | instskip(SKIP_3) | instid1(VALU_DEP_3)
	v_dual_mov_b32 v10, v1 :: v_dual_add_nc_u32 v35, s16, v34
	v_mov_b32_e32 v8, v1
	v_mov_b32_e32 v6, v1
	s_add_co_i32 s5, s15, 3
	v_add_nc_u32_e32 v36, s16, v35
	s_delay_alu instid0(VALU_DEP_1) | instskip(NEXT) | instid1(VALU_DEP_1)
	v_add_nc_u32_e32 v37, s16, v36
	v_add_nc_u32_e32 v39, s16, v37
	s_delay_alu instid0(VALU_DEP_1) | instskip(NEXT) | instid1(VALU_DEP_1)
	v_add_nc_u32_e32 v41, s16, v39
	v_add_nc_u32_e32 v44, s16, v41
	s_branch .LBB137_6
.LBB137_5:                              ;   in Loop: Header=BB137_6 Depth=1
	s_add_co_i32 s10, s10, 8
	s_add_co_i32 s5, s5, -8
	s_wait_alu 0xfffe
	s_cmp_ge_i32 s10, s15
	s_cbranch_scc1 .LBB137_15
.LBB137_6:                              ; =>This Loop Header: Depth=1
                                        ;     Child Loop BB137_8 Depth 2
                                        ;     Child Loop BB137_11 Depth 2
	s_wait_alu 0xfffe
	s_mul_u64 s[12:13], s[10:11], 18
	s_cmp_gt_u32 s5, 3
	s_wait_alu 0xfffe
	s_add_nc_u64 s[12:13], s[0:1], s[12:13]
	v_add_nc_u32_e32 v123, 0x35a0, v27
	s_wait_alu 0xfffe
	v_mad_co_u64_u32 v[14:15], null, v20, 18, s[12:13]
	v_add_nc_u32_e32 v124, 0x39c0, v27
	v_add_nc_u32_e32 v125, 0x3de0, v27
	s_delay_alu instid0(VALU_DEP_3) | instskip(SKIP_3) | instid1(VALU_DEP_4)
	v_mad_co_u64_u32 v[98:99], null, v19, 18, v[14:15]
	v_mad_co_u64_u32 v[100:101], null, v22, 18, v[14:15]
	;; [unrolled: 1-line block ×4, first 2 shown]
	v_add_co_u32 v98, vcc_lo, v98, v26
	v_mad_co_u64_u32 v[106:107], null, v28, 18, v[14:15]
	s_wait_alu 0xfffd
	v_add_co_ci_u32_e64 v99, null, 0, v99, vcc_lo
	v_add_co_u32 v100, vcc_lo, v100, v26
	v_mad_co_u64_u32 v[108:109], null, v29, 18, v[14:15]
	s_wait_alu 0xfffd
	v_add_co_ci_u32_e64 v101, null, 0, v101, vcc_lo
	;; [unrolled: 4-line block ×4, first 2 shown]
	v_add_co_u32 v106, vcc_lo, v106, v26
	s_wait_alu 0xfffd
	v_add_co_ci_u32_e64 v107, null, 0, v107, vcc_lo
	v_add_co_u32 v108, vcc_lo, v108, v26
	s_wait_alu 0xfffd
	v_add_co_ci_u32_e64 v109, null, 0, v109, vcc_lo
	;; [unrolled: 3-line block ×3, first 2 shown]
	v_add_co_u32 v112, vcc_lo, v112, v26
	v_mad_co_u64_u32 v[114:115], null, v32, 18, v[14:15]
	s_wait_alu 0xfffd
	v_add_co_ci_u32_e64 v113, null, 0, v113, vcc_lo
	s_clause 0x7
	global_load_b32 v2, v[98:99], off offset:2
	global_load_b32 v65, v[100:101], off offset:2
	;; [unrolled: 1-line block ×8, first 2 shown]
	v_mad_co_u64_u32 v[98:99], null, v34, 18, v[14:15]
	v_mad_co_u64_u32 v[102:103], null, v35, 18, v[14:15]
	;; [unrolled: 1-line block ×4, first 2 shown]
	v_add_co_u32 v100, vcc_lo, v114, v26
	v_mad_co_u64_u32 v[106:107], null, v37, 18, v[14:15]
	s_wait_alu 0xfffd
	v_add_co_ci_u32_e64 v101, null, 0, v115, vcc_lo
	v_add_co_u32 v98, vcc_lo, v98, v26
	v_mad_co_u64_u32 v[108:109], null, v39, 18, v[14:15]
	s_wait_alu 0xfffd
	v_add_co_ci_u32_e64 v99, null, 0, v99, vcc_lo
	v_add_co_u32 v102, vcc_lo, v102, v26
	v_mad_co_u64_u32 v[112:113], null, v33, 18, v[110:111]
	v_mad_co_u64_u32 v[118:119], null, v41, 18, v[14:15]
	;; [unrolled: 1-line block ×3, first 2 shown]
	s_wait_alu 0xfffd
	v_add_co_ci_u32_e64 v103, null, 0, v103, vcc_lo
	v_add_co_u32 v104, vcc_lo, v104, v26
	v_mad_co_u64_u32 v[116:117], null, v40, 18, v[110:111]
	v_mad_co_u64_u32 v[14:15], null, v44, 18, v[14:15]
	;; [unrolled: 1-line block ×3, first 2 shown]
	s_wait_alu 0xfffd
	v_add_co_ci_u32_e64 v105, null, 0, v105, vcc_lo
	v_add_co_u32 v106, vcc_lo, v106, v26
	s_wait_alu 0xfffd
	v_add_co_ci_u32_e64 v107, null, 0, v107, vcc_lo
	v_add_co_u32 v108, vcc_lo, v108, v26
	s_wait_alu 0xfffd
	v_add_co_ci_u32_e64 v109, null, 0, v109, vcc_lo
	s_clause 0x3
	global_load_u16 v112, v[112:113], off
	global_load_u16 v113, v[114:115], off
	;; [unrolled: 1-line block ×4, first 2 shown]
	v_add_co_u32 v110, vcc_lo, v118, v26
	s_wait_alu 0xfffd
	v_add_co_ci_u32_e64 v111, null, 0, v119, vcc_lo
	v_add_co_u32 v14, vcc_lo, v14, v26
	s_wait_alu 0xfffd
	v_add_co_ci_u32_e64 v15, null, 0, v15, vcc_lo
	s_clause 0x7
	global_load_b32 v100, v[100:101], off offset:2
	global_load_b32 v98, v[98:99], off offset:2
	;; [unrolled: 1-line block ×8, first 2 shown]
	v_add_nc_u32_e32 v15, 0x420, v27
	v_add_nc_u32_e32 v105, 0x840, v27
	;; [unrolled: 1-line block ×12, first 2 shown]
	s_wait_loadcnt 0xb
	v_cvt_f32_f16_e32 v112, v112
	s_wait_loadcnt 0xa
	v_cvt_f32_f16_e32 v113, v113
	;; [unrolled: 2-line block ×4, first 2 shown]
	ds_store_b32 v27, v2
	ds_store_b32 v15, v65
	ds_store_b32 v105, v66
	ds_store_b32 v106, v73
	ds_store_b32 v107, v74
	ds_store_b32 v108, v120
	ds_store_b32 v109, v121
	ds_store_b32 v110, v122
	s_wait_loadcnt 0x7
	ds_store_b32 v111, v100
	s_wait_loadcnt 0x6
	ds_store_b32 v116, v98
	;; [unrolled: 2-line block ×8, first 2 shown]
	ds_store_b32 v79, v112
	ds_store_b32 v80, v113
	ds_store_b32 v82, v114
	ds_store_b32 v84, v115
	s_cbranch_scc0 .LBB137_5
; %bb.7:                                ;   in Loop: Header=BB137_6 Depth=1
	scratch_load_b32 v2, off, off offset:56 ; 4-byte Folded Reload
	s_mov_b32 s12, -4
	s_wait_loadcnt 0x0
	v_add_nc_u32_e32 v65, s10, v2
	scratch_load_b64 v[2:3], off, off offset:60 ; 8-byte Folded Reload
	s_wait_loadcnt 0x0
	scratch_load_b32 v3, off, off offset:4  ; 4-byte Folded Reload
	v_add_nc_u32_e32 v2, s10, v2
	s_wait_loadcnt 0x0
	v_add_nc_u32_e32 v14, v65, v3
	scratch_load_b32 v3, off, off offset:8  ; 4-byte Folded Reload
	v_mad_co_u64_u32 v[112:113], null, v2, 36, s[2:3]
	v_mad_co_i64_i32 v[14:15], null, v14, 36, v[4:5]
	s_wait_loadcnt 0x0
	v_add_nc_u32_e32 v66, v65, v3
	scratch_load_b32 v3, off, off offset:12 ; 4-byte Folded Reload
	v_mad_co_i64_i32 v[98:99], null, v66, 36, v[4:5]
	s_wait_loadcnt 0x0
	v_add_nc_u32_e32 v73, v65, v3
	scratch_load_b32 v3, off, off offset:16 ; 4-byte Folded Reload
	;; [unrolled: 4-line block ×6, first 2 shown]
	v_mad_co_i64_i32 v[108:109], null, v74, 36, v[4:5]
	s_wait_loadcnt 0x0
	v_add_nc_u32_e32 v65, v65, v3
	s_delay_alu instid0(VALU_DEP_1)
	v_mad_co_i64_i32 v[110:111], null, v65, 36, v[4:5]
	s_clause 0x8
	global_load_b32 v65, v[104:105], off offset:4
	global_load_b32 v14, v[14:15], off offset:4
	;; [unrolled: 1-line block ×8, first 2 shown]
	global_load_b32 v107, v[112:113], off
	s_clause 0x5
	scratch_load_b32 v99, off, off offset:36
	scratch_load_b32 v100, off, off offset:80
	;; [unrolled: 1-line block ×6, first 2 shown]
	v_mov_b32_e32 v98, v70
	v_mul_u32_u24_e32 v104, 0x84, v17
	s_wait_loadcnt 0xe
	ds_store_b32 v95, v65
	s_wait_loadcnt 0x0
	ds_store_b32 v3, v14
	scratch_load_b32 v3, off, off offset:44 ; 4-byte Folded Reload
	s_wait_loadcnt 0x0
	ds_store_b32 v3, v15
	scratch_load_b32 v3, off, off offset:48 ; 4-byte Folded Reload
	;; [unrolled: 3-line block ×3, first 2 shown]
	s_wait_loadcnt 0x0
	ds_store_b32 v3, v73
	ds_store_b32 v89, v74
	;; [unrolled: 1-line block ×4, first 2 shown]
	scratch_load_b32 v3, off, off           ; 4-byte Folded Reload
	s_wait_loadcnt 0x0
	ds_store_b32 v3, v107
	s_wait_storecnt_dscnt 0x0
	s_barrier_signal -1
	s_barrier_wait -1
	global_inv scope:SCOPE_SE
.LBB137_8:                              ;   Parent Loop BB137_6 Depth=1
                                        ; =>  This Inner Loop Header: Depth=2
	ds_load_2addr_b32 v[14:15], v98 offset1:3
	ds_load_2addr_b32 v[166:167], v104 offset1:1
	ds_load_2addr_b32 v[168:169], v98 offset0:4 offset1:7
	v_add_nc_u32_e32 v253, 0xc00, v98
	s_wait_alu 0xfffe
	s_add_co_i32 s12, s12, 4
	s_wait_alu 0xfffe
	s_cmp_lt_u32 s12, 12
	s_wait_dscnt 0x2
	v_lshrrev_b16 v65, 8, v14
	s_wait_dscnt 0x1
	v_and_b32_e32 v108, 15, v166
	v_bfe_u32 v109, v166, 8, 4
	v_bfe_u32 v106, v166, 16, 4
	;; [unrolled: 1-line block ×3, first 2 shown]
	v_bfe_i32 v105, v65, 0, 8
	v_bfe_i32 v65, v14, 0, 8
	;; [unrolled: 1-line block ×3, first 2 shown]
	v_ashrrev_i32_e32 v74, 24, v14
	v_bfe_u32 v141, v166, 4, 4
	s_wait_dscnt 0x0
	v_bfe_i32 v121, v168, 0, 8
	v_mul_i32_i24_e32 v66, v65, v108
	v_mul_i32_i24_e32 v14, v73, v106
	;; [unrolled: 1-line block ×3, first 2 shown]
	v_bfe_u32 v142, v166, 12, 4
	v_ashrrev_i32_e32 v170, 24, v168
	v_mad_i32_i24 v66, v105, v109, v66
	v_bfe_u32 v150, v166, 20, 4
	v_lshrrev_b32_e32 v149, 28, v166
	v_ashrrev_i32_e32 v212, 24, v15
	v_ashrrev_i32_e32 v240, 24, v169
	v_add3_u32 v14, v66, v14, v110
	v_lshrrev_b16 v66, 8, v168
	v_mul_i32_i24_e32 v110, v121, v141
	v_bfe_i32 v168, v168, 16, 8
	v_bfe_i32 v233, v15, 16, 8
	;; [unrolled: 1-line block ×8, first 2 shown]
	v_mul_i32_i24_e32 v111, v66, v142
	s_delay_alu instid0(VALU_DEP_1)
	v_add3_u32 v123, v14, v111, v110
	v_add_nc_u32_e32 v14, 0x1080, v104
	v_add_nc_u32_e32 v110, 0x1088, v104
	;; [unrolled: 1-line block ×3, first 2 shown]
	ds_load_2addr_b32 v[144:145], v14 offset1:1
	ds_load_2addr_b32 v[176:177], v110 offset1:1
	;; [unrolled: 1-line block ×3, first 2 shown]
	s_wait_dscnt 0x2
	v_lshrrev_b32_e32 v136, 28, v144
	v_bfe_u32 v110, v144, 24, 4
	v_bfe_u32 v134, v145, 24, 4
	v_lshrrev_b32_e32 v124, 28, v145
	v_bfe_u32 v139, v144, 20, 4
	v_mul_i32_i24_e32 v14, v136, v170
	v_bfe_u32 v129, v145, 16, 4
	v_bfe_u32 v122, v145, 20, 4
	;; [unrolled: 1-line block ×3, first 2 shown]
	v_and_b32_e32 v132, 15, v145
	v_mad_i32_i24 v111, v110, v74, v14
	ds_load_b32 v14, v101
	ds_load_2addr_b32 v[146:147], v98 offset0:1 offset1:2
	ds_load_2addr_b32 v[185:186], v98 offset0:5 offset1:6
	v_bfe_u32 v126, v145, 4, 4
	s_wait_dscnt 0x3
	v_bfe_u32 v116, v179, 8, 4
	v_bfe_u32 v152, v179, 12, 4
	v_bfe_u32 v151, v179, 4, 4
	v_bfe_u32 v154, v179, 20, 4
	v_lshrrev_b32_e32 v155, 28, v179
	v_bfe_u32 v140, v176, 24, 4
	v_bfe_u32 v162, v180, 8, 4
	;; [unrolled: 1-line block ×3, first 2 shown]
	v_lshrrev_b32_e32 v15, 4, v176
	v_add_nc_u32_e32 v101, 4, v101
	s_delay_alu instid0(VALU_DEP_2)
	v_lshrrev_b16 v15, 8, v15
	s_wait_dscnt 0x1
	v_ashrrev_i32_e32 v181, 24, v146
	s_wait_dscnt 0x0
	v_ashrrev_i32_e32 v196, 24, v185
	v_bfe_i32 v189, v146, 16, 8
	v_bfe_i32 v198, v185, 16, 8
	;; [unrolled: 1-line block ×3, first 2 shown]
	v_mul_i32_i24_e32 v112, v181, v134
	v_mul_i32_i24_e32 v113, v196, v124
	v_bfe_i32 v195, v185, 0, 8
	v_mul_i32_i24_e32 v114, v198, v122
	v_ashrrev_i32_e32 v201, 24, v147
	v_ashrrev_i32_e32 v205, 24, v186
	v_add3_u32 v125, v111, v112, v113
	v_bfe_u32 v111, v144, 16, 4
	v_mul_i32_i24_e32 v112, v139, v168
	v_mul_i32_i24_e32 v113, v189, v129
	;; [unrolled: 1-line block ×3, first 2 shown]
	v_bfe_i32 v200, v147, 0, 8
	v_bfe_i32 v204, v186, 0, 8
	v_mad_i32_i24 v112, v111, v73, v112
	v_bfe_i32 v206, v147, 16, 8
	v_bfe_i32 v207, v186, 16, 8
	;; [unrolled: 1-line block ×4, first 2 shown]
	v_add3_u32 v127, v112, v113, v114
	v_and_b32_e32 v112, 15, v144
	v_mul_i32_i24_e32 v113, v143, v121
	v_mul_i32_i24_e32 v114, v175, v132
	v_and_b32_e32 v15, 15, v15
	v_bfe_i32 v186, v186, 8, 8
	s_delay_alu instid0(VALU_DEP_4) | instskip(NEXT) | instid1(VALU_DEP_1)
	v_mad_i32_i24 v113, v112, v65, v113
	v_add3_u32 v128, v113, v114, v115
	v_and_b32_e32 v115, 15, v179
	v_bfe_u32 v114, v179, 24, 4
	s_delay_alu instid0(VALU_DEP_2) | instskip(NEXT) | instid1(VALU_DEP_2)
	v_mul_i32_i24_e32 v113, v65, v115
	v_mul_i32_i24_e32 v119, v74, v114
	s_delay_alu instid0(VALU_DEP_2) | instskip(SKIP_1) | instid1(VALU_DEP_1)
	v_mad_i32_i24 v117, v105, v116, v113
	v_bfe_u32 v113, v179, 16, 4
	v_mul_i32_i24_e32 v118, v73, v113
	s_delay_alu instid0(VALU_DEP_1)
	v_add3_u32 v130, v117, v118, v119
	v_add_nc_u32_e32 v117, 0x3180, v104
	v_add_nc_u32_e32 v118, 0x3188, v104
	;; [unrolled: 1-line block ×3, first 2 shown]
	ds_load_2addr_b32 v[187:188], v117 offset1:1
	ds_load_2addr_b32 v[237:238], v118 offset1:1
	;; [unrolled: 1-line block ×3, first 2 shown]
	s_wait_dscnt 0x2
	v_and_b32_e32 v119, 15, v187
	v_bfe_u32 v117, v187, 16, 4
	v_bfe_u32 v118, v187, 24, 4
	;; [unrolled: 1-line block ×4, first 2 shown]
	v_mul_i32_i24_e32 v65, v65, v119
	v_mul_i32_i24_e32 v73, v73, v117
	v_mul_i32_i24_e32 v74, v74, v118
	v_bfe_u32 v157, v187, 4, 4
	v_bfe_u32 v160, v187, 20, 4
	v_mad_i32_i24 v65, v105, v120, v65
	v_lshrrev_b32_e32 v161, 28, v187
	s_wait_dscnt 0x0
	v_bfe_i32 v192, v190, 8, 8
	v_ashrrev_i32_e32 v197, 24, v190
	v_bfe_u32 v165, v188, 8, 4
	v_add3_u32 v65, v65, v73, v74
	v_add_nc_u32_e32 v73, 0x400, v98
	v_bfe_u32 v166, v188, 24, 4
	v_bfe_i32 v187, v146, 8, 8
	v_bfe_i32 v202, v190, 0, 8
	;; [unrolled: 1-line block ×3, first 2 shown]
	ds_load_2addr_b32 v[231:232], v73 offset0:4 offset1:7
	v_lshrrev_b32_e32 v185, 28, v188
	v_bfe_i32 v222, v191, 8, 8
	v_ashrrev_i32_e32 v223, 24, v191
	v_bfe_i32 v227, v191, 16, 8
	v_bfe_u32 v229, v237, 12, 4
	v_bfe_u32 v230, v238, 8, 4
	s_wait_dscnt 0x0
	v_bfe_i32 v74, v231, 8, 8
	v_bfe_i32 v182, v231, 0, 8
	;; [unrolled: 1-line block ×3, first 2 shown]
	v_ashrrev_i32_e32 v184, 24, v231
	v_bfe_u32 v231, v238, 24, 4
	v_mul_i32_i24_e32 v131, v74, v142
	v_bfe_i32 v246, v232, 0, 8
	v_mul_i32_i24_e32 v133, v183, v150
	v_mul_i32_i24_e32 v135, v184, v149
	;; [unrolled: 1-line block ×3, first 2 shown]
	v_mad_i32_i24 v131, v182, v141, v131
	v_ashrrev_i32_e32 v247, 24, v232
	s_delay_alu instid0(VALU_DEP_2) | instskip(SKIP_2) | instid1(VALU_DEP_2)
	v_add3_u32 v133, v131, v133, v135
	v_mul_i32_i24_e32 v131, v74, v152
	v_mul_i32_i24_e32 v135, v183, v154
	v_mad_i32_i24 v131, v182, v151, v131
	s_delay_alu instid0(VALU_DEP_1) | instskip(SKIP_3) | instid1(VALU_DEP_3)
	v_add3_u32 v148, v131, v135, v137
	v_mul_i32_i24_e32 v131, v74, v158
	v_mul_i32_i24_e32 v135, v183, v160
	;; [unrolled: 1-line block ×3, first 2 shown]
	v_mad_i32_i24 v131, v182, v157, v131
	s_delay_alu instid0(VALU_DEP_1) | instskip(SKIP_2) | instid1(VALU_DEP_1)
	v_add3_u32 v153, v131, v135, v137
	v_mul_i32_i24_e32 v131, v168, v150
	v_mul_i32_i24_e32 v135, v170, v149
	v_add3_u32 v123, v123, v131, v135
	v_lshrrev_b32_e32 v131, 28, v176
	v_mul_i32_i24_e32 v135, v201, v140
	s_delay_alu instid0(VALU_DEP_2) | instskip(NEXT) | instid1(VALU_DEP_1)
	v_mul_i32_i24_e32 v137, v205, v131
	v_add3_u32 v125, v125, v135, v137
	v_and_b32_e32 v137, 15, v176
	v_bfe_u32 v135, v176, 4, 4
	s_delay_alu instid0(VALU_DEP_2) | instskip(NEXT) | instid1(VALU_DEP_2)
	v_mul_i32_i24_e32 v138, v200, v137
	v_mul_i32_i24_e32 v156, v204, v135
	s_delay_alu instid0(VALU_DEP_1) | instskip(SKIP_2) | instid1(VALU_DEP_2)
	v_add3_u32 v171, v128, v138, v156
	v_bfe_u32 v138, v176, 16, 4
	v_bfe_u32 v128, v176, 20, 4
	v_mul_i32_i24_e32 v156, v206, v138
	s_delay_alu instid0(VALU_DEP_2) | instskip(NEXT) | instid1(VALU_DEP_1)
	v_mul_i32_i24_e32 v159, v207, v128
	v_add3_u32 v172, v127, v156, v159
	v_mul_i32_i24_e32 v127, v121, v151
	v_mul_i32_i24_e32 v156, v66, v152
	;; [unrolled: 1-line block ×3, first 2 shown]
	v_bfe_u32 v159, v167, 8, 4
	s_delay_alu instid0(VALU_DEP_3) | instskip(SKIP_2) | instid1(VALU_DEP_2)
	v_add3_u32 v173, v130, v156, v127
	v_mul_i32_i24_e32 v127, v66, v158
	v_bfe_u32 v156, v167, 24, 4
	v_add3_u32 v65, v65, v127, v121
	v_mul_i32_i24_e32 v121, v192, v159
	s_delay_alu instid0(VALU_DEP_3) | instskip(NEXT) | instid1(VALU_DEP_1)
	v_mul_i32_i24_e32 v127, v197, v156
	v_add3_u32 v174, v133, v127, v121
	v_mul_i32_i24_e32 v121, v192, v162
	v_mul_i32_i24_e32 v127, v197, v163
	v_bfe_u32 v133, v177, 24, 4
	s_delay_alu instid0(VALU_DEP_2) | instskip(SKIP_2) | instid1(VALU_DEP_1)
	v_add3_u32 v178, v148, v127, v121
	v_mul_i32_i24_e32 v121, v192, v165
	v_mul_i32_i24_e32 v127, v197, v166
	v_add3_u32 v179, v153, v127, v121
	v_and_b32_e32 v153, 15, v167
	v_mul_i32_i24_e32 v121, v187, v159
	s_delay_alu instid0(VALU_DEP_2) | instskip(NEXT) | instid1(VALU_DEP_1)
	v_mul_i32_i24_e32 v127, v175, v153
	v_add3_u32 v146, v123, v121, v127
	v_lshrrev_b32_e32 v123, 4, v144
	v_and_b32_e32 v121, 0xf0f0f0f, v144
	v_and_b32_e32 v127, 0xf0f0f0f, v145
	v_lshrrev_b32_e32 v145, 4, v145
	s_delay_alu instid0(VALU_DEP_4) | instskip(NEXT) | instid1(VALU_DEP_4)
	v_lshrrev_b16 v123, 8, v123
	v_lshrrev_b16 v121, 8, v121
	s_delay_alu instid0(VALU_DEP_4) | instskip(NEXT) | instid1(VALU_DEP_4)
	v_lshrrev_b16 v127, 8, v127
	v_lshrrev_b16 v145, 8, v145
	s_delay_alu instid0(VALU_DEP_4) | instskip(NEXT) | instid1(VALU_DEP_4)
	v_and_b32_e32 v123, 15, v123
	v_and_b32_e32 v121, 0xffff, v121
	s_delay_alu instid0(VALU_DEP_4) | instskip(NEXT) | instid1(VALU_DEP_4)
	v_and_b32_e32 v148, 0xffff, v127
	v_and_b32_e32 v145, 15, v145
	s_delay_alu instid0(VALU_DEP_4) | instskip(NEXT) | instid1(VALU_DEP_4)
	v_and_b32_e32 v164, 0xffff, v123
	v_mul_i32_i24_e32 v105, v121, v105
	s_delay_alu instid0(VALU_DEP_4) | instskip(NEXT) | instid1(VALU_DEP_4)
	v_mul_i32_i24_e32 v123, v187, v148
	v_and_b32_e32 v147, 0xffff, v145
	s_delay_alu instid0(VALU_DEP_4) | instskip(SKIP_1) | instid1(VALU_DEP_2)
	v_mul_i32_i24_e32 v66, v164, v66
	v_mul_i32_i24_e32 v74, v164, v74
	v_add3_u32 v66, v105, v66, v123
	v_lshrrev_b32_e32 v123, 28, v177
	v_mul_i32_i24_e32 v105, v212, v133
	s_delay_alu instid0(VALU_DEP_4) | instskip(SKIP_1) | instid1(VALU_DEP_4)
	v_mad_i32_i24 v74, v143, v182, v74
	v_bfe_u32 v182, v180, 4, 4
	v_mul_i32_i24_e32 v127, v240, v123
	s_delay_alu instid0(VALU_DEP_1) | instskip(SKIP_2) | instid1(VALU_DEP_2)
	v_add3_u32 v199, v125, v105, v127
	v_bfe_u32 v127, v177, 16, 4
	v_bfe_u32 v105, v177, 20, 4
	v_mul_i32_i24_e32 v125, v233, v127
	s_delay_alu instid0(VALU_DEP_2) | instskip(NEXT) | instid1(VALU_DEP_1)
	v_mul_i32_i24_e32 v130, v241, v105
	v_add3_u32 v208, v172, v125, v130
	v_and_b32_e32 v130, 15, v177
	v_bfe_u32 v125, v177, 4, 4
	s_delay_alu instid0(VALU_DEP_2) | instskip(NEXT) | instid1(VALU_DEP_2)
	v_mul_i32_i24_e32 v144, v213, v130
	v_mul_i32_i24_e32 v172, v242, v125
	s_delay_alu instid0(VALU_DEP_1)
	v_add3_u32 v209, v171, v144, v172
	v_mul_i32_i24_e32 v144, v168, v154
	v_mul_i32_i24_e32 v171, v170, v155
	;; [unrolled: 1-line block ×4, first 2 shown]
	v_bfe_u32 v172, v180, 16, 4
	s_delay_alu instid0(VALU_DEP_4) | instskip(NEXT) | instid1(VALU_DEP_3)
	v_add3_u32 v144, v173, v144, v171
	v_add3_u32 v65, v65, v168, v170
	v_bfe_u32 v170, v167, 16, 4
	v_mul_i32_i24_e32 v168, v202, v153
	s_delay_alu instid0(VALU_DEP_2) | instskip(NEXT) | instid1(VALU_DEP_1)
	v_mul_i32_i24_e32 v171, v203, v170
	v_add3_u32 v168, v174, v168, v171
	v_and_b32_e32 v171, 15, v180
	v_mul_i32_i24_e32 v174, v203, v172
	s_delay_alu instid0(VALU_DEP_2) | instskip(NEXT) | instid1(VALU_DEP_1)
	v_mul_i32_i24_e32 v173, v202, v171
	v_add3_u32 v190, v178, v173, v174
	v_and_b32_e32 v173, 15, v188
	v_bfe_u32 v174, v188, 16, 4
	s_delay_alu instid0(VALU_DEP_2) | instskip(NEXT) | instid1(VALU_DEP_2)
	v_mul_i32_i24_e32 v178, v202, v173
	v_mul_i32_i24_e32 v193, v203, v174
	s_delay_alu instid0(VALU_DEP_1) | instskip(SKIP_2) | instid1(VALU_DEP_1)
	v_add3_u32 v210, v179, v178, v193
	v_mul_i32_i24_e32 v178, v189, v170
	v_mul_i32_i24_e32 v179, v181, v156
	v_add3_u32 v211, v146, v178, v179
	v_and_b32_e32 v146, 0xf0f0f0f, v176
	v_mul_i32_i24_e32 v178, v215, v147
	v_bfe_u32 v179, v167, 4, 4
	s_delay_alu instid0(VALU_DEP_3) | instskip(NEXT) | instid1(VALU_DEP_1)
	v_lshrrev_b16 v146, 8, v146
	v_and_b32_e32 v146, 0xffff, v146
	s_delay_alu instid0(VALU_DEP_1) | instskip(NEXT) | instid1(VALU_DEP_1)
	v_mul_i32_i24_e32 v145, v214, v146
	v_add3_u32 v66, v66, v178, v145
	v_mul_i32_i24_e32 v145, v175, v171
	v_mul_i32_i24_e32 v178, v187, v162
	s_delay_alu instid0(VALU_DEP_1)
	v_add3_u32 v216, v144, v178, v145
	v_mul_i32_i24_e32 v144, v175, v173
	v_mul_i32_i24_e32 v145, v187, v165
	v_lshrrev_b32_e32 v178, 28, v167
	v_bfe_u32 v175, v167, 12, 4
	v_bfe_u32 v187, v167, 20, 4
	s_delay_alu instid0(VALU_DEP_4)
	v_add3_u32 v65, v65, v145, v144
	v_add_nc_u32_e32 v144, 0x414, v98
	ds_load_2addr_b32 v[193:194], v144 offset1:1
	s_wait_dscnt 0x0
	v_bfe_i32 v217, v193, 0, 8
	v_ashrrev_i32_e32 v218, 24, v193
	v_bfe_i32 v234, v194, 0, 8
	v_ashrrev_i32_e32 v235, 24, v194
	v_bfe_i32 v236, v194, 8, 8
	v_mul_i32_i24_e32 v144, v217, v179
	v_mul_i32_i24_e32 v145, v218, v178
	v_bfe_i32 v239, v194, 16, 8
	s_delay_alu instid0(VALU_DEP_2) | instskip(SKIP_4) | instid1(VALU_DEP_3)
	v_add3_u32 v168, v168, v145, v144
	v_mul_i32_i24_e32 v144, v139, v183
	v_mul_i32_i24_e32 v145, v136, v184
	v_lshrrev_b32_e32 v183, 28, v180
	v_bfe_u32 v184, v188, 4, 4
	v_add3_u32 v74, v74, v144, v145
	v_mul_i32_i24_e32 v144, v217, v182
	s_delay_alu instid0(VALU_DEP_4) | instskip(NEXT) | instid1(VALU_DEP_1)
	v_mul_i32_i24_e32 v145, v218, v183
	v_add3_u32 v219, v190, v145, v144
	v_mul_i32_i24_e32 v144, v217, v184
	v_mul_i32_i24_e32 v145, v218, v185
	v_bfe_u32 v190, v180, 12, 4
	s_delay_alu instid0(VALU_DEP_2) | instskip(SKIP_2) | instid1(VALU_DEP_1)
	v_add3_u32 v210, v210, v145, v144
	v_mul_i32_i24_e32 v144, v195, v179
	v_mul_i32_i24_e32 v145, v215, v175
	v_add3_u32 v211, v211, v144, v145
	v_and_b32_e32 v144, 0xf0f0f0f, v177
	v_and_b32_e32 v145, 0xffff, v15
	s_delay_alu instid0(VALU_DEP_2) | instskip(NEXT) | instid1(VALU_DEP_2)
	v_lshrrev_b16 v144, 8, v144
	v_mul_i32_i24_e32 v176, v186, v145
	s_delay_alu instid0(VALU_DEP_2) | instskip(NEXT) | instid1(VALU_DEP_1)
	v_and_b32_e32 v144, 0xffff, v144
	v_mul_i32_i24_e32 v15, v226, v144
	s_delay_alu instid0(VALU_DEP_1) | instskip(SKIP_3) | instid1(VALU_DEP_2)
	v_add3_u32 v66, v66, v176, v15
	v_mul_i32_i24_e32 v15, v189, v172
	v_mul_i32_i24_e32 v176, v181, v163
	;; [unrolled: 1-line block ×3, first 2 shown]
	v_add3_u32 v176, v216, v15, v176
	v_mul_i32_i24_e32 v15, v189, v174
	v_bfe_i32 v216, v193, 16, 8
	v_bfe_u32 v189, v180, 20, 4
	s_delay_alu instid0(VALU_DEP_3) | instskip(SKIP_1) | instid1(VALU_DEP_4)
	v_add3_u32 v65, v65, v15, v181
	v_bfe_i32 v181, v193, 8, 8
	v_mul_i32_i24_e32 v167, v216, v187
	v_bfe_u32 v193, v188, 12, 4
	s_delay_alu instid0(VALU_DEP_3) | instskip(NEXT) | instid1(VALU_DEP_1)
	v_mul_i32_i24_e32 v15, v181, v175
	v_add3_u32 v220, v168, v15, v167
	v_mul_i32_i24_e32 v15, v197, v134
	v_mul_i32_i24_e32 v167, v192, v148
	v_bfe_u32 v192, v188, 20, 4
	v_mul_i32_i24_e32 v168, v215, v190
	s_delay_alu instid0(VALU_DEP_3) | instskip(SKIP_2) | instid1(VALU_DEP_1)
	v_add3_u32 v74, v74, v15, v167
	v_mul_i32_i24_e32 v15, v181, v190
	v_mul_i32_i24_e32 v167, v216, v189
	v_add3_u32 v180, v219, v15, v167
	v_mul_i32_i24_e32 v15, v181, v193
	v_mul_i32_i24_e32 v167, v216, v192
	;; [unrolled: 1-line block ×3, first 2 shown]
	s_delay_alu instid0(VALU_DEP_2) | instskip(SKIP_2) | instid1(VALU_DEP_1)
	v_add3_u32 v188, v210, v15, v167
	v_mul_i32_i24_e32 v15, v198, v187
	v_mul_i32_i24_e32 v167, v196, v178
	v_add3_u32 v219, v211, v15, v167
	v_lshrrev_b32_e32 v15, 4, v177
	s_delay_alu instid0(VALU_DEP_1) | instskip(NEXT) | instid1(VALU_DEP_1)
	v_lshrrev_b16 v15, 8, v15
	v_and_b32_e32 v15, 15, v15
	s_delay_alu instid0(VALU_DEP_1) | instskip(NEXT) | instid1(VALU_DEP_1)
	v_and_b32_e32 v15, 0xffff, v15
	v_mul_i32_i24_e32 v167, v169, v15
	s_delay_alu instid0(VALU_DEP_1) | instskip(SKIP_1) | instid1(VALU_DEP_2)
	v_add3_u32 v66, v66, v167, v199
	v_mul_i32_i24_e32 v167, v195, v182
	v_add3_u32 v66, v209, v208, v66
	s_delay_alu instid0(VALU_DEP_2)
	v_add3_u32 v199, v176, v167, v168
	v_mul_i32_i24_e32 v167, v195, v184
	v_mul_i32_i24_e32 v168, v215, v193
	;; [unrolled: 1-line block ×6, first 2 shown]
	v_add3_u32 v65, v65, v167, v168
	ds_load_2addr_b32 v[167:168], v104 offset0:2 offset1:3
	v_add3_u32 v225, v199, v208, v209
	v_mul_i32_i24_e32 v208, v218, v124
	v_cvt_f32_i32_e32 v66, v66
	v_add3_u32 v65, v65, v198, v196
	v_bfe_i32 v196, v191, 0, 8
	s_wait_dscnt 0x0
	v_bfe_u32 v197, v167, 8, 4
	v_bfe_u32 v195, v167, 24, 4
	;; [unrolled: 1-line block ×3, first 2 shown]
	s_delay_alu instid0(VALU_DEP_3) | instskip(NEXT) | instid1(VALU_DEP_3)
	v_mul_i32_i24_e32 v176, v222, v197
	v_mul_i32_i24_e32 v177, v223, v195
	s_delay_alu instid0(VALU_DEP_3) | instskip(NEXT) | instid1(VALU_DEP_2)
	v_mul_i32_i24_e32 v198, v227, v199
	v_add3_u32 v215, v220, v177, v176
	v_mul_i32_i24_e32 v176, v202, v132
	v_mul_i32_i24_e32 v177, v203, v129
	s_delay_alu instid0(VALU_DEP_1)
	v_add3_u32 v74, v74, v176, v177
	v_add_nc_u32_e32 v176, 0x2108, v104
	v_add_nc_u32_e32 v104, 16, v104
	ds_load_2addr_b32 v[176:177], v176 offset1:1
	s_wait_dscnt 0x0
	v_bfe_u32 v202, v176, 8, 4
	v_bfe_u32 v203, v176, 24, 4
	;; [unrolled: 1-line block ×3, first 2 shown]
	s_delay_alu instid0(VALU_DEP_3) | instskip(NEXT) | instid1(VALU_DEP_3)
	v_mul_i32_i24_e32 v210, v222, v202
	v_mul_i32_i24_e32 v211, v223, v203
	s_delay_alu instid0(VALU_DEP_1) | instskip(SKIP_2) | instid1(VALU_DEP_2)
	v_add3_u32 v180, v180, v211, v210
	v_bfe_u32 v210, v237, 8, 4
	v_bfe_u32 v211, v237, 24, 4
	v_mul_i32_i24_e32 v220, v222, v210
	s_delay_alu instid0(VALU_DEP_2) | instskip(NEXT) | instid1(VALU_DEP_1)
	v_mul_i32_i24_e32 v221, v223, v211
	v_add3_u32 v224, v188, v221, v220
	v_and_b32_e32 v188, 15, v167
	v_mul_i32_i24_e32 v220, v214, v197
	s_delay_alu instid0(VALU_DEP_2) | instskip(SKIP_1) | instid1(VALU_DEP_2)
	v_mul_i32_i24_e32 v191, v196, v188
	v_mul_i32_i24_e32 v221, v200, v188
	v_add3_u32 v191, v215, v191, v198
	v_mul_i32_i24_e32 v198, v217, v126
	s_delay_alu instid0(VALU_DEP_3)
	v_add3_u32 v219, v219, v220, v221
	v_mul_i32_i24_e32 v215, v227, v209
	v_and_b32_e32 v220, 15, v237
	v_bfe_u32 v221, v237, 16, 4
	v_add3_u32 v74, v74, v208, v198
	v_and_b32_e32 v208, 15, v176
	s_delay_alu instid0(VALU_DEP_1) | instskip(NEXT) | instid1(VALU_DEP_1)
	v_mul_i32_i24_e32 v198, v196, v208
	v_add3_u32 v180, v180, v198, v215
	v_mul_i32_i24_e32 v198, v196, v220
	v_mul_i32_i24_e32 v215, v227, v221
	;; [unrolled: 1-line block ×3, first 2 shown]
	s_delay_alu instid0(VALU_DEP_2) | instskip(SKIP_3) | instid1(VALU_DEP_2)
	v_add3_u32 v217, v224, v198, v215
	v_mul_i32_i24_e32 v198, v206, v199
	v_mul_i32_i24_e32 v215, v201, v195
	v_bfe_u32 v224, v237, 4, 4
	v_add3_u32 v218, v219, v198, v215
	v_mul_i32_i24_e32 v198, v200, v208
	v_mul_i32_i24_e32 v215, v214, v202
	s_delay_alu instid0(VALU_DEP_1) | instskip(SKIP_3) | instid1(VALU_DEP_2)
	v_add3_u32 v219, v225, v215, v198
	v_mul_i32_i24_e32 v198, v200, v220
	v_mul_i32_i24_e32 v200, v214, v210
	v_lshrrev_b32_e32 v225, 28, v237
	v_add3_u32 v65, v65, v200, v198
	v_bfe_u32 v200, v167, 4, 4
	v_lshrrev_b32_e32 v198, 28, v167
	s_delay_alu instid0(VALU_DEP_2) | instskip(NEXT) | instid1(VALU_DEP_2)
	v_mul_i32_i24_e32 v214, v234, v200
	v_mul_i32_i24_e32 v215, v235, v198
	s_delay_alu instid0(VALU_DEP_1) | instskip(SKIP_4) | instid1(VALU_DEP_4)
	v_add3_u32 v228, v191, v215, v214
	v_mul_i32_i24_e32 v191, v216, v122
	v_bfe_u32 v214, v176, 4, 4
	v_lshrrev_b32_e32 v215, 28, v176
	v_mul_i32_i24_e32 v216, v204, v200
	v_add3_u32 v74, v74, v181, v191
	s_delay_alu instid0(VALU_DEP_4) | instskip(NEXT) | instid1(VALU_DEP_4)
	v_mul_i32_i24_e32 v181, v234, v214
	v_mul_i32_i24_e32 v191, v235, v215
	s_delay_alu instid0(VALU_DEP_1) | instskip(SKIP_2) | instid1(VALU_DEP_1)
	v_add3_u32 v180, v180, v191, v181
	v_mul_i32_i24_e32 v181, v234, v224
	v_mul_i32_i24_e32 v191, v235, v225
	v_add3_u32 v181, v217, v191, v181
	v_bfe_u32 v191, v167, 12, 4
	s_delay_alu instid0(VALU_DEP_1) | instskip(NEXT) | instid1(VALU_DEP_1)
	v_mul_i32_i24_e32 v217, v186, v191
	v_add3_u32 v218, v218, v216, v217
	v_mul_i32_i24_e32 v216, v206, v209
	v_mul_i32_i24_e32 v217, v201, v203
	;; [unrolled: 1-line block ×4, first 2 shown]
	s_delay_alu instid0(VALU_DEP_3) | instskip(SKIP_1) | instid1(VALU_DEP_3)
	v_add3_u32 v219, v219, v216, v217
	v_bfe_u32 v217, v176, 12, 4
	v_add3_u32 v65, v65, v206, v201
	v_bfe_u32 v206, v167, 20, 4
	v_mul_i32_i24_e32 v167, v236, v191
	v_mul_i32_i24_e32 v201, v222, v146
	v_bfe_u32 v216, v176, 20, 4
	v_mul_i32_i24_e32 v176, v236, v217
	v_mul_i32_i24_e32 v194, v239, v206
	s_delay_alu instid0(VALU_DEP_1) | instskip(SKIP_2) | instid1(VALU_DEP_2)
	v_add3_u32 v167, v228, v167, v194
	v_mul_i32_i24_e32 v194, v223, v140
	v_bfe_u32 v228, v237, 20, 4
	v_add3_u32 v74, v74, v194, v201
	v_mul_i32_i24_e32 v194, v239, v216
	v_bfe_u32 v201, v168, 24, 4
	s_delay_alu instid0(VALU_DEP_2) | instskip(SKIP_2) | instid1(VALU_DEP_1)
	v_add3_u32 v176, v180, v176, v194
	v_mul_i32_i24_e32 v180, v236, v229
	v_mul_i32_i24_e32 v194, v239, v228
	v_add3_u32 v194, v181, v180, v194
	v_mul_i32_i24_e32 v180, v207, v206
	v_mul_i32_i24_e32 v181, v205, v198
	s_delay_alu instid0(VALU_DEP_1) | instskip(SKIP_2) | instid1(VALU_DEP_1)
	v_add3_u32 v222, v218, v180, v181
	v_mul_i32_i24_e32 v180, v204, v214
	v_mul_i32_i24_e32 v181, v186, v217
	v_add3_u32 v223, v219, v180, v181
	v_mul_i32_i24_e32 v180, v204, v224
	v_mul_i32_i24_e32 v181, v186, v229
	v_bfe_u32 v204, v168, 8, 4
	s_delay_alu instid0(VALU_DEP_2)
	v_add3_u32 v65, v65, v180, v181
	ds_load_2addr_b32 v[180:181], v73 offset1:3
	s_wait_dscnt 0x0
	v_bfe_i32 v73, v181, 8, 8
	v_ashrrev_i32_e32 v186, 24, v181
	v_bfe_i32 v243, v181, 0, 8
	v_bfe_i32 v181, v181, 16, 8
	s_delay_alu instid0(VALU_DEP_4) | instskip(NEXT) | instid1(VALU_DEP_4)
	v_mul_i32_i24_e32 v218, v73, v204
	v_mul_i32_i24_e32 v219, v186, v201
	s_delay_alu instid0(VALU_DEP_1) | instskip(SKIP_2) | instid1(VALU_DEP_2)
	v_add3_u32 v167, v167, v219, v218
	v_mul_i32_i24_e32 v218, v227, v138
	v_bfe_u32 v219, v177, 24, 4
	v_add3_u32 v74, v74, v196, v218
	v_bfe_u32 v218, v177, 8, 4
	s_delay_alu instid0(VALU_DEP_3) | instskip(NEXT) | instid1(VALU_DEP_2)
	v_mul_i32_i24_e32 v227, v186, v219
	v_mul_i32_i24_e32 v196, v73, v218
	s_delay_alu instid0(VALU_DEP_1) | instskip(SKIP_4) | instid1(VALU_DEP_3)
	v_add3_u32 v176, v176, v227, v196
	v_mul_i32_i24_e32 v196, v73, v230
	v_mul_i32_i24_e32 v227, v186, v231
	;; [unrolled: 1-line block ×4, first 2 shown]
	v_add3_u32 v196, v194, v227, v196
	v_and_b32_e32 v194, 15, v168
	v_mul_i32_i24_e32 v227, v226, v204
	s_delay_alu instid0(VALU_DEP_2) | instskip(NEXT) | instid1(VALU_DEP_1)
	v_mul_i32_i24_e32 v237, v213, v194
	v_add3_u32 v227, v222, v227, v237
	v_mul_i32_i24_e32 v222, v207, v216
	v_mul_i32_i24_e32 v237, v205, v215
	;; [unrolled: 1-line block ×4, first 2 shown]
	s_delay_alu instid0(VALU_DEP_3) | instskip(SKIP_1) | instid1(VALU_DEP_3)
	v_add3_u32 v237, v223, v222, v237
	v_bfe_u32 v223, v177, 16, 4
	v_add3_u32 v65, v65, v207, v205
	v_bfe_u32 v205, v168, 16, 4
	v_mul_i32_i24_e32 v207, v243, v194
	s_delay_alu instid0(VALU_DEP_2) | instskip(NEXT) | instid1(VALU_DEP_1)
	v_mul_i32_i24_e32 v222, v181, v205
	v_add3_u32 v167, v167, v207, v222
	v_mul_i32_i24_e32 v207, v234, v135
	v_mul_i32_i24_e32 v222, v235, v131
	;; [unrolled: 1-line block ×3, first 2 shown]
	v_bfe_u32 v235, v238, 16, 4
	s_delay_alu instid0(VALU_DEP_3) | instskip(SKIP_1) | instid1(VALU_DEP_3)
	v_add3_u32 v74, v74, v222, v207
	v_and_b32_e32 v222, 15, v177
	v_mul_i32_i24_e32 v244, v181, v235
	v_mul_i32_i24_e32 v181, v181, v127
	s_delay_alu instid0(VALU_DEP_3) | instskip(NEXT) | instid1(VALU_DEP_1)
	v_mul_i32_i24_e32 v207, v243, v222
	v_add3_u32 v176, v176, v207, v234
	v_and_b32_e32 v234, 15, v238
	s_delay_alu instid0(VALU_DEP_1) | instskip(SKIP_1) | instid1(VALU_DEP_2)
	v_mul_i32_i24_e32 v207, v243, v234
	v_mul_i32_i24_e32 v243, v243, v130
	v_add3_u32 v196, v196, v207, v244
	v_mul_i32_i24_e32 v207, v233, v205
	v_mul_i32_i24_e32 v244, v212, v201
	s_delay_alu instid0(VALU_DEP_1) | instskip(SKIP_2) | instid1(VALU_DEP_1)
	v_add3_u32 v244, v227, v207, v244
	v_mul_i32_i24_e32 v207, v213, v222
	v_mul_i32_i24_e32 v227, v226, v218
	v_add3_u32 v245, v237, v227, v207
	v_mul_i32_i24_e32 v207, v213, v234
	v_mul_i32_i24_e32 v213, v226, v230
	s_delay_alu instid0(VALU_DEP_1) | instskip(SKIP_2) | instid1(VALU_DEP_2)
	v_add3_u32 v65, v65, v213, v207
	v_bfe_u32 v213, v168, 4, 4
	v_lshrrev_b32_e32 v207, 28, v168
	v_mul_i32_i24_e32 v226, v246, v213
	s_delay_alu instid0(VALU_DEP_2) | instskip(NEXT) | instid1(VALU_DEP_1)
	v_mul_i32_i24_e32 v227, v247, v207
	v_add3_u32 v167, v167, v227, v226
	v_mul_i32_i24_e32 v226, v239, v128
	v_mul_i32_i24_e32 v227, v236, v145
	s_delay_alu instid0(VALU_DEP_1) | instskip(SKIP_2) | instid1(VALU_DEP_3)
	v_add3_u32 v74, v74, v227, v226
	v_bfe_u32 v226, v177, 4, 4
	v_lshrrev_b32_e32 v227, 28, v177
	v_add3_u32 v73, v74, v186, v73
	s_delay_alu instid0(VALU_DEP_3) | instskip(NEXT) | instid1(VALU_DEP_3)
	v_mul_i32_i24_e32 v236, v246, v226
	v_mul_i32_i24_e32 v237, v247, v227
	s_delay_alu instid0(VALU_DEP_3) | instskip(NEXT) | instid1(VALU_DEP_2)
	v_add3_u32 v73, v73, v243, v181
	v_add3_u32 v176, v176, v237, v236
	v_bfe_u32 v236, v238, 4, 4
	v_lshrrev_b32_e32 v237, 28, v238
	s_delay_alu instid0(VALU_DEP_2) | instskip(NEXT) | instid1(VALU_DEP_2)
	v_mul_i32_i24_e32 v239, v246, v236
	v_mul_i32_i24_e32 v248, v247, v237
	s_delay_alu instid0(VALU_DEP_1) | instskip(SKIP_2) | instid1(VALU_DEP_2)
	v_add3_u32 v248, v196, v248, v239
	v_bfe_u32 v196, v168, 12, 4
	v_mul_i32_i24_e32 v239, v242, v213
	v_mul_i32_i24_e32 v249, v169, v196
	s_delay_alu instid0(VALU_DEP_1) | instskip(SKIP_4) | instid1(VALU_DEP_3)
	v_add3_u32 v244, v244, v239, v249
	v_mul_i32_i24_e32 v239, v233, v223
	v_mul_i32_i24_e32 v249, v212, v219
	;; [unrolled: 1-line block ×4, first 2 shown]
	v_add3_u32 v245, v245, v239, v249
	v_bfe_i32 v249, v232, 16, 8
	s_delay_alu instid0(VALU_DEP_3) | instskip(SKIP_4) | instid1(VALU_DEP_4)
	v_add3_u32 v65, v65, v233, v212
	v_bfe_u32 v212, v168, 20, 4
	v_bfe_i32 v168, v232, 8, 8
	v_bfe_u32 v239, v238, 12, 4
	v_bfe_u32 v238, v238, 20, 4
	v_mul_i32_i24_e32 v233, v249, v212
	s_delay_alu instid0(VALU_DEP_4) | instskip(NEXT) | instid1(VALU_DEP_1)
	v_mul_i32_i24_e32 v232, v168, v196
	v_add3_u32 v167, v167, v232, v233
	v_bfe_u32 v233, v177, 12, 4
	v_bfe_u32 v232, v177, 20, 4
	s_delay_alu instid0(VALU_DEP_2) | instskip(NEXT) | instid1(VALU_DEP_2)
	v_mul_i32_i24_e32 v74, v168, v233
	v_mul_i32_i24_e32 v177, v249, v232
	v_mul_i32_i24_e32 v186, v169, v233
	v_mul_i32_i24_e32 v169, v169, v239
	s_delay_alu instid0(VALU_DEP_3) | instskip(SKIP_3) | instid1(VALU_DEP_2)
	v_add3_u32 v74, v176, v74, v177
	v_mul_i32_i24_e32 v176, v168, v239
	v_mul_i32_i24_e32 v177, v249, v238
	;; [unrolled: 1-line block ×3, first 2 shown]
	v_add3_u32 v176, v248, v176, v177
	v_mul_i32_i24_e32 v177, v242, v226
	v_add_nc_u32_e32 v248, 0xc04, v98
	s_delay_alu instid0(VALU_DEP_2) | instskip(SKIP_1) | instid1(VALU_DEP_1)
	v_add3_u32 v177, v245, v177, v186
	v_mul_i32_i24_e32 v186, v242, v236
	v_add3_u32 v65, v65, v186, v169
	v_bfe_i32 v169, v180, 0, 8
	v_bfe_i32 v186, v180, 8, 8
	s_delay_alu instid0(VALU_DEP_2) | instskip(NEXT) | instid1(VALU_DEP_2)
	v_mul_i32_i24_e32 v181, v169, v115
	v_mul_i32_i24_e32 v243, v186, v116
	;; [unrolled: 1-line block ×4, first 2 shown]
	s_delay_alu instid0(VALU_DEP_3) | instskip(SKIP_2) | instid1(VALU_DEP_4)
	v_add3_u32 v74, v74, v181, v243
	v_mul_i32_i24_e32 v181, v169, v119
	v_mul_i32_i24_e32 v243, v186, v120
	v_add3_u32 v167, v167, v242, v245
	v_mul_i32_i24_e32 v245, v240, v207
	v_mul_i32_i24_e32 v242, v241, v212
	s_delay_alu instid0(VALU_DEP_4) | instskip(SKIP_4) | instid1(VALU_DEP_3)
	v_add3_u32 v176, v176, v181, v243
	v_mul_i32_i24_e32 v181, v241, v232
	v_mul_i32_i24_e32 v243, v240, v227
	;; [unrolled: 1-line block ×3, first 2 shown]
	v_add3_u32 v242, v244, v242, v245
	v_add3_u32 v177, v177, v181, v243
	v_mul_i32_i24_e32 v181, v241, v238
	s_delay_alu instid0(VALU_DEP_1) | instskip(SKIP_2) | instid1(VALU_DEP_3)
	v_add3_u32 v65, v65, v181, v240
	v_bfe_i32 v181, v180, 16, 8
	v_ashrrev_i32_e32 v180, 24, v180
	v_cvt_f32_i32_e32 v65, v65
	s_delay_alu instid0(VALU_DEP_3) | instskip(NEXT) | instid1(VALU_DEP_3)
	v_mul_i32_i24_e32 v240, v181, v106
	v_mul_i32_i24_e32 v241, v180, v107
	s_delay_alu instid0(VALU_DEP_1) | instskip(SKIP_2) | instid1(VALU_DEP_1)
	v_add3_u32 v240, v167, v240, v241
	v_mul_i32_i24_e32 v167, v246, v125
	v_mul_i32_i24_e32 v241, v247, v123
	v_add3_u32 v73, v73, v241, v167
	v_mul_i32_i24_e32 v167, v181, v113
	v_mul_i32_i24_e32 v241, v180, v114
	s_delay_alu instid0(VALU_DEP_1) | instskip(SKIP_2) | instid1(VALU_DEP_3)
	v_add3_u32 v74, v74, v167, v241
	v_mul_i32_i24_e32 v167, v181, v117
	v_mul_i32_i24_e32 v241, v180, v118
	v_cvt_f32_i32_e32 v74, v74
	s_delay_alu instid0(VALU_DEP_2) | instskip(SKIP_2) | instid1(VALU_DEP_3)
	v_add3_u32 v241, v176, v167, v241
	v_mul_i32_i24_e32 v167, v249, v105
	v_cvt_f32_i32_e32 v176, v177
	v_cvt_f32_i32_e32 v177, v241
	s_delay_alu instid0(VALU_DEP_3) | instskip(SKIP_2) | instid1(VALU_DEP_1)
	v_add3_u32 v73, v73, v168, v167
	v_mul_i32_i24_e32 v167, v112, v169
	v_mul_i32_i24_e32 v168, v121, v186
	v_add3_u32 v73, v73, v167, v168
	v_mul_i32_i24_e32 v167, v111, v181
	v_mul_i32_i24_e32 v168, v110, v180
	s_delay_alu instid0(VALU_DEP_1) | instskip(SKIP_3) | instid1(VALU_DEP_1)
	v_add3_u32 v73, v73, v167, v168
	ds_load_2addr_b32 v[168:169], v99 offset1:32
	s_wait_dscnt 0x0
	v_lshrrev_b32_e32 v167, 16, v168
	v_cvt_f32_f16_e64 v167, v167
	s_delay_alu instid0(VALU_DEP_1) | instskip(NEXT) | instid1(VALU_DEP_1)
	v_mul_f32_e32 v181, 0x41000000, v167
	v_fma_mix_f32 v167, v168, v66, -v181 op_sel_hi:[1,0,0]
	v_cvt_f32_i32_e32 v66, v242
	v_fma_mix_f32 v176, v168, v176, -v181 op_sel_hi:[1,0,0]
	s_delay_alu instid0(VALU_DEP_3) | instskip(NEXT) | instid1(VALU_DEP_3)
	v_fmac_f32_e32 v1, v14, v167
	v_fma_mix_f32 v180, v168, v66, -v181 op_sel_hi:[1,0,0]
	v_fma_mix_f32 v168, v168, v65, -v181 op_sel_hi:[1,0,0]
	v_lshrrev_b32_e32 v65, 16, v169
	v_cvt_f32_i32_e32 v66, v240
	s_delay_alu instid0(VALU_DEP_2) | instskip(NEXT) | instid1(VALU_DEP_1)
	v_cvt_f32_f16_e32 v65, v65
	v_mul_f32_e32 v65, 0x41000000, v65
	s_delay_alu instid0(VALU_DEP_1) | instskip(SKIP_3) | instid1(VALU_DEP_3)
	v_fma_mix_f32 v186, v169, v66, -v65 op_sel_hi:[1,0,0]
	v_cvt_f32_i32_e32 v66, v73
	v_fma_mix_f32 v181, v169, v74, -v65 op_sel_hi:[1,0,0]
	v_fma_mix_f32 v177, v169, v177, -v65 op_sel_hi:[1,0,0]
	;; [unrolled: 1-line block ×3, first 2 shown]
	v_add_nc_u32_e32 v65, 0x800, v98
	s_delay_alu instid0(VALU_DEP_2)
	v_fmac_f32_e32 v83, v14, v169
	ds_load_2addr_b32 v[240:241], v65 offset0:4 offset1:7
	s_wait_dscnt 0x0
	v_bfe_i32 v66, v240, 8, 8
	v_bfe_i32 v73, v240, 0, 8
	v_bfe_i32 v250, v240, 16, 8
	v_ashrrev_i32_e32 v240, 24, v240
	s_delay_alu instid0(VALU_DEP_4) | instskip(NEXT) | instid1(VALU_DEP_3)
	v_mul_i32_i24_e32 v74, v66, v142
	v_mul_i32_i24_e32 v242, v250, v150
	s_delay_alu instid0(VALU_DEP_3) | instskip(SKIP_1) | instid1(VALU_DEP_4)
	v_mul_i32_i24_e32 v243, v240, v149
	v_mul_i32_i24_e32 v244, v240, v155
	v_mad_i32_i24 v74, v73, v141, v74
	s_delay_alu instid0(VALU_DEP_1) | instskip(SKIP_2) | instid1(VALU_DEP_2)
	v_add3_u32 v74, v74, v242, v243
	v_mul_i32_i24_e32 v242, v66, v152
	v_mul_i32_i24_e32 v243, v250, v154
	v_mad_i32_i24 v242, v73, v151, v242
	s_delay_alu instid0(VALU_DEP_1) | instskip(SKIP_3) | instid1(VALU_DEP_3)
	v_add3_u32 v251, v242, v243, v244
	v_mul_i32_i24_e32 v242, v66, v158
	v_mul_i32_i24_e32 v243, v250, v160
	v_mul_i32_i24_e32 v244, v240, v161
	v_mad_i32_i24 v242, v73, v157, v242
	s_delay_alu instid0(VALU_DEP_1)
	v_add3_u32 v252, v242, v243, v244
	ds_load_2addr_b32 v[242:243], v253 offset0:4 offset1:7
	s_wait_dscnt 0x0
	v_bfe_i32 v254, v242, 8, 8
	v_bfe_i32 v255, v242, 0, 8
	;; [unrolled: 1-line block ×3, first 2 shown]
	v_ashrrev_i32_e32 v242, 24, v242
	s_delay_alu instid0(VALU_DEP_4) | instskip(NEXT) | instid1(VALU_DEP_3)
	v_mul_i32_i24_e32 v244, v254, v142
	v_mul_i32_i24_e32 v245, v75, v150
	s_delay_alu instid0(VALU_DEP_3) | instskip(NEXT) | instid1(VALU_DEP_3)
	v_mul_i32_i24_e32 v246, v242, v149
	v_mad_i32_i24 v244, v255, v141, v244
	s_delay_alu instid0(VALU_DEP_1) | instskip(SKIP_3) | instid1(VALU_DEP_3)
	v_add3_u32 v16, v244, v245, v246
	v_mul_i32_i24_e32 v244, v254, v152
	v_mul_i32_i24_e32 v245, v75, v154
	;; [unrolled: 1-line block ×3, first 2 shown]
	v_mad_i32_i24 v244, v255, v151, v244
	s_delay_alu instid0(VALU_DEP_1) | instskip(SKIP_4) | instid1(VALU_DEP_4)
	v_add3_u32 v68, v244, v245, v246
	v_mul_i32_i24_e32 v244, v254, v158
	v_mul_i32_i24_e32 v245, v75, v160
	v_mul_i32_i24_e32 v246, v242, v161
	v_mul_i32_i24_e32 v75, v139, v75
	v_mad_i32_i24 v244, v255, v157, v244
	s_delay_alu instid0(VALU_DEP_1)
	v_add3_u32 v18, v244, v245, v246
	v_add_nc_u32_e32 v244, 0x804, v98
	v_add_nc_u32_e32 v246, 0x814, v98
	ds_load_2addr_b32 v[244:245], v244 offset1:1
	ds_load_2addr_b32 v[246:247], v246 offset1:1
	;; [unrolled: 1-line block ×3, first 2 shown]
	s_wait_dscnt 0x2
	v_bfe_i32 v3, v244, 8, 8
	v_ashrrev_i32_e32 v61, 24, v244
	s_wait_dscnt 0x0
	v_ashrrev_i32_e32 v71, 24, v248
	v_ashrrev_i32_e32 v46, 24, v246
	v_mul_i32_i24_e32 v63, v3, v159
	v_mul_i32_i24_e32 v56, v61, v156
	s_delay_alu instid0(VALU_DEP_4) | instskip(NEXT) | instid1(VALU_DEP_4)
	v_mul_i32_i24_e32 v23, v71, v156
	v_mul_i32_i24_e32 v47, v46, v178
	s_delay_alu instid0(VALU_DEP_3) | instskip(SKIP_2) | instid1(VALU_DEP_1)
	v_add3_u32 v56, v74, v56, v63
	v_mul_i32_i24_e32 v63, v3, v162
	v_mul_i32_i24_e32 v74, v61, v163
	v_add3_u32 v63, v251, v74, v63
	v_mul_i32_i24_e32 v74, v3, v165
	v_mul_i32_i24_e32 v251, v61, v166
	v_mul_i32_i24_e32 v61, v61, v134
	v_mul_i32_i24_e32 v3, v3, v148
	s_delay_alu instid0(VALU_DEP_3) | instskip(SKIP_1) | instid1(VALU_DEP_1)
	v_add3_u32 v74, v252, v251, v74
	v_bfe_i32 v252, v248, 8, 8
	v_mul_i32_i24_e32 v251, v252, v159
	s_delay_alu instid0(VALU_DEP_1) | instskip(SKIP_2) | instid1(VALU_DEP_1)
	v_add3_u32 v16, v16, v23, v251
	v_mul_i32_i24_e32 v23, v252, v162
	v_mul_i32_i24_e32 v251, v71, v163
	v_add3_u32 v23, v68, v251, v23
	v_mul_i32_i24_e32 v68, v252, v165
	v_mul_i32_i24_e32 v251, v71, v166
	;; [unrolled: 1-line block ×3, first 2 shown]
	s_delay_alu instid0(VALU_DEP_2) | instskip(SKIP_2) | instid1(VALU_DEP_2)
	v_add3_u32 v18, v18, v251, v68
	v_bfe_i32 v68, v244, 0, 8
	v_bfe_i32 v244, v244, 16, 8
	v_mul_i32_i24_e32 v251, v68, v153
	s_delay_alu instid0(VALU_DEP_2) | instskip(NEXT) | instid1(VALU_DEP_1)
	v_mul_i32_i24_e32 v42, v244, v170
	v_add3_u32 v42, v56, v251, v42
	v_mul_i32_i24_e32 v56, v68, v171
	v_mul_i32_i24_e32 v251, v244, v172
	s_delay_alu instid0(VALU_DEP_1) | instskip(SKIP_4) | instid1(VALU_DEP_3)
	v_add3_u32 v56, v63, v56, v251
	v_mul_i32_i24_e32 v63, v68, v173
	v_mul_i32_i24_e32 v251, v244, v174
	;; [unrolled: 1-line block ×4, first 2 shown]
	v_add3_u32 v63, v74, v63, v251
	v_bfe_i32 v74, v248, 0, 8
	v_bfe_i32 v248, v248, 16, 8
	s_delay_alu instid0(VALU_DEP_2) | instskip(NEXT) | instid1(VALU_DEP_2)
	v_mul_i32_i24_e32 v251, v74, v153
	v_mul_i32_i24_e32 v45, v248, v170
	s_delay_alu instid0(VALU_DEP_1) | instskip(SKIP_2) | instid1(VALU_DEP_1)
	v_add3_u32 v16, v16, v251, v45
	v_mul_i32_i24_e32 v45, v74, v171
	v_mul_i32_i24_e32 v251, v248, v172
	v_add3_u32 v23, v23, v45, v251
	v_mul_i32_i24_e32 v45, v74, v173
	v_mul_i32_i24_e32 v251, v248, v174
	;; [unrolled: 1-line block ×3, first 2 shown]
	s_delay_alu instid0(VALU_DEP_2) | instskip(SKIP_1) | instid1(VALU_DEP_1)
	v_add3_u32 v18, v18, v45, v251
	v_bfe_i32 v45, v246, 0, 8
	v_mul_i32_i24_e32 v251, v45, v179
	s_delay_alu instid0(VALU_DEP_1) | instskip(SKIP_2) | instid1(VALU_DEP_2)
	v_add3_u32 v42, v42, v47, v251
	v_mul_i32_i24_e32 v47, v164, v66
	v_mul_i32_i24_e32 v66, v139, v250
	v_mad_i32_i24 v47, v143, v73, v47
	v_mul_i32_i24_e32 v73, v136, v240
	s_delay_alu instid0(VALU_DEP_1) | instskip(SKIP_2) | instid1(VALU_DEP_3)
	v_add3_u32 v47, v47, v66, v73
	v_mul_i32_i24_e32 v66, v45, v182
	v_mul_i32_i24_e32 v73, v46, v183
	v_add3_u32 v3, v47, v61, v3
	s_delay_alu instid0(VALU_DEP_2) | instskip(SKIP_2) | instid1(VALU_DEP_4)
	v_add3_u32 v56, v56, v73, v66
	v_mul_i32_i24_e32 v66, v45, v184
	v_mul_i32_i24_e32 v73, v46, v185
	v_add3_u32 v3, v3, v68, v244
	v_mul_i32_i24_e32 v45, v45, v126
	v_mul_i32_i24_e32 v46, v46, v124
	s_delay_alu instid0(VALU_DEP_4) | instskip(SKIP_1) | instid1(VALU_DEP_3)
	v_add3_u32 v63, v63, v73, v66
	v_add_nc_u32_e32 v66, 0xc14, v98
	v_add3_u32 v3, v3, v46, v45
	ds_load_2addr_b32 v[250:251], v66 offset1:1
	s_wait_dscnt 0x0
	v_bfe_i32 v66, v250, 0, 8
	v_ashrrev_i32_e32 v73, 24, v250
	s_delay_alu instid0(VALU_DEP_2) | instskip(NEXT) | instid1(VALU_DEP_2)
	v_mul_i32_i24_e32 v240, v66, v179
	v_mul_i32_i24_e32 v48, v73, v178
	s_delay_alu instid0(VALU_DEP_1) | instskip(SKIP_2) | instid1(VALU_DEP_2)
	v_add3_u32 v16, v16, v48, v240
	v_mul_i32_i24_e32 v48, v164, v254
	v_mul_i32_i24_e32 v240, v136, v242
	v_mad_i32_i24 v48, v143, v255, v48
	s_delay_alu instid0(VALU_DEP_1) | instskip(SKIP_2) | instid1(VALU_DEP_1)
	v_add3_u32 v48, v48, v75, v240
	v_mul_i32_i24_e32 v75, v66, v182
	v_mul_i32_i24_e32 v240, v73, v183
	v_add3_u32 v23, v23, v240, v75
	v_mul_i32_i24_e32 v75, v66, v184
	v_mul_i32_i24_e32 v240, v73, v185
	;; [unrolled: 1-line block ×4, first 2 shown]
	s_delay_alu instid0(VALU_DEP_3) | instskip(SKIP_2) | instid1(VALU_DEP_2)
	v_add3_u32 v18, v18, v240, v75
	v_bfe_i32 v75, v246, 8, 8
	v_bfe_i32 v240, v246, 16, 8
	v_mul_i32_i24_e32 v47, v75, v190
	s_delay_alu instid0(VALU_DEP_2) | instskip(SKIP_2) | instid1(VALU_DEP_3)
	v_mul_i32_i24_e32 v61, v240, v189
	v_mul_i32_i24_e32 v242, v75, v175
	;; [unrolled: 1-line block ×3, first 2 shown]
	v_add3_u32 v47, v56, v47, v61
	v_mul_i32_i24_e32 v56, v75, v193
	v_mul_i32_i24_e32 v61, v240, v192
	s_delay_alu instid0(VALU_DEP_4) | instskip(SKIP_2) | instid1(VALU_DEP_4)
	v_add3_u32 v42, v42, v242, v246
	v_mul_i32_i24_e32 v240, v240, v122
	v_mul_i32_i24_e32 v75, v75, v147
	v_add3_u32 v56, v63, v56, v61
	v_bfe_i32 v61, v250, 8, 8
	v_bfe_i32 v63, v250, 16, 8
	s_delay_alu instid0(VALU_DEP_4) | instskip(NEXT) | instid1(VALU_DEP_3)
	v_add3_u32 v3, v3, v75, v240
	v_mul_i32_i24_e32 v242, v61, v175
	s_delay_alu instid0(VALU_DEP_3) | instskip(NEXT) | instid1(VALU_DEP_1)
	v_mul_i32_i24_e32 v246, v63, v187
	v_add3_u32 v16, v16, v242, v246
	v_mul_i32_i24_e32 v242, v252, v148
	s_delay_alu instid0(VALU_DEP_1) | instskip(SKIP_2) | instid1(VALU_DEP_1)
	v_add3_u32 v48, v48, v71, v242
	v_mul_i32_i24_e32 v71, v61, v190
	v_mul_i32_i24_e32 v242, v63, v189
	v_add3_u32 v23, v23, v71, v242
	v_mul_i32_i24_e32 v71, v61, v193
	v_mul_i32_i24_e32 v242, v63, v192
	;; [unrolled: 1-line block ×4, first 2 shown]
	s_delay_alu instid0(VALU_DEP_3) | instskip(SKIP_2) | instid1(VALU_DEP_2)
	v_add3_u32 v18, v18, v71, v242
	v_bfe_i32 v71, v245, 8, 8
	v_ashrrev_i32_e32 v242, 24, v245
	v_mul_i32_i24_e32 v68, v71, v202
	s_delay_alu instid0(VALU_DEP_2) | instskip(SKIP_2) | instid1(VALU_DEP_3)
	v_mul_i32_i24_e32 v244, v242, v203
	v_mul_i32_i24_e32 v246, v71, v197
	;; [unrolled: 1-line block ×3, first 2 shown]
	v_add3_u32 v47, v47, v244, v68
	v_mul_i32_i24_e32 v68, v71, v210
	v_mul_i32_i24_e32 v244, v242, v211
	s_delay_alu instid0(VALU_DEP_4) | instskip(SKIP_2) | instid1(VALU_DEP_4)
	v_add3_u32 v42, v42, v250, v246
	v_mul_i32_i24_e32 v242, v242, v140
	v_mul_i32_i24_e32 v71, v71, v146
	v_add3_u32 v56, v56, v244, v68
	v_bfe_i32 v68, v249, 8, 8
	v_ashrrev_i32_e32 v244, 24, v249
	s_delay_alu instid0(VALU_DEP_4) | instskip(NEXT) | instid1(VALU_DEP_3)
	v_add3_u32 v3, v3, v242, v71
	v_mul_i32_i24_e32 v246, v68, v197
	s_delay_alu instid0(VALU_DEP_3) | instskip(NEXT) | instid1(VALU_DEP_1)
	v_mul_i32_i24_e32 v250, v244, v195
	v_add3_u32 v16, v16, v250, v246
	v_mul_i32_i24_e32 v246, v248, v129
	s_delay_alu instid0(VALU_DEP_1) | instskip(SKIP_2) | instid1(VALU_DEP_3)
	v_add3_u32 v48, v48, v74, v246
	v_mul_i32_i24_e32 v74, v68, v202
	v_mul_i32_i24_e32 v246, v244, v203
	v_add3_u32 v48, v48, v73, v66
	s_delay_alu instid0(VALU_DEP_2) | instskip(SKIP_2) | instid1(VALU_DEP_4)
	v_add3_u32 v23, v23, v246, v74
	v_mul_i32_i24_e32 v74, v68, v210
	v_mul_i32_i24_e32 v246, v244, v211
	v_add3_u32 v48, v48, v61, v63
	v_mul_i32_i24_e32 v244, v244, v140
	v_mul_i32_i24_e32 v68, v68, v146
	s_delay_alu instid0(VALU_DEP_4) | instskip(SKIP_2) | instid1(VALU_DEP_4)
	v_add3_u32 v18, v18, v246, v74
	v_bfe_i32 v74, v245, 0, 8
	v_bfe_i32 v246, v245, 16, 8
	v_add3_u32 v48, v48, v244, v68
	s_delay_alu instid0(VALU_DEP_3) | instskip(NEXT) | instid1(VALU_DEP_3)
	v_mul_i32_i24_e32 v45, v74, v208
	v_mul_i32_i24_e32 v46, v246, v209
	;; [unrolled: 1-line block ×4, first 2 shown]
	s_delay_alu instid0(VALU_DEP_3) | instskip(SKIP_2) | instid1(VALU_DEP_4)
	v_add3_u32 v45, v47, v45, v46
	v_mul_i32_i24_e32 v46, v74, v220
	v_mul_i32_i24_e32 v47, v246, v221
	v_add3_u32 v42, v42, v245, v248
	v_mul_i32_i24_e32 v74, v74, v137
	v_mul_i32_i24_e32 v246, v246, v138
	s_delay_alu instid0(VALU_DEP_4) | instskip(SKIP_2) | instid1(VALU_DEP_4)
	v_add3_u32 v46, v56, v46, v47
	v_bfe_i32 v47, v249, 0, 8
	v_bfe_i32 v56, v249, 16, 8
	v_add3_u32 v3, v3, v74, v246
	s_delay_alu instid0(VALU_DEP_3) | instskip(NEXT) | instid1(VALU_DEP_3)
	v_mul_i32_i24_e32 v66, v47, v208
	v_mul_i32_i24_e32 v73, v56, v209
	;; [unrolled: 1-line block ×4, first 2 shown]
	s_delay_alu instid0(VALU_DEP_3) | instskip(SKIP_2) | instid1(VALU_DEP_4)
	v_add3_u32 v23, v23, v66, v73
	v_mul_i32_i24_e32 v66, v47, v220
	v_mul_i32_i24_e32 v73, v56, v221
	v_add3_u32 v16, v16, v245, v248
	v_mul_i32_i24_e32 v47, v47, v137
	v_mul_i32_i24_e32 v56, v56, v138
	s_delay_alu instid0(VALU_DEP_4) | instskip(SKIP_2) | instid1(VALU_DEP_4)
	v_add3_u32 v18, v18, v66, v73
	v_bfe_i32 v66, v247, 0, 8
	v_ashrrev_i32_e32 v73, 24, v247
	v_add3_u32 v47, v48, v47, v56
	s_delay_alu instid0(VALU_DEP_3) | instskip(NEXT) | instid1(VALU_DEP_3)
	v_mul_i32_i24_e32 v75, v66, v214
	v_mul_i32_i24_e32 v240, v73, v215
	;; [unrolled: 1-line block ×4, first 2 shown]
	s_delay_alu instid0(VALU_DEP_3) | instskip(SKIP_2) | instid1(VALU_DEP_4)
	v_add3_u32 v45, v45, v240, v75
	v_mul_i32_i24_e32 v75, v66, v224
	v_mul_i32_i24_e32 v240, v73, v225
	v_add3_u32 v42, v42, v248, v245
	v_mul_i32_i24_e32 v66, v66, v135
	v_mul_i32_i24_e32 v73, v73, v131
	s_delay_alu instid0(VALU_DEP_4) | instskip(SKIP_2) | instid1(VALU_DEP_4)
	v_add3_u32 v46, v46, v240, v75
	v_bfe_i32 v75, v251, 0, 8
	v_ashrrev_i32_e32 v240, 24, v251
	v_add3_u32 v3, v3, v73, v66
	s_delay_alu instid0(VALU_DEP_3) | instskip(NEXT) | instid1(VALU_DEP_3)
	v_mul_i32_i24_e32 v61, v75, v214
	v_mul_i32_i24_e32 v63, v240, v215
	v_mul_i32_i24_e32 v245, v75, v200
	v_mul_i32_i24_e32 v248, v240, v198
	s_delay_alu instid0(VALU_DEP_3) | instskip(SKIP_2) | instid1(VALU_DEP_4)
	v_add3_u32 v23, v23, v63, v61
	v_mul_i32_i24_e32 v61, v75, v224
	v_mul_i32_i24_e32 v63, v240, v225
	v_add3_u32 v16, v16, v248, v245
	v_mul_i32_i24_e32 v75, v75, v135
	v_mul_i32_i24_e32 v240, v240, v131
	s_delay_alu instid0(VALU_DEP_4) | instskip(SKIP_2) | instid1(VALU_DEP_4)
	v_add3_u32 v18, v18, v63, v61
	v_bfe_i32 v61, v247, 8, 8
	v_bfe_i32 v63, v247, 16, 8
	v_add3_u32 v47, v47, v240, v75
	s_delay_alu instid0(VALU_DEP_3) | instskip(NEXT) | instid1(VALU_DEP_3)
	v_mul_i32_i24_e32 v71, v61, v217
	v_mul_i32_i24_e32 v242, v63, v216
	;; [unrolled: 1-line block ×4, first 2 shown]
	s_delay_alu instid0(VALU_DEP_3) | instskip(SKIP_2) | instid1(VALU_DEP_4)
	v_add3_u32 v45, v45, v71, v242
	v_mul_i32_i24_e32 v71, v61, v229
	v_mul_i32_i24_e32 v242, v63, v228
	v_add3_u32 v42, v42, v245, v247
	v_mul_i32_i24_e32 v63, v63, v128
	v_mul_i32_i24_e32 v61, v61, v145
	s_delay_alu instid0(VALU_DEP_4) | instskip(SKIP_2) | instid1(VALU_DEP_4)
	v_add3_u32 v46, v46, v71, v242
	v_bfe_i32 v71, v251, 8, 8
	v_bfe_i32 v242, v251, 16, 8
	v_add3_u32 v3, v3, v61, v63
	s_delay_alu instid0(VALU_DEP_3) | instskip(NEXT) | instid1(VALU_DEP_3)
	v_mul_i32_i24_e32 v68, v71, v217
	v_mul_i32_i24_e32 v244, v242, v216
	v_mul_i32_i24_e32 v245, v71, v191
	v_mul_i32_i24_e32 v247, v242, v206
	s_delay_alu instid0(VALU_DEP_3) | instskip(SKIP_2) | instid1(VALU_DEP_4)
	v_add3_u32 v23, v23, v68, v244
	v_mul_i32_i24_e32 v68, v71, v229
	v_mul_i32_i24_e32 v244, v242, v228
	v_add3_u32 v16, v16, v245, v247
	v_mul_i32_i24_e32 v242, v242, v128
	v_mul_i32_i24_e32 v71, v71, v145
	s_delay_alu instid0(VALU_DEP_4)
	v_add3_u32 v18, v18, v68, v244
	ds_load_2addr_b32 v[244:245], v65 offset1:3
	v_add3_u32 v47, v47, v71, v242
	s_wait_dscnt 0x0
	v_bfe_i32 v65, v245, 8, 8
	v_ashrrev_i32_e32 v68, 24, v245
	s_delay_alu instid0(VALU_DEP_2) | instskip(NEXT) | instid1(VALU_DEP_2)
	v_mul_i32_i24_e32 v74, v65, v218
	v_mul_i32_i24_e32 v246, v68, v219
	;; [unrolled: 1-line block ×4, first 2 shown]
	s_delay_alu instid0(VALU_DEP_3) | instskip(SKIP_2) | instid1(VALU_DEP_4)
	v_add3_u32 v45, v45, v246, v74
	v_mul_i32_i24_e32 v74, v65, v230
	v_mul_i32_i24_e32 v246, v68, v231
	v_add3_u32 v42, v42, v248, v247
	v_mul_i32_i24_e32 v68, v68, v133
	v_mul_i32_i24_e32 v65, v65, v144
	s_delay_alu instid0(VALU_DEP_4)
	v_add3_u32 v46, v46, v246, v74
	ds_load_2addr_b32 v[246:247], v253 offset1:3
	v_add3_u32 v3, v3, v68, v65
	s_wait_dscnt 0x0
	v_bfe_i32 v74, v247, 8, 8
	v_ashrrev_i32_e32 v248, 24, v247
	s_delay_alu instid0(VALU_DEP_2) | instskip(NEXT) | instid1(VALU_DEP_2)
	v_mul_i32_i24_e32 v48, v74, v218
	v_mul_i32_i24_e32 v56, v248, v219
	;; [unrolled: 1-line block ×4, first 2 shown]
	s_delay_alu instid0(VALU_DEP_3) | instskip(SKIP_2) | instid1(VALU_DEP_4)
	v_add3_u32 v23, v23, v56, v48
	v_mul_i32_i24_e32 v48, v74, v230
	v_mul_i32_i24_e32 v56, v248, v231
	v_add3_u32 v16, v16, v250, v249
	v_mul_i32_i24_e32 v74, v74, v144
	s_delay_alu instid0(VALU_DEP_3) | instskip(SKIP_2) | instid1(VALU_DEP_2)
	v_add3_u32 v18, v18, v56, v48
	v_bfe_i32 v48, v245, 0, 8
	v_bfe_i32 v56, v245, 16, 8
	v_mul_i32_i24_e32 v66, v48, v222
	s_delay_alu instid0(VALU_DEP_2) | instskip(SKIP_2) | instid1(VALU_DEP_3)
	v_mul_i32_i24_e32 v73, v56, v223
	v_mul_i32_i24_e32 v245, v48, v194
	;; [unrolled: 1-line block ×3, first 2 shown]
	v_add3_u32 v45, v45, v66, v73
	v_mul_i32_i24_e32 v66, v48, v234
	v_mul_i32_i24_e32 v73, v56, v235
	s_delay_alu instid0(VALU_DEP_4) | instskip(SKIP_2) | instid1(VALU_DEP_4)
	v_add3_u32 v42, v42, v245, v249
	v_mul_i32_i24_e32 v48, v48, v130
	v_mul_i32_i24_e32 v56, v56, v127
	v_add3_u32 v46, v46, v66, v73
	v_bfe_i32 v66, v247, 0, 8
	v_bfe_i32 v73, v247, 16, 8
	s_delay_alu instid0(VALU_DEP_4) | instskip(NEXT) | instid1(VALU_DEP_3)
	v_add3_u32 v3, v3, v48, v56
	v_mul_i32_i24_e32 v75, v66, v222
	s_delay_alu instid0(VALU_DEP_3) | instskip(SKIP_2) | instid1(VALU_DEP_3)
	v_mul_i32_i24_e32 v240, v73, v223
	v_mul_i32_i24_e32 v245, v66, v194
	;; [unrolled: 1-line block ×3, first 2 shown]
	v_add3_u32 v23, v23, v75, v240
	v_mul_i32_i24_e32 v75, v66, v234
	v_mul_i32_i24_e32 v240, v73, v235
	s_delay_alu instid0(VALU_DEP_4) | instskip(SKIP_2) | instid1(VALU_DEP_4)
	v_add3_u32 v16, v16, v245, v247
	v_mul_i32_i24_e32 v66, v66, v130
	v_mul_i32_i24_e32 v73, v73, v127
	v_add3_u32 v18, v18, v75, v240
	v_bfe_i32 v75, v241, 0, 8
	v_ashrrev_i32_e32 v240, 24, v241
	s_delay_alu instid0(VALU_DEP_2) | instskip(NEXT) | instid1(VALU_DEP_2)
	v_mul_i32_i24_e32 v61, v75, v226
	v_mul_i32_i24_e32 v63, v240, v227
	;; [unrolled: 1-line block ×4, first 2 shown]
	s_delay_alu instid0(VALU_DEP_3) | instskip(SKIP_2) | instid1(VALU_DEP_4)
	v_add3_u32 v45, v45, v63, v61
	v_mul_i32_i24_e32 v61, v75, v236
	v_mul_i32_i24_e32 v63, v240, v237
	v_add3_u32 v42, v42, v247, v245
	s_delay_alu instid0(VALU_DEP_2) | instskip(SKIP_2) | instid1(VALU_DEP_2)
	v_add3_u32 v46, v46, v63, v61
	v_bfe_i32 v61, v243, 0, 8
	v_ashrrev_i32_e32 v63, 24, v243
	v_mul_i32_i24_e32 v71, v61, v226
	s_delay_alu instid0(VALU_DEP_2) | instskip(SKIP_2) | instid1(VALU_DEP_3)
	v_mul_i32_i24_e32 v242, v63, v227
	v_mul_i32_i24_e32 v245, v61, v213
	v_mul_i32_i24_e32 v247, v63, v207
	v_add3_u32 v23, v23, v242, v71
	v_mul_i32_i24_e32 v71, v61, v236
	v_mul_i32_i24_e32 v242, v63, v237
	s_delay_alu instid0(VALU_DEP_4) | instskip(SKIP_2) | instid1(VALU_DEP_4)
	v_add3_u32 v16, v16, v247, v245
	v_mul_i32_i24_e32 v61, v61, v125
	v_mul_i32_i24_e32 v63, v63, v123
	v_add3_u32 v18, v18, v242, v71
	v_bfe_i32 v71, v241, 8, 8
	v_bfe_i32 v241, v241, 16, 8
	s_delay_alu instid0(VALU_DEP_2) | instskip(NEXT) | instid1(VALU_DEP_2)
	v_mul_i32_i24_e32 v65, v71, v233
	v_mul_i32_i24_e32 v68, v241, v232
	;; [unrolled: 1-line block ×4, first 2 shown]
	s_delay_alu instid0(VALU_DEP_3) | instskip(SKIP_2) | instid1(VALU_DEP_4)
	v_add3_u32 v45, v45, v65, v68
	v_mul_i32_i24_e32 v65, v71, v239
	v_mul_i32_i24_e32 v68, v241, v238
	v_add3_u32 v42, v42, v242, v245
	s_delay_alu instid0(VALU_DEP_2) | instskip(SKIP_2) | instid1(VALU_DEP_2)
	v_add3_u32 v46, v46, v65, v68
	v_bfe_i32 v65, v243, 8, 8
	v_bfe_i32 v68, v243, 16, 8
	v_mul_i32_i24_e32 v242, v65, v196
	s_delay_alu instid0(VALU_DEP_2) | instskip(NEXT) | instid1(VALU_DEP_1)
	v_mul_i32_i24_e32 v243, v68, v212
	v_add3_u32 v16, v16, v242, v243
	v_mul_i32_i24_e32 v242, v248, v133
	ds_load_2addr_b32 v[247:248], v99 offset0:64 offset1:96
	v_add3_u32 v47, v47, v242, v74
	v_mul_i32_i24_e32 v74, v65, v233
	v_mul_i32_i24_e32 v242, v68, v232
	s_delay_alu instid0(VALU_DEP_3) | instskip(NEXT) | instid1(VALU_DEP_2)
	v_add3_u32 v47, v47, v66, v73
	v_add3_u32 v23, v23, v74, v242
	v_mul_i32_i24_e32 v74, v65, v239
	v_mul_i32_i24_e32 v242, v68, v238
	s_delay_alu instid0(VALU_DEP_4) | instskip(NEXT) | instid1(VALU_DEP_2)
	v_add3_u32 v47, v47, v63, v61
	v_add3_u32 v18, v18, v74, v242
	v_bfe_i32 v74, v244, 0, 8
	v_bfe_i32 v242, v244, 8, 8
	s_delay_alu instid0(VALU_DEP_2) | instskip(NEXT) | instid1(VALU_DEP_2)
	v_mul_i32_i24_e32 v48, v74, v115
	v_mul_i32_i24_e32 v56, v242, v116
	;; [unrolled: 1-line block ×4, first 2 shown]
	s_delay_alu instid0(VALU_DEP_3) | instskip(SKIP_2) | instid1(VALU_DEP_4)
	v_add3_u32 v45, v45, v48, v56
	v_mul_i32_i24_e32 v48, v74, v119
	v_mul_i32_i24_e32 v56, v242, v120
	v_add3_u32 v42, v42, v243, v245
	s_delay_alu instid0(VALU_DEP_2) | instskip(SKIP_2) | instid1(VALU_DEP_2)
	v_add3_u32 v46, v46, v48, v56
	v_bfe_i32 v48, v246, 0, 8
	v_bfe_i32 v56, v246, 8, 8
	v_mul_i32_i24_e32 v66, v48, v115
	s_delay_alu instid0(VALU_DEP_2) | instskip(SKIP_2) | instid1(VALU_DEP_3)
	v_mul_i32_i24_e32 v73, v56, v116
	v_mul_i32_i24_e32 v243, v48, v108
	;; [unrolled: 1-line block ×3, first 2 shown]
	v_add3_u32 v23, v23, v66, v73
	v_mul_i32_i24_e32 v66, v48, v119
	v_mul_i32_i24_e32 v73, v56, v120
	;; [unrolled: 1-line block ×4, first 2 shown]
	v_add3_u32 v16, v16, v243, v245
	s_delay_alu instid0(VALU_DEP_4) | instskip(SKIP_2) | instid1(VALU_DEP_1)
	v_add3_u32 v18, v18, v66, v73
	v_mul_i32_i24_e32 v66, v75, v125
	v_mul_i32_i24_e32 v73, v240, v123
	v_add3_u32 v3, v3, v73, v66
	v_bfe_i32 v66, v244, 16, 8
	v_ashrrev_i32_e32 v73, 24, v244
	s_delay_alu instid0(VALU_DEP_2) | instskip(NEXT) | instid1(VALU_DEP_2)
	v_mul_i32_i24_e32 v75, v66, v113
	v_mul_i32_i24_e32 v240, v73, v114
	s_delay_alu instid0(VALU_DEP_1) | instskip(SKIP_2) | instid1(VALU_DEP_3)
	v_add3_u32 v45, v45, v75, v240
	v_mul_i32_i24_e32 v75, v66, v117
	v_mul_i32_i24_e32 v240, v73, v118
	v_cvt_f32_i32_e32 v45, v45
	s_delay_alu instid0(VALU_DEP_2) | instskip(SKIP_2) | instid1(VALU_DEP_3)
	v_add3_u32 v46, v46, v75, v240
	v_mul_i32_i24_e32 v75, v66, v106
	v_mul_i32_i24_e32 v240, v73, v107
	v_cvt_f32_i32_e32 v46, v46
	s_delay_alu instid0(VALU_DEP_2) | instskip(SKIP_2) | instid1(VALU_DEP_3)
	v_add3_u32 v42, v42, v75, v240
	v_bfe_i32 v75, v246, 16, 8
	v_ashrrev_i32_e32 v240, 24, v246
	v_cvt_f32_i32_e32 v42, v42
	s_delay_alu instid0(VALU_DEP_3) | instskip(NEXT) | instid1(VALU_DEP_3)
	v_mul_i32_i24_e32 v61, v75, v113
	v_mul_i32_i24_e32 v63, v240, v114
	;; [unrolled: 1-line block ×4, first 2 shown]
	s_delay_alu instid0(VALU_DEP_3) | instskip(SKIP_2) | instid1(VALU_DEP_4)
	v_add3_u32 v23, v23, v61, v63
	v_mul_i32_i24_e32 v61, v75, v117
	v_mul_i32_i24_e32 v63, v240, v118
	v_add3_u32 v16, v16, v243, v244
	s_delay_alu instid0(VALU_DEP_4) | instskip(NEXT) | instid1(VALU_DEP_3)
	v_cvt_f32_i32_e32 v23, v23
	v_add3_u32 v18, v18, v61, v63
	v_mul_i32_i24_e32 v61, v241, v105
	v_mul_i32_i24_e32 v63, v71, v15
	v_cvt_f32_i32_e32 v16, v16
	s_delay_alu instid0(VALU_DEP_4) | instskip(NEXT) | instid1(VALU_DEP_3)
	v_cvt_f32_i32_e32 v18, v18
	v_add3_u32 v3, v3, v63, v61
	v_mul_i32_i24_e32 v61, v68, v105
	v_mul_i32_i24_e32 v63, v65, v15
	s_delay_alu instid0(VALU_DEP_1) | instskip(SKIP_2) | instid1(VALU_DEP_3)
	v_add3_u32 v47, v47, v63, v61
	v_mul_i32_i24_e32 v61, v112, v74
	v_mul_i32_i24_e32 v63, v121, v242
	v_add3_u32 v47, v47, v48, v56
	v_mul_i32_i24_e32 v48, v111, v66
	s_delay_alu instid0(VALU_DEP_3) | instskip(SKIP_1) | instid1(VALU_DEP_1)
	v_add3_u32 v3, v3, v61, v63
	v_mul_i32_i24_e32 v56, v110, v73
	v_add3_u32 v3, v3, v48, v56
	v_mul_i32_i24_e32 v48, v111, v75
	v_mul_i32_i24_e32 v56, v110, v240
	v_add_nc_u32_e32 v75, 0x1404, v98
	s_delay_alu instid0(VALU_DEP_4) | instskip(NEXT) | instid1(VALU_DEP_3)
	v_cvt_f32_i32_e32 v3, v3
	v_add3_u32 v47, v47, v48, v56
	s_wait_dscnt 0x0
	v_lshrrev_b32_e32 v48, 16, v247
	s_delay_alu instid0(VALU_DEP_1) | instskip(NEXT) | instid1(VALU_DEP_1)
	v_cvt_f32_f16_e32 v48, v48
	v_mul_f32_e32 v48, 0x41000000, v48
	s_delay_alu instid0(VALU_DEP_1)
	v_fma_mix_f32 v240, v247, v3, -v48 op_sel_hi:[1,0,0]
	v_lshrrev_b32_e32 v3, 16, v248
	v_fma_mix_f32 v245, v247, v42, -v48 op_sel_hi:[1,0,0]
	v_fma_mix_f32 v243, v247, v45, -v48 op_sel_hi:[1,0,0]
	;; [unrolled: 1-line block ×3, first 2 shown]
	v_fmac_f32_e32 v72, v14, v240
	v_cvt_f32_f16_e32 v3, v3
	s_delay_alu instid0(VALU_DEP_1) | instskip(NEXT) | instid1(VALU_DEP_1)
	v_mul_f32_e32 v3, 0x41000000, v3
	v_fma_mix_f32 v247, v248, v16, -v3 op_sel_hi:[1,0,0]
	v_cvt_f32_i32_e32 v16, v47
	v_fma_mix_f32 v246, v248, v23, -v3 op_sel_hi:[1,0,0]
	v_fma_mix_f32 v244, v248, v18, -v3 op_sel_hi:[1,0,0]
	s_delay_alu instid0(VALU_DEP_3) | instskip(SKIP_1) | instid1(VALU_DEP_2)
	v_fma_mix_f32 v242, v248, v16, -v3 op_sel_hi:[1,0,0]
	v_add_nc_u32_e32 v3, 0x1000, v98
	v_fmac_f32_e32 v69, v14, v242
	ds_load_2addr_b32 v[248:249], v3 offset0:4 offset1:7
	s_wait_dscnt 0x0
	v_bfe_i32 v16, v248, 8, 8
	v_bfe_i32 v18, v248, 0, 8
	;; [unrolled: 1-line block ×3, first 2 shown]
	v_ashrrev_i32_e32 v45, 24, v248
	s_delay_alu instid0(VALU_DEP_4) | instskip(NEXT) | instid1(VALU_DEP_3)
	v_mul_i32_i24_e32 v23, v16, v142
	v_mul_i32_i24_e32 v46, v42, v150
	s_delay_alu instid0(VALU_DEP_3) | instskip(SKIP_1) | instid1(VALU_DEP_4)
	v_mul_i32_i24_e32 v47, v45, v149
	v_mul_i32_i24_e32 v48, v45, v155
	v_mad_i32_i24 v23, v18, v141, v23
	v_mul_i32_i24_e32 v56, v45, v161
	s_delay_alu instid0(VALU_DEP_2) | instskip(SKIP_2) | instid1(VALU_DEP_2)
	v_add3_u32 v23, v23, v46, v47
	v_mul_i32_i24_e32 v46, v16, v152
	v_mul_i32_i24_e32 v47, v42, v154
	v_mad_i32_i24 v46, v18, v151, v46
	s_delay_alu instid0(VALU_DEP_1) | instskip(SKIP_3) | instid1(VALU_DEP_3)
	v_add3_u32 v46, v46, v47, v48
	v_mul_i32_i24_e32 v47, v16, v158
	v_mul_i32_i24_e32 v48, v42, v160
	;; [unrolled: 1-line block ×3, first 2 shown]
	v_mad_i32_i24 v47, v18, v157, v47
	s_delay_alu instid0(VALU_DEP_2) | instskip(SKIP_2) | instid1(VALU_DEP_4)
	v_mad_i32_i24 v16, v143, v18, v16
	v_mul_i32_i24_e32 v18, v139, v42
	v_mul_i32_i24_e32 v42, v136, v45
	v_add3_u32 v47, v47, v48, v56
	v_add_nc_u32_e32 v48, 0x1400, v98
	s_delay_alu instid0(VALU_DEP_3)
	v_add3_u32 v16, v16, v18, v42
	ds_load_2addr_b32 v[250:251], v48 offset0:4 offset1:7
	s_wait_dscnt 0x0
	v_bfe_i32 v56, v250, 8, 8
	v_bfe_i32 v61, v250, 0, 8
	v_bfe_i32 v68, v250, 16, 8
	v_ashrrev_i32_e32 v71, 24, v250
	s_delay_alu instid0(VALU_DEP_4) | instskip(NEXT) | instid1(VALU_DEP_3)
	v_mul_i32_i24_e32 v63, v56, v142
	v_mul_i32_i24_e32 v65, v68, v150
	s_delay_alu instid0(VALU_DEP_3) | instskip(SKIP_1) | instid1(VALU_DEP_4)
	v_mul_i32_i24_e32 v66, v71, v149
	v_mul_i32_i24_e32 v73, v71, v155
	v_mad_i32_i24 v63, v61, v141, v63
	v_mul_i32_i24_e32 v74, v71, v161
	s_delay_alu instid0(VALU_DEP_2) | instskip(SKIP_2) | instid1(VALU_DEP_2)
	v_add3_u32 v63, v63, v65, v66
	v_mul_i32_i24_e32 v65, v56, v152
	v_mul_i32_i24_e32 v66, v68, v154
	v_mad_i32_i24 v65, v61, v151, v65
	s_delay_alu instid0(VALU_DEP_1) | instskip(SKIP_2) | instid1(VALU_DEP_2)
	v_add3_u32 v65, v65, v66, v73
	v_mul_i32_i24_e32 v66, v56, v158
	v_mul_i32_i24_e32 v73, v68, v160
	v_mad_i32_i24 v66, v61, v157, v66
	s_delay_alu instid0(VALU_DEP_1)
	v_add3_u32 v66, v66, v73, v74
	v_add_nc_u32_e32 v73, 0x1004, v98
	v_add_nc_u32_e32 v74, 0x1014, v98
	ds_load_2addr_b32 v[252:253], v73 offset1:1
	ds_load_2addr_b32 v[254:255], v74 offset1:1
	;; [unrolled: 1-line block ×3, first 2 shown]
	s_wait_dscnt 0x2
	v_bfe_i32 v75, v252, 8, 8
	v_ashrrev_i32_e32 v248, 24, v252
	v_bfe_i32 v52, v252, 0, 8
	v_bfe_i32 v252, v252, 16, 8
	s_wait_dscnt 0x0
	v_bfe_i32 v85, v73, 0, 8
	v_mul_i32_i24_e32 v250, v75, v159
	v_mul_i32_i24_e32 v49, v248, v156
	v_bfe_i32 v86, v254, 0, 8
	v_ashrrev_i32_e32 v87, 24, v254
	s_delay_alu instid0(VALU_DEP_3)
	v_add3_u32 v23, v23, v49, v250
	v_mul_i32_i24_e32 v49, v75, v162
	v_mul_i32_i24_e32 v250, v248, v163
	;; [unrolled: 1-line block ×5, first 2 shown]
	s_delay_alu instid0(VALU_DEP_4) | instskip(SKIP_2) | instid1(VALU_DEP_1)
	v_add3_u32 v46, v46, v250, v49
	v_mul_i32_i24_e32 v49, v75, v165
	v_mul_i32_i24_e32 v250, v248, v166
	v_add3_u32 v47, v47, v250, v49
	v_bfe_i32 v49, v73, 8, 8
	v_ashrrev_i32_e32 v250, 24, v73
	v_bfe_i32 v73, v73, 16, 8
	s_delay_alu instid0(VALU_DEP_3) | instskip(NEXT) | instid1(VALU_DEP_3)
	v_mul_i32_i24_e32 v50, v49, v159
	v_mul_i32_i24_e32 v51, v250, v156
	s_delay_alu instid0(VALU_DEP_1) | instskip(SKIP_2) | instid1(VALU_DEP_1)
	v_add3_u32 v50, v63, v51, v50
	v_mul_i32_i24_e32 v51, v49, v162
	v_mul_i32_i24_e32 v63, v250, v163
	v_add3_u32 v51, v65, v63, v51
	v_mul_i32_i24_e32 v63, v49, v165
	v_mul_i32_i24_e32 v65, v250, v166
	;; [unrolled: 1-line block ×3, first 2 shown]
	s_delay_alu instid0(VALU_DEP_2) | instskip(SKIP_2) | instid1(VALU_DEP_1)
	v_add3_u32 v63, v66, v65, v63
	v_mul_i32_i24_e32 v65, v52, v153
	v_mul_i32_i24_e32 v66, v252, v170
	v_add3_u32 v23, v23, v65, v66
	v_mul_i32_i24_e32 v65, v52, v171
	v_mul_i32_i24_e32 v66, v252, v172
	s_delay_alu instid0(VALU_DEP_1) | instskip(SKIP_3) | instid1(VALU_DEP_4)
	v_add3_u32 v46, v46, v65, v66
	v_mul_i32_i24_e32 v65, v52, v173
	v_mul_i32_i24_e32 v66, v252, v174
	;; [unrolled: 1-line block ×3, first 2 shown]
	v_add3_u32 v18, v46, v42, v18
	v_mul_i32_i24_e32 v42, v86, v184
	s_delay_alu instid0(VALU_DEP_4) | instskip(SKIP_2) | instid1(VALU_DEP_3)
	v_add3_u32 v47, v47, v65, v66
	v_mul_i32_i24_e32 v65, v85, v153
	v_mul_i32_i24_e32 v66, v73, v170
	v_add3_u32 v42, v47, v45, v42
	v_add_nc_u32_e32 v45, 0x1414, v98
	s_delay_alu instid0(VALU_DEP_3) | instskip(SKIP_2) | instid1(VALU_DEP_1)
	v_add3_u32 v50, v50, v65, v66
	v_mul_i32_i24_e32 v65, v85, v171
	v_mul_i32_i24_e32 v66, v73, v172
	v_add3_u32 v51, v51, v65, v66
	v_mul_i32_i24_e32 v65, v85, v173
	v_mul_i32_i24_e32 v66, v73, v174
	;; [unrolled: 1-line block ×4, first 2 shown]
	s_delay_alu instid0(VALU_DEP_3) | instskip(SKIP_4) | instid1(VALU_DEP_3)
	v_add3_u32 v63, v63, v65, v66
	v_mul_i32_i24_e32 v65, v86, v179
	v_mul_i32_i24_e32 v66, v87, v178
	;; [unrolled: 1-line block ×4, first 2 shown]
	v_add3_u32 v23, v23, v66, v65
	ds_load_2addr_b32 v[65:66], v45 offset1:1
	s_wait_dscnt 0x0
	v_bfe_i32 v45, v65, 0, 8
	v_ashrrev_i32_e32 v46, 24, v65
	s_delay_alu instid0(VALU_DEP_2) | instskip(NEXT) | instid1(VALU_DEP_2)
	v_mul_i32_i24_e32 v47, v45, v179
	v_mul_i32_i24_e32 v88, v46, v178
	s_delay_alu instid0(VALU_DEP_1) | instskip(SKIP_2) | instid1(VALU_DEP_2)
	v_add3_u32 v47, v50, v88, v47
	v_mul_i32_i24_e32 v50, v164, v56
	v_mul_i32_i24_e32 v56, v139, v68
	v_mad_i32_i24 v50, v143, v61, v50
	v_mul_i32_i24_e32 v61, v136, v71
	s_delay_alu instid0(VALU_DEP_1) | instskip(SKIP_2) | instid1(VALU_DEP_1)
	v_add3_u32 v50, v50, v56, v61
	v_mul_i32_i24_e32 v56, v45, v182
	v_mul_i32_i24_e32 v61, v46, v183
	v_add3_u32 v51, v51, v61, v56
	v_mul_i32_i24_e32 v56, v45, v184
	v_mul_i32_i24_e32 v61, v46, v185
	;; [unrolled: 1-line block ×4, first 2 shown]
	s_delay_alu instid0(VALU_DEP_3) | instskip(SKIP_2) | instid1(VALU_DEP_2)
	v_add3_u32 v56, v63, v61, v56
	v_bfe_i32 v61, v254, 8, 8
	v_bfe_i32 v63, v254, 16, 8
	v_mul_i32_i24_e32 v68, v61, v175
	s_delay_alu instid0(VALU_DEP_2) | instskip(NEXT) | instid1(VALU_DEP_1)
	v_mul_i32_i24_e32 v71, v63, v187
	v_add3_u32 v23, v23, v68, v71
	v_mul_i32_i24_e32 v68, v248, v134
	v_mul_i32_i24_e32 v71, v75, v148
	s_delay_alu instid0(VALU_DEP_1) | instskip(SKIP_2) | instid1(VALU_DEP_1)
	v_add3_u32 v16, v16, v68, v71
	v_mul_i32_i24_e32 v68, v61, v190
	v_mul_i32_i24_e32 v71, v63, v189
	v_add3_u32 v18, v18, v68, v71
	v_mul_i32_i24_e32 v68, v61, v193
	v_mul_i32_i24_e32 v71, v63, v192
	;; [unrolled: 1-line block ×4, first 2 shown]
	s_delay_alu instid0(VALU_DEP_3) | instskip(SKIP_2) | instid1(VALU_DEP_2)
	v_add3_u32 v42, v42, v68, v71
	v_bfe_i32 v68, v65, 8, 8
	v_bfe_i32 v65, v65, 16, 8
	v_mul_i32_i24_e32 v71, v68, v175
	s_delay_alu instid0(VALU_DEP_2) | instskip(NEXT) | instid1(VALU_DEP_1)
	v_mul_i32_i24_e32 v75, v65, v187
	v_add3_u32 v47, v47, v71, v75
	v_mul_i32_i24_e32 v71, v250, v134
	s_delay_alu instid0(VALU_DEP_1) | instskip(SKIP_2) | instid1(VALU_DEP_3)
	v_add3_u32 v49, v50, v71, v49
	v_mul_i32_i24_e32 v50, v68, v190
	v_mul_i32_i24_e32 v71, v65, v189
	v_add3_u32 v49, v49, v85, v73
	s_delay_alu instid0(VALU_DEP_2) | instskip(SKIP_2) | instid1(VALU_DEP_4)
	v_add3_u32 v50, v51, v50, v71
	v_mul_i32_i24_e32 v51, v68, v193
	v_mul_i32_i24_e32 v71, v65, v192
	v_add3_u32 v45, v49, v46, v45
	v_mul_i32_i24_e32 v65, v65, v122
	v_mul_i32_i24_e32 v68, v68, v147
	s_delay_alu instid0(VALU_DEP_4) | instskip(SKIP_2) | instid1(VALU_DEP_4)
	v_add3_u32 v51, v56, v51, v71
	v_bfe_i32 v56, v253, 8, 8
	v_ashrrev_i32_e32 v71, 24, v253
	v_add3_u32 v45, v45, v68, v65
	s_delay_alu instid0(VALU_DEP_3) | instskip(NEXT) | instid1(VALU_DEP_3)
	v_mul_i32_i24_e32 v75, v56, v197
	v_mul_i32_i24_e32 v88, v71, v195
	s_delay_alu instid0(VALU_DEP_1) | instskip(SKIP_1) | instid1(VALU_DEP_1)
	v_add3_u32 v23, v23, v88, v75
	v_mul_i32_i24_e32 v75, v252, v129
	v_add3_u32 v16, v16, v52, v75
	v_mul_i32_i24_e32 v52, v56, v202
	v_mul_i32_i24_e32 v75, v71, v203
	s_delay_alu instid0(VALU_DEP_3) | instskip(NEXT) | instid1(VALU_DEP_2)
	v_add3_u32 v16, v16, v87, v86
	v_add3_u32 v18, v18, v75, v52
	v_mul_i32_i24_e32 v52, v56, v210
	v_mul_i32_i24_e32 v75, v71, v211
	s_delay_alu instid0(VALU_DEP_4) | instskip(SKIP_1) | instid1(VALU_DEP_3)
	v_add3_u32 v16, v16, v61, v63
	v_mul_i32_i24_e32 v56, v56, v146
	v_add3_u32 v42, v42, v75, v52
	v_bfe_i32 v52, v74, 8, 8
	v_ashrrev_i32_e32 v75, 24, v74
	s_delay_alu instid0(VALU_DEP_2) | instskip(NEXT) | instid1(VALU_DEP_2)
	v_mul_i32_i24_e32 v73, v52, v202
	v_mul_i32_i24_e32 v85, v75, v203
	;; [unrolled: 1-line block ×4, first 2 shown]
	s_delay_alu instid0(VALU_DEP_3) | instskip(SKIP_2) | instid1(VALU_DEP_4)
	v_add3_u32 v50, v50, v85, v73
	v_mul_i32_i24_e32 v73, v52, v210
	v_mul_i32_i24_e32 v85, v75, v211
	v_add3_u32 v47, v47, v248, v88
	v_mul_i32_i24_e32 v52, v52, v146
	s_delay_alu instid0(VALU_DEP_3) | instskip(SKIP_2) | instid1(VALU_DEP_2)
	v_add3_u32 v51, v51, v85, v73
	v_bfe_i32 v73, v253, 0, 8
	v_bfe_i32 v85, v253, 16, 8
	v_mul_i32_i24_e32 v86, v73, v208
	s_delay_alu instid0(VALU_DEP_2) | instskip(SKIP_2) | instid1(VALU_DEP_3)
	v_mul_i32_i24_e32 v87, v85, v209
	v_mul_i32_i24_e32 v88, v73, v188
	;; [unrolled: 1-line block ×3, first 2 shown]
	v_add3_u32 v18, v18, v86, v87
	v_mul_i32_i24_e32 v86, v73, v220
	v_mul_i32_i24_e32 v87, v85, v221
	s_delay_alu instid0(VALU_DEP_4) | instskip(SKIP_1) | instid1(VALU_DEP_3)
	v_add3_u32 v23, v23, v88, v248
	v_mul_i32_i24_e32 v73, v73, v137
	v_add3_u32 v42, v42, v86, v87
	v_bfe_i32 v86, v74, 0, 8
	v_bfe_i32 v87, v74, 16, 8
	s_delay_alu instid0(VALU_DEP_2) | instskip(NEXT) | instid1(VALU_DEP_2)
	v_mul_i32_i24_e32 v46, v86, v208
	v_mul_i32_i24_e32 v49, v87, v209
	;; [unrolled: 1-line block ×4, first 2 shown]
	s_delay_alu instid0(VALU_DEP_3) | instskip(SKIP_2) | instid1(VALU_DEP_4)
	v_add3_u32 v46, v50, v46, v49
	v_mul_i32_i24_e32 v49, v86, v220
	v_mul_i32_i24_e32 v50, v87, v221
	v_add3_u32 v47, v47, v74, v88
	s_delay_alu instid0(VALU_DEP_2) | instskip(SKIP_2) | instid1(VALU_DEP_2)
	v_add3_u32 v49, v51, v49, v50
	v_bfe_i32 v50, v255, 0, 8
	v_ashrrev_i32_e32 v51, 24, v255
	v_mul_i32_i24_e32 v61, v50, v214
	s_delay_alu instid0(VALU_DEP_2) | instskip(SKIP_2) | instid1(VALU_DEP_3)
	v_mul_i32_i24_e32 v63, v51, v215
	v_mul_i32_i24_e32 v74, v50, v200
	v_mul_i32_i24_e32 v88, v51, v198
	v_add3_u32 v18, v18, v63, v61
	v_mul_i32_i24_e32 v61, v50, v224
	v_mul_i32_i24_e32 v63, v51, v225
	s_delay_alu instid0(VALU_DEP_4) | instskip(SKIP_2) | instid1(VALU_DEP_4)
	v_add3_u32 v23, v23, v88, v74
	v_mul_i32_i24_e32 v50, v50, v135
	v_mul_i32_i24_e32 v51, v51, v131
	v_add3_u32 v42, v42, v63, v61
	v_bfe_i32 v61, v66, 0, 8
	v_ashrrev_i32_e32 v63, 24, v66
	s_delay_alu instid0(VALU_DEP_2) | instskip(NEXT) | instid1(VALU_DEP_2)
	v_mul_i32_i24_e32 v65, v61, v214
	v_mul_i32_i24_e32 v68, v63, v215
	;; [unrolled: 1-line block ×4, first 2 shown]
	s_delay_alu instid0(VALU_DEP_3) | instskip(SKIP_2) | instid1(VALU_DEP_4)
	v_add3_u32 v46, v46, v68, v65
	v_mul_i32_i24_e32 v65, v61, v224
	v_mul_i32_i24_e32 v68, v63, v225
	v_add3_u32 v47, v47, v88, v74
	v_bfe_i32 v88, v255, 16, 8
	v_mul_i32_i24_e32 v61, v61, v135
	v_mul_i32_i24_e32 v63, v63, v131
	v_add3_u32 v49, v49, v68, v65
	v_bfe_i32 v68, v255, 8, 8
	v_mul_i32_i24_e32 v74, v88, v206
	s_delay_alu instid0(VALU_DEP_2) | instskip(NEXT) | instid1(VALU_DEP_1)
	v_mul_i32_i24_e32 v65, v68, v191
	v_add3_u32 v23, v23, v65, v74
	v_mul_i32_i24_e32 v65, v71, v140
	v_bfe_i32 v71, v66, 16, 8
	s_delay_alu instid0(VALU_DEP_2) | instskip(SKIP_2) | instid1(VALU_DEP_1)
	v_add3_u32 v16, v16, v65, v56
	v_mul_i32_i24_e32 v56, v68, v217
	v_mul_i32_i24_e32 v65, v88, v216
	v_add3_u32 v18, v18, v56, v65
	v_mul_i32_i24_e32 v56, v68, v229
	v_mul_i32_i24_e32 v65, v88, v228
	;; [unrolled: 1-line block ×3, first 2 shown]
	s_delay_alu instid0(VALU_DEP_2) | instskip(SKIP_2) | instid1(VALU_DEP_2)
	v_add3_u32 v42, v42, v56, v65
	v_bfe_i32 v56, v66, 8, 8
	v_mul_i32_i24_e32 v66, v71, v206
	v_mul_i32_i24_e32 v65, v56, v191
	s_delay_alu instid0(VALU_DEP_1) | instskip(SKIP_1) | instid1(VALU_DEP_1)
	v_add3_u32 v47, v47, v65, v66
	v_mul_i32_i24_e32 v65, v75, v140
	v_add3_u32 v45, v45, v65, v52
	v_mul_i32_i24_e32 v52, v56, v217
	v_mul_i32_i24_e32 v65, v71, v216
	s_delay_alu instid0(VALU_DEP_1) | instskip(SKIP_4) | instid1(VALU_DEP_3)
	v_add3_u32 v46, v46, v52, v65
	v_mul_i32_i24_e32 v52, v56, v229
	v_mul_i32_i24_e32 v65, v71, v228
	;; [unrolled: 1-line block ×4, first 2 shown]
	v_add3_u32 v49, v49, v52, v65
	ds_load_2addr_b32 v[65:66], v3 offset1:3
	s_wait_dscnt 0x0
	v_bfe_i32 v3, v66, 8, 8
	v_ashrrev_i32_e32 v52, 24, v66
	s_delay_alu instid0(VALU_DEP_2) | instskip(NEXT) | instid1(VALU_DEP_2)
	v_mul_i32_i24_e32 v74, v3, v204
	v_mul_i32_i24_e32 v75, v52, v201
	s_delay_alu instid0(VALU_DEP_1) | instskip(SKIP_1) | instid1(VALU_DEP_1)
	v_add3_u32 v23, v23, v75, v74
	v_mul_i32_i24_e32 v74, v85, v138
	v_add3_u32 v16, v16, v73, v74
	v_mul_i32_i24_e32 v73, v3, v218
	v_mul_i32_i24_e32 v74, v52, v219
	s_delay_alu instid0(VALU_DEP_3) | instskip(NEXT) | instid1(VALU_DEP_2)
	v_add3_u32 v16, v16, v51, v50
	v_add3_u32 v18, v18, v74, v73
	v_mul_i32_i24_e32 v73, v3, v230
	v_mul_i32_i24_e32 v74, v52, v231
	;; [unrolled: 1-line block ×4, first 2 shown]
	s_delay_alu instid0(VALU_DEP_3) | instskip(SKIP_4) | instid1(VALU_DEP_2)
	v_add3_u32 v42, v42, v74, v73
	ds_load_2addr_b32 v[73:74], v48 offset1:3
	s_wait_dscnt 0x0
	v_bfe_i32 v48, v74, 8, 8
	v_ashrrev_i32_e32 v75, 24, v74
	v_mul_i32_i24_e32 v85, v48, v204
	s_delay_alu instid0(VALU_DEP_2) | instskip(NEXT) | instid1(VALU_DEP_1)
	v_mul_i32_i24_e32 v248, v75, v201
	v_add3_u32 v47, v47, v248, v85
	v_mul_i32_i24_e32 v85, v86, v137
	v_mul_i32_i24_e32 v86, v87, v138
	s_delay_alu instid0(VALU_DEP_1) | instskip(SKIP_2) | instid1(VALU_DEP_3)
	v_add3_u32 v45, v45, v85, v86
	v_mul_i32_i24_e32 v85, v48, v218
	v_mul_i32_i24_e32 v86, v75, v219
	v_add3_u32 v45, v45, v63, v61
	s_delay_alu instid0(VALU_DEP_2) | instskip(SKIP_2) | instid1(VALU_DEP_4)
	v_add3_u32 v46, v46, v86, v85
	v_mul_i32_i24_e32 v85, v48, v230
	v_mul_i32_i24_e32 v86, v75, v231
	v_add3_u32 v45, v45, v56, v71
	v_mul_i32_i24_e32 v75, v75, v133
	v_mul_i32_i24_e32 v48, v48, v144
	s_delay_alu instid0(VALU_DEP_4) | instskip(SKIP_2) | instid1(VALU_DEP_4)
	v_add3_u32 v49, v49, v86, v85
	v_bfe_i32 v85, v66, 0, 8
	v_bfe_i32 v66, v66, 16, 8
	v_add3_u32 v45, v45, v75, v48
	s_delay_alu instid0(VALU_DEP_3) | instskip(NEXT) | instid1(VALU_DEP_3)
	v_mul_i32_i24_e32 v50, v85, v222
	v_mul_i32_i24_e32 v51, v66, v223
	;; [unrolled: 1-line block ×4, first 2 shown]
	s_delay_alu instid0(VALU_DEP_3) | instskip(SKIP_2) | instid1(VALU_DEP_4)
	v_add3_u32 v18, v18, v50, v51
	v_mul_i32_i24_e32 v50, v85, v234
	v_mul_i32_i24_e32 v51, v66, v235
	v_add3_u32 v23, v23, v86, v87
	v_mul_i32_i24_e32 v85, v85, v130
	v_mul_i32_i24_e32 v66, v66, v127
	s_delay_alu instid0(VALU_DEP_4) | instskip(SKIP_2) | instid1(VALU_DEP_2)
	v_add3_u32 v42, v42, v50, v51
	v_bfe_i32 v50, v74, 0, 8
	v_bfe_i32 v51, v74, 16, 8
	v_mul_i32_i24_e32 v61, v50, v222
	s_delay_alu instid0(VALU_DEP_2) | instskip(SKIP_2) | instid1(VALU_DEP_3)
	v_mul_i32_i24_e32 v63, v51, v223
	v_mul_i32_i24_e32 v74, v50, v194
	v_mul_i32_i24_e32 v86, v51, v205
	v_add3_u32 v46, v46, v61, v63
	v_mul_i32_i24_e32 v61, v50, v234
	v_mul_i32_i24_e32 v63, v51, v235
	s_delay_alu instid0(VALU_DEP_4) | instskip(SKIP_2) | instid1(VALU_DEP_4)
	v_add3_u32 v47, v47, v74, v86
	v_mul_i32_i24_e32 v50, v50, v130
	v_mul_i32_i24_e32 v51, v51, v127
	v_add3_u32 v49, v49, v61, v63
	v_bfe_i32 v61, v249, 0, 8
	v_ashrrev_i32_e32 v63, 24, v249
	s_delay_alu instid0(VALU_DEP_4) | instskip(NEXT) | instid1(VALU_DEP_3)
	v_add3_u32 v45, v45, v50, v51
	v_mul_i32_i24_e32 v74, v61, v213
	s_delay_alu instid0(VALU_DEP_3) | instskip(NEXT) | instid1(VALU_DEP_1)
	v_mul_i32_i24_e32 v86, v63, v207
	v_add3_u32 v23, v23, v86, v74
	v_mul_i32_i24_e32 v74, v88, v128
	s_delay_alu instid0(VALU_DEP_1) | instskip(SKIP_2) | instid1(VALU_DEP_3)
	v_add3_u32 v16, v16, v68, v74
	v_mul_i32_i24_e32 v68, v61, v226
	v_mul_i32_i24_e32 v74, v63, v227
	v_add3_u32 v3, v16, v52, v3
	s_delay_alu instid0(VALU_DEP_2) | instskip(SKIP_2) | instid1(VALU_DEP_4)
	v_add3_u32 v18, v18, v74, v68
	v_mul_i32_i24_e32 v68, v61, v236
	v_mul_i32_i24_e32 v74, v63, v237
	v_add3_u32 v3, v3, v85, v66
	s_delay_alu instid0(VALU_DEP_2) | instskip(SKIP_2) | instid1(VALU_DEP_2)
	v_add3_u32 v42, v42, v74, v68
	v_bfe_i32 v68, v251, 0, 8
	v_ashrrev_i32_e32 v74, 24, v251
	v_mul_i32_i24_e32 v56, v68, v226
	s_delay_alu instid0(VALU_DEP_2) | instskip(SKIP_2) | instid1(VALU_DEP_3)
	v_mul_i32_i24_e32 v71, v74, v227
	v_mul_i32_i24_e32 v86, v68, v213
	;; [unrolled: 1-line block ×3, first 2 shown]
	v_add3_u32 v46, v46, v71, v56
	v_mul_i32_i24_e32 v56, v68, v236
	v_mul_i32_i24_e32 v71, v74, v237
	s_delay_alu instid0(VALU_DEP_4) | instskip(NEXT) | instid1(VALU_DEP_2)
	v_add3_u32 v47, v47, v87, v86
	v_add3_u32 v49, v49, v71, v56
	v_bfe_i32 v56, v249, 8, 8
	v_bfe_i32 v71, v249, 16, 8
	s_delay_alu instid0(VALU_DEP_2) | instskip(NEXT) | instid1(VALU_DEP_2)
	v_mul_i32_i24_e32 v16, v56, v233
	v_mul_i32_i24_e32 v52, v71, v232
	;; [unrolled: 1-line block ×4, first 2 shown]
	s_delay_alu instid0(VALU_DEP_3) | instskip(SKIP_2) | instid1(VALU_DEP_4)
	v_add3_u32 v16, v18, v16, v52
	v_mul_i32_i24_e32 v18, v56, v239
	v_mul_i32_i24_e32 v52, v71, v238
	v_add3_u32 v23, v23, v86, v87
	v_mul_i32_i24_e32 v56, v56, v15
	s_delay_alu instid0(VALU_DEP_3) | instskip(SKIP_2) | instid1(VALU_DEP_2)
	v_add3_u32 v18, v42, v18, v52
	v_bfe_i32 v42, v251, 8, 8
	v_bfe_i32 v52, v251, 16, 8
	v_mul_i32_i24_e32 v48, v42, v233
	s_delay_alu instid0(VALU_DEP_2) | instskip(SKIP_2) | instid1(VALU_DEP_3)
	v_mul_i32_i24_e32 v75, v52, v232
	v_mul_i32_i24_e32 v86, v42, v196
	;; [unrolled: 1-line block ×3, first 2 shown]
	v_add3_u32 v46, v46, v48, v75
	v_mul_i32_i24_e32 v48, v42, v239
	v_mul_i32_i24_e32 v75, v52, v238
	s_delay_alu instid0(VALU_DEP_4) | instskip(SKIP_2) | instid1(VALU_DEP_4)
	v_add3_u32 v47, v47, v86, v87
	v_mul_i32_i24_e32 v52, v52, v105
	v_mul_i32_i24_e32 v42, v42, v15
	v_add3_u32 v48, v49, v48, v75
	v_bfe_i32 v49, v65, 0, 8
	v_bfe_i32 v75, v65, 8, 8
	s_delay_alu instid0(VALU_DEP_2) | instskip(NEXT) | instid1(VALU_DEP_2)
	v_mul_i32_i24_e32 v66, v49, v115
	v_mul_i32_i24_e32 v85, v75, v116
	v_mul_i32_i24_e32 v86, v49, v108
	v_mul_i32_i24_e32 v87, v75, v109
	s_delay_alu instid0(VALU_DEP_3) | instskip(SKIP_2) | instid1(VALU_DEP_4)
	v_add3_u32 v16, v16, v66, v85
	v_mul_i32_i24_e32 v66, v49, v119
	v_mul_i32_i24_e32 v85, v75, v120
	v_add3_u32 v23, v23, v86, v87
	s_delay_alu instid0(VALU_DEP_2) | instskip(SKIP_2) | instid1(VALU_DEP_2)
	v_add3_u32 v18, v18, v66, v85
	v_bfe_i32 v66, v73, 0, 8
	v_bfe_i32 v85, v73, 8, 8
	v_mul_i32_i24_e32 v50, v66, v115
	s_delay_alu instid0(VALU_DEP_2) | instskip(SKIP_2) | instid1(VALU_DEP_3)
	v_mul_i32_i24_e32 v51, v85, v116
	v_mul_i32_i24_e32 v86, v66, v108
	;; [unrolled: 1-line block ×3, first 2 shown]
	v_add3_u32 v46, v46, v50, v51
	v_mul_i32_i24_e32 v50, v66, v119
	v_mul_i32_i24_e32 v51, v85, v120
	s_delay_alu instid0(VALU_DEP_4) | instskip(NEXT) | instid1(VALU_DEP_2)
	v_add3_u32 v47, v47, v86, v87
	v_add3_u32 v48, v48, v50, v51
	v_mul_i32_i24_e32 v50, v61, v125
	v_mul_i32_i24_e32 v51, v63, v123
	s_delay_alu instid0(VALU_DEP_1) | instskip(SKIP_2) | instid1(VALU_DEP_2)
	v_add3_u32 v3, v3, v51, v50
	v_bfe_i32 v50, v65, 16, 8
	v_ashrrev_i32_e32 v51, 24, v65
	v_mul_i32_i24_e32 v61, v50, v113
	s_delay_alu instid0(VALU_DEP_2) | instskip(NEXT) | instid1(VALU_DEP_1)
	v_mul_i32_i24_e32 v63, v51, v114
	v_add3_u32 v16, v16, v61, v63
	v_mul_i32_i24_e32 v61, v50, v117
	v_mul_i32_i24_e32 v63, v51, v118
	s_delay_alu instid0(VALU_DEP_3) | instskip(NEXT) | instid1(VALU_DEP_2)
	v_cvt_f32_i32_e32 v16, v16
	v_add3_u32 v18, v18, v61, v63
	v_mul_i32_i24_e32 v61, v50, v106
	v_mul_i32_i24_e32 v63, v51, v107
	s_delay_alu instid0(VALU_DEP_3) | instskip(NEXT) | instid1(VALU_DEP_2)
	v_cvt_f32_i32_e32 v18, v18
	v_add3_u32 v23, v23, v61, v63
	v_bfe_i32 v61, v73, 16, 8
	v_ashrrev_i32_e32 v63, 24, v73
	s_delay_alu instid0(VALU_DEP_3) | instskip(NEXT) | instid1(VALU_DEP_3)
	v_cvt_f32_i32_e32 v23, v23
	v_mul_i32_i24_e32 v65, v61, v106
	s_delay_alu instid0(VALU_DEP_3) | instskip(NEXT) | instid1(VALU_DEP_1)
	v_mul_i32_i24_e32 v73, v63, v107
	v_add3_u32 v47, v47, v65, v73
	v_mul_i32_i24_e32 v65, v68, v125
	v_mul_i32_i24_e32 v68, v74, v123
	s_delay_alu instid0(VALU_DEP_1) | instskip(SKIP_2) | instid1(VALU_DEP_3)
	v_add3_u32 v45, v45, v68, v65
	v_mul_i32_i24_e32 v65, v61, v113
	v_mul_i32_i24_e32 v68, v63, v114
	v_add3_u32 v42, v45, v42, v52
	v_mul_i32_i24_e32 v45, v112, v49
	s_delay_alu instid0(VALU_DEP_3) | instskip(SKIP_4) | instid1(VALU_DEP_3)
	v_add3_u32 v46, v46, v65, v68
	v_mul_i32_i24_e32 v65, v61, v117
	v_mul_i32_i24_e32 v68, v63, v118
	;; [unrolled: 1-line block ×3, first 2 shown]
	v_add_nc_u32_e32 v75, 0x1c04, v98
	v_add3_u32 v48, v48, v65, v68
	v_mul_i32_i24_e32 v65, v71, v105
	s_delay_alu instid0(VALU_DEP_1) | instskip(NEXT) | instid1(VALU_DEP_1)
	v_add3_u32 v3, v3, v56, v65
	v_add3_u32 v3, v3, v45, v49
	v_mul_i32_i24_e32 v45, v112, v66
	ds_load_2addr_b32 v[65:66], v99 offset0:128 offset1:160
	v_mul_i32_i24_e32 v49, v121, v85
	s_delay_alu instid0(VALU_DEP_1) | instskip(SKIP_2) | instid1(VALU_DEP_1)
	v_add3_u32 v42, v42, v45, v49
	v_mul_i32_i24_e32 v45, v111, v50
	v_mul_i32_i24_e32 v49, v110, v51
	v_add3_u32 v3, v3, v45, v49
	v_mul_i32_i24_e32 v45, v111, v61
	v_mul_i32_i24_e32 v49, v110, v63
	s_delay_alu instid0(VALU_DEP_3) | instskip(NEXT) | instid1(VALU_DEP_2)
	v_cvt_f32_i32_e32 v3, v3
	v_add3_u32 v42, v42, v45, v49
	s_wait_dscnt 0x0
	v_lshrrev_b32_e32 v45, 16, v65
	s_delay_alu instid0(VALU_DEP_1) | instskip(NEXT) | instid1(VALU_DEP_1)
	v_cvt_f32_f16_e32 v45, v45
	v_mul_f32_e32 v45, 0x41000000, v45
	s_delay_alu instid0(VALU_DEP_1)
	v_fma_mix_f32 v249, v65, v3, -v45 op_sel_hi:[1,0,0]
	v_lshrrev_b32_e32 v3, 16, v66
	v_fma_mix_f32 v253, v65, v23, -v45 op_sel_hi:[1,0,0]
	v_cvt_f32_i32_e32 v23, v48
	v_fma_mix_f32 v251, v65, v16, -v45 op_sel_hi:[1,0,0]
	v_fma_mix_f32 v250, v65, v18, -v45 op_sel_hi:[1,0,0]
	v_cvt_f32_f16_e32 v3, v3
	v_cvt_f32_i32_e32 v16, v47
	v_cvt_f32_i32_e32 v18, v46
	s_delay_alu instid0(VALU_DEP_3) | instskip(NEXT) | instid1(VALU_DEP_1)
	v_dual_fmac_f32 v58, v14, v249 :: v_dual_mul_f32 v3, 0x41000000, v3
	v_fma_mix_f32 v252, v66, v23, -v3 op_sel_hi:[1,0,0]
	v_cvt_f32_i32_e32 v23, v42
	v_fma_mix_f32 v16, v66, v16, -v3 op_sel_hi:[1,0,0]
	v_fma_mix_f32 v18, v66, v18, -v3 op_sel_hi:[1,0,0]
	s_delay_alu instid0(VALU_DEP_3) | instskip(SKIP_1) | instid1(VALU_DEP_2)
	v_fma_mix_f32 v248, v66, v23, -v3 op_sel_hi:[1,0,0]
	v_add_nc_u32_e32 v3, 0x1800, v98
	v_fmac_f32_e32 v57, v14, v248
	ds_load_2addr_b32 v[65:66], v3 offset0:4 offset1:7
	s_wait_dscnt 0x0
	v_bfe_i32 v23, v65, 8, 8
	v_bfe_i32 v42, v65, 0, 8
	;; [unrolled: 1-line block ×3, first 2 shown]
	v_ashrrev_i32_e32 v47, 24, v65
	s_delay_alu instid0(VALU_DEP_4) | instskip(NEXT) | instid1(VALU_DEP_3)
	v_mul_i32_i24_e32 v45, v23, v142
	v_mul_i32_i24_e32 v48, v46, v150
	s_delay_alu instid0(VALU_DEP_3) | instskip(SKIP_1) | instid1(VALU_DEP_4)
	v_mul_i32_i24_e32 v49, v47, v149
	v_mul_i32_i24_e32 v50, v47, v155
	v_mad_i32_i24 v45, v42, v141, v45
	v_mul_i32_i24_e32 v51, v47, v161
	v_mul_i32_i24_e32 v47, v136, v47
	s_delay_alu instid0(VALU_DEP_3) | instskip(SKIP_2) | instid1(VALU_DEP_2)
	v_add3_u32 v45, v45, v48, v49
	v_mul_i32_i24_e32 v48, v23, v152
	v_mul_i32_i24_e32 v49, v46, v154
	v_mad_i32_i24 v48, v42, v151, v48
	s_delay_alu instid0(VALU_DEP_1) | instskip(SKIP_4) | instid1(VALU_DEP_4)
	v_add3_u32 v48, v48, v49, v50
	v_mul_i32_i24_e32 v49, v23, v158
	v_mul_i32_i24_e32 v50, v46, v160
	;; [unrolled: 1-line block ×4, first 2 shown]
	v_mad_i32_i24 v49, v42, v157, v49
	s_delay_alu instid0(VALU_DEP_3) | instskip(NEXT) | instid1(VALU_DEP_2)
	v_mad_i32_i24 v23, v143, v42, v23
	v_add3_u32 v49, v49, v50, v51
	v_add_nc_u32_e32 v50, 0x1c00, v98
	s_delay_alu instid0(VALU_DEP_3)
	v_add3_u32 v23, v23, v46, v47
	ds_load_2addr_b32 v[73:74], v50 offset0:4 offset1:7
	s_wait_dscnt 0x0
	v_bfe_i32 v51, v73, 8, 8
	v_bfe_i32 v56, v73, 0, 8
	;; [unrolled: 1-line block ×3, first 2 shown]
	v_ashrrev_i32_e32 v65, 24, v73
	s_delay_alu instid0(VALU_DEP_4) | instskip(NEXT) | instid1(VALU_DEP_3)
	v_mul_i32_i24_e32 v52, v51, v142
	v_mul_i32_i24_e32 v63, v61, v150
	s_delay_alu instid0(VALU_DEP_3) | instskip(SKIP_1) | instid1(VALU_DEP_4)
	v_mul_i32_i24_e32 v68, v65, v149
	v_mul_i32_i24_e32 v71, v65, v155
	v_mad_i32_i24 v52, v56, v141, v52
	v_mul_i32_i24_e32 v73, v65, v161
	s_delay_alu instid0(VALU_DEP_2) | instskip(SKIP_2) | instid1(VALU_DEP_2)
	v_add3_u32 v52, v52, v63, v68
	v_mul_i32_i24_e32 v63, v51, v152
	v_mul_i32_i24_e32 v68, v61, v154
	v_mad_i32_i24 v63, v56, v151, v63
	s_delay_alu instid0(VALU_DEP_1) | instskip(SKIP_3) | instid1(VALU_DEP_3)
	v_add3_u32 v63, v63, v68, v71
	v_mul_i32_i24_e32 v68, v51, v158
	v_mul_i32_i24_e32 v71, v61, v160
	;; [unrolled: 1-line block ×3, first 2 shown]
	v_mad_i32_i24 v68, v56, v157, v68
	s_delay_alu instid0(VALU_DEP_2) | instskip(NEXT) | instid1(VALU_DEP_2)
	v_mad_i32_i24 v42, v143, v56, v51
	v_add3_u32 v68, v68, v71, v73
	v_add_nc_u32_e32 v71, 0x1804, v98
	v_add_nc_u32_e32 v73, 0x1814, v98
	ds_load_2addr_b32 v[141:142], v71 offset1:1
	ds_load_2addr_b32 v[149:150], v73 offset1:1
	;; [unrolled: 1-line block ×3, first 2 shown]
	s_wait_dscnt 0x2
	v_bfe_i32 v71, v141, 8, 8
	v_ashrrev_i32_e32 v73, 24, v141
	s_wait_dscnt 0x0
	v_ashrrev_i32_e32 v86, 24, v151
	s_delay_alu instid0(VALU_DEP_3) | instskip(NEXT) | instid1(VALU_DEP_3)
	v_mul_i32_i24_e32 v75, v71, v159
	v_mul_i32_i24_e32 v85, v73, v156
	s_delay_alu instid0(VALU_DEP_3) | instskip(NEXT) | instid1(VALU_DEP_2)
	v_mul_i32_i24_e32 v87, v86, v156
	v_add3_u32 v45, v45, v85, v75
	v_mul_i32_i24_e32 v75, v71, v162
	v_mul_i32_i24_e32 v85, v73, v163
	s_delay_alu instid0(VALU_DEP_1) | instskip(SKIP_3) | instid1(VALU_DEP_2)
	v_add3_u32 v48, v48, v85, v75
	v_mul_i32_i24_e32 v75, v71, v165
	v_mul_i32_i24_e32 v85, v73, v166
	;; [unrolled: 1-line block ×3, first 2 shown]
	v_add3_u32 v49, v49, v85, v75
	v_bfe_i32 v75, v151, 8, 8
	s_delay_alu instid0(VALU_DEP_1) | instskip(NEXT) | instid1(VALU_DEP_1)
	v_mul_i32_i24_e32 v85, v75, v159
	v_add3_u32 v52, v52, v87, v85
	v_mul_i32_i24_e32 v85, v75, v162
	v_mul_i32_i24_e32 v87, v86, v163
	s_delay_alu instid0(VALU_DEP_1) | instskip(SKIP_3) | instid1(VALU_DEP_2)
	v_add3_u32 v63, v63, v87, v85
	v_mul_i32_i24_e32 v85, v75, v165
	v_mul_i32_i24_e32 v87, v86, v166
	;; [unrolled: 1-line block ×3, first 2 shown]
	v_add3_u32 v68, v68, v87, v85
	v_bfe_i32 v85, v141, 0, 8
	v_bfe_i32 v87, v141, 16, 8
	s_delay_alu instid0(VALU_DEP_2) | instskip(NEXT) | instid1(VALU_DEP_2)
	v_mul_i32_i24_e32 v88, v85, v153
	v_mul_i32_i24_e32 v141, v87, v170
	s_delay_alu instid0(VALU_DEP_1) | instskip(SKIP_2) | instid1(VALU_DEP_1)
	v_add3_u32 v45, v45, v88, v141
	v_mul_i32_i24_e32 v88, v85, v171
	v_mul_i32_i24_e32 v141, v87, v172
	v_add3_u32 v48, v48, v88, v141
	v_mul_i32_i24_e32 v88, v85, v173
	v_mul_i32_i24_e32 v141, v87, v174
	;; [unrolled: 1-line block ×3, first 2 shown]
	s_delay_alu instid0(VALU_DEP_2) | instskip(SKIP_2) | instid1(VALU_DEP_2)
	v_add3_u32 v49, v49, v88, v141
	v_bfe_i32 v88, v151, 0, 8
	v_bfe_i32 v151, v151, 16, 8
	v_mul_i32_i24_e32 v51, v88, v171
	s_delay_alu instid0(VALU_DEP_2) | instskip(SKIP_2) | instid1(VALU_DEP_3)
	v_mul_i32_i24_e32 v56, v151, v172
	v_mul_i32_i24_e32 v141, v88, v153
	;; [unrolled: 1-line block ×3, first 2 shown]
	v_add3_u32 v51, v63, v51, v56
	v_mul_i32_i24_e32 v56, v88, v173
	v_mul_i32_i24_e32 v63, v151, v174
	s_delay_alu instid0(VALU_DEP_4) | instskip(NEXT) | instid1(VALU_DEP_2)
	v_add3_u32 v52, v52, v141, v153
	v_add3_u32 v56, v68, v56, v63
	v_bfe_i32 v63, v149, 0, 8
	v_ashrrev_i32_e32 v68, 24, v149
	s_delay_alu instid0(VALU_DEP_2) | instskip(NEXT) | instid1(VALU_DEP_2)
	v_mul_i32_i24_e32 v46, v63, v182
	v_mul_i32_i24_e32 v47, v68, v183
	;; [unrolled: 1-line block ×4, first 2 shown]
	s_delay_alu instid0(VALU_DEP_3) | instskip(SKIP_2) | instid1(VALU_DEP_4)
	v_add3_u32 v46, v48, v47, v46
	v_mul_i32_i24_e32 v47, v63, v184
	v_mul_i32_i24_e32 v48, v68, v185
	v_add3_u32 v45, v45, v143, v141
	v_mul_i32_i24_e32 v63, v63, v126
	v_mul_i32_i24_e32 v68, v68, v124
	s_delay_alu instid0(VALU_DEP_4)
	v_add3_u32 v47, v49, v48, v47
	v_add_nc_u32_e32 v48, 0x1c14, v98
	v_add_nc_u32_e32 v98, 32, v98
	ds_load_2addr_b32 v[153:154], v48 offset1:1
	s_wait_dscnt 0x0
	v_bfe_i32 v48, v153, 0, 8
	v_ashrrev_i32_e32 v141, 24, v153
	s_delay_alu instid0(VALU_DEP_2) | instskip(NEXT) | instid1(VALU_DEP_2)
	v_mul_i32_i24_e32 v49, v48, v179
	v_mul_i32_i24_e32 v143, v141, v178
	;; [unrolled: 1-line block ×3, first 2 shown]
	s_delay_alu instid0(VALU_DEP_2) | instskip(SKIP_2) | instid1(VALU_DEP_1)
	v_add3_u32 v49, v52, v143, v49
	v_mul_i32_i24_e32 v52, v139, v61
	v_mul_i32_i24_e32 v61, v136, v65
	v_add3_u32 v42, v42, v52, v61
	v_mul_i32_i24_e32 v52, v48, v182
	v_mul_i32_i24_e32 v61, v141, v183
	s_delay_alu instid0(VALU_DEP_1) | instskip(SKIP_3) | instid1(VALU_DEP_2)
	v_add3_u32 v51, v51, v61, v52
	v_mul_i32_i24_e32 v52, v48, v184
	v_mul_i32_i24_e32 v61, v141, v185
	;; [unrolled: 1-line block ×3, first 2 shown]
	v_add3_u32 v52, v56, v61, v52
	v_bfe_i32 v56, v149, 8, 8
	v_bfe_i32 v61, v149, 16, 8
	s_delay_alu instid0(VALU_DEP_2) | instskip(NEXT) | instid1(VALU_DEP_2)
	v_mul_i32_i24_e32 v65, v56, v175
	v_mul_i32_i24_e32 v136, v61, v187
	s_delay_alu instid0(VALU_DEP_1) | instskip(SKIP_2) | instid1(VALU_DEP_2)
	v_add3_u32 v45, v45, v65, v136
	v_mul_i32_i24_e32 v65, v73, v134
	v_bfe_i32 v73, v153, 16, 8
	v_add3_u32 v23, v23, v65, v71
	v_mul_i32_i24_e32 v65, v56, v190
	v_mul_i32_i24_e32 v71, v61, v189
	s_delay_alu instid0(VALU_DEP_4) | instskip(NEXT) | instid1(VALU_DEP_2)
	v_mul_i32_i24_e32 v136, v73, v187
	v_add3_u32 v46, v46, v65, v71
	v_mul_i32_i24_e32 v65, v56, v193
	v_mul_i32_i24_e32 v71, v61, v192
	;; [unrolled: 1-line block ×4, first 2 shown]
	s_delay_alu instid0(VALU_DEP_3) | instskip(SKIP_1) | instid1(VALU_DEP_1)
	v_add3_u32 v47, v47, v65, v71
	v_bfe_i32 v65, v153, 8, 8
	v_mul_i32_i24_e32 v71, v65, v175
	s_delay_alu instid0(VALU_DEP_1) | instskip(SKIP_1) | instid1(VALU_DEP_1)
	v_add3_u32 v49, v49, v71, v136
	v_mul_i32_i24_e32 v71, v86, v134
	v_add3_u32 v42, v42, v71, v75
	v_mul_i32_i24_e32 v71, v65, v190
	v_mul_i32_i24_e32 v75, v73, v189
	s_delay_alu instid0(VALU_DEP_1) | instskip(SKIP_3) | instid1(VALU_DEP_2)
	v_add3_u32 v51, v51, v71, v75
	v_mul_i32_i24_e32 v71, v65, v193
	v_mul_i32_i24_e32 v75, v73, v192
	;; [unrolled: 1-line block ×3, first 2 shown]
	v_add3_u32 v52, v52, v71, v75
	v_bfe_i32 v71, v142, 8, 8
	v_ashrrev_i32_e32 v75, 24, v142
	s_delay_alu instid0(VALU_DEP_2) | instskip(NEXT) | instid1(VALU_DEP_2)
	v_mul_i32_i24_e32 v86, v71, v197
	v_mul_i32_i24_e32 v134, v75, v195
	s_delay_alu instid0(VALU_DEP_1) | instskip(SKIP_2) | instid1(VALU_DEP_2)
	v_add3_u32 v45, v45, v134, v86
	v_mul_i32_i24_e32 v86, v87, v129
	v_ashrrev_i32_e32 v87, 24, v152
	v_add3_u32 v23, v23, v85, v86
	v_mul_i32_i24_e32 v85, v71, v202
	v_mul_i32_i24_e32 v86, v75, v203
	s_delay_alu instid0(VALU_DEP_4) | instskip(NEXT) | instid1(VALU_DEP_4)
	v_mul_i32_i24_e32 v134, v87, v195
	v_add3_u32 v23, v23, v68, v63
	s_delay_alu instid0(VALU_DEP_3) | instskip(SKIP_2) | instid1(VALU_DEP_4)
	v_add3_u32 v46, v46, v86, v85
	v_mul_i32_i24_e32 v85, v71, v210
	v_mul_i32_i24_e32 v86, v75, v211
	v_add3_u32 v23, v23, v56, v61
	v_mul_i32_i24_e32 v71, v71, v146
	s_delay_alu instid0(VALU_DEP_3) | instskip(SKIP_1) | instid1(VALU_DEP_1)
	v_add3_u32 v47, v47, v86, v85
	v_bfe_i32 v85, v152, 8, 8
	v_mul_i32_i24_e32 v86, v85, v197
	s_delay_alu instid0(VALU_DEP_1) | instskip(SKIP_2) | instid1(VALU_DEP_1)
	v_add3_u32 v49, v49, v134, v86
	v_mul_i32_i24_e32 v86, v88, v132
	v_mul_i32_i24_e32 v88, v151, v129
	v_add3_u32 v42, v42, v86, v88
	v_mul_i32_i24_e32 v86, v85, v202
	v_mul_i32_i24_e32 v88, v87, v203
	s_delay_alu instid0(VALU_DEP_3) | instskip(NEXT) | instid1(VALU_DEP_2)
	v_add3_u32 v42, v42, v124, v48
	v_add3_u32 v51, v51, v88, v86
	v_mul_i32_i24_e32 v86, v85, v210
	v_mul_i32_i24_e32 v88, v87, v211
	v_mul_i32_i24_e32 v85, v85, v146
	s_delay_alu instid0(VALU_DEP_2)
	v_add3_u32 v52, v52, v88, v86
	v_bfe_i32 v86, v142, 0, 8
	v_bfe_i32 v88, v142, 16, 8
	ds_load_2addr_b32 v[141:142], v50 offset1:3
	v_mul_i32_i24_e32 v63, v86, v208
	v_mul_i32_i24_e32 v68, v88, v209
	;; [unrolled: 1-line block ×4, first 2 shown]
	s_delay_alu instid0(VALU_DEP_3) | instskip(SKIP_2) | instid1(VALU_DEP_4)
	v_add3_u32 v46, v46, v63, v68
	v_mul_i32_i24_e32 v63, v86, v220
	v_mul_i32_i24_e32 v68, v88, v221
	v_add3_u32 v45, v45, v129, v132
	s_delay_alu instid0(VALU_DEP_2) | instskip(SKIP_4) | instid1(VALU_DEP_3)
	v_add3_u32 v47, v47, v63, v68
	v_bfe_i32 v63, v152, 0, 8
	v_bfe_i32 v68, v152, 16, 8
	s_wait_dscnt 0x0
	v_bfe_i32 v50, v142, 8, 8
	v_mul_i32_i24_e32 v48, v63, v208
	s_delay_alu instid0(VALU_DEP_3) | instskip(SKIP_2) | instid1(VALU_DEP_3)
	v_mul_i32_i24_e32 v124, v68, v209
	v_mul_i32_i24_e32 v129, v63, v188
	;; [unrolled: 1-line block ×3, first 2 shown]
	v_add3_u32 v48, v51, v48, v124
	v_mul_i32_i24_e32 v51, v63, v220
	v_mul_i32_i24_e32 v124, v68, v221
	s_delay_alu instid0(VALU_DEP_4) | instskip(SKIP_2) | instid1(VALU_DEP_4)
	v_add3_u32 v49, v49, v129, v132
	v_mul_i32_i24_e32 v63, v63, v137
	v_mul_i32_i24_e32 v68, v68, v138
	v_add3_u32 v51, v52, v51, v124
	v_bfe_i32 v52, v150, 0, 8
	v_ashrrev_i32_e32 v124, 24, v150
	s_delay_alu instid0(VALU_DEP_2) | instskip(NEXT) | instid1(VALU_DEP_2)
	v_mul_i32_i24_e32 v56, v52, v214
	v_mul_i32_i24_e32 v61, v124, v215
	v_mul_i32_i24_e32 v126, v52, v200
	v_mul_i32_i24_e32 v129, v124, v198
	s_delay_alu instid0(VALU_DEP_3) | instskip(SKIP_2) | instid1(VALU_DEP_4)
	v_add3_u32 v46, v46, v61, v56
	v_mul_i32_i24_e32 v56, v52, v224
	v_mul_i32_i24_e32 v61, v124, v225
	v_add3_u32 v45, v45, v129, v126
	v_ashrrev_i32_e32 v126, 24, v154
	v_mul_i32_i24_e32 v52, v52, v135
	s_delay_alu instid0(VALU_DEP_4) | instskip(SKIP_1) | instid1(VALU_DEP_4)
	v_add3_u32 v47, v47, v61, v56
	v_bfe_i32 v56, v154, 0, 8
	v_mul_i32_i24_e32 v129, v126, v198
	s_delay_alu instid0(VALU_DEP_2) | instskip(NEXT) | instid1(VALU_DEP_1)
	v_mul_i32_i24_e32 v61, v56, v200
	v_add3_u32 v49, v49, v129, v61
	v_mul_i32_i24_e32 v61, v73, v122
	s_delay_alu instid0(VALU_DEP_1) | instskip(SKIP_2) | instid1(VALU_DEP_1)
	v_add3_u32 v42, v42, v65, v61
	v_mul_i32_i24_e32 v61, v56, v214
	v_mul_i32_i24_e32 v65, v126, v215
	v_add3_u32 v48, v48, v65, v61
	v_mul_i32_i24_e32 v61, v56, v224
	v_mul_i32_i24_e32 v65, v126, v225
	;; [unrolled: 1-line block ×3, first 2 shown]
	s_delay_alu instid0(VALU_DEP_2) | instskip(SKIP_2) | instid1(VALU_DEP_2)
	v_add3_u32 v51, v51, v65, v61
	v_bfe_i32 v61, v150, 8, 8
	v_bfe_i32 v65, v150, 16, 8
	v_mul_i32_i24_e32 v73, v61, v191
	s_delay_alu instid0(VALU_DEP_2) | instskip(NEXT) | instid1(VALU_DEP_1)
	v_mul_i32_i24_e32 v122, v65, v206
	v_add3_u32 v45, v45, v73, v122
	v_mul_i32_i24_e32 v73, v75, v140
	s_delay_alu instid0(VALU_DEP_1) | instskip(SKIP_2) | instid1(VALU_DEP_1)
	v_add3_u32 v23, v23, v73, v71
	v_mul_i32_i24_e32 v71, v61, v217
	v_mul_i32_i24_e32 v73, v65, v216
	v_add3_u32 v46, v46, v71, v73
	v_mul_i32_i24_e32 v71, v61, v229
	v_mul_i32_i24_e32 v73, v65, v228
	;; [unrolled: 1-line block ×4, first 2 shown]
	s_delay_alu instid0(VALU_DEP_3) | instskip(SKIP_2) | instid1(VALU_DEP_2)
	v_add3_u32 v47, v47, v71, v73
	v_bfe_i32 v71, v154, 8, 8
	v_bfe_i32 v73, v154, 16, 8
	v_mul_i32_i24_e32 v75, v71, v191
	s_delay_alu instid0(VALU_DEP_2) | instskip(NEXT) | instid1(VALU_DEP_1)
	v_mul_i32_i24_e32 v122, v73, v206
	v_add3_u32 v49, v49, v75, v122
	v_mul_i32_i24_e32 v75, v87, v140
	ds_load_2addr_b32 v[139:140], v3 offset1:3
	v_add3_u32 v42, v42, v75, v85
	v_mul_i32_i24_e32 v75, v71, v217
	v_mul_i32_i24_e32 v85, v73, v216
	s_delay_alu instid0(VALU_DEP_3) | instskip(SKIP_1) | instid1(VALU_DEP_3)
	v_add3_u32 v42, v42, v63, v68
	v_mul_i32_i24_e32 v63, v50, v218
	v_add3_u32 v48, v48, v75, v85
	v_mul_i32_i24_e32 v75, v71, v229
	v_mul_i32_i24_e32 v85, v73, v228
	v_mul_i32_i24_e32 v71, v71, v145
	s_delay_alu instid0(VALU_DEP_2) | instskip(SKIP_3) | instid1(VALU_DEP_2)
	v_add3_u32 v51, v51, v75, v85
	s_wait_dscnt 0x0
	v_bfe_i32 v3, v140, 8, 8
	v_ashrrev_i32_e32 v75, 24, v140
	v_mul_i32_i24_e32 v85, v3, v204
	s_delay_alu instid0(VALU_DEP_2) | instskip(NEXT) | instid1(VALU_DEP_1)
	v_mul_i32_i24_e32 v87, v75, v201
	v_add3_u32 v45, v45, v87, v85
	v_mul_i32_i24_e32 v85, v86, v137
	v_mul_i32_i24_e32 v86, v88, v138
	s_delay_alu instid0(VALU_DEP_1) | instskip(SKIP_2) | instid1(VALU_DEP_1)
	v_add3_u32 v23, v23, v85, v86
	v_mul_i32_i24_e32 v85, v3, v218
	v_mul_i32_i24_e32 v86, v75, v219
	v_add3_u32 v46, v46, v86, v85
	v_mul_i32_i24_e32 v85, v3, v230
	v_mul_i32_i24_e32 v86, v75, v231
	;; [unrolled: 1-line block ×3, first 2 shown]
	s_delay_alu instid0(VALU_DEP_2) | instskip(SKIP_2) | instid1(VALU_DEP_2)
	v_add3_u32 v47, v47, v86, v85
	v_ashrrev_i32_e32 v86, 24, v142
	v_mul_i32_i24_e32 v85, v50, v204
	v_mul_i32_i24_e32 v68, v86, v219
	;; [unrolled: 1-line block ×3, first 2 shown]
	s_delay_alu instid0(VALU_DEP_2) | instskip(SKIP_2) | instid1(VALU_DEP_4)
	v_add3_u32 v48, v48, v68, v63
	v_mul_i32_i24_e32 v63, v50, v230
	v_mul_i32_i24_e32 v68, v86, v231
	v_add3_u32 v49, v49, v87, v85
	v_mul_i32_i24_e32 v50, v50, v144
	s_delay_alu instid0(VALU_DEP_3) | instskip(SKIP_2) | instid1(VALU_DEP_2)
	v_add3_u32 v51, v51, v68, v63
	v_bfe_i32 v63, v140, 0, 8
	v_bfe_i32 v68, v140, 16, 8
	v_mul_i32_i24_e32 v85, v63, v194
	s_delay_alu instid0(VALU_DEP_2) | instskip(NEXT) | instid1(VALU_DEP_1)
	v_mul_i32_i24_e32 v87, v68, v205
	v_add3_u32 v45, v45, v85, v87
	v_mul_i32_i24_e32 v85, v124, v131
	v_bfe_i32 v87, v142, 16, 8
	s_delay_alu instid0(VALU_DEP_2) | instskip(SKIP_2) | instid1(VALU_DEP_4)
	v_add3_u32 v23, v23, v85, v52
	v_mul_i32_i24_e32 v52, v63, v222
	v_mul_i32_i24_e32 v85, v68, v223
	;; [unrolled: 1-line block ×3, first 2 shown]
	s_delay_alu instid0(VALU_DEP_4) | instskip(NEXT) | instid1(VALU_DEP_3)
	v_add3_u32 v23, v23, v61, v65
	v_add3_u32 v46, v46, v52, v85
	v_mul_i32_i24_e32 v52, v63, v234
	v_mul_i32_i24_e32 v85, v68, v235
	;; [unrolled: 1-line block ×4, first 2 shown]
	s_delay_alu instid0(VALU_DEP_3) | instskip(SKIP_1) | instid1(VALU_DEP_1)
	v_add3_u32 v47, v47, v52, v85
	v_bfe_i32 v52, v142, 0, 8
	v_mul_i32_i24_e32 v85, v52, v194
	s_delay_alu instid0(VALU_DEP_1) | instskip(SKIP_1) | instid1(VALU_DEP_1)
	v_add3_u32 v49, v49, v85, v88
	v_mul_i32_i24_e32 v85, v126, v131
	v_add3_u32 v42, v42, v85, v56
	v_mul_i32_i24_e32 v56, v52, v222
	v_mul_i32_i24_e32 v85, v87, v223
	s_delay_alu instid0(VALU_DEP_1) | instskip(SKIP_3) | instid1(VALU_DEP_2)
	v_add3_u32 v48, v48, v56, v85
	v_mul_i32_i24_e32 v56, v52, v234
	v_mul_i32_i24_e32 v85, v87, v235
	;; [unrolled: 1-line block ×3, first 2 shown]
	v_add3_u32 v51, v51, v56, v85
	v_bfe_i32 v56, v66, 0, 8
	v_ashrrev_i32_e32 v85, 24, v66
	s_delay_alu instid0(VALU_DEP_2) | instskip(NEXT) | instid1(VALU_DEP_2)
	v_mul_i32_i24_e32 v61, v56, v226
	v_mul_i32_i24_e32 v65, v85, v227
	;; [unrolled: 1-line block ×4, first 2 shown]
	s_delay_alu instid0(VALU_DEP_3) | instskip(SKIP_2) | instid1(VALU_DEP_4)
	v_add3_u32 v46, v46, v65, v61
	v_mul_i32_i24_e32 v61, v56, v236
	v_mul_i32_i24_e32 v65, v85, v237
	v_add3_u32 v45, v45, v122, v88
	v_ashrrev_i32_e32 v88, 24, v74
	s_delay_alu instid0(VALU_DEP_3) | instskip(SKIP_1) | instid1(VALU_DEP_3)
	v_add3_u32 v47, v47, v65, v61
	v_bfe_i32 v61, v74, 0, 8
	v_mul_i32_i24_e32 v122, v88, v207
	s_delay_alu instid0(VALU_DEP_2) | instskip(NEXT) | instid1(VALU_DEP_1)
	v_mul_i32_i24_e32 v65, v61, v213
	v_add3_u32 v49, v49, v122, v65
	v_mul_i32_i24_e32 v65, v73, v128
	s_delay_alu instid0(VALU_DEP_1) | instskip(SKIP_2) | instid1(VALU_DEP_1)
	v_add3_u32 v42, v42, v71, v65
	v_mul_i32_i24_e32 v65, v61, v226
	v_mul_i32_i24_e32 v71, v88, v227
	v_add3_u32 v48, v48, v71, v65
	v_mul_i32_i24_e32 v65, v61, v236
	v_mul_i32_i24_e32 v71, v88, v237
	;; [unrolled: 1-line block ×3, first 2 shown]
	s_delay_alu instid0(VALU_DEP_2) | instskip(SKIP_2) | instid1(VALU_DEP_2)
	v_add3_u32 v51, v51, v71, v65
	v_bfe_i32 v65, v66, 8, 8
	v_bfe_i32 v66, v66, 16, 8
	v_mul_i32_i24_e32 v71, v65, v196
	s_delay_alu instid0(VALU_DEP_2) | instskip(NEXT) | instid1(VALU_DEP_1)
	v_mul_i32_i24_e32 v73, v66, v212
	v_add3_u32 v45, v45, v71, v73
	v_mul_i32_i24_e32 v71, v75, v133
	s_delay_alu instid0(VALU_DEP_1) | instskip(SKIP_2) | instid1(VALU_DEP_3)
	v_add3_u32 v3, v23, v71, v3
	v_mul_i32_i24_e32 v23, v65, v233
	v_mul_i32_i24_e32 v71, v66, v232
	v_add3_u32 v3, v3, v63, v68
	s_delay_alu instid0(VALU_DEP_2) | instskip(SKIP_3) | instid1(VALU_DEP_2)
	v_add3_u32 v23, v46, v23, v71
	v_mul_i32_i24_e32 v46, v65, v239
	v_mul_i32_i24_e32 v71, v66, v238
	;; [unrolled: 1-line block ×3, first 2 shown]
	v_add3_u32 v46, v47, v46, v71
	v_bfe_i32 v47, v74, 8, 8
	v_bfe_i32 v71, v74, 16, 8
	s_delay_alu instid0(VALU_DEP_2) | instskip(NEXT) | instid1(VALU_DEP_2)
	v_mul_i32_i24_e32 v73, v47, v196
	v_mul_i32_i24_e32 v74, v71, v212
	;; [unrolled: 1-line block ×3, first 2 shown]
	s_delay_alu instid0(VALU_DEP_2) | instskip(SKIP_1) | instid1(VALU_DEP_1)
	v_add3_u32 v49, v49, v73, v74
	v_mul_i32_i24_e32 v73, v86, v133
	v_add3_u32 v42, v42, v73, v50
	v_mul_i32_i24_e32 v50, v47, v233
	v_mul_i32_i24_e32 v73, v71, v232
	s_delay_alu instid0(VALU_DEP_1) | instskip(SKIP_2) | instid1(VALU_DEP_1)
	v_add3_u32 v48, v48, v50, v73
	v_mul_i32_i24_e32 v50, v47, v239
	v_mul_i32_i24_e32 v73, v71, v238
	v_add3_u32 v50, v51, v50, v73
	v_bfe_i32 v51, v139, 0, 8
	v_bfe_i32 v73, v139, 8, 8
	s_delay_alu instid0(VALU_DEP_2) | instskip(NEXT) | instid1(VALU_DEP_2)
	v_mul_i32_i24_e32 v63, v51, v115
	v_mul_i32_i24_e32 v68, v73, v116
	;; [unrolled: 1-line block ×5, first 2 shown]
	s_delay_alu instid0(VALU_DEP_4) | instskip(SKIP_4) | instid1(VALU_DEP_3)
	v_add3_u32 v23, v23, v63, v68
	v_mul_i32_i24_e32 v63, v51, v119
	v_mul_i32_i24_e32 v68, v73, v120
	v_add3_u32 v45, v45, v74, v75
	v_bfe_i32 v74, v141, 8, 8
	v_add3_u32 v46, v46, v63, v68
	v_bfe_i32 v63, v141, 0, 8
	s_delay_alu instid0(VALU_DEP_3) | instskip(NEXT) | instid1(VALU_DEP_2)
	v_mul_i32_i24_e32 v75, v74, v109
	v_mul_i32_i24_e32 v68, v63, v108
	s_delay_alu instid0(VALU_DEP_1) | instskip(SKIP_1) | instid1(VALU_DEP_1)
	v_add3_u32 v49, v49, v68, v75
	v_mul_i32_i24_e32 v68, v87, v127
	v_add3_u32 v42, v42, v52, v68
	v_mul_i32_i24_e32 v52, v63, v115
	v_mul_i32_i24_e32 v68, v74, v116
	s_delay_alu instid0(VALU_DEP_1) | instskip(SKIP_2) | instid1(VALU_DEP_1)
	v_add3_u32 v48, v48, v52, v68
	v_mul_i32_i24_e32 v52, v63, v119
	v_mul_i32_i24_e32 v68, v74, v120
	v_add3_u32 v50, v50, v52, v68
	v_mul_i32_i24_e32 v52, v56, v125
	v_mul_i32_i24_e32 v56, v85, v123
	s_delay_alu instid0(VALU_DEP_1) | instskip(SKIP_2) | instid1(VALU_DEP_2)
	v_add3_u32 v3, v3, v56, v52
	v_bfe_i32 v52, v139, 16, 8
	v_ashrrev_i32_e32 v56, 24, v139
	v_mul_i32_i24_e32 v68, v52, v113
	s_delay_alu instid0(VALU_DEP_2) | instskip(NEXT) | instid1(VALU_DEP_1)
	v_mul_i32_i24_e32 v75, v56, v114
	v_add3_u32 v23, v23, v68, v75
	v_mul_i32_i24_e32 v68, v52, v117
	v_mul_i32_i24_e32 v75, v56, v118
	s_delay_alu instid0(VALU_DEP_3) | instskip(NEXT) | instid1(VALU_DEP_2)
	v_cvt_f32_i32_e32 v23, v23
	v_add3_u32 v46, v46, v68, v75
	v_mul_i32_i24_e32 v68, v52, v106
	v_mul_i32_i24_e32 v75, v56, v107
	s_delay_alu instid0(VALU_DEP_3) | instskip(NEXT) | instid1(VALU_DEP_2)
	v_cvt_f32_i32_e32 v46, v46
	v_add3_u32 v45, v45, v68, v75
	v_bfe_i32 v68, v141, 16, 8
	v_ashrrev_i32_e32 v75, 24, v141
	s_delay_alu instid0(VALU_DEP_3) | instskip(NEXT) | instid1(VALU_DEP_3)
	v_cvt_f32_i32_e32 v45, v45
	v_mul_i32_i24_e32 v85, v68, v106
	s_delay_alu instid0(VALU_DEP_3) | instskip(NEXT) | instid1(VALU_DEP_1)
	v_mul_i32_i24_e32 v86, v75, v107
	v_add3_u32 v49, v49, v85, v86
	v_mul_i32_i24_e32 v85, v88, v123
	s_delay_alu instid0(VALU_DEP_1) | instskip(SKIP_2) | instid1(VALU_DEP_1)
	v_add3_u32 v42, v42, v85, v61
	v_mul_i32_i24_e32 v61, v68, v113
	v_mul_i32_i24_e32 v85, v75, v114
	v_add3_u32 v48, v48, v61, v85
	v_mul_i32_i24_e32 v61, v68, v117
	v_mul_i32_i24_e32 v85, v75, v118
	s_delay_alu instid0(VALU_DEP_3) | instskip(NEXT) | instid1(VALU_DEP_2)
	v_cvt_f32_i32_e32 v48, v48
	v_add3_u32 v50, v50, v61, v85
	v_mul_i32_i24_e32 v61, v66, v105
	s_delay_alu instid0(VALU_DEP_1)
	v_add3_u32 v3, v3, v65, v61
	v_mul_i32_i24_e32 v61, v71, v105
	ds_load_2addr_b32 v[65:66], v99 offset0:192 offset1:224
	v_add_nc_u32_e32 v99, 4, v99
	v_add3_u32 v15, v42, v15, v61
	v_mul_i32_i24_e32 v42, v112, v51
	s_delay_alu instid0(VALU_DEP_1) | instskip(SKIP_2) | instid1(VALU_DEP_1)
	v_add3_u32 v3, v3, v42, v47
	v_mul_i32_i24_e32 v42, v112, v63
	v_mul_i32_i24_e32 v47, v121, v74
	v_add3_u32 v15, v15, v42, v47
	v_mul_i32_i24_e32 v42, v111, v52
	v_mul_i32_i24_e32 v47, v110, v56
	s_delay_alu instid0(VALU_DEP_1) | instskip(SKIP_2) | instid1(VALU_DEP_3)
	v_add3_u32 v3, v3, v42, v47
	v_mul_i32_i24_e32 v42, v111, v68
	v_mul_i32_i24_e32 v47, v110, v75
	v_cvt_f32_i32_e32 v3, v3
	s_delay_alu instid0(VALU_DEP_2)
	v_add3_u32 v15, v15, v42, v47
	s_wait_dscnt 0x0
	v_lshrrev_b32_e32 v42, 16, v65
	v_cvt_f32_i32_e32 v47, v49
	v_cvt_f32_i32_e32 v49, v50
	;; [unrolled: 1-line block ×3, first 2 shown]
	s_delay_alu instid0(VALU_DEP_4) | instskip(NEXT) | instid1(VALU_DEP_1)
	v_cvt_f32_f16_e32 v42, v42
	v_mul_f32_e32 v42, 0x41000000, v42
	s_delay_alu instid0(VALU_DEP_1) | instskip(SKIP_4) | instid1(VALU_DEP_2)
	v_fma_mix_f32 v45, v65, v45, -v42 op_sel_hi:[1,0,0]
	v_fma_mix_f32 v23, v65, v23, -v42 op_sel_hi:[1,0,0]
	;; [unrolled: 1-line block ×4, first 2 shown]
	v_lshrrev_b32_e32 v42, 16, v66
	v_fmac_f32_e32 v53, v14, v3
	s_delay_alu instid0(VALU_DEP_2) | instskip(NEXT) | instid1(VALU_DEP_1)
	v_cvt_f32_f16_e32 v42, v42
	v_mul_f32_e32 v42, 0x41000000, v42
	s_delay_alu instid0(VALU_DEP_1)
	v_fma_mix_f32 v47, v66, v47, -v42 op_sel_hi:[1,0,0]
	v_fma_mix_f32 v48, v66, v48, -v42 op_sel_hi:[1,0,0]
	;; [unrolled: 1-line block ×4, first 2 shown]
	ds_load_b32 v42, v100
	v_add_nc_u32_e32 v100, 4, v100
	v_fmac_f32_e32 v0, v14, v15
	s_wait_dscnt 0x0
	v_fma_f32 v9, v42, v16, v9
	ds_load_b32 v16, v102
	v_fmac_f32_e32 v12, v42, v180
	v_fma_f32 v13, v42, v186, v13
	v_fma_f32 v11, v42, v247, v11
	v_fmac_f32_e32 v10, v42, v245
	v_fmac_f32_e32 v8, v42, v253
	v_fma_f32 v7, v42, v47, v7
	v_fmac_f32_e32 v6, v42, v45
	v_add_nc_u32_e32 v102, 4, v102
	s_wait_dscnt 0x0
	v_fmac_f32_e32 v96, v16, v176
	v_fmac_f32_e32 v92, v16, v181
	;; [unrolled: 1-line block ×8, first 2 shown]
	ds_load_b32 v16, v103
	v_add_nc_u32_e32 v103, 4, v103
	s_wait_dscnt 0x0
	v_fmac_f32_e32 v97, v16, v168
	v_fmac_f32_e32 v94, v16, v177
	;; [unrolled: 1-line block ×8, first 2 shown]
	s_cbranch_scc1 .LBB137_8
; %bb.9:                                ;   in Loop: Header=BB137_6 Depth=1
	s_and_b32 s12, s5, -4
	s_wait_loadcnt 0x0
	s_wait_alu 0xfffe
	s_cmp_eq_u32 s12, 4
	s_barrier_signal -1
	s_barrier_wait -1
	global_inv scope:SCOPE_SE
	s_cbranch_scc1 .LBB137_5
; %bb.10:                               ;   in Loop: Header=BB137_6 Depth=1
	s_clause 0x2
	scratch_load_b32 v3, off, off offset:84
	scratch_load_b32 v14, off, off offset:4
	;; [unrolled: 1-line block ×3, first 2 shown]
	v_add_nc_u32_e32 v2, 4, v2
	s_mov_b32 s12, 12
	s_delay_alu instid0(VALU_DEP_1) | instskip(SKIP_3) | instid1(VALU_DEP_1)
	v_mad_co_u64_u32 v[108:109], null, v2, 36, s[2:3]
	s_wait_loadcnt 0x2
	v_add_nc_u32_e32 v3, s10, v3
	s_wait_loadcnt 0x0
	v_add_nc_u32_e32 v16, v3, v15
	scratch_load_b32 v15, off, off offset:12 ; 4-byte Folded Reload
	v_add_nc_u32_e32 v14, v3, v14
	v_mad_co_i64_i32 v[65:66], null, v16, 36, v[4:5]
	scratch_load_b32 v16, off, off offset:20 ; 4-byte Folded Reload
	s_wait_loadcnt 0x1
	v_add_nc_u32_e32 v18, v3, v15
	scratch_load_b32 v15, off, off offset:16 ; 4-byte Folded Reload
	v_mad_co_i64_i32 v[73:74], null, v18, 36, v[4:5]
	s_wait_loadcnt 0x1
	v_add_nc_u32_e32 v16, v3, v16
	scratch_load_b32 v18, off, off offset:32 ; 4-byte Folded Reload
	v_mad_co_i64_i32 v[100:101], null, v16, 36, v[4:5]
	scratch_load_b32 v16, off, off offset:24 ; 4-byte Folded Reload
	s_wait_loadcnt 0x2
	v_add_nc_u32_e32 v23, v3, v15
	v_mad_co_i64_i32 v[14:15], null, v14, 36, v[4:5]
	s_delay_alu instid0(VALU_DEP_2) | instskip(SKIP_3) | instid1(VALU_DEP_1)
	v_mad_co_i64_i32 v[98:99], null, v23, 36, v[4:5]
	scratch_load_b32 v23, off, off offset:28 ; 4-byte Folded Reload
	s_wait_loadcnt 0x2
	v_add_nc_u32_e32 v18, v3, v18
	v_mad_co_i64_i32 v[102:103], null, v18, 36, v[4:5]
	s_wait_loadcnt 0x1
	v_add_nc_u32_e32 v16, v3, v16
	s_delay_alu instid0(VALU_DEP_1) | instskip(SKIP_2) | instid1(VALU_DEP_1)
	v_mad_co_i64_i32 v[104:105], null, v16, 36, v[4:5]
	s_wait_loadcnt 0x0
	v_add_nc_u32_e32 v3, v3, v23
	v_mad_co_i64_i32 v[106:107], null, v3, 36, v[4:5]
	s_clause 0x8
	global_load_b32 v3, v[102:103], off offset:4
	global_load_b32 v14, v[14:15], off offset:4
	;; [unrolled: 1-line block ×8, first 2 shown]
	global_load_b32 v46, v[108:109], off
	s_clause 0x4
	scratch_load_b32 v2, off, off offset:36
	scratch_load_b32 v99, off, off offset:100
	;; [unrolled: 1-line block ×5, first 2 shown]
	v_mov_b32_e32 v98, v70
	v_mad_u32_u24 v103, 0x84, v17, 64
	s_wait_loadcnt 0xd
	ds_store_b32 v95, v3
	scratch_load_b32 v3, off, off offset:40 ; 4-byte Folded Reload
	s_wait_loadcnt 0x0
	ds_store_b32 v3, v14
	scratch_load_b32 v3, off, off offset:44 ; 4-byte Folded Reload
	;; [unrolled: 3-line block ×4, first 2 shown]
	s_wait_loadcnt 0x0
	ds_store_b32 v3, v18
	ds_store_b32 v89, v23
	;; [unrolled: 1-line block ×4, first 2 shown]
	scratch_load_b32 v3, off, off           ; 4-byte Folded Reload
	s_wait_loadcnt 0x0
	ds_store_b32 v3, v46
	s_wait_dscnt 0x0
	s_barrier_signal -1
	s_barrier_wait -1
	global_inv scope:SCOPE_SE
.LBB137_11:                             ;   Parent Loop BB137_6 Depth=1
                                        ; =>  This Inner Loop Header: Depth=2
	ds_load_2addr_b32 v[14:15], v98 offset1:3
	ds_load_2addr_b32 v[65:66], v103 offset1:1
	v_add_nc_u32_e32 v45, 0x2100, v103
	v_add_nc_u32_e32 v85, 0x404, v98
	s_wait_alu 0xfffe
	s_add_co_i32 s12, s12, 4
	s_wait_alu 0xfffe
	s_cmp_lt_u32 s12, 28
	s_wait_dscnt 0x1
	v_lshrrev_b16 v3, 8, v14
	s_wait_dscnt 0x0
	v_and_b32_e32 v107, 15, v65
	v_bfe_u32 v108, v65, 8, 4
	v_ashrrev_i32_e32 v18, 24, v14
	v_bfe_i32 v23, v14, 16, 8
	v_bfe_i32 v104, v3, 0, 8
	;; [unrolled: 1-line block ×3, first 2 shown]
	v_bfe_u32 v106, v65, 16, 4
	v_bfe_u32 v105, v65, 24, 4
	;; [unrolled: 1-line block ×4, first 2 shown]
	v_mul_i32_i24_e32 v16, v3, v107
	v_mul_i32_i24_e32 v14, v106, v23
	;; [unrolled: 1-line block ×3, first 2 shown]
	v_bfe_u32 v149, v65, 20, 4
	v_lshrrev_b32_e32 v148, 28, v65
	v_mad_i32_i24 v16, v104, v108, v16
	v_bfe_u32 v153, v66, 8, 4
	v_bfe_u32 v152, v66, 24, 4
	v_bfe_i32 v203, v15, 16, 8
	v_bfe_i32 v206, v15, 0, 8
	v_add3_u32 v16, v16, v14, v42
	v_add_nc_u32_e32 v14, 0x1080, v103
	v_add_nc_u32_e32 v42, 0x1088, v103
	v_lshrrev_b32_e32 v176, 28, v66
	ds_load_2addr_b32 v[73:74], v14 offset1:1
	ds_load_2addr_b32 v[174:175], v42 offset1:1
	ds_load_2addr_b32 v[164:165], v45 offset1:1
	ds_load_2addr_b32 v[166:167], v98 offset0:4 offset1:7
	v_bfe_u32 v186, v66, 12, 4
	s_wait_dscnt 0x3
	v_lshrrev_b32_e32 v135, 28, v73
	v_bfe_u32 v109, v73, 24, 4
	v_bfe_u32 v131, v74, 24, 4
	s_wait_dscnt 0x0
	v_ashrrev_i32_e32 v42, 24, v166
	v_lshrrev_b32_e32 v122, 28, v74
	v_bfe_u32 v136, v73, 20, 4
	v_bfe_u32 v110, v73, 16, 4
	;; [unrolled: 1-line block ×3, first 2 shown]
	v_mul_i32_i24_e32 v14, v135, v42
	v_bfe_u32 v121, v74, 20, 4
	v_bfe_u32 v140, v73, 4, 4
	v_and_b32_e32 v111, 15, v73
	v_and_b32_e32 v130, 15, v74
	v_mad_i32_i24 v45, v109, v18, v14
	ds_load_b32 v14, v100
	ds_load_2addr_b32 v[141:142], v98 offset0:1 offset1:2
	ds_load_2addr_b32 v[177:178], v98 offset0:5 offset1:6
	v_bfe_u32 v125, v74, 4, 4
	v_and_b32_e32 v114, 15, v164
	v_bfe_u32 v115, v164, 8, 4
	v_bfe_u32 v112, v164, 16, 4
	;; [unrolled: 1-line block ×6, first 2 shown]
	v_lshrrev_b32_e32 v155, 28, v164
	v_mul_i32_i24_e32 v75, v18, v113
	v_bfe_u32 v139, v174, 24, 4
	v_lshrrev_b32_e32 v132, 28, v174
	v_and_b32_e32 v137, 15, v174
	v_bfe_u32 v134, v174, 4, 4
	v_bfe_u32 v138, v174, 16, 4
	;; [unrolled: 1-line block ×5, first 2 shown]
	s_wait_dscnt 0x1
	v_ashrrev_i32_e32 v46, 24, v141
	s_wait_dscnt 0x0
	v_ashrrev_i32_e32 v47, 24, v177
	v_bfe_i32 v50, v141, 16, 8
	v_bfe_i32 v51, v177, 16, 8
	;; [unrolled: 1-line block ×3, first 2 shown]
	v_mul_i32_i24_e32 v48, v46, v131
	v_mul_i32_i24_e32 v49, v47, v122
	;; [unrolled: 1-line block ×4, first 2 shown]
	v_bfe_i32 v63, v177, 0, 8
	v_mul_i32_i24_e32 v68, v61, v130
	v_add3_u32 v45, v45, v48, v49
	v_bfe_i32 v48, v166, 16, 8
	v_ashrrev_i32_e32 v179, 24, v142
	v_mul_i32_i24_e32 v71, v63, v125
	v_ashrrev_i32_e32 v199, 24, v178
	v_bfe_i32 v193, v142, 0, 8
	v_mul_i32_i24_e32 v49, v136, v48
	v_bfe_i32 v197, v178, 0, 8
	v_bfe_i32 v198, v142, 16, 8
	v_bfe_i32 v202, v178, 16, 8
	v_bfe_i32 v141, v141, 8, 8
	v_mad_i32_i24 v49, v110, v23, v49
	v_ashrrev_i32_e32 v239, 24, v167
	v_bfe_u32 v133, v175, 24, 4
	v_bfe_i32 v240, v167, 16, 8
	v_bfe_u32 v127, v175, 16, 4
	v_add3_u32 v49, v49, v52, v56
	v_bfe_i32 v52, v166, 0, 8
	v_bfe_i32 v241, v167, 0, 8
	v_and_b32_e32 v170, 15, v165
	v_bfe_u32 v171, v165, 16, 4
	v_bfe_i32 v196, v142, 8, 8
	v_mul_i32_i24_e32 v56, v140, v52
	v_and_b32_e32 v142, 0xf0f0f0f, v174
	v_bfe_i32 v189, v177, 8, 8
	v_bfe_u32 v180, v165, 4, 4
	v_lshrrev_b32_e32 v181, 28, v165
	v_mad_i32_i24 v56, v111, v3, v56
	v_lshrrev_b16 v142, 8, v142
	v_bfe_u32 v177, v66, 4, 4
	v_bfe_u32 v188, v165, 12, 4
	v_add_nc_u32_e32 v100, 4, v100
	v_add3_u32 v56, v56, v68, v71
	v_mul_i32_i24_e32 v68, v3, v114
	v_mul_i32_i24_e32 v71, v23, v112
	s_delay_alu instid0(VALU_DEP_2) | instskip(NEXT) | instid1(VALU_DEP_1)
	v_mad_i32_i24 v68, v104, v115, v68
	v_add3_u32 v68, v68, v71, v75
	v_add_nc_u32_e32 v71, 0x3180, v103
	v_add_nc_u32_e32 v75, 0x3188, v103
	ds_load_2addr_b32 v[168:169], v71 offset1:1
	ds_load_2addr_b32 v[236:237], v75 offset1:1
	;; [unrolled: 1-line block ×3, first 2 shown]
	s_wait_dscnt 0x2
	v_and_b32_e32 v118, 15, v168
	v_bfe_u32 v116, v168, 16, 4
	v_bfe_u32 v117, v168, 24, 4
	;; [unrolled: 1-line block ×4, first 2 shown]
	v_mul_i32_i24_e32 v3, v3, v118
	v_mul_i32_i24_e32 v23, v23, v116
	;; [unrolled: 1-line block ×3, first 2 shown]
	v_bfe_u32 v157, v168, 4, 4
	v_bfe_u32 v159, v168, 20, 4
	v_mad_i32_i24 v3, v104, v119, v3
	v_lshrrev_b32_e32 v160, 28, v168
	s_wait_dscnt 0x0
	v_ashrrev_i32_e32 v187, 24, v184
	v_bfe_u32 v163, v169, 8, 4
	v_bfe_u32 v164, v169, 24, 4
	v_add3_u32 v3, v3, v23, v18
	v_add_nc_u32_e32 v18, 0x400, v98
	v_and_b32_e32 v168, 15, v66
	v_and_b32_e32 v172, 15, v169
	v_bfe_u32 v173, v169, 16, 4
	v_bfe_u32 v182, v169, 4, 4
	ds_load_2addr_b32 v[230:231], v18 offset0:4 offset1:7
	v_lshrrev_b32_e32 v183, 28, v169
	v_bfe_u32 v191, v169, 12, 4
	v_bfe_u32 v190, v169, 20, 4
	;; [unrolled: 1-line block ×4, first 2 shown]
	v_and_b32_e32 v219, 15, v236
	v_bfe_u32 v220, v236, 16, 4
	v_bfe_u32 v223, v236, 4, 4
	v_lshrrev_b32_e32 v224, 28, v236
	v_bfe_u32 v228, v236, 12, 4
	v_bfe_u32 v227, v236, 20, 4
	;; [unrolled: 1-line block ×3, first 2 shown]
	v_and_b32_e32 v233, 15, v237
	v_bfe_u32 v234, v237, 16, 4
	v_bfe_u32 v235, v237, 4, 4
	v_lshrrev_b32_e32 v236, 28, v237
	v_bfe_u32 v238, v237, 12, 4
	s_wait_dscnt 0x0
	v_bfe_i32 v23, v230, 8, 8
	v_bfe_i32 v71, v230, 0, 8
	;; [unrolled: 1-line block ×3, first 2 shown]
	v_ashrrev_i32_e32 v85, 24, v230
	v_bfe_u32 v230, v237, 24, 4
	v_mul_i32_i24_e32 v75, v23, v147
	v_bfe_u32 v237, v237, 20, 4
	v_mul_i32_i24_e32 v86, v65, v149
	v_mul_i32_i24_e32 v87, v85, v148
	;; [unrolled: 1-line block ×3, first 2 shown]
	v_mad_i32_i24 v75, v71, v146, v75
	v_mul_i32_i24_e32 v123, v85, v160
	s_delay_alu instid0(VALU_DEP_2) | instskip(SKIP_3) | instid1(VALU_DEP_3)
	v_add3_u32 v75, v75, v86, v87
	v_lshrrev_b16 v86, 8, v166
	v_mul_i32_i24_e32 v87, v52, v146
	v_bfe_u32 v166, v66, 16, 4
	v_bfe_i32 v86, v86, 0, 8
	s_delay_alu instid0(VALU_DEP_1) | instskip(NEXT) | instid1(VALU_DEP_1)
	v_mul_i32_i24_e32 v88, v86, v147
	v_add3_u32 v16, v16, v88, v87
	v_mul_i32_i24_e32 v87, v23, v151
	v_mul_i32_i24_e32 v88, v65, v154
	s_delay_alu instid0(VALU_DEP_2) | instskip(NEXT) | instid1(VALU_DEP_1)
	v_mad_i32_i24 v87, v71, v150, v87
	v_add3_u32 v87, v87, v88, v120
	v_mul_i32_i24_e32 v88, v23, v158
	v_mul_i32_i24_e32 v120, v65, v159
	;; [unrolled: 1-line block ×3, first 2 shown]
	s_delay_alu instid0(VALU_DEP_3) | instskip(NEXT) | instid1(VALU_DEP_1)
	v_mad_i32_i24 v88, v71, v157, v88
	v_add3_u32 v88, v88, v120, v123
	v_mul_i32_i24_e32 v120, v179, v139
	v_mul_i32_i24_e32 v123, v199, v132
	s_delay_alu instid0(VALU_DEP_1) | instskip(SKIP_2) | instid1(VALU_DEP_1)
	v_add3_u32 v45, v45, v120, v123
	v_mul_i32_i24_e32 v120, v193, v137
	v_mul_i32_i24_e32 v123, v197, v134
	v_add3_u32 v56, v56, v120, v123
	v_mul_i32_i24_e32 v120, v198, v138
	v_mul_i32_i24_e32 v123, v202, v128
	s_delay_alu instid0(VALU_DEP_1) | instskip(SKIP_3) | instid1(VALU_DEP_2)
	v_add3_u32 v49, v49, v120, v123
	v_mul_i32_i24_e32 v120, v52, v150
	v_mul_i32_i24_e32 v123, v86, v151
	;; [unrolled: 1-line block ×3, first 2 shown]
	v_add3_u32 v68, v68, v123, v120
	v_mul_i32_i24_e32 v120, v86, v158
	v_mul_i32_i24_e32 v123, v187, v152
	s_delay_alu instid0(VALU_DEP_2) | instskip(SKIP_1) | instid1(VALU_DEP_1)
	v_add3_u32 v3, v3, v120, v52
	v_bfe_i32 v52, v184, 8, 8
	v_mul_i32_i24_e32 v120, v52, v153
	s_delay_alu instid0(VALU_DEP_1) | instskip(SKIP_2) | instid1(VALU_DEP_1)
	v_add3_u32 v75, v75, v123, v120
	v_mul_i32_i24_e32 v120, v48, v149
	v_mul_i32_i24_e32 v123, v42, v148
	v_add3_u32 v16, v16, v120, v123
	v_mul_i32_i24_e32 v120, v52, v161
	v_mul_i32_i24_e32 v123, v187, v162
	s_delay_alu instid0(VALU_DEP_1) | instskip(SKIP_2) | instid1(VALU_DEP_1)
	v_add3_u32 v87, v87, v123, v120
	v_mul_i32_i24_e32 v120, v52, v163
	v_mul_i32_i24_e32 v123, v187, v164
	v_add3_u32 v88, v88, v123, v120
	v_lshrrev_b32_e32 v120, 4, v73
	v_and_b32_e32 v73, 0xf0f0f0f, v73
	v_and_b32_e32 v123, 0xf0f0f0f, v74
	v_lshrrev_b32_e32 v74, 4, v74
	s_delay_alu instid0(VALU_DEP_4) | instskip(NEXT) | instid1(VALU_DEP_4)
	v_lshrrev_b16 v120, 8, v120
	v_lshrrev_b16 v73, 8, v73
	s_delay_alu instid0(VALU_DEP_4) | instskip(NEXT) | instid1(VALU_DEP_4)
	v_lshrrev_b16 v123, 8, v123
	v_lshrrev_b16 v74, 8, v74
	s_delay_alu instid0(VALU_DEP_4) | instskip(NEXT) | instid1(VALU_DEP_4)
	v_and_b32_e32 v124, 15, v120
	v_and_b32_e32 v120, 0xffff, v73
	s_delay_alu instid0(VALU_DEP_4)
	v_and_b32_e32 v145, 0xffff, v123
	v_lshrrev_b32_e32 v123, 28, v175
	v_and_b32_e32 v74, 15, v74
	v_and_b32_e32 v156, 0xffff, v124
	v_mul_i32_i24_e32 v73, v120, v104
	v_mul_i32_i24_e32 v104, v141, v145
	;; [unrolled: 1-line block ×6, first 2 shown]
	s_delay_alu instid0(VALU_DEP_2) | instskip(SKIP_1) | instid1(VALU_DEP_3)
	v_add3_u32 v73, v73, v86, v104
	v_ashrrev_i32_e32 v86, 24, v15
	v_mad_i32_i24 v23, v140, v71, v23
	v_mul_i32_i24_e32 v71, v135, v85
	s_delay_alu instid0(VALU_DEP_3) | instskip(NEXT) | instid1(VALU_DEP_2)
	v_mul_i32_i24_e32 v104, v86, v133
	v_add3_u32 v23, v23, v65, v71
	s_delay_alu instid0(VALU_DEP_2) | instskip(SKIP_2) | instid1(VALU_DEP_2)
	v_add3_u32 v45, v45, v104, v124
	v_bfe_u32 v104, v175, 20, 4
	v_mul_i32_i24_e32 v124, v203, v127
	v_mul_i32_i24_e32 v129, v240, v104
	s_delay_alu instid0(VALU_DEP_1) | instskip(SKIP_2) | instid1(VALU_DEP_2)
	v_add3_u32 v49, v49, v124, v129
	v_and_b32_e32 v129, 15, v175
	v_bfe_u32 v124, v175, 4, 4
	v_mul_i32_i24_e32 v143, v206, v129
	s_delay_alu instid0(VALU_DEP_2) | instskip(NEXT) | instid1(VALU_DEP_1)
	v_mul_i32_i24_e32 v144, v241, v124
	v_add3_u32 v56, v56, v143, v144
	v_mul_i32_i24_e32 v143, v48, v154
	v_mul_i32_i24_e32 v144, v42, v155
	v_mul_i32_i24_e32 v48, v48, v159
	v_mul_i32_i24_e32 v42, v42, v160
	s_delay_alu instid0(VALU_DEP_3) | instskip(NEXT) | instid1(VALU_DEP_2)
	v_add3_u32 v68, v68, v143, v144
	v_add3_u32 v3, v3, v48, v42
	v_bfe_i32 v42, v184, 0, 8
	v_bfe_i32 v48, v184, 16, 8
	s_delay_alu instid0(VALU_DEP_2) | instskip(NEXT) | instid1(VALU_DEP_2)
	v_mul_i32_i24_e32 v143, v42, v168
	v_mul_i32_i24_e32 v144, v48, v166
	s_delay_alu instid0(VALU_DEP_1) | instskip(SKIP_2) | instid1(VALU_DEP_1)
	v_add3_u32 v75, v75, v143, v144
	v_mul_i32_i24_e32 v143, v141, v153
	v_mul_i32_i24_e32 v144, v61, v168
	v_add3_u32 v16, v16, v143, v144
	v_mul_i32_i24_e32 v143, v42, v170
	v_mul_i32_i24_e32 v144, v48, v171
	s_delay_alu instid0(VALU_DEP_1) | instskip(SKIP_4) | instid1(VALU_DEP_3)
	v_add3_u32 v87, v87, v143, v144
	v_mul_i32_i24_e32 v143, v42, v172
	v_mul_i32_i24_e32 v144, v48, v173
	;; [unrolled: 1-line block ×4, first 2 shown]
	v_add3_u32 v88, v88, v143, v144
	v_and_b32_e32 v143, 0xffff, v142
	v_and_b32_e32 v144, 0xffff, v74
	s_delay_alu instid0(VALU_DEP_2) | instskip(NEXT) | instid1(VALU_DEP_2)
	v_mul_i32_i24_e32 v74, v196, v143
	v_mul_i32_i24_e32 v142, v189, v144
	s_delay_alu instid0(VALU_DEP_1) | instskip(SKIP_3) | instid1(VALU_DEP_2)
	v_add3_u32 v184, v73, v142, v74
	v_mul_i32_i24_e32 v73, v61, v170
	v_mul_i32_i24_e32 v74, v141, v161
	;; [unrolled: 1-line block ×3, first 2 shown]
	v_add3_u32 v68, v68, v74, v73
	v_mul_i32_i24_e32 v73, v141, v163
	s_delay_alu instid0(VALU_DEP_1)
	v_add3_u32 v3, v3, v73, v61
	v_add_nc_u32_e32 v61, 0x414, v98
	ds_load_2addr_b32 v[73:74], v61 offset1:1
	s_wait_dscnt 0x0
	v_bfe_i32 v61, v73, 0, 8
	v_ashrrev_i32_e32 v200, 24, v73
	s_delay_alu instid0(VALU_DEP_2) | instskip(NEXT) | instid1(VALU_DEP_2)
	v_mul_i32_i24_e32 v65, v61, v180
	v_mul_i32_i24_e32 v71, v200, v181
	;; [unrolled: 1-line block ×5, first 2 shown]
	s_delay_alu instid0(VALU_DEP_4)
	v_add3_u32 v65, v87, v71, v65
	v_mul_i32_i24_e32 v71, v61, v182
	v_bfe_i32 v87, v15, 8, 8
	v_lshrrev_b32_e32 v15, 4, v174
	v_add3_u32 v75, v75, v142, v141
	v_mul_i32_i24_e32 v141, v50, v166
	v_add3_u32 v71, v88, v85, v71
	v_and_b32_e32 v88, 0xf0f0f0f, v175
	v_lshrrev_b16 v15, 8, v15
	v_mul_i32_i24_e32 v142, v46, v152
	v_bfe_i32 v85, v178, 8, 8
	v_mul_i32_i24_e32 v174, v46, v162
	v_lshrrev_b16 v88, 8, v88
	v_and_b32_e32 v15, 15, v15
	v_add3_u32 v16, v16, v141, v142
	v_mul_i32_i24_e32 v46, v46, v164
	s_delay_alu instid0(VALU_DEP_4) | instskip(NEXT) | instid1(VALU_DEP_4)
	v_and_b32_e32 v141, 0xffff, v88
	v_and_b32_e32 v142, 0xffff, v15
	s_delay_alu instid0(VALU_DEP_2) | instskip(NEXT) | instid1(VALU_DEP_2)
	v_mul_i32_i24_e32 v15, v87, v141
	v_mul_i32_i24_e32 v88, v85, v142
	s_delay_alu instid0(VALU_DEP_1) | instskip(SKIP_2) | instid1(VALU_DEP_2)
	v_add3_u32 v88, v184, v88, v15
	v_mul_i32_i24_e32 v15, v50, v171
	v_bfe_u32 v184, v66, 20, 4
	v_add3_u32 v68, v68, v15, v174
	v_mul_i32_i24_e32 v15, v50, v173
	v_bfe_i32 v50, v73, 16, 8
	s_delay_alu instid0(VALU_DEP_2) | instskip(SKIP_1) | instid1(VALU_DEP_3)
	v_add3_u32 v3, v3, v15, v46
	v_bfe_i32 v46, v73, 8, 8
	v_mul_i32_i24_e32 v66, v50, v184
	s_delay_alu instid0(VALU_DEP_2) | instskip(NEXT) | instid1(VALU_DEP_1)
	v_mul_i32_i24_e32 v15, v46, v186
	v_add3_u32 v73, v75, v15, v66
	v_mul_i32_i24_e32 v15, v63, v177
	v_mul_i32_i24_e32 v66, v189, v186
	v_bfe_i32 v75, v167, 8, 8
	s_delay_alu instid0(VALU_DEP_2) | instskip(SKIP_3) | instid1(VALU_DEP_3)
	v_add3_u32 v16, v16, v15, v66
	v_mul_i32_i24_e32 v15, v187, v131
	v_bfe_u32 v187, v165, 20, 4
	v_mul_i32_i24_e32 v66, v189, v188
	v_add3_u32 v23, v23, v15, v52
	v_mul_i32_i24_e32 v15, v46, v188
	s_delay_alu instid0(VALU_DEP_4) | instskip(NEXT) | instid1(VALU_DEP_3)
	v_mul_i32_i24_e32 v52, v50, v187
	v_add3_u32 v23, v23, v42, v48
	v_add_nc_u32_e32 v42, 0x2108, v103
	s_delay_alu instid0(VALU_DEP_3) | instskip(SKIP_4) | instid1(VALU_DEP_3)
	v_add3_u32 v52, v65, v15, v52
	v_mul_i32_i24_e32 v15, v46, v191
	v_mul_i32_i24_e32 v65, v50, v190
	;; [unrolled: 1-line block ×4, first 2 shown]
	v_add3_u32 v71, v71, v15, v65
	v_lshrrev_b32_e32 v15, 4, v175
	ds_load_2addr_b32 v[174:175], v42 offset1:1
	v_lshrrev_b16 v15, 8, v15
	s_delay_alu instid0(VALU_DEP_1) | instskip(NEXT) | instid1(VALU_DEP_1)
	v_and_b32_e32 v15, 15, v15
	v_and_b32_e32 v15, 0xffff, v15
	s_delay_alu instid0(VALU_DEP_1)
	v_mul_i32_i24_e32 v65, v75, v15
	s_wait_dscnt 0x0
	v_bfe_u32 v204, v174, 8, 4
	v_bfe_u32 v205, v174, 24, 4
	v_and_b32_e32 v207, 15, v174
	v_bfe_u32 v208, v174, 16, 4
	v_add3_u32 v45, v88, v65, v45
	v_mul_i32_i24_e32 v65, v63, v180
	v_mul_i32_i24_e32 v63, v63, v182
	v_ashrrev_i32_e32 v88, 24, v185
	v_bfe_u32 v213, v174, 4, 4
	v_add3_u32 v45, v56, v49, v45
	v_add3_u32 v68, v68, v65, v66
	v_mul_i32_i24_e32 v65, v189, v191
	v_mul_i32_i24_e32 v48, v88, v205
	;; [unrolled: 1-line block ×3, first 2 shown]
	v_lshrrev_b32_e32 v214, 28, v174
	v_bfe_u32 v216, v174, 12, 4
	v_add3_u32 v3, v3, v63, v65
	ds_load_2addr_b32 v[65:66], v103 offset0:2 offset1:3
	v_bfe_i32 v63, v185, 8, 8
	v_bfe_u32 v215, v174, 20, 4
	v_bfe_u32 v217, v175, 8, 4
	;; [unrolled: 1-line block ×3, first 2 shown]
	v_and_b32_e32 v221, 15, v175
	v_mul_i32_i24_e32 v42, v63, v204
	v_bfe_u32 v222, v175, 16, 4
	v_bfe_u32 v225, v175, 4, 4
	v_lshrrev_b32_e32 v226, 28, v175
	v_bfe_u32 v232, v175, 12, 4
	v_add3_u32 v42, v52, v48, v42
	v_mul_i32_i24_e32 v48, v63, v209
	v_mul_i32_i24_e32 v52, v88, v210
	v_cvt_f32_i32_e32 v45, v45
	v_add_nc_u32_e32 v103, 16, v103
	s_delay_alu instid0(VALU_DEP_3)
	v_add3_u32 v48, v71, v52, v48
	v_mul_i32_i24_e32 v52, v47, v181
	s_wait_dscnt 0x0
	v_bfe_u32 v192, v65, 8, 4
	v_bfe_u32 v189, v65, 24, 4
	v_and_b32_e32 v194, 15, v65
	v_bfe_u32 v195, v65, 16, 4
	v_add3_u32 v49, v68, v49, v52
	v_mul_i32_i24_e32 v165, v63, v192
	v_mul_i32_i24_e32 v167, v88, v189
	;; [unrolled: 1-line block ×3, first 2 shown]
	v_bfe_u32 v201, v65, 12, 4
	v_mul_i32_i24_e32 v63, v63, v143
	v_bfe_u32 v212, v66, 4, 4
	v_add3_u32 v73, v73, v167, v165
	v_mul_i32_i24_e32 v165, v51, v184
	v_mul_i32_i24_e32 v167, v47, v176
	;; [unrolled: 1-line block ×4, first 2 shown]
	v_lshrrev_b32_e32 v211, 28, v66
	s_delay_alu instid0(VALU_DEP_4) | instskip(NEXT) | instid1(VALU_DEP_3)
	v_add3_u32 v16, v16, v165, v167
	v_add3_u32 v3, v3, v51, v47
	v_bfe_i32 v47, v185, 0, 8
	v_bfe_i32 v51, v185, 16, 8
	s_delay_alu instid0(VALU_DEP_2) | instskip(NEXT) | instid1(VALU_DEP_2)
	v_mul_i32_i24_e32 v52, v47, v194
	v_mul_i32_i24_e32 v56, v51, v195
	s_delay_alu instid0(VALU_DEP_1) | instskip(SKIP_1) | instid1(VALU_DEP_1)
	v_add3_u32 v52, v73, v52, v56
	v_mul_i32_i24_e32 v56, v193, v194
	v_add3_u32 v16, v16, v68, v56
	v_mul_i32_i24_e32 v56, v61, v125
	v_mul_i32_i24_e32 v61, v200, v122
	v_bfe_u32 v200, v65, 20, 4
	s_delay_alu instid0(VALU_DEP_2) | instskip(SKIP_2) | instid1(VALU_DEP_3)
	v_add3_u32 v23, v23, v61, v56
	v_mul_i32_i24_e32 v56, v47, v207
	v_mul_i32_i24_e32 v61, v51, v208
	v_add3_u32 v23, v23, v46, v50
	s_delay_alu instid0(VALU_DEP_2) | instskip(SKIP_4) | instid1(VALU_DEP_3)
	v_add3_u32 v42, v42, v56, v61
	v_mul_i32_i24_e32 v56, v47, v219
	v_mul_i32_i24_e32 v61, v51, v220
	;; [unrolled: 1-line block ×4, first 2 shown]
	v_add3_u32 v48, v48, v56, v61
	v_mul_i32_i24_e32 v56, v193, v207
	v_mul_i32_i24_e32 v61, v196, v204
	s_delay_alu instid0(VALU_DEP_1) | instskip(SKIP_4) | instid1(VALU_DEP_3)
	v_add3_u32 v49, v49, v61, v56
	v_mul_i32_i24_e32 v56, v193, v219
	v_mul_i32_i24_e32 v61, v196, v209
	v_bfe_u32 v196, v65, 4, 4
	v_lshrrev_b32_e32 v193, 28, v65
	v_add3_u32 v3, v3, v61, v56
	v_bfe_i32 v56, v74, 0, 8
	v_ashrrev_i32_e32 v61, 24, v74
	s_delay_alu instid0(VALU_DEP_2) | instskip(NEXT) | instid1(VALU_DEP_2)
	v_mul_i32_i24_e32 v46, v56, v213
	v_mul_i32_i24_e32 v50, v61, v214
	;; [unrolled: 1-line block ×4, first 2 shown]
	s_delay_alu instid0(VALU_DEP_3) | instskip(SKIP_2) | instid1(VALU_DEP_4)
	v_add3_u32 v42, v42, v50, v46
	v_mul_i32_i24_e32 v46, v56, v223
	v_mul_i32_i24_e32 v50, v61, v224
	v_add3_u32 v52, v52, v71, v68
	v_mul_i32_i24_e32 v68, v198, v195
	v_mul_i32_i24_e32 v71, v179, v189
	;; [unrolled: 1-line block ×3, first 2 shown]
	v_add3_u32 v46, v48, v50, v46
	v_mul_i32_i24_e32 v48, v198, v208
	v_mul_i32_i24_e32 v50, v179, v205
	v_add3_u32 v16, v16, v68, v71
	v_mul_i32_i24_e32 v61, v61, v132
	v_add_nc_u32_e32 v71, 0xc04, v98
	s_delay_alu instid0(VALU_DEP_4) | instskip(SKIP_3) | instid1(VALU_DEP_2)
	v_add3_u32 v48, v49, v48, v50
	v_mul_i32_i24_e32 v49, v198, v220
	v_mul_i32_i24_e32 v50, v179, v210
	v_bfe_u32 v198, v66, 8, 4
	v_add3_u32 v3, v3, v49, v50
	v_bfe_i32 v49, v74, 8, 8
	v_bfe_i32 v50, v74, 16, 8
	ds_load_2addr_b32 v[73:74], v18 offset1:3
	v_mul_i32_i24_e32 v65, v49, v201
	v_mul_i32_i24_e32 v68, v50, v200
	s_delay_alu instid0(VALU_DEP_1) | instskip(SKIP_2) | instid1(VALU_DEP_1)
	v_add3_u32 v52, v52, v65, v68
	v_mul_i32_i24_e32 v65, v197, v196
	v_mul_i32_i24_e32 v68, v85, v201
	v_add3_u32 v16, v16, v65, v68
	v_mul_i32_i24_e32 v65, v88, v139
	s_wait_dscnt 0x0
	v_bfe_i32 v18, v74, 8, 8
	s_delay_alu instid0(VALU_DEP_2) | instskip(SKIP_2) | instid1(VALU_DEP_3)
	v_add3_u32 v23, v23, v65, v63
	v_mul_i32_i24_e32 v63, v49, v216
	v_mul_i32_i24_e32 v65, v50, v215
	v_add3_u32 v23, v23, v47, v51
	v_mul_i32_i24_e32 v47, v18, v217
	s_delay_alu instid0(VALU_DEP_3)
	v_add3_u32 v42, v42, v63, v65
	v_mul_i32_i24_e32 v63, v49, v228
	v_mul_i32_i24_e32 v65, v50, v227
	v_add3_u32 v23, v23, v61, v56
	v_mul_i32_i24_e32 v50, v50, v128
	v_mul_i32_i24_e32 v49, v49, v142
	s_delay_alu instid0(VALU_DEP_4) | instskip(SKIP_2) | instid1(VALU_DEP_4)
	v_add3_u32 v46, v46, v63, v65
	v_mul_i32_i24_e32 v63, v197, v213
	v_mul_i32_i24_e32 v65, v85, v216
	v_add3_u32 v23, v23, v49, v50
	s_delay_alu instid0(VALU_DEP_2) | instskip(SKIP_3) | instid1(VALU_DEP_2)
	v_add3_u32 v48, v48, v63, v65
	v_mul_i32_i24_e32 v63, v197, v223
	v_mul_i32_i24_e32 v65, v85, v228
	v_bfe_u32 v197, v66, 24, 4
	v_add3_u32 v3, v3, v63, v65
	v_ashrrev_i32_e32 v63, 24, v74
	v_mul_i32_i24_e32 v65, v18, v198
	s_delay_alu instid0(VALU_DEP_2) | instskip(SKIP_1) | instid1(VALU_DEP_2)
	v_mul_i32_i24_e32 v51, v63, v218
	v_mul_i32_i24_e32 v68, v63, v197
	v_add3_u32 v42, v42, v51, v47
	v_mul_i32_i24_e32 v47, v18, v229
	v_mul_i32_i24_e32 v51, v63, v230
	s_delay_alu instid0(VALU_DEP_4)
	v_add3_u32 v52, v52, v68, v65
	v_mul_i32_i24_e32 v65, v202, v200
	v_mul_i32_i24_e32 v68, v199, v193
	;; [unrolled: 1-line block ×3, first 2 shown]
	v_add3_u32 v46, v46, v51, v47
	v_mul_i32_i24_e32 v47, v202, v215
	v_mul_i32_i24_e32 v51, v199, v214
	v_add3_u32 v16, v16, v65, v68
	v_mul_i32_i24_e32 v18, v18, v141
	s_delay_alu instid0(VALU_DEP_3)
	v_add3_u32 v47, v48, v47, v51
	v_mul_i32_i24_e32 v48, v202, v227
	v_mul_i32_i24_e32 v51, v199, v224
	v_and_b32_e32 v202, 15, v66
	v_bfe_u32 v199, v66, 16, 4
	v_add3_u32 v18, v23, v63, v18
	s_delay_alu instid0(VALU_DEP_4) | instskip(SKIP_2) | instid1(VALU_DEP_2)
	v_add3_u32 v3, v3, v48, v51
	v_bfe_i32 v48, v74, 0, 8
	v_bfe_i32 v51, v74, 16, 8
	v_mul_i32_i24_e32 v56, v48, v221
	s_delay_alu instid0(VALU_DEP_2) | instskip(SKIP_2) | instid1(VALU_DEP_3)
	v_mul_i32_i24_e32 v61, v51, v222
	v_mul_i32_i24_e32 v65, v48, v202
	;; [unrolled: 1-line block ×3, first 2 shown]
	v_add3_u32 v42, v42, v56, v61
	v_mul_i32_i24_e32 v56, v48, v233
	v_mul_i32_i24_e32 v61, v51, v234
	s_delay_alu instid0(VALU_DEP_4)
	v_add3_u32 v52, v52, v65, v68
	v_mul_i32_i24_e32 v65, v206, v202
	v_mul_i32_i24_e32 v68, v87, v198
	;; [unrolled: 1-line block ×3, first 2 shown]
	v_add3_u32 v46, v46, v56, v61
	v_mul_i32_i24_e32 v56, v206, v221
	v_mul_i32_i24_e32 v61, v87, v217
	v_add3_u32 v16, v16, v68, v65
	v_mul_i32_i24_e32 v51, v51, v127
	s_delay_alu instid0(VALU_DEP_3) | instskip(SKIP_4) | instid1(VALU_DEP_3)
	v_add3_u32 v47, v47, v61, v56
	v_mul_i32_i24_e32 v56, v87, v229
	v_mul_i32_i24_e32 v61, v206, v233
	v_bfe_u32 v206, v66, 20, 4
	v_add3_u32 v18, v18, v48, v51
	v_add3_u32 v3, v3, v56, v61
	v_mul_i32_i24_e32 v56, v203, v199
	v_mul_i32_i24_e32 v61, v86, v197
	s_delay_alu instid0(VALU_DEP_1) | instskip(SKIP_2) | instid1(VALU_DEP_2)
	v_add3_u32 v16, v16, v56, v61
	v_bfe_i32 v56, v231, 0, 8
	v_ashrrev_i32_e32 v61, 24, v231
	v_mul_i32_i24_e32 v49, v56, v225
	s_delay_alu instid0(VALU_DEP_2) | instskip(SKIP_2) | instid1(VALU_DEP_3)
	v_mul_i32_i24_e32 v50, v61, v226
	v_mul_i32_i24_e32 v65, v56, v212
	;; [unrolled: 1-line block ×3, first 2 shown]
	v_add3_u32 v42, v42, v50, v49
	v_mul_i32_i24_e32 v49, v56, v235
	v_mul_i32_i24_e32 v50, v61, v236
	s_delay_alu instid0(VALU_DEP_4) | instskip(SKIP_2) | instid1(VALU_DEP_4)
	v_add3_u32 v52, v52, v68, v65
	v_mul_i32_i24_e32 v56, v56, v124
	v_mul_i32_i24_e32 v61, v61, v123
	v_add3_u32 v46, v46, v50, v49
	v_mul_i32_i24_e32 v49, v203, v222
	v_mul_i32_i24_e32 v50, v86, v218
	s_delay_alu instid0(VALU_DEP_4) | instskip(NEXT) | instid1(VALU_DEP_2)
	v_add3_u32 v18, v18, v61, v56
	v_add3_u32 v47, v47, v49, v50
	v_mul_i32_i24_e32 v49, v86, v230
	v_mul_i32_i24_e32 v50, v203, v234
	v_bfe_u32 v203, v66, 12, 4
	s_delay_alu instid0(VALU_DEP_2) | instskip(SKIP_3) | instid1(VALU_DEP_3)
	v_add3_u32 v3, v3, v50, v49
	v_bfe_i32 v49, v231, 8, 8
	v_bfe_i32 v50, v231, 16, 8
	v_bfe_u32 v231, v175, 20, 4
	v_mul_i32_i24_e32 v23, v49, v232
	v_mul_i32_i24_e32 v65, v49, v203
	s_delay_alu instid0(VALU_DEP_3) | instskip(SKIP_1) | instid1(VALU_DEP_2)
	v_mul_i32_i24_e32 v63, v50, v231
	v_mul_i32_i24_e32 v66, v50, v206
	v_add3_u32 v23, v42, v23, v63
	v_mul_i32_i24_e32 v42, v49, v238
	v_mul_i32_i24_e32 v63, v50, v237
	s_delay_alu instid0(VALU_DEP_4)
	v_add3_u32 v52, v52, v65, v66
	v_mul_i32_i24_e32 v65, v241, v212
	v_mul_i32_i24_e32 v66, v75, v203
	;; [unrolled: 1-line block ×3, first 2 shown]
	v_add3_u32 v42, v46, v42, v63
	v_mul_i32_i24_e32 v46, v241, v225
	v_mul_i32_i24_e32 v63, v75, v232
	v_add3_u32 v16, v16, v65, v66
	v_mul_i32_i24_e32 v49, v49, v15
	s_delay_alu instid0(VALU_DEP_3) | instskip(SKIP_2) | instid1(VALU_DEP_4)
	v_add3_u32 v46, v47, v46, v63
	v_mul_i32_i24_e32 v47, v241, v235
	v_mul_i32_i24_e32 v63, v75, v238
	v_add3_u32 v18, v18, v49, v50
	s_delay_alu instid0(VALU_DEP_2) | instskip(SKIP_2) | instid1(VALU_DEP_2)
	v_add3_u32 v3, v3, v47, v63
	v_bfe_i32 v47, v73, 0, 8
	v_bfe_i32 v63, v73, 8, 8
	v_mul_i32_i24_e32 v48, v47, v114
	s_delay_alu instid0(VALU_DEP_2) | instskip(SKIP_3) | instid1(VALU_DEP_4)
	v_mul_i32_i24_e32 v51, v63, v115
	v_mul_i32_i24_e32 v65, v47, v107
	;; [unrolled: 1-line block ×4, first 2 shown]
	v_add3_u32 v23, v23, v48, v51
	v_mul_i32_i24_e32 v48, v47, v118
	v_mul_i32_i24_e32 v51, v63, v119
	v_add3_u32 v52, v52, v65, v66
	v_mul_i32_i24_e32 v65, v240, v206
	v_mul_i32_i24_e32 v66, v239, v211
	;; [unrolled: 1-line block ×3, first 2 shown]
	v_add3_u32 v42, v42, v48, v51
	v_mul_i32_i24_e32 v48, v240, v231
	v_mul_i32_i24_e32 v51, v239, v226
	v_add3_u32 v16, v16, v65, v66
	v_add3_u32 v18, v18, v47, v49
	s_delay_alu instid0(VALU_DEP_3) | instskip(SKIP_3) | instid1(VALU_DEP_2)
	v_add3_u32 v46, v46, v48, v51
	v_mul_i32_i24_e32 v48, v240, v237
	v_mul_i32_i24_e32 v51, v239, v236
	v_cvt_f32_i32_e32 v16, v16
	v_add3_u32 v3, v3, v48, v51
	v_bfe_i32 v48, v73, 16, 8
	v_ashrrev_i32_e32 v51, 24, v73
	s_delay_alu instid0(VALU_DEP_3) | instskip(NEXT) | instid1(VALU_DEP_3)
	v_cvt_f32_i32_e32 v3, v3
	v_mul_i32_i24_e32 v65, v48, v106
	s_delay_alu instid0(VALU_DEP_3) | instskip(SKIP_3) | instid1(VALU_DEP_4)
	v_mul_i32_i24_e32 v66, v51, v105
	v_mul_i32_i24_e32 v56, v48, v112
	;; [unrolled: 1-line block ×4, first 2 shown]
	v_add3_u32 v52, v52, v65, v66
	ds_load_2addr_b32 v[65:66], v2 offset1:32
	v_add3_u32 v23, v23, v56, v61
	v_mul_i32_i24_e32 v56, v48, v116
	v_mul_i32_i24_e32 v48, v109, v51
	;; [unrolled: 1-line block ×3, first 2 shown]
	s_delay_alu instid0(VALU_DEP_4) | instskip(NEXT) | instid1(VALU_DEP_3)
	v_cvt_f32_i32_e32 v23, v23
	v_add3_u32 v18, v18, v47, v48
	s_delay_alu instid0(VALU_DEP_3) | instskip(NEXT) | instid1(VALU_DEP_1)
	v_add3_u32 v42, v42, v56, v61
	v_cvt_f32_i32_e32 v42, v42
	s_wait_dscnt 0x0
	v_lshrrev_b32_e32 v47, 16, v65
	s_delay_alu instid0(VALU_DEP_1) | instskip(NEXT) | instid1(VALU_DEP_1)
	v_cvt_f32_f16_e32 v47, v47
	v_mul_f32_e32 v47, 0x41000000, v47
	s_delay_alu instid0(VALU_DEP_1)
	v_fma_mix_f32 v167, v65, v3, -v47 op_sel_hi:[1,0,0]
	v_lshrrev_b32_e32 v3, 16, v66
	v_fma_mix_f32 v178, v65, v16, -v47 op_sel_hi:[1,0,0]
	v_cvt_f32_i32_e32 v16, v52
	v_fma_mix_f32 v165, v65, v45, -v47 op_sel_hi:[1,0,0]
	v_cvt_f32_i32_e32 v45, v46
	v_cvt_f32_f16_e32 v3, v3
	s_delay_alu instid0(VALU_DEP_3) | instskip(NEXT) | instid1(VALU_DEP_3)
	v_fmac_f32_e32 v1, v14, v165
	v_fma_mix_f32 v174, v65, v45, -v47 op_sel_hi:[1,0,0]
	s_delay_alu instid0(VALU_DEP_3) | instskip(NEXT) | instid1(VALU_DEP_1)
	v_mul_f32_e32 v3, 0x41000000, v3
	v_fma_mix_f32 v185, v66, v16, -v3 op_sel_hi:[1,0,0]
	v_cvt_f32_i32_e32 v16, v18
	v_fma_mix_f32 v179, v66, v23, -v3 op_sel_hi:[1,0,0]
	v_fma_mix_f32 v175, v66, v42, -v3 op_sel_hi:[1,0,0]
	s_delay_alu instid0(VALU_DEP_3) | instskip(SKIP_1) | instid1(VALU_DEP_2)
	v_fma_mix_f32 v169, v66, v16, -v3 op_sel_hi:[1,0,0]
	v_add_nc_u32_e32 v3, 0x800, v98
	v_fmac_f32_e32 v83, v14, v169
	ds_load_2addr_b32 v[65:66], v3 offset0:4 offset1:7
	s_wait_dscnt 0x0
	v_bfe_i32 v16, v65, 8, 8
	v_bfe_i32 v18, v65, 0, 8
	;; [unrolled: 1-line block ×3, first 2 shown]
	v_ashrrev_i32_e32 v45, 24, v65
	s_delay_alu instid0(VALU_DEP_4) | instskip(NEXT) | instid1(VALU_DEP_3)
	v_mul_i32_i24_e32 v23, v16, v147
	v_mul_i32_i24_e32 v46, v42, v149
	s_delay_alu instid0(VALU_DEP_3) | instskip(SKIP_1) | instid1(VALU_DEP_4)
	v_mul_i32_i24_e32 v47, v45, v148
	v_mul_i32_i24_e32 v48, v45, v155
	v_mad_i32_i24 v23, v18, v146, v23
	v_mul_i32_i24_e32 v49, v45, v160
	s_delay_alu instid0(VALU_DEP_2) | instskip(SKIP_2) | instid1(VALU_DEP_2)
	v_add3_u32 v23, v23, v46, v47
	v_mul_i32_i24_e32 v46, v16, v151
	v_mul_i32_i24_e32 v47, v42, v154
	v_mad_i32_i24 v46, v18, v150, v46
	s_delay_alu instid0(VALU_DEP_1) | instskip(SKIP_3) | instid1(VALU_DEP_3)
	v_add3_u32 v46, v46, v47, v48
	v_mul_i32_i24_e32 v47, v16, v158
	v_mul_i32_i24_e32 v48, v42, v159
	;; [unrolled: 1-line block ×3, first 2 shown]
	v_mad_i32_i24 v47, v18, v157, v47
	s_delay_alu instid0(VALU_DEP_2) | instskip(SKIP_2) | instid1(VALU_DEP_4)
	v_mad_i32_i24 v16, v140, v18, v16
	v_mul_i32_i24_e32 v18, v136, v42
	v_mul_i32_i24_e32 v42, v135, v45
	v_add3_u32 v47, v47, v48, v49
	v_add_nc_u32_e32 v48, 0xc00, v98
	s_delay_alu instid0(VALU_DEP_3)
	v_add3_u32 v16, v16, v18, v42
	ds_load_2addr_b32 v[73:74], v48 offset0:4 offset1:7
	s_wait_dscnt 0x0
	v_bfe_i32 v49, v73, 8, 8
	v_bfe_i32 v50, v73, 0, 8
	;; [unrolled: 1-line block ×3, first 2 shown]
	v_ashrrev_i32_e32 v56, 24, v73
	s_delay_alu instid0(VALU_DEP_4) | instskip(NEXT) | instid1(VALU_DEP_3)
	v_mul_i32_i24_e32 v51, v49, v147
	v_mul_i32_i24_e32 v61, v52, v149
	s_delay_alu instid0(VALU_DEP_3) | instskip(SKIP_1) | instid1(VALU_DEP_4)
	v_mul_i32_i24_e32 v63, v56, v148
	v_mul_i32_i24_e32 v65, v56, v155
	v_mad_i32_i24 v51, v50, v146, v51
	v_mul_i32_i24_e32 v68, v56, v160
	s_delay_alu instid0(VALU_DEP_2) | instskip(SKIP_2) | instid1(VALU_DEP_2)
	v_add3_u32 v51, v51, v61, v63
	v_mul_i32_i24_e32 v61, v49, v151
	v_mul_i32_i24_e32 v63, v52, v154
	v_mad_i32_i24 v61, v50, v150, v61
	s_delay_alu instid0(VALU_DEP_1) | instskip(SKIP_3) | instid1(VALU_DEP_3)
	v_add3_u32 v61, v61, v63, v65
	v_mul_i32_i24_e32 v63, v49, v158
	v_mul_i32_i24_e32 v65, v52, v159
	;; [unrolled: 1-line block ×3, first 2 shown]
	v_mad_i32_i24 v63, v50, v157, v63
	s_delay_alu instid0(VALU_DEP_2) | instskip(SKIP_1) | instid1(VALU_DEP_3)
	v_mad_i32_i24 v49, v140, v50, v49
	v_mul_i32_i24_e32 v50, v136, v52
	v_add3_u32 v63, v63, v65, v68
	v_add_nc_u32_e32 v65, 0x804, v98
	v_add_nc_u32_e32 v68, 0x814, v98
	ds_load_2addr_b32 v[239:240], v65 offset1:1
	ds_load_2addr_b32 v[241:242], v68 offset1:1
	;; [unrolled: 1-line block ×3, first 2 shown]
	s_wait_dscnt 0x2
	v_bfe_i32 v65, v239, 8, 8
	v_ashrrev_i32_e32 v68, 24, v239
	s_delay_alu instid0(VALU_DEP_2) | instskip(NEXT) | instid1(VALU_DEP_2)
	v_mul_i32_i24_e32 v71, v65, v153
	v_mul_i32_i24_e32 v73, v68, v152
	s_delay_alu instid0(VALU_DEP_1) | instskip(SKIP_2) | instid1(VALU_DEP_1)
	v_add3_u32 v23, v23, v73, v71
	v_mul_i32_i24_e32 v71, v65, v161
	v_mul_i32_i24_e32 v73, v68, v162
	v_add3_u32 v46, v46, v73, v71
	v_mul_i32_i24_e32 v71, v65, v163
	v_mul_i32_i24_e32 v73, v68, v164
	s_delay_alu instid0(VALU_DEP_1) | instskip(SKIP_3) | instid1(VALU_DEP_2)
	v_add3_u32 v47, v47, v73, v71
	s_wait_dscnt 0x0
	v_bfe_i32 v71, v243, 8, 8
	v_ashrrev_i32_e32 v73, 24, v243
	v_mul_i32_i24_e32 v75, v71, v153
	s_delay_alu instid0(VALU_DEP_2) | instskip(NEXT) | instid1(VALU_DEP_1)
	v_mul_i32_i24_e32 v85, v73, v152
	v_add3_u32 v51, v51, v85, v75
	v_mul_i32_i24_e32 v75, v71, v161
	v_mul_i32_i24_e32 v85, v73, v162
	s_delay_alu instid0(VALU_DEP_1) | instskip(SKIP_2) | instid1(VALU_DEP_1)
	v_add3_u32 v61, v61, v85, v75
	v_mul_i32_i24_e32 v75, v71, v163
	v_mul_i32_i24_e32 v85, v73, v164
	v_add3_u32 v63, v63, v85, v75
	v_bfe_i32 v75, v239, 0, 8
	v_bfe_i32 v85, v239, 16, 8
	s_delay_alu instid0(VALU_DEP_2) | instskip(NEXT) | instid1(VALU_DEP_2)
	v_mul_i32_i24_e32 v86, v75, v168
	v_mul_i32_i24_e32 v87, v85, v166
	s_delay_alu instid0(VALU_DEP_1) | instskip(SKIP_2) | instid1(VALU_DEP_1)
	v_add3_u32 v23, v23, v86, v87
	v_mul_i32_i24_e32 v86, v75, v170
	v_mul_i32_i24_e32 v87, v85, v171
	v_add3_u32 v46, v46, v86, v87
	v_mul_i32_i24_e32 v86, v75, v172
	v_mul_i32_i24_e32 v87, v85, v173
	s_delay_alu instid0(VALU_DEP_1) | instskip(SKIP_2) | instid1(VALU_DEP_2)
	v_add3_u32 v47, v47, v86, v87
	v_bfe_i32 v86, v243, 0, 8
	v_bfe_i32 v87, v243, 16, 8
	v_mul_i32_i24_e32 v88, v86, v168
	s_delay_alu instid0(VALU_DEP_2) | instskip(NEXT) | instid1(VALU_DEP_1)
	v_mul_i32_i24_e32 v239, v87, v166
	v_add3_u32 v51, v51, v88, v239
	v_mul_i32_i24_e32 v88, v86, v170
	v_mul_i32_i24_e32 v239, v87, v171
	s_delay_alu instid0(VALU_DEP_1) | instskip(SKIP_2) | instid1(VALU_DEP_1)
	v_add3_u32 v61, v61, v88, v239
	v_mul_i32_i24_e32 v88, v86, v172
	v_mul_i32_i24_e32 v239, v87, v173
	v_add3_u32 v63, v63, v88, v239
	v_bfe_i32 v88, v241, 0, 8
	v_ashrrev_i32_e32 v239, 24, v241
	s_delay_alu instid0(VALU_DEP_2) | instskip(NEXT) | instid1(VALU_DEP_2)
	v_mul_i32_i24_e32 v18, v88, v180
	v_mul_i32_i24_e32 v42, v239, v181
	;; [unrolled: 1-line block ×5, first 2 shown]
	s_delay_alu instid0(VALU_DEP_4) | instskip(SKIP_1) | instid1(VALU_DEP_3)
	v_add3_u32 v18, v46, v42, v18
	v_mul_i32_i24_e32 v42, v88, v182
	v_add3_u32 v23, v23, v245, v243
	s_delay_alu instid0(VALU_DEP_2)
	v_add3_u32 v42, v47, v45, v42
	v_add_nc_u32_e32 v45, 0xc14, v98
	ds_load_2addr_b32 v[245:246], v45 offset1:1
	s_wait_dscnt 0x0
	v_bfe_i32 v45, v245, 0, 8
	v_ashrrev_i32_e32 v46, 24, v245
	s_delay_alu instid0(VALU_DEP_2) | instskip(NEXT) | instid1(VALU_DEP_2)
	v_mul_i32_i24_e32 v47, v45, v177
	v_mul_i32_i24_e32 v243, v46, v176
	;; [unrolled: 1-line block ×3, first 2 shown]
	s_delay_alu instid0(VALU_DEP_2) | instskip(SKIP_2) | instid1(VALU_DEP_2)
	v_add3_u32 v47, v51, v243, v47
	v_mul_i32_i24_e32 v51, v135, v56
	v_bfe_i32 v56, v241, 16, 8
	v_add3_u32 v49, v49, v50, v51
	v_mul_i32_i24_e32 v50, v45, v180
	v_mul_i32_i24_e32 v51, v46, v181
	;; [unrolled: 1-line block ×3, first 2 shown]
	s_delay_alu instid0(VALU_DEP_2) | instskip(SKIP_2) | instid1(VALU_DEP_2)
	v_add3_u32 v50, v61, v51, v50
	v_mul_i32_i24_e32 v51, v45, v182
	v_mul_i32_i24_e32 v45, v45, v125
	v_add3_u32 v51, v63, v52, v51
	v_bfe_i32 v52, v241, 8, 8
	v_mul_i32_i24_e32 v63, v56, v184
	s_delay_alu instid0(VALU_DEP_2) | instskip(NEXT) | instid1(VALU_DEP_1)
	v_mul_i32_i24_e32 v61, v52, v186
	v_add3_u32 v23, v23, v61, v63
	v_mul_i32_i24_e32 v61, v68, v131
	v_mul_i32_i24_e32 v63, v65, v145
	s_delay_alu instid0(VALU_DEP_1) | instskip(SKIP_2) | instid1(VALU_DEP_1)
	v_add3_u32 v16, v16, v61, v63
	v_mul_i32_i24_e32 v61, v52, v188
	v_mul_i32_i24_e32 v63, v56, v187
	v_add3_u32 v18, v18, v61, v63
	v_mul_i32_i24_e32 v61, v52, v191
	v_mul_i32_i24_e32 v63, v56, v190
	;; [unrolled: 1-line block ×4, first 2 shown]
	s_delay_alu instid0(VALU_DEP_3) | instskip(SKIP_2) | instid1(VALU_DEP_2)
	v_add3_u32 v42, v42, v61, v63
	v_bfe_i32 v61, v245, 8, 8
	v_bfe_i32 v63, v245, 16, 8
	v_mul_i32_i24_e32 v65, v61, v186
	s_delay_alu instid0(VALU_DEP_2) | instskip(NEXT) | instid1(VALU_DEP_1)
	v_mul_i32_i24_e32 v68, v63, v184
	v_add3_u32 v47, v47, v65, v68
	v_mul_i32_i24_e32 v65, v73, v131
	v_mul_i32_i24_e32 v68, v71, v145
	s_delay_alu instid0(VALU_DEP_1) | instskip(SKIP_2) | instid1(VALU_DEP_1)
	v_add3_u32 v49, v49, v65, v68
	v_mul_i32_i24_e32 v65, v61, v188
	v_mul_i32_i24_e32 v68, v63, v187
	v_add3_u32 v50, v50, v65, v68
	v_mul_i32_i24_e32 v65, v61, v191
	v_mul_i32_i24_e32 v68, v63, v190
	;; [unrolled: 1-line block ×4, first 2 shown]
	s_delay_alu instid0(VALU_DEP_3) | instskip(SKIP_2) | instid1(VALU_DEP_2)
	v_add3_u32 v51, v51, v65, v68
	v_bfe_i32 v65, v240, 8, 8
	v_ashrrev_i32_e32 v68, 24, v240
	v_mul_i32_i24_e32 v71, v65, v192
	s_delay_alu instid0(VALU_DEP_2) | instskip(NEXT) | instid1(VALU_DEP_1)
	v_mul_i32_i24_e32 v73, v68, v189
	v_add3_u32 v23, v23, v73, v71
	v_mul_i32_i24_e32 v71, v75, v130
	v_mul_i32_i24_e32 v73, v85, v126
	s_delay_alu instid0(VALU_DEP_1) | instskip(SKIP_2) | instid1(VALU_DEP_1)
	v_add3_u32 v16, v16, v71, v73
	v_mul_i32_i24_e32 v71, v65, v204
	v_mul_i32_i24_e32 v73, v68, v205
	v_add3_u32 v18, v18, v73, v71
	v_mul_i32_i24_e32 v71, v65, v209
	v_mul_i32_i24_e32 v73, v68, v210
	;; [unrolled: 1-line block ×4, first 2 shown]
	s_delay_alu instid0(VALU_DEP_3) | instskip(SKIP_2) | instid1(VALU_DEP_2)
	v_add3_u32 v42, v42, v73, v71
	v_bfe_i32 v71, v244, 8, 8
	v_ashrrev_i32_e32 v73, 24, v244
	v_mul_i32_i24_e32 v75, v71, v192
	s_delay_alu instid0(VALU_DEP_2) | instskip(NEXT) | instid1(VALU_DEP_1)
	v_mul_i32_i24_e32 v85, v73, v189
	v_add3_u32 v47, v47, v85, v75
	v_mul_i32_i24_e32 v75, v86, v130
	v_mul_i32_i24_e32 v85, v87, v126
	s_delay_alu instid0(VALU_DEP_1) | instskip(SKIP_2) | instid1(VALU_DEP_3)
	v_add3_u32 v49, v49, v75, v85
	v_mul_i32_i24_e32 v75, v71, v204
	v_mul_i32_i24_e32 v85, v73, v205
	v_add3_u32 v45, v49, v46, v45
	s_delay_alu instid0(VALU_DEP_2) | instskip(SKIP_2) | instid1(VALU_DEP_4)
	v_add3_u32 v50, v50, v85, v75
	v_mul_i32_i24_e32 v75, v71, v209
	v_mul_i32_i24_e32 v85, v73, v210
	v_add3_u32 v45, v45, v61, v63
	v_mul_i32_i24_e32 v73, v73, v139
	v_mul_i32_i24_e32 v71, v71, v143
	s_delay_alu instid0(VALU_DEP_4) | instskip(SKIP_2) | instid1(VALU_DEP_4)
	v_add3_u32 v51, v51, v85, v75
	v_bfe_i32 v75, v240, 0, 8
	v_bfe_i32 v85, v240, 16, 8
	v_add3_u32 v45, v45, v73, v71
	s_delay_alu instid0(VALU_DEP_3) | instskip(NEXT) | instid1(VALU_DEP_3)
	v_mul_i32_i24_e32 v86, v75, v194
	v_mul_i32_i24_e32 v87, v85, v195
	s_delay_alu instid0(VALU_DEP_1) | instskip(SKIP_2) | instid1(VALU_DEP_1)
	v_add3_u32 v23, v23, v86, v87
	v_mul_i32_i24_e32 v86, v88, v125
	v_mul_i32_i24_e32 v87, v239, v122
	v_add3_u32 v16, v16, v87, v86
	v_mul_i32_i24_e32 v86, v75, v207
	v_mul_i32_i24_e32 v87, v85, v208
	s_delay_alu instid0(VALU_DEP_3) | instskip(NEXT) | instid1(VALU_DEP_2)
	v_add3_u32 v16, v16, v52, v56
	v_add3_u32 v18, v18, v86, v87
	v_mul_i32_i24_e32 v86, v75, v219
	v_mul_i32_i24_e32 v87, v85, v220
	s_delay_alu instid0(VALU_DEP_4) | instskip(NEXT) | instid1(VALU_DEP_2)
	v_add3_u32 v16, v16, v68, v65
	v_add3_u32 v42, v42, v86, v87
	v_bfe_i32 v86, v244, 0, 8
	v_bfe_i32 v87, v244, 16, 8
	s_delay_alu instid0(VALU_DEP_2) | instskip(NEXT) | instid1(VALU_DEP_2)
	v_mul_i32_i24_e32 v46, v86, v207
	v_mul_i32_i24_e32 v49, v87, v208
	;; [unrolled: 1-line block ×4, first 2 shown]
	s_delay_alu instid0(VALU_DEP_3) | instskip(SKIP_2) | instid1(VALU_DEP_4)
	v_add3_u32 v46, v50, v46, v49
	v_mul_i32_i24_e32 v49, v86, v219
	v_mul_i32_i24_e32 v50, v87, v220
	v_add3_u32 v47, v47, v88, v239
	s_delay_alu instid0(VALU_DEP_2) | instskip(SKIP_2) | instid1(VALU_DEP_2)
	v_add3_u32 v49, v51, v49, v50
	v_bfe_i32 v50, v242, 0, 8
	v_ashrrev_i32_e32 v51, 24, v242
	v_mul_i32_i24_e32 v52, v50, v213
	s_delay_alu instid0(VALU_DEP_2) | instskip(SKIP_2) | instid1(VALU_DEP_3)
	v_mul_i32_i24_e32 v56, v51, v214
	v_mul_i32_i24_e32 v88, v50, v196
	;; [unrolled: 1-line block ×3, first 2 shown]
	v_add3_u32 v18, v18, v56, v52
	v_mul_i32_i24_e32 v52, v50, v223
	v_mul_i32_i24_e32 v56, v51, v224
	s_delay_alu instid0(VALU_DEP_4) | instskip(SKIP_2) | instid1(VALU_DEP_4)
	v_add3_u32 v23, v23, v239, v88
	v_mul_i32_i24_e32 v50, v50, v134
	v_mul_i32_i24_e32 v51, v51, v132
	v_add3_u32 v42, v42, v56, v52
	v_bfe_i32 v52, v246, 0, 8
	v_ashrrev_i32_e32 v56, 24, v246
	s_delay_alu instid0(VALU_DEP_2) | instskip(NEXT) | instid1(VALU_DEP_2)
	v_mul_i32_i24_e32 v61, v52, v213
	v_mul_i32_i24_e32 v63, v56, v214
	;; [unrolled: 1-line block ×4, first 2 shown]
	s_delay_alu instid0(VALU_DEP_3) | instskip(SKIP_2) | instid1(VALU_DEP_4)
	v_add3_u32 v46, v46, v63, v61
	v_mul_i32_i24_e32 v61, v52, v223
	v_mul_i32_i24_e32 v63, v56, v224
	v_add3_u32 v47, v47, v239, v88
	v_mul_i32_i24_e32 v52, v52, v134
	v_mul_i32_i24_e32 v56, v56, v132
	s_delay_alu instid0(VALU_DEP_4)
	v_add3_u32 v49, v49, v63, v61
	v_bfe_i32 v61, v242, 8, 8
	v_bfe_i32 v63, v242, 16, 8
	ds_load_2addr_b32 v[241:242], v48 offset1:3
	v_mul_i32_i24_e32 v65, v61, v216
	v_mul_i32_i24_e32 v68, v63, v215
	;; [unrolled: 1-line block ×4, first 2 shown]
	s_delay_alu instid0(VALU_DEP_3) | instskip(SKIP_2) | instid1(VALU_DEP_4)
	v_add3_u32 v18, v18, v65, v68
	v_mul_i32_i24_e32 v65, v61, v228
	v_mul_i32_i24_e32 v68, v63, v227
	v_add3_u32 v23, v23, v88, v239
	v_mul_i32_i24_e32 v63, v63, v128
	v_mul_i32_i24_e32 v61, v61, v142
	s_delay_alu instid0(VALU_DEP_4) | instskip(SKIP_4) | instid1(VALU_DEP_3)
	v_add3_u32 v42, v42, v65, v68
	v_bfe_i32 v65, v246, 8, 8
	v_bfe_i32 v68, v246, 16, 8
	s_wait_dscnt 0x0
	v_bfe_i32 v48, v242, 8, 8
	v_mul_i32_i24_e32 v88, v65, v201
	s_delay_alu instid0(VALU_DEP_3) | instskip(SKIP_2) | instid1(VALU_DEP_3)
	v_mul_i32_i24_e32 v239, v68, v200
	v_mul_i32_i24_e32 v71, v65, v216
	;; [unrolled: 1-line block ×3, first 2 shown]
	v_add3_u32 v47, v47, v88, v239
	ds_load_2addr_b32 v[239:240], v3 offset1:3
	v_add3_u32 v46, v46, v71, v73
	v_mul_i32_i24_e32 v71, v65, v228
	v_mul_i32_i24_e32 v73, v68, v227
	;; [unrolled: 1-line block ×4, first 2 shown]
	s_delay_alu instid0(VALU_DEP_3) | instskip(SKIP_3) | instid1(VALU_DEP_2)
	v_add3_u32 v49, v49, v71, v73
	s_wait_dscnt 0x0
	v_bfe_i32 v3, v240, 8, 8
	v_ashrrev_i32_e32 v71, 24, v240
	v_mul_i32_i24_e32 v73, v3, v198
	s_delay_alu instid0(VALU_DEP_2) | instskip(NEXT) | instid1(VALU_DEP_1)
	v_mul_i32_i24_e32 v88, v71, v197
	v_add3_u32 v23, v23, v88, v73
	v_mul_i32_i24_e32 v73, v75, v137
	v_mul_i32_i24_e32 v75, v85, v138
	s_delay_alu instid0(VALU_DEP_1) | instskip(SKIP_2) | instid1(VALU_DEP_3)
	v_add3_u32 v16, v16, v73, v75
	v_mul_i32_i24_e32 v73, v3, v217
	v_mul_i32_i24_e32 v75, v71, v218
	v_add3_u32 v16, v16, v51, v50
	s_delay_alu instid0(VALU_DEP_2) | instskip(SKIP_2) | instid1(VALU_DEP_4)
	v_add3_u32 v18, v18, v75, v73
	v_mul_i32_i24_e32 v73, v3, v229
	v_mul_i32_i24_e32 v75, v71, v230
	v_add3_u32 v16, v16, v61, v63
	v_mul_i32_i24_e32 v3, v3, v141
	s_delay_alu instid0(VALU_DEP_3) | instskip(SKIP_2) | instid1(VALU_DEP_2)
	v_add3_u32 v42, v42, v75, v73
	v_ashrrev_i32_e32 v73, 24, v242
	v_mul_i32_i24_e32 v75, v48, v198
	v_mul_i32_i24_e32 v85, v73, v197
	s_delay_alu instid0(VALU_DEP_1) | instskip(SKIP_2) | instid1(VALU_DEP_1)
	v_add3_u32 v47, v47, v85, v75
	v_mul_i32_i24_e32 v75, v86, v137
	v_mul_i32_i24_e32 v85, v87, v138
	v_add3_u32 v45, v45, v75, v85
	v_mul_i32_i24_e32 v75, v48, v217
	v_mul_i32_i24_e32 v85, v73, v218
	s_delay_alu instid0(VALU_DEP_3) | instskip(NEXT) | instid1(VALU_DEP_2)
	v_add3_u32 v45, v45, v56, v52
	v_add3_u32 v46, v46, v85, v75
	v_mul_i32_i24_e32 v75, v48, v229
	v_mul_i32_i24_e32 v85, v73, v230
	s_delay_alu instid0(VALU_DEP_4) | instskip(SKIP_1) | instid1(VALU_DEP_3)
	v_add3_u32 v45, v45, v65, v68
	v_mul_i32_i24_e32 v48, v48, v141
	v_add3_u32 v49, v49, v85, v75
	v_bfe_i32 v75, v240, 0, 8
	v_bfe_i32 v85, v240, 16, 8
	s_delay_alu instid0(VALU_DEP_2) | instskip(NEXT) | instid1(VALU_DEP_2)
	v_mul_i32_i24_e32 v50, v75, v221
	v_mul_i32_i24_e32 v51, v85, v222
	;; [unrolled: 1-line block ×4, first 2 shown]
	s_delay_alu instid0(VALU_DEP_3) | instskip(SKIP_2) | instid1(VALU_DEP_4)
	v_add3_u32 v18, v18, v50, v51
	v_mul_i32_i24_e32 v50, v75, v233
	v_mul_i32_i24_e32 v51, v85, v234
	v_add3_u32 v23, v23, v86, v87
	s_delay_alu instid0(VALU_DEP_2) | instskip(SKIP_2) | instid1(VALU_DEP_2)
	v_add3_u32 v42, v42, v50, v51
	v_bfe_i32 v50, v242, 0, 8
	v_bfe_i32 v51, v242, 16, 8
	v_mul_i32_i24_e32 v52, v50, v221
	s_delay_alu instid0(VALU_DEP_2) | instskip(SKIP_2) | instid1(VALU_DEP_3)
	v_mul_i32_i24_e32 v56, v51, v222
	v_mul_i32_i24_e32 v86, v50, v202
	;; [unrolled: 1-line block ×3, first 2 shown]
	v_add3_u32 v46, v46, v52, v56
	v_mul_i32_i24_e32 v52, v50, v233
	v_mul_i32_i24_e32 v56, v51, v234
	s_delay_alu instid0(VALU_DEP_4) | instskip(SKIP_2) | instid1(VALU_DEP_4)
	v_add3_u32 v47, v47, v86, v87
	v_mul_i32_i24_e32 v50, v50, v129
	v_mul_i32_i24_e32 v51, v51, v127
	v_add3_u32 v49, v49, v52, v56
	v_bfe_i32 v52, v66, 0, 8
	v_ashrrev_i32_e32 v56, 24, v66
	s_delay_alu instid0(VALU_DEP_2) | instskip(NEXT) | instid1(VALU_DEP_2)
	v_mul_i32_i24_e32 v61, v52, v225
	v_mul_i32_i24_e32 v63, v56, v226
	;; [unrolled: 1-line block ×4, first 2 shown]
	s_delay_alu instid0(VALU_DEP_3) | instskip(SKIP_2) | instid1(VALU_DEP_4)
	v_add3_u32 v18, v18, v63, v61
	v_mul_i32_i24_e32 v61, v52, v235
	v_mul_i32_i24_e32 v63, v56, v236
	v_add3_u32 v23, v23, v87, v86
	s_delay_alu instid0(VALU_DEP_2) | instskip(SKIP_2) | instid1(VALU_DEP_2)
	v_add3_u32 v42, v42, v63, v61
	v_bfe_i32 v61, v74, 0, 8
	v_ashrrev_i32_e32 v63, 24, v74
	v_mul_i32_i24_e32 v65, v61, v225
	s_delay_alu instid0(VALU_DEP_2) | instskip(SKIP_2) | instid1(VALU_DEP_3)
	v_mul_i32_i24_e32 v68, v63, v226
	v_mul_i32_i24_e32 v86, v61, v212
	v_mul_i32_i24_e32 v87, v63, v211
	v_add3_u32 v46, v46, v68, v65
	v_mul_i32_i24_e32 v65, v61, v235
	v_mul_i32_i24_e32 v68, v63, v236
	s_delay_alu instid0(VALU_DEP_4) | instskip(SKIP_2) | instid1(VALU_DEP_4)
	v_add3_u32 v47, v47, v87, v86
	v_mul_i32_i24_e32 v61, v61, v124
	v_mul_i32_i24_e32 v63, v63, v123
	v_add3_u32 v49, v49, v68, v65
	v_bfe_i32 v65, v66, 8, 8
	v_bfe_i32 v66, v66, 16, 8
	s_delay_alu instid0(VALU_DEP_2) | instskip(NEXT) | instid1(VALU_DEP_2)
	v_mul_i32_i24_e32 v68, v65, v203
	v_mul_i32_i24_e32 v86, v66, v206
	s_delay_alu instid0(VALU_DEP_1) | instskip(SKIP_1) | instid1(VALU_DEP_1)
	v_add3_u32 v23, v23, v68, v86
	v_mul_i32_i24_e32 v68, v71, v133
	v_add3_u32 v3, v16, v68, v3
	v_mul_i32_i24_e32 v16, v65, v232
	v_mul_i32_i24_e32 v68, v66, v231
	s_delay_alu instid0(VALU_DEP_1) | instskip(SKIP_2) | instid1(VALU_DEP_1)
	v_add3_u32 v16, v18, v16, v68
	v_mul_i32_i24_e32 v18, v65, v238
	v_mul_i32_i24_e32 v68, v66, v237
	v_add3_u32 v18, v42, v18, v68
	v_bfe_i32 v42, v74, 8, 8
	v_bfe_i32 v68, v74, 16, 8
	s_delay_alu instid0(VALU_DEP_2) | instskip(NEXT) | instid1(VALU_DEP_2)
	v_mul_i32_i24_e32 v71, v42, v203
	v_mul_i32_i24_e32 v74, v68, v206
	s_delay_alu instid0(VALU_DEP_1) | instskip(SKIP_1) | instid1(VALU_DEP_1)
	v_add3_u32 v47, v47, v71, v74
	v_mul_i32_i24_e32 v71, v73, v133
	v_add3_u32 v45, v45, v71, v48
	v_mul_i32_i24_e32 v48, v42, v232
	v_mul_i32_i24_e32 v71, v68, v231
	s_delay_alu instid0(VALU_DEP_3) | instskip(NEXT) | instid1(VALU_DEP_2)
	v_add3_u32 v45, v45, v50, v51
	v_add3_u32 v46, v46, v48, v71
	v_mul_i32_i24_e32 v48, v42, v238
	v_mul_i32_i24_e32 v71, v68, v237
	s_delay_alu instid0(VALU_DEP_4) | instskip(SKIP_1) | instid1(VALU_DEP_3)
	v_add3_u32 v45, v45, v63, v61
	v_mul_i32_i24_e32 v42, v42, v15
	v_add3_u32 v48, v49, v48, v71
	v_mul_i32_i24_e32 v49, v75, v129
	v_mul_i32_i24_e32 v71, v85, v127
	s_delay_alu instid0(VALU_DEP_1) | instskip(SKIP_2) | instid1(VALU_DEP_2)
	v_add3_u32 v3, v3, v49, v71
	v_bfe_i32 v49, v239, 0, 8
	v_bfe_i32 v71, v239, 8, 8
	v_mul_i32_i24_e32 v73, v49, v114
	s_delay_alu instid0(VALU_DEP_2) | instskip(NEXT) | instid1(VALU_DEP_1)
	v_mul_i32_i24_e32 v74, v71, v115
	v_add3_u32 v16, v16, v73, v74
	v_mul_i32_i24_e32 v73, v49, v118
	v_mul_i32_i24_e32 v74, v71, v119
	s_delay_alu instid0(VALU_DEP_1) | instskip(SKIP_2) | instid1(VALU_DEP_2)
	v_add3_u32 v18, v18, v73, v74
	v_bfe_i32 v73, v241, 0, 8
	v_bfe_i32 v74, v241, 8, 8
	v_mul_i32_i24_e32 v50, v73, v114
	s_delay_alu instid0(VALU_DEP_2) | instskip(SKIP_2) | instid1(VALU_DEP_3)
	v_mul_i32_i24_e32 v51, v74, v115
	v_mul_i32_i24_e32 v75, v73, v107
	;; [unrolled: 1-line block ×3, first 2 shown]
	v_add3_u32 v46, v46, v50, v51
	v_mul_i32_i24_e32 v50, v73, v118
	v_mul_i32_i24_e32 v51, v74, v119
	s_delay_alu instid0(VALU_DEP_4) | instskip(SKIP_2) | instid1(VALU_DEP_4)
	v_add3_u32 v47, v47, v75, v85
	v_mul_i32_i24_e32 v75, v49, v107
	v_mul_i32_i24_e32 v85, v71, v108
	v_add3_u32 v48, v48, v50, v51
	v_mul_i32_i24_e32 v50, v52, v124
	v_mul_i32_i24_e32 v51, v56, v123
	s_delay_alu instid0(VALU_DEP_4) | instskip(NEXT) | instid1(VALU_DEP_2)
	v_add3_u32 v23, v23, v75, v85
	v_add3_u32 v3, v3, v51, v50
	v_bfe_i32 v50, v239, 16, 8
	v_ashrrev_i32_e32 v51, 24, v239
	s_delay_alu instid0(VALU_DEP_2) | instskip(NEXT) | instid1(VALU_DEP_2)
	v_mul_i32_i24_e32 v52, v106, v50
	v_mul_i32_i24_e32 v56, v105, v51
	s_delay_alu instid0(VALU_DEP_1) | instskip(SKIP_2) | instid1(VALU_DEP_3)
	v_add3_u32 v23, v23, v52, v56
	v_bfe_i32 v52, v241, 16, 8
	v_ashrrev_i32_e32 v56, 24, v241
	v_cvt_f32_i32_e32 v23, v23
	s_delay_alu instid0(VALU_DEP_3) | instskip(NEXT) | instid1(VALU_DEP_3)
	v_mul_i32_i24_e32 v61, v52, v112
	v_mul_i32_i24_e32 v63, v56, v113
	;; [unrolled: 1-line block ×4, first 2 shown]
	s_delay_alu instid0(VALU_DEP_3) | instskip(SKIP_2) | instid1(VALU_DEP_4)
	v_add3_u32 v46, v46, v61, v63
	v_mul_i32_i24_e32 v61, v52, v116
	v_mul_i32_i24_e32 v63, v56, v117
	v_add3_u32 v47, v47, v75, v85
	v_mul_i32_i24_e32 v75, v50, v112
	v_mul_i32_i24_e32 v85, v51, v113
	s_delay_alu instid0(VALU_DEP_4)
	v_add3_u32 v48, v48, v61, v63
	v_mul_i32_i24_e32 v61, v66, v104
	v_mul_i32_i24_e32 v63, v65, v15
	ds_load_2addr_b32 v[65:66], v2 offset0:64 offset1:96
	v_add3_u32 v16, v16, v75, v85
	v_mul_i32_i24_e32 v75, v50, v116
	v_mul_i32_i24_e32 v85, v51, v117
	v_add3_u32 v3, v3, v63, v61
	v_mul_i32_i24_e32 v61, v68, v104
	v_cvt_f32_i32_e32 v16, v16
	s_delay_alu instid0(VALU_DEP_4) | instskip(NEXT) | instid1(VALU_DEP_3)
	v_add3_u32 v18, v18, v75, v85
	v_add3_u32 v42, v45, v42, v61
	v_mul_i32_i24_e32 v45, v111, v49
	v_mul_i32_i24_e32 v49, v120, v71
	s_delay_alu instid0(VALU_DEP_4) | instskip(SKIP_1) | instid1(VALU_DEP_3)
	v_cvt_f32_i32_e32 v18, v18
	v_add_nc_u32_e32 v71, 0x1404, v98
	v_add3_u32 v3, v3, v45, v49
	v_mul_i32_i24_e32 v45, v111, v73
	v_mul_i32_i24_e32 v49, v120, v74
	s_delay_alu instid0(VALU_DEP_1) | instskip(SKIP_2) | instid1(VALU_DEP_1)
	v_add3_u32 v42, v42, v45, v49
	v_mul_i32_i24_e32 v45, v50, v110
	v_mul_i32_i24_e32 v49, v51, v109
	v_add3_u32 v3, v3, v45, v49
	v_mul_i32_i24_e32 v45, v52, v110
	v_mul_i32_i24_e32 v49, v56, v109
	s_delay_alu instid0(VALU_DEP_3) | instskip(NEXT) | instid1(VALU_DEP_2)
	v_cvt_f32_i32_e32 v3, v3
	v_add3_u32 v42, v42, v45, v49
	s_wait_dscnt 0x0
	v_lshrrev_b32_e32 v45, 16, v65
	s_delay_alu instid0(VALU_DEP_1) | instskip(NEXT) | instid1(VALU_DEP_1)
	v_cvt_f32_f16_e32 v45, v45
	v_mul_f32_e32 v45, 0x41000000, v45
	s_delay_alu instid0(VALU_DEP_1)
	v_fma_mix_f32 v239, v65, v3, -v45 op_sel_hi:[1,0,0]
	v_lshrrev_b32_e32 v3, 16, v66
	v_fma_mix_f32 v242, v65, v16, -v45 op_sel_hi:[1,0,0]
	v_cvt_f32_i32_e32 v16, v47
	v_fma_mix_f32 v244, v65, v23, -v45 op_sel_hi:[1,0,0]
	v_fma_mix_f32 v240, v65, v18, -v45 op_sel_hi:[1,0,0]
	v_cvt_f32_f16_e32 v3, v3
	v_cvt_f32_i32_e32 v18, v46
	v_cvt_f32_i32_e32 v23, v48
	v_fmac_f32_e32 v72, v14, v239
	s_delay_alu instid0(VALU_DEP_4) | instskip(NEXT) | instid1(VALU_DEP_1)
	v_mul_f32_e32 v3, 0x41000000, v3
	v_fma_mix_f32 v246, v66, v16, -v3 op_sel_hi:[1,0,0]
	v_cvt_f32_i32_e32 v16, v42
	v_fma_mix_f32 v245, v66, v18, -v3 op_sel_hi:[1,0,0]
	v_fma_mix_f32 v243, v66, v23, -v3 op_sel_hi:[1,0,0]
	s_delay_alu instid0(VALU_DEP_3) | instskip(SKIP_1) | instid1(VALU_DEP_2)
	v_fma_mix_f32 v241, v66, v16, -v3 op_sel_hi:[1,0,0]
	v_add_nc_u32_e32 v3, 0x1000, v98
	v_fmac_f32_e32 v69, v14, v241
	ds_load_2addr_b32 v[65:66], v3 offset0:4 offset1:7
	s_wait_dscnt 0x0
	v_bfe_i32 v16, v65, 8, 8
	v_bfe_i32 v18, v65, 0, 8
	;; [unrolled: 1-line block ×3, first 2 shown]
	v_ashrrev_i32_e32 v45, 24, v65
	s_delay_alu instid0(VALU_DEP_4) | instskip(NEXT) | instid1(VALU_DEP_3)
	v_mul_i32_i24_e32 v23, v16, v147
	v_mul_i32_i24_e32 v46, v42, v149
	s_delay_alu instid0(VALU_DEP_3) | instskip(SKIP_1) | instid1(VALU_DEP_4)
	v_mul_i32_i24_e32 v47, v45, v148
	v_mul_i32_i24_e32 v48, v45, v155
	v_mad_i32_i24 v23, v18, v146, v23
	v_mul_i32_i24_e32 v49, v45, v160
	s_delay_alu instid0(VALU_DEP_2) | instskip(SKIP_2) | instid1(VALU_DEP_2)
	v_add3_u32 v23, v23, v46, v47
	v_mul_i32_i24_e32 v46, v16, v151
	v_mul_i32_i24_e32 v47, v42, v154
	v_mad_i32_i24 v46, v18, v150, v46
	s_delay_alu instid0(VALU_DEP_1) | instskip(SKIP_3) | instid1(VALU_DEP_3)
	v_add3_u32 v46, v46, v47, v48
	v_mul_i32_i24_e32 v47, v16, v158
	v_mul_i32_i24_e32 v48, v42, v159
	;; [unrolled: 1-line block ×3, first 2 shown]
	v_mad_i32_i24 v47, v18, v157, v47
	s_delay_alu instid0(VALU_DEP_2) | instskip(SKIP_2) | instid1(VALU_DEP_4)
	v_mad_i32_i24 v16, v140, v18, v16
	v_mul_i32_i24_e32 v18, v136, v42
	v_mul_i32_i24_e32 v42, v135, v45
	v_add3_u32 v47, v47, v48, v49
	v_add_nc_u32_e32 v48, 0x1400, v98
	s_delay_alu instid0(VALU_DEP_3)
	v_add3_u32 v16, v16, v18, v42
	ds_load_2addr_b32 v[73:74], v48 offset0:4 offset1:7
	s_wait_dscnt 0x0
	v_bfe_i32 v49, v73, 8, 8
	v_bfe_i32 v50, v73, 0, 8
	;; [unrolled: 1-line block ×3, first 2 shown]
	v_ashrrev_i32_e32 v56, 24, v73
	s_delay_alu instid0(VALU_DEP_4) | instskip(NEXT) | instid1(VALU_DEP_3)
	v_mul_i32_i24_e32 v51, v49, v147
	v_mul_i32_i24_e32 v61, v52, v149
	s_delay_alu instid0(VALU_DEP_3) | instskip(SKIP_1) | instid1(VALU_DEP_4)
	v_mul_i32_i24_e32 v63, v56, v148
	v_mul_i32_i24_e32 v65, v56, v155
	v_mad_i32_i24 v51, v50, v146, v51
	v_mul_i32_i24_e32 v68, v56, v160
	s_delay_alu instid0(VALU_DEP_2) | instskip(SKIP_2) | instid1(VALU_DEP_2)
	v_add3_u32 v51, v51, v61, v63
	v_mul_i32_i24_e32 v61, v49, v151
	v_mul_i32_i24_e32 v63, v52, v154
	v_mad_i32_i24 v61, v50, v150, v61
	s_delay_alu instid0(VALU_DEP_1) | instskip(SKIP_3) | instid1(VALU_DEP_3)
	v_add3_u32 v61, v61, v63, v65
	v_mul_i32_i24_e32 v63, v49, v158
	v_mul_i32_i24_e32 v65, v52, v159
	;; [unrolled: 1-line block ×3, first 2 shown]
	v_mad_i32_i24 v63, v50, v157, v63
	s_delay_alu instid0(VALU_DEP_2) | instskip(SKIP_1) | instid1(VALU_DEP_3)
	v_mad_i32_i24 v49, v140, v50, v49
	v_mul_i32_i24_e32 v50, v136, v52
	v_add3_u32 v63, v63, v65, v68
	v_add_nc_u32_e32 v65, 0x1004, v98
	v_add_nc_u32_e32 v68, 0x1014, v98
	ds_load_2addr_b32 v[247:248], v65 offset1:1
	ds_load_2addr_b32 v[249:250], v68 offset1:1
	;; [unrolled: 1-line block ×3, first 2 shown]
	s_wait_dscnt 0x2
	v_bfe_i32 v65, v247, 8, 8
	v_ashrrev_i32_e32 v68, 24, v247
	s_delay_alu instid0(VALU_DEP_2) | instskip(NEXT) | instid1(VALU_DEP_2)
	v_mul_i32_i24_e32 v71, v65, v153
	v_mul_i32_i24_e32 v73, v68, v152
	s_delay_alu instid0(VALU_DEP_1) | instskip(SKIP_2) | instid1(VALU_DEP_1)
	v_add3_u32 v23, v23, v73, v71
	v_mul_i32_i24_e32 v71, v65, v161
	v_mul_i32_i24_e32 v73, v68, v162
	v_add3_u32 v46, v46, v73, v71
	v_mul_i32_i24_e32 v71, v65, v163
	v_mul_i32_i24_e32 v73, v68, v164
	s_delay_alu instid0(VALU_DEP_1) | instskip(SKIP_3) | instid1(VALU_DEP_2)
	v_add3_u32 v47, v47, v73, v71
	s_wait_dscnt 0x0
	v_bfe_i32 v71, v251, 8, 8
	v_ashrrev_i32_e32 v73, 24, v251
	v_mul_i32_i24_e32 v75, v71, v153
	s_delay_alu instid0(VALU_DEP_2) | instskip(NEXT) | instid1(VALU_DEP_1)
	v_mul_i32_i24_e32 v85, v73, v152
	v_add3_u32 v51, v51, v85, v75
	v_mul_i32_i24_e32 v75, v71, v161
	v_mul_i32_i24_e32 v85, v73, v162
	s_delay_alu instid0(VALU_DEP_1) | instskip(SKIP_2) | instid1(VALU_DEP_1)
	v_add3_u32 v61, v61, v85, v75
	v_mul_i32_i24_e32 v75, v71, v163
	v_mul_i32_i24_e32 v85, v73, v164
	v_add3_u32 v63, v63, v85, v75
	v_bfe_i32 v75, v247, 0, 8
	v_bfe_i32 v85, v247, 16, 8
	s_delay_alu instid0(VALU_DEP_2) | instskip(NEXT) | instid1(VALU_DEP_2)
	v_mul_i32_i24_e32 v86, v75, v168
	v_mul_i32_i24_e32 v87, v85, v166
	s_delay_alu instid0(VALU_DEP_1) | instskip(SKIP_2) | instid1(VALU_DEP_1)
	v_add3_u32 v23, v23, v86, v87
	v_mul_i32_i24_e32 v86, v75, v170
	v_mul_i32_i24_e32 v87, v85, v171
	v_add3_u32 v46, v46, v86, v87
	v_mul_i32_i24_e32 v86, v75, v172
	v_mul_i32_i24_e32 v87, v85, v173
	s_delay_alu instid0(VALU_DEP_1) | instskip(SKIP_2) | instid1(VALU_DEP_2)
	v_add3_u32 v47, v47, v86, v87
	v_bfe_i32 v86, v251, 0, 8
	v_bfe_i32 v87, v251, 16, 8
	v_mul_i32_i24_e32 v88, v86, v168
	s_delay_alu instid0(VALU_DEP_2) | instskip(NEXT) | instid1(VALU_DEP_1)
	v_mul_i32_i24_e32 v247, v87, v166
	v_add3_u32 v51, v51, v88, v247
	v_mul_i32_i24_e32 v88, v86, v170
	v_mul_i32_i24_e32 v247, v87, v171
	s_delay_alu instid0(VALU_DEP_1) | instskip(SKIP_2) | instid1(VALU_DEP_1)
	v_add3_u32 v61, v61, v88, v247
	v_mul_i32_i24_e32 v88, v86, v172
	v_mul_i32_i24_e32 v247, v87, v173
	v_add3_u32 v63, v63, v88, v247
	v_bfe_i32 v88, v249, 0, 8
	v_ashrrev_i32_e32 v247, 24, v249
	s_delay_alu instid0(VALU_DEP_2) | instskip(NEXT) | instid1(VALU_DEP_2)
	v_mul_i32_i24_e32 v18, v88, v180
	v_mul_i32_i24_e32 v42, v247, v181
	;; [unrolled: 1-line block ×5, first 2 shown]
	s_delay_alu instid0(VALU_DEP_4) | instskip(SKIP_1) | instid1(VALU_DEP_3)
	v_add3_u32 v18, v46, v42, v18
	v_mul_i32_i24_e32 v42, v88, v182
	v_add3_u32 v23, v23, v253, v251
	s_delay_alu instid0(VALU_DEP_2)
	v_add3_u32 v42, v47, v45, v42
	v_add_nc_u32_e32 v45, 0x1414, v98
	ds_load_2addr_b32 v[253:254], v45 offset1:1
	s_wait_dscnt 0x0
	v_bfe_i32 v45, v253, 0, 8
	v_ashrrev_i32_e32 v46, 24, v253
	s_delay_alu instid0(VALU_DEP_2) | instskip(NEXT) | instid1(VALU_DEP_2)
	v_mul_i32_i24_e32 v47, v45, v177
	v_mul_i32_i24_e32 v251, v46, v176
	;; [unrolled: 1-line block ×3, first 2 shown]
	s_delay_alu instid0(VALU_DEP_2) | instskip(SKIP_2) | instid1(VALU_DEP_2)
	v_add3_u32 v47, v51, v251, v47
	v_mul_i32_i24_e32 v51, v135, v56
	v_bfe_i32 v56, v249, 16, 8
	v_add3_u32 v49, v49, v50, v51
	v_mul_i32_i24_e32 v50, v45, v180
	v_mul_i32_i24_e32 v51, v46, v181
	;; [unrolled: 1-line block ×3, first 2 shown]
	s_delay_alu instid0(VALU_DEP_2) | instskip(SKIP_2) | instid1(VALU_DEP_2)
	v_add3_u32 v50, v61, v51, v50
	v_mul_i32_i24_e32 v51, v45, v182
	v_mul_i32_i24_e32 v45, v45, v125
	v_add3_u32 v51, v63, v52, v51
	v_bfe_i32 v52, v249, 8, 8
	v_mul_i32_i24_e32 v63, v56, v184
	s_delay_alu instid0(VALU_DEP_2) | instskip(NEXT) | instid1(VALU_DEP_1)
	v_mul_i32_i24_e32 v61, v52, v186
	v_add3_u32 v23, v23, v61, v63
	v_mul_i32_i24_e32 v61, v68, v131
	v_mul_i32_i24_e32 v63, v65, v145
	s_delay_alu instid0(VALU_DEP_1) | instskip(SKIP_2) | instid1(VALU_DEP_1)
	v_add3_u32 v16, v16, v61, v63
	v_mul_i32_i24_e32 v61, v52, v188
	v_mul_i32_i24_e32 v63, v56, v187
	v_add3_u32 v18, v18, v61, v63
	v_mul_i32_i24_e32 v61, v52, v191
	v_mul_i32_i24_e32 v63, v56, v190
	;; [unrolled: 1-line block ×4, first 2 shown]
	s_delay_alu instid0(VALU_DEP_3) | instskip(SKIP_2) | instid1(VALU_DEP_2)
	v_add3_u32 v42, v42, v61, v63
	v_bfe_i32 v61, v253, 8, 8
	v_bfe_i32 v63, v253, 16, 8
	v_mul_i32_i24_e32 v65, v61, v186
	s_delay_alu instid0(VALU_DEP_2) | instskip(NEXT) | instid1(VALU_DEP_1)
	v_mul_i32_i24_e32 v68, v63, v184
	v_add3_u32 v47, v47, v65, v68
	v_mul_i32_i24_e32 v65, v73, v131
	v_mul_i32_i24_e32 v68, v71, v145
	s_delay_alu instid0(VALU_DEP_1) | instskip(SKIP_2) | instid1(VALU_DEP_1)
	v_add3_u32 v49, v49, v65, v68
	v_mul_i32_i24_e32 v65, v61, v188
	v_mul_i32_i24_e32 v68, v63, v187
	v_add3_u32 v50, v50, v65, v68
	v_mul_i32_i24_e32 v65, v61, v191
	v_mul_i32_i24_e32 v68, v63, v190
	;; [unrolled: 1-line block ×4, first 2 shown]
	s_delay_alu instid0(VALU_DEP_3) | instskip(SKIP_2) | instid1(VALU_DEP_2)
	v_add3_u32 v51, v51, v65, v68
	v_bfe_i32 v65, v248, 8, 8
	v_ashrrev_i32_e32 v68, 24, v248
	v_mul_i32_i24_e32 v71, v65, v192
	s_delay_alu instid0(VALU_DEP_2) | instskip(NEXT) | instid1(VALU_DEP_1)
	v_mul_i32_i24_e32 v73, v68, v189
	v_add3_u32 v23, v23, v73, v71
	v_mul_i32_i24_e32 v71, v75, v130
	v_mul_i32_i24_e32 v73, v85, v126
	s_delay_alu instid0(VALU_DEP_1) | instskip(SKIP_2) | instid1(VALU_DEP_1)
	v_add3_u32 v16, v16, v71, v73
	v_mul_i32_i24_e32 v71, v65, v204
	v_mul_i32_i24_e32 v73, v68, v205
	v_add3_u32 v18, v18, v73, v71
	v_mul_i32_i24_e32 v71, v65, v209
	v_mul_i32_i24_e32 v73, v68, v210
	;; [unrolled: 1-line block ×4, first 2 shown]
	s_delay_alu instid0(VALU_DEP_3) | instskip(SKIP_2) | instid1(VALU_DEP_2)
	v_add3_u32 v42, v42, v73, v71
	v_bfe_i32 v71, v252, 8, 8
	v_ashrrev_i32_e32 v73, 24, v252
	v_mul_i32_i24_e32 v75, v71, v192
	s_delay_alu instid0(VALU_DEP_2) | instskip(NEXT) | instid1(VALU_DEP_1)
	v_mul_i32_i24_e32 v85, v73, v189
	v_add3_u32 v47, v47, v85, v75
	v_mul_i32_i24_e32 v75, v86, v130
	v_mul_i32_i24_e32 v85, v87, v126
	s_delay_alu instid0(VALU_DEP_1) | instskip(SKIP_2) | instid1(VALU_DEP_3)
	v_add3_u32 v49, v49, v75, v85
	v_mul_i32_i24_e32 v75, v71, v204
	v_mul_i32_i24_e32 v85, v73, v205
	v_add3_u32 v45, v49, v46, v45
	s_delay_alu instid0(VALU_DEP_2) | instskip(SKIP_2) | instid1(VALU_DEP_4)
	v_add3_u32 v50, v50, v85, v75
	v_mul_i32_i24_e32 v75, v71, v209
	v_mul_i32_i24_e32 v85, v73, v210
	v_add3_u32 v45, v45, v61, v63
	v_mul_i32_i24_e32 v73, v73, v139
	v_mul_i32_i24_e32 v71, v71, v143
	s_delay_alu instid0(VALU_DEP_4) | instskip(SKIP_2) | instid1(VALU_DEP_4)
	v_add3_u32 v51, v51, v85, v75
	v_bfe_i32 v75, v248, 0, 8
	v_bfe_i32 v85, v248, 16, 8
	v_add3_u32 v45, v45, v73, v71
	s_delay_alu instid0(VALU_DEP_3) | instskip(NEXT) | instid1(VALU_DEP_3)
	v_mul_i32_i24_e32 v86, v75, v194
	v_mul_i32_i24_e32 v87, v85, v195
	s_delay_alu instid0(VALU_DEP_1) | instskip(SKIP_2) | instid1(VALU_DEP_1)
	v_add3_u32 v23, v23, v86, v87
	v_mul_i32_i24_e32 v86, v88, v125
	v_mul_i32_i24_e32 v87, v247, v122
	v_add3_u32 v16, v16, v87, v86
	v_mul_i32_i24_e32 v86, v75, v207
	v_mul_i32_i24_e32 v87, v85, v208
	s_delay_alu instid0(VALU_DEP_3) | instskip(NEXT) | instid1(VALU_DEP_2)
	v_add3_u32 v16, v16, v52, v56
	v_add3_u32 v18, v18, v86, v87
	v_mul_i32_i24_e32 v86, v75, v219
	v_mul_i32_i24_e32 v87, v85, v220
	s_delay_alu instid0(VALU_DEP_4) | instskip(NEXT) | instid1(VALU_DEP_2)
	v_add3_u32 v16, v16, v68, v65
	v_add3_u32 v42, v42, v86, v87
	v_bfe_i32 v86, v252, 0, 8
	v_bfe_i32 v87, v252, 16, 8
	s_delay_alu instid0(VALU_DEP_2) | instskip(NEXT) | instid1(VALU_DEP_2)
	v_mul_i32_i24_e32 v46, v86, v207
	v_mul_i32_i24_e32 v49, v87, v208
	;; [unrolled: 1-line block ×4, first 2 shown]
	s_delay_alu instid0(VALU_DEP_3) | instskip(SKIP_2) | instid1(VALU_DEP_4)
	v_add3_u32 v46, v50, v46, v49
	v_mul_i32_i24_e32 v49, v86, v219
	v_mul_i32_i24_e32 v50, v87, v220
	v_add3_u32 v47, v47, v88, v247
	s_delay_alu instid0(VALU_DEP_2) | instskip(SKIP_2) | instid1(VALU_DEP_2)
	v_add3_u32 v49, v51, v49, v50
	v_bfe_i32 v50, v250, 0, 8
	v_ashrrev_i32_e32 v51, 24, v250
	v_mul_i32_i24_e32 v52, v50, v213
	s_delay_alu instid0(VALU_DEP_2) | instskip(SKIP_2) | instid1(VALU_DEP_3)
	v_mul_i32_i24_e32 v56, v51, v214
	v_mul_i32_i24_e32 v88, v50, v196
	;; [unrolled: 1-line block ×3, first 2 shown]
	v_add3_u32 v18, v18, v56, v52
	v_mul_i32_i24_e32 v52, v50, v223
	v_mul_i32_i24_e32 v56, v51, v224
	s_delay_alu instid0(VALU_DEP_4) | instskip(SKIP_2) | instid1(VALU_DEP_4)
	v_add3_u32 v23, v23, v247, v88
	v_mul_i32_i24_e32 v50, v50, v134
	v_mul_i32_i24_e32 v51, v51, v132
	v_add3_u32 v42, v42, v56, v52
	v_bfe_i32 v52, v254, 0, 8
	v_ashrrev_i32_e32 v56, 24, v254
	s_delay_alu instid0(VALU_DEP_2) | instskip(NEXT) | instid1(VALU_DEP_2)
	v_mul_i32_i24_e32 v61, v52, v213
	v_mul_i32_i24_e32 v63, v56, v214
	;; [unrolled: 1-line block ×4, first 2 shown]
	s_delay_alu instid0(VALU_DEP_3) | instskip(SKIP_2) | instid1(VALU_DEP_4)
	v_add3_u32 v46, v46, v63, v61
	v_mul_i32_i24_e32 v61, v52, v223
	v_mul_i32_i24_e32 v63, v56, v224
	v_add3_u32 v47, v47, v247, v88
	v_mul_i32_i24_e32 v52, v52, v134
	v_mul_i32_i24_e32 v56, v56, v132
	s_delay_alu instid0(VALU_DEP_4)
	v_add3_u32 v49, v49, v63, v61
	v_bfe_i32 v61, v250, 8, 8
	v_bfe_i32 v63, v250, 16, 8
	ds_load_2addr_b32 v[249:250], v48 offset1:3
	v_mul_i32_i24_e32 v65, v61, v216
	v_mul_i32_i24_e32 v68, v63, v215
	;; [unrolled: 1-line block ×4, first 2 shown]
	s_delay_alu instid0(VALU_DEP_3) | instskip(SKIP_2) | instid1(VALU_DEP_4)
	v_add3_u32 v18, v18, v65, v68
	v_mul_i32_i24_e32 v65, v61, v228
	v_mul_i32_i24_e32 v68, v63, v227
	v_add3_u32 v23, v23, v88, v247
	v_mul_i32_i24_e32 v63, v63, v128
	v_mul_i32_i24_e32 v61, v61, v142
	s_delay_alu instid0(VALU_DEP_4) | instskip(SKIP_4) | instid1(VALU_DEP_3)
	v_add3_u32 v42, v42, v65, v68
	v_bfe_i32 v65, v254, 8, 8
	v_bfe_i32 v68, v254, 16, 8
	s_wait_dscnt 0x0
	v_bfe_i32 v48, v250, 8, 8
	v_mul_i32_i24_e32 v88, v65, v201
	s_delay_alu instid0(VALU_DEP_3) | instskip(SKIP_2) | instid1(VALU_DEP_3)
	v_mul_i32_i24_e32 v247, v68, v200
	v_mul_i32_i24_e32 v71, v65, v216
	;; [unrolled: 1-line block ×3, first 2 shown]
	v_add3_u32 v47, v47, v88, v247
	ds_load_2addr_b32 v[247:248], v3 offset1:3
	v_add3_u32 v46, v46, v71, v73
	v_mul_i32_i24_e32 v71, v65, v228
	v_mul_i32_i24_e32 v73, v68, v227
	;; [unrolled: 1-line block ×4, first 2 shown]
	s_delay_alu instid0(VALU_DEP_3) | instskip(SKIP_3) | instid1(VALU_DEP_2)
	v_add3_u32 v49, v49, v71, v73
	s_wait_dscnt 0x0
	v_bfe_i32 v3, v248, 8, 8
	v_ashrrev_i32_e32 v71, 24, v248
	v_mul_i32_i24_e32 v73, v3, v198
	s_delay_alu instid0(VALU_DEP_2) | instskip(NEXT) | instid1(VALU_DEP_1)
	v_mul_i32_i24_e32 v88, v71, v197
	v_add3_u32 v23, v23, v88, v73
	v_mul_i32_i24_e32 v73, v75, v137
	v_mul_i32_i24_e32 v75, v85, v138
	s_delay_alu instid0(VALU_DEP_1) | instskip(SKIP_2) | instid1(VALU_DEP_3)
	v_add3_u32 v16, v16, v73, v75
	v_mul_i32_i24_e32 v73, v3, v217
	v_mul_i32_i24_e32 v75, v71, v218
	v_add3_u32 v16, v16, v51, v50
	s_delay_alu instid0(VALU_DEP_2) | instskip(SKIP_2) | instid1(VALU_DEP_4)
	v_add3_u32 v18, v18, v75, v73
	v_mul_i32_i24_e32 v73, v3, v229
	v_mul_i32_i24_e32 v75, v71, v230
	v_add3_u32 v16, v16, v61, v63
	v_mul_i32_i24_e32 v3, v3, v141
	s_delay_alu instid0(VALU_DEP_3) | instskip(SKIP_2) | instid1(VALU_DEP_2)
	v_add3_u32 v42, v42, v75, v73
	v_ashrrev_i32_e32 v73, 24, v250
	v_mul_i32_i24_e32 v75, v48, v198
	v_mul_i32_i24_e32 v85, v73, v197
	s_delay_alu instid0(VALU_DEP_1) | instskip(SKIP_2) | instid1(VALU_DEP_1)
	v_add3_u32 v47, v47, v85, v75
	v_mul_i32_i24_e32 v75, v86, v137
	v_mul_i32_i24_e32 v85, v87, v138
	v_add3_u32 v45, v45, v75, v85
	v_mul_i32_i24_e32 v75, v48, v217
	v_mul_i32_i24_e32 v85, v73, v218
	s_delay_alu instid0(VALU_DEP_3) | instskip(NEXT) | instid1(VALU_DEP_2)
	v_add3_u32 v45, v45, v56, v52
	v_add3_u32 v46, v46, v85, v75
	v_mul_i32_i24_e32 v75, v48, v229
	v_mul_i32_i24_e32 v85, v73, v230
	s_delay_alu instid0(VALU_DEP_4) | instskip(SKIP_1) | instid1(VALU_DEP_3)
	v_add3_u32 v45, v45, v65, v68
	v_mul_i32_i24_e32 v48, v48, v141
	v_add3_u32 v49, v49, v85, v75
	v_bfe_i32 v75, v248, 0, 8
	v_bfe_i32 v85, v248, 16, 8
	s_delay_alu instid0(VALU_DEP_2) | instskip(NEXT) | instid1(VALU_DEP_2)
	v_mul_i32_i24_e32 v50, v75, v221
	v_mul_i32_i24_e32 v51, v85, v222
	;; [unrolled: 1-line block ×4, first 2 shown]
	s_delay_alu instid0(VALU_DEP_3) | instskip(SKIP_2) | instid1(VALU_DEP_4)
	v_add3_u32 v18, v18, v50, v51
	v_mul_i32_i24_e32 v50, v75, v233
	v_mul_i32_i24_e32 v51, v85, v234
	v_add3_u32 v23, v23, v86, v87
	s_delay_alu instid0(VALU_DEP_2) | instskip(SKIP_2) | instid1(VALU_DEP_2)
	v_add3_u32 v42, v42, v50, v51
	v_bfe_i32 v50, v250, 0, 8
	v_bfe_i32 v51, v250, 16, 8
	v_mul_i32_i24_e32 v52, v50, v221
	s_delay_alu instid0(VALU_DEP_2) | instskip(SKIP_2) | instid1(VALU_DEP_3)
	v_mul_i32_i24_e32 v56, v51, v222
	v_mul_i32_i24_e32 v86, v50, v202
	v_mul_i32_i24_e32 v87, v51, v199
	v_add3_u32 v46, v46, v52, v56
	v_mul_i32_i24_e32 v52, v50, v233
	v_mul_i32_i24_e32 v56, v51, v234
	s_delay_alu instid0(VALU_DEP_4) | instskip(SKIP_2) | instid1(VALU_DEP_4)
	v_add3_u32 v47, v47, v86, v87
	v_mul_i32_i24_e32 v50, v50, v129
	v_mul_i32_i24_e32 v51, v51, v127
	v_add3_u32 v49, v49, v52, v56
	v_bfe_i32 v52, v66, 0, 8
	v_ashrrev_i32_e32 v56, 24, v66
	s_delay_alu instid0(VALU_DEP_2) | instskip(NEXT) | instid1(VALU_DEP_2)
	v_mul_i32_i24_e32 v61, v52, v225
	v_mul_i32_i24_e32 v63, v56, v226
	;; [unrolled: 1-line block ×4, first 2 shown]
	s_delay_alu instid0(VALU_DEP_3) | instskip(SKIP_2) | instid1(VALU_DEP_4)
	v_add3_u32 v18, v18, v63, v61
	v_mul_i32_i24_e32 v61, v52, v235
	v_mul_i32_i24_e32 v63, v56, v236
	v_add3_u32 v23, v23, v87, v86
	s_delay_alu instid0(VALU_DEP_2) | instskip(SKIP_2) | instid1(VALU_DEP_2)
	v_add3_u32 v42, v42, v63, v61
	v_bfe_i32 v61, v74, 0, 8
	v_ashrrev_i32_e32 v63, 24, v74
	v_mul_i32_i24_e32 v65, v61, v225
	s_delay_alu instid0(VALU_DEP_2) | instskip(SKIP_2) | instid1(VALU_DEP_3)
	v_mul_i32_i24_e32 v68, v63, v226
	v_mul_i32_i24_e32 v86, v61, v212
	;; [unrolled: 1-line block ×3, first 2 shown]
	v_add3_u32 v46, v46, v68, v65
	v_mul_i32_i24_e32 v65, v61, v235
	v_mul_i32_i24_e32 v68, v63, v236
	s_delay_alu instid0(VALU_DEP_4) | instskip(SKIP_2) | instid1(VALU_DEP_4)
	v_add3_u32 v47, v47, v87, v86
	v_mul_i32_i24_e32 v61, v61, v124
	v_mul_i32_i24_e32 v63, v63, v123
	v_add3_u32 v49, v49, v68, v65
	v_bfe_i32 v65, v66, 8, 8
	v_bfe_i32 v66, v66, 16, 8
	s_delay_alu instid0(VALU_DEP_2) | instskip(NEXT) | instid1(VALU_DEP_2)
	v_mul_i32_i24_e32 v68, v65, v203
	v_mul_i32_i24_e32 v86, v66, v206
	s_delay_alu instid0(VALU_DEP_1) | instskip(SKIP_1) | instid1(VALU_DEP_1)
	v_add3_u32 v23, v23, v68, v86
	v_mul_i32_i24_e32 v68, v71, v133
	v_add3_u32 v3, v16, v68, v3
	v_mul_i32_i24_e32 v16, v65, v232
	v_mul_i32_i24_e32 v68, v66, v231
	s_delay_alu instid0(VALU_DEP_1) | instskip(SKIP_2) | instid1(VALU_DEP_1)
	v_add3_u32 v16, v18, v16, v68
	v_mul_i32_i24_e32 v18, v65, v238
	v_mul_i32_i24_e32 v68, v66, v237
	v_add3_u32 v18, v42, v18, v68
	v_bfe_i32 v42, v74, 8, 8
	v_bfe_i32 v68, v74, 16, 8
	s_delay_alu instid0(VALU_DEP_2) | instskip(NEXT) | instid1(VALU_DEP_2)
	v_mul_i32_i24_e32 v71, v42, v203
	v_mul_i32_i24_e32 v74, v68, v206
	s_delay_alu instid0(VALU_DEP_1) | instskip(SKIP_1) | instid1(VALU_DEP_1)
	v_add3_u32 v47, v47, v71, v74
	v_mul_i32_i24_e32 v71, v73, v133
	v_add3_u32 v45, v45, v71, v48
	v_mul_i32_i24_e32 v48, v42, v232
	v_mul_i32_i24_e32 v71, v68, v231
	s_delay_alu instid0(VALU_DEP_3) | instskip(NEXT) | instid1(VALU_DEP_2)
	v_add3_u32 v45, v45, v50, v51
	v_add3_u32 v46, v46, v48, v71
	v_mul_i32_i24_e32 v48, v42, v238
	v_mul_i32_i24_e32 v71, v68, v237
	s_delay_alu instid0(VALU_DEP_4) | instskip(SKIP_1) | instid1(VALU_DEP_3)
	v_add3_u32 v45, v45, v63, v61
	v_mul_i32_i24_e32 v42, v42, v15
	v_add3_u32 v48, v49, v48, v71
	v_mul_i32_i24_e32 v49, v75, v129
	v_mul_i32_i24_e32 v71, v85, v127
	s_delay_alu instid0(VALU_DEP_1) | instskip(SKIP_2) | instid1(VALU_DEP_2)
	v_add3_u32 v3, v3, v49, v71
	v_bfe_i32 v49, v247, 0, 8
	v_bfe_i32 v71, v247, 8, 8
	v_mul_i32_i24_e32 v73, v49, v114
	s_delay_alu instid0(VALU_DEP_2) | instskip(NEXT) | instid1(VALU_DEP_1)
	v_mul_i32_i24_e32 v74, v71, v115
	v_add3_u32 v16, v16, v73, v74
	v_mul_i32_i24_e32 v73, v49, v118
	v_mul_i32_i24_e32 v74, v71, v119
	s_delay_alu instid0(VALU_DEP_1) | instskip(SKIP_2) | instid1(VALU_DEP_2)
	v_add3_u32 v18, v18, v73, v74
	v_bfe_i32 v73, v249, 0, 8
	v_bfe_i32 v74, v249, 8, 8
	v_mul_i32_i24_e32 v50, v73, v114
	s_delay_alu instid0(VALU_DEP_2) | instskip(SKIP_2) | instid1(VALU_DEP_3)
	v_mul_i32_i24_e32 v51, v74, v115
	v_mul_i32_i24_e32 v75, v73, v107
	;; [unrolled: 1-line block ×3, first 2 shown]
	v_add3_u32 v46, v46, v50, v51
	v_mul_i32_i24_e32 v50, v73, v118
	v_mul_i32_i24_e32 v51, v74, v119
	s_delay_alu instid0(VALU_DEP_4) | instskip(SKIP_2) | instid1(VALU_DEP_4)
	v_add3_u32 v47, v47, v75, v85
	v_mul_i32_i24_e32 v75, v49, v107
	v_mul_i32_i24_e32 v85, v71, v108
	v_add3_u32 v48, v48, v50, v51
	v_mul_i32_i24_e32 v50, v52, v124
	v_mul_i32_i24_e32 v51, v56, v123
	s_delay_alu instid0(VALU_DEP_4) | instskip(NEXT) | instid1(VALU_DEP_2)
	v_add3_u32 v23, v23, v75, v85
	v_add3_u32 v3, v3, v51, v50
	v_bfe_i32 v50, v247, 16, 8
	v_ashrrev_i32_e32 v51, 24, v247
	s_delay_alu instid0(VALU_DEP_2) | instskip(NEXT) | instid1(VALU_DEP_2)
	v_mul_i32_i24_e32 v52, v106, v50
	v_mul_i32_i24_e32 v56, v105, v51
	s_delay_alu instid0(VALU_DEP_1) | instskip(SKIP_2) | instid1(VALU_DEP_3)
	v_add3_u32 v23, v23, v52, v56
	v_bfe_i32 v52, v249, 16, 8
	v_ashrrev_i32_e32 v56, 24, v249
	v_cvt_f32_i32_e32 v23, v23
	s_delay_alu instid0(VALU_DEP_3) | instskip(NEXT) | instid1(VALU_DEP_3)
	v_mul_i32_i24_e32 v61, v52, v112
	v_mul_i32_i24_e32 v63, v56, v113
	;; [unrolled: 1-line block ×4, first 2 shown]
	s_delay_alu instid0(VALU_DEP_3) | instskip(SKIP_2) | instid1(VALU_DEP_4)
	v_add3_u32 v46, v46, v61, v63
	v_mul_i32_i24_e32 v61, v52, v116
	v_mul_i32_i24_e32 v63, v56, v117
	v_add3_u32 v47, v47, v75, v85
	v_mul_i32_i24_e32 v75, v50, v112
	v_mul_i32_i24_e32 v85, v51, v113
	s_delay_alu instid0(VALU_DEP_4)
	v_add3_u32 v48, v48, v61, v63
	v_mul_i32_i24_e32 v61, v66, v104
	v_mul_i32_i24_e32 v63, v65, v15
	ds_load_2addr_b32 v[65:66], v2 offset0:128 offset1:160
	v_add3_u32 v16, v16, v75, v85
	v_mul_i32_i24_e32 v75, v50, v116
	v_mul_i32_i24_e32 v85, v51, v117
	v_add3_u32 v3, v3, v63, v61
	v_mul_i32_i24_e32 v61, v68, v104
	v_cvt_f32_i32_e32 v16, v16
	s_delay_alu instid0(VALU_DEP_4) | instskip(SKIP_1) | instid1(VALU_DEP_4)
	v_add3_u32 v18, v18, v75, v85
	v_add_nc_u32_e32 v75, 0x1c04, v98
	v_add3_u32 v42, v45, v42, v61
	v_mul_i32_i24_e32 v45, v111, v49
	v_mul_i32_i24_e32 v49, v120, v71
	v_cvt_f32_i32_e32 v18, v18
	s_delay_alu instid0(VALU_DEP_2) | instskip(SKIP_2) | instid1(VALU_DEP_1)
	v_add3_u32 v3, v3, v45, v49
	v_mul_i32_i24_e32 v45, v111, v73
	v_mul_i32_i24_e32 v49, v120, v74
	v_add3_u32 v42, v42, v45, v49
	v_mul_i32_i24_e32 v45, v50, v110
	v_mul_i32_i24_e32 v49, v51, v109
	s_delay_alu instid0(VALU_DEP_1) | instskip(SKIP_2) | instid1(VALU_DEP_3)
	v_add3_u32 v3, v3, v45, v49
	v_mul_i32_i24_e32 v45, v52, v110
	v_mul_i32_i24_e32 v49, v56, v109
	v_cvt_f32_i32_e32 v3, v3
	s_delay_alu instid0(VALU_DEP_2) | instskip(SKIP_2) | instid1(VALU_DEP_1)
	v_add3_u32 v42, v42, v45, v49
	s_wait_dscnt 0x0
	v_lshrrev_b32_e32 v45, 16, v65
	v_cvt_f32_f16_e32 v45, v45
	s_delay_alu instid0(VALU_DEP_1) | instskip(NEXT) | instid1(VALU_DEP_1)
	v_mul_f32_e32 v45, 0x41000000, v45
	v_fma_mix_f32 v248, v65, v3, -v45 op_sel_hi:[1,0,0]
	v_lshrrev_b32_e32 v3, 16, v66
	v_fma_mix_f32 v252, v65, v23, -v45 op_sel_hi:[1,0,0]
	v_cvt_f32_i32_e32 v23, v48
	v_fma_mix_f32 v250, v65, v16, -v45 op_sel_hi:[1,0,0]
	v_fma_mix_f32 v249, v65, v18, -v45 op_sel_hi:[1,0,0]
	v_cvt_f32_f16_e32 v3, v3
	v_cvt_f32_i32_e32 v16, v47
	v_cvt_f32_i32_e32 v18, v46
	s_delay_alu instid0(VALU_DEP_3) | instskip(NEXT) | instid1(VALU_DEP_1)
	v_dual_fmac_f32 v58, v14, v248 :: v_dual_mul_f32 v3, 0x41000000, v3
	v_fma_mix_f32 v251, v66, v23, -v3 op_sel_hi:[1,0,0]
	v_cvt_f32_i32_e32 v23, v42
	v_fma_mix_f32 v16, v66, v16, -v3 op_sel_hi:[1,0,0]
	v_fma_mix_f32 v18, v66, v18, -v3 op_sel_hi:[1,0,0]
	s_delay_alu instid0(VALU_DEP_3) | instskip(SKIP_1) | instid1(VALU_DEP_2)
	v_fma_mix_f32 v247, v66, v23, -v3 op_sel_hi:[1,0,0]
	v_add_nc_u32_e32 v3, 0x1800, v98
	v_fmac_f32_e32 v57, v14, v247
	ds_load_2addr_b32 v[65:66], v3 offset0:4 offset1:7
	s_wait_dscnt 0x0
	v_bfe_i32 v23, v65, 8, 8
	v_bfe_i32 v42, v65, 0, 8
	;; [unrolled: 1-line block ×3, first 2 shown]
	v_ashrrev_i32_e32 v47, 24, v65
	s_delay_alu instid0(VALU_DEP_4) | instskip(NEXT) | instid1(VALU_DEP_3)
	v_mul_i32_i24_e32 v45, v23, v147
	v_mul_i32_i24_e32 v48, v46, v149
	s_delay_alu instid0(VALU_DEP_3) | instskip(SKIP_1) | instid1(VALU_DEP_4)
	v_mul_i32_i24_e32 v49, v47, v148
	v_mul_i32_i24_e32 v50, v47, v155
	v_mad_i32_i24 v45, v42, v146, v45
	v_mul_i32_i24_e32 v51, v47, v160
	v_mul_i32_i24_e32 v47, v135, v47
	s_delay_alu instid0(VALU_DEP_3) | instskip(SKIP_2) | instid1(VALU_DEP_2)
	v_add3_u32 v45, v45, v48, v49
	v_mul_i32_i24_e32 v48, v23, v151
	v_mul_i32_i24_e32 v49, v46, v154
	v_mad_i32_i24 v48, v42, v150, v48
	s_delay_alu instid0(VALU_DEP_1) | instskip(SKIP_4) | instid1(VALU_DEP_4)
	v_add3_u32 v48, v48, v49, v50
	v_mul_i32_i24_e32 v49, v23, v158
	v_mul_i32_i24_e32 v50, v46, v159
	;; [unrolled: 1-line block ×4, first 2 shown]
	v_mad_i32_i24 v49, v42, v157, v49
	s_delay_alu instid0(VALU_DEP_3) | instskip(NEXT) | instid1(VALU_DEP_2)
	v_mad_i32_i24 v23, v140, v42, v23
	v_add3_u32 v49, v49, v50, v51
	v_add_nc_u32_e32 v50, 0x1c00, v98
	s_delay_alu instid0(VALU_DEP_3)
	v_add3_u32 v23, v23, v46, v47
	ds_load_2addr_b32 v[73:74], v50 offset0:4 offset1:7
	s_wait_dscnt 0x0
	v_bfe_i32 v51, v73, 8, 8
	v_bfe_i32 v56, v73, 0, 8
	;; [unrolled: 1-line block ×3, first 2 shown]
	v_ashrrev_i32_e32 v65, 24, v73
	s_delay_alu instid0(VALU_DEP_4) | instskip(NEXT) | instid1(VALU_DEP_3)
	v_mul_i32_i24_e32 v52, v51, v147
	v_mul_i32_i24_e32 v63, v61, v149
	s_delay_alu instid0(VALU_DEP_3) | instskip(SKIP_1) | instid1(VALU_DEP_4)
	v_mul_i32_i24_e32 v68, v65, v148
	v_mul_i32_i24_e32 v71, v65, v155
	v_mad_i32_i24 v52, v56, v146, v52
	v_mul_i32_i24_e32 v73, v65, v160
	s_delay_alu instid0(VALU_DEP_2) | instskip(SKIP_2) | instid1(VALU_DEP_2)
	v_add3_u32 v52, v52, v63, v68
	v_mul_i32_i24_e32 v63, v51, v151
	v_mul_i32_i24_e32 v68, v61, v154
	v_mad_i32_i24 v63, v56, v150, v63
	s_delay_alu instid0(VALU_DEP_1) | instskip(SKIP_3) | instid1(VALU_DEP_3)
	v_add3_u32 v63, v63, v68, v71
	v_mul_i32_i24_e32 v68, v51, v158
	v_mul_i32_i24_e32 v71, v61, v159
	;; [unrolled: 1-line block ×3, first 2 shown]
	v_mad_i32_i24 v68, v56, v157, v68
	s_delay_alu instid0(VALU_DEP_2) | instskip(NEXT) | instid1(VALU_DEP_2)
	v_mad_i32_i24 v42, v140, v56, v51
	v_add3_u32 v68, v68, v71, v73
	v_add_nc_u32_e32 v71, 0x1804, v98
	v_add_nc_u32_e32 v73, 0x1814, v98
	ds_load_2addr_b32 v[146:147], v71 offset1:1
	ds_load_2addr_b32 v[148:149], v73 offset1:1
	;; [unrolled: 1-line block ×3, first 2 shown]
	s_wait_dscnt 0x2
	v_bfe_i32 v71, v146, 8, 8
	v_ashrrev_i32_e32 v73, 24, v146
	s_wait_dscnt 0x0
	v_ashrrev_i32_e32 v86, 24, v150
	s_delay_alu instid0(VALU_DEP_3) | instskip(NEXT) | instid1(VALU_DEP_3)
	v_mul_i32_i24_e32 v75, v71, v153
	v_mul_i32_i24_e32 v85, v73, v152
	s_delay_alu instid0(VALU_DEP_3) | instskip(NEXT) | instid1(VALU_DEP_2)
	v_mul_i32_i24_e32 v87, v86, v152
	v_add3_u32 v45, v45, v85, v75
	v_mul_i32_i24_e32 v75, v71, v161
	v_mul_i32_i24_e32 v85, v73, v162
	s_delay_alu instid0(VALU_DEP_1) | instskip(SKIP_3) | instid1(VALU_DEP_2)
	v_add3_u32 v48, v48, v85, v75
	v_mul_i32_i24_e32 v75, v71, v163
	v_mul_i32_i24_e32 v85, v73, v164
	;; [unrolled: 1-line block ×3, first 2 shown]
	v_add3_u32 v49, v49, v85, v75
	v_bfe_i32 v75, v150, 8, 8
	s_delay_alu instid0(VALU_DEP_1) | instskip(NEXT) | instid1(VALU_DEP_1)
	v_mul_i32_i24_e32 v85, v75, v153
	v_add3_u32 v52, v52, v87, v85
	v_mul_i32_i24_e32 v85, v75, v161
	v_mul_i32_i24_e32 v87, v86, v162
	s_delay_alu instid0(VALU_DEP_1) | instskip(SKIP_3) | instid1(VALU_DEP_2)
	v_add3_u32 v63, v63, v87, v85
	v_mul_i32_i24_e32 v85, v75, v163
	v_mul_i32_i24_e32 v87, v86, v164
	;; [unrolled: 1-line block ×3, first 2 shown]
	v_add3_u32 v68, v68, v87, v85
	v_bfe_i32 v85, v146, 0, 8
	v_bfe_i32 v87, v146, 16, 8
	s_delay_alu instid0(VALU_DEP_2) | instskip(NEXT) | instid1(VALU_DEP_2)
	v_mul_i32_i24_e32 v88, v85, v168
	v_mul_i32_i24_e32 v146, v87, v166
	s_delay_alu instid0(VALU_DEP_1) | instskip(SKIP_2) | instid1(VALU_DEP_1)
	v_add3_u32 v45, v45, v88, v146
	v_mul_i32_i24_e32 v88, v85, v170
	v_mul_i32_i24_e32 v146, v87, v171
	v_add3_u32 v48, v48, v88, v146
	v_mul_i32_i24_e32 v88, v85, v172
	v_mul_i32_i24_e32 v146, v87, v173
	;; [unrolled: 1-line block ×3, first 2 shown]
	s_delay_alu instid0(VALU_DEP_2) | instskip(SKIP_2) | instid1(VALU_DEP_2)
	v_add3_u32 v49, v49, v88, v146
	v_bfe_i32 v88, v150, 0, 8
	v_bfe_i32 v150, v150, 16, 8
	v_mul_i32_i24_e32 v51, v88, v170
	s_delay_alu instid0(VALU_DEP_2) | instskip(SKIP_2) | instid1(VALU_DEP_3)
	v_mul_i32_i24_e32 v56, v150, v171
	v_mul_i32_i24_e32 v146, v88, v168
	;; [unrolled: 1-line block ×3, first 2 shown]
	v_add3_u32 v51, v63, v51, v56
	v_mul_i32_i24_e32 v56, v88, v172
	v_mul_i32_i24_e32 v63, v150, v173
	s_delay_alu instid0(VALU_DEP_4) | instskip(NEXT) | instid1(VALU_DEP_2)
	v_add3_u32 v52, v52, v146, v152
	v_add3_u32 v56, v68, v56, v63
	v_bfe_i32 v63, v148, 0, 8
	v_ashrrev_i32_e32 v68, 24, v148
	s_delay_alu instid0(VALU_DEP_2) | instskip(NEXT) | instid1(VALU_DEP_2)
	v_mul_i32_i24_e32 v46, v63, v180
	v_mul_i32_i24_e32 v47, v68, v181
	;; [unrolled: 1-line block ×4, first 2 shown]
	s_delay_alu instid0(VALU_DEP_3) | instskip(SKIP_2) | instid1(VALU_DEP_4)
	v_add3_u32 v46, v48, v47, v46
	v_mul_i32_i24_e32 v47, v63, v182
	v_mul_i32_i24_e32 v48, v68, v183
	v_add3_u32 v45, v45, v146, v140
	v_mul_i32_i24_e32 v63, v63, v125
	v_mul_i32_i24_e32 v68, v68, v122
	s_delay_alu instid0(VALU_DEP_4)
	v_add3_u32 v47, v49, v48, v47
	v_add_nc_u32_e32 v48, 0x1c14, v98
	v_add_nc_u32_e32 v98, 32, v98
	ds_load_2addr_b32 v[152:153], v48 offset1:1
	s_wait_dscnt 0x0
	v_bfe_i32 v48, v152, 0, 8
	v_ashrrev_i32_e32 v140, 24, v152
	s_delay_alu instid0(VALU_DEP_2) | instskip(NEXT) | instid1(VALU_DEP_2)
	v_mul_i32_i24_e32 v49, v48, v177
	v_mul_i32_i24_e32 v146, v140, v176
	;; [unrolled: 1-line block ×3, first 2 shown]
	s_delay_alu instid0(VALU_DEP_2) | instskip(SKIP_2) | instid1(VALU_DEP_1)
	v_add3_u32 v49, v52, v146, v49
	v_mul_i32_i24_e32 v52, v136, v61
	v_mul_i32_i24_e32 v61, v135, v65
	v_add3_u32 v42, v42, v52, v61
	v_mul_i32_i24_e32 v52, v48, v180
	v_mul_i32_i24_e32 v61, v140, v181
	s_delay_alu instid0(VALU_DEP_1) | instskip(SKIP_3) | instid1(VALU_DEP_2)
	v_add3_u32 v51, v51, v61, v52
	v_mul_i32_i24_e32 v52, v48, v182
	v_mul_i32_i24_e32 v61, v140, v183
	;; [unrolled: 1-line block ×3, first 2 shown]
	v_add3_u32 v52, v56, v61, v52
	v_bfe_i32 v56, v148, 8, 8
	v_bfe_i32 v61, v148, 16, 8
	s_delay_alu instid0(VALU_DEP_2) | instskip(NEXT) | instid1(VALU_DEP_2)
	v_mul_i32_i24_e32 v65, v56, v186
	v_mul_i32_i24_e32 v135, v61, v184
	s_delay_alu instid0(VALU_DEP_1) | instskip(SKIP_2) | instid1(VALU_DEP_2)
	v_add3_u32 v45, v45, v65, v135
	v_mul_i32_i24_e32 v65, v73, v131
	v_bfe_i32 v73, v152, 16, 8
	v_add3_u32 v23, v23, v65, v71
	v_mul_i32_i24_e32 v65, v56, v188
	v_mul_i32_i24_e32 v71, v61, v187
	s_delay_alu instid0(VALU_DEP_4) | instskip(NEXT) | instid1(VALU_DEP_2)
	v_mul_i32_i24_e32 v135, v73, v184
	v_add3_u32 v46, v46, v65, v71
	v_mul_i32_i24_e32 v65, v56, v191
	v_mul_i32_i24_e32 v71, v61, v190
	;; [unrolled: 1-line block ×4, first 2 shown]
	s_delay_alu instid0(VALU_DEP_3) | instskip(SKIP_1) | instid1(VALU_DEP_1)
	v_add3_u32 v47, v47, v65, v71
	v_bfe_i32 v65, v152, 8, 8
	v_mul_i32_i24_e32 v71, v65, v186
	s_delay_alu instid0(VALU_DEP_1) | instskip(SKIP_1) | instid1(VALU_DEP_1)
	v_add3_u32 v49, v49, v71, v135
	v_mul_i32_i24_e32 v71, v86, v131
	v_add3_u32 v42, v42, v71, v75
	v_mul_i32_i24_e32 v71, v65, v188
	v_mul_i32_i24_e32 v75, v73, v187
	s_delay_alu instid0(VALU_DEP_1) | instskip(SKIP_3) | instid1(VALU_DEP_2)
	v_add3_u32 v51, v51, v71, v75
	v_mul_i32_i24_e32 v71, v65, v191
	v_mul_i32_i24_e32 v75, v73, v190
	;; [unrolled: 1-line block ×3, first 2 shown]
	v_add3_u32 v52, v52, v71, v75
	v_bfe_i32 v71, v147, 8, 8
	v_ashrrev_i32_e32 v75, 24, v147
	s_delay_alu instid0(VALU_DEP_2) | instskip(NEXT) | instid1(VALU_DEP_2)
	v_mul_i32_i24_e32 v86, v71, v192
	v_mul_i32_i24_e32 v131, v75, v189
	s_delay_alu instid0(VALU_DEP_1) | instskip(SKIP_2) | instid1(VALU_DEP_2)
	v_add3_u32 v45, v45, v131, v86
	v_mul_i32_i24_e32 v86, v87, v126
	v_ashrrev_i32_e32 v87, 24, v151
	v_add3_u32 v23, v23, v85, v86
	v_mul_i32_i24_e32 v85, v71, v204
	v_mul_i32_i24_e32 v86, v75, v205
	s_delay_alu instid0(VALU_DEP_4) | instskip(NEXT) | instid1(VALU_DEP_4)
	v_mul_i32_i24_e32 v131, v87, v189
	v_add3_u32 v23, v23, v68, v63
	s_delay_alu instid0(VALU_DEP_3) | instskip(SKIP_2) | instid1(VALU_DEP_4)
	v_add3_u32 v46, v46, v86, v85
	v_mul_i32_i24_e32 v85, v71, v209
	v_mul_i32_i24_e32 v86, v75, v210
	v_add3_u32 v23, v23, v56, v61
	v_mul_i32_i24_e32 v71, v71, v143
	s_delay_alu instid0(VALU_DEP_3) | instskip(SKIP_1) | instid1(VALU_DEP_1)
	v_add3_u32 v47, v47, v86, v85
	v_bfe_i32 v85, v151, 8, 8
	v_mul_i32_i24_e32 v86, v85, v192
	s_delay_alu instid0(VALU_DEP_1) | instskip(SKIP_3) | instid1(VALU_DEP_2)
	v_add3_u32 v49, v49, v131, v86
	v_mul_i32_i24_e32 v86, v88, v130
	v_mul_i32_i24_e32 v88, v150, v126
	v_ashrrev_i32_e32 v131, 24, v153
	v_add3_u32 v42, v42, v86, v88
	v_mul_i32_i24_e32 v86, v85, v204
	v_mul_i32_i24_e32 v88, v87, v205
	s_delay_alu instid0(VALU_DEP_3) | instskip(NEXT) | instid1(VALU_DEP_2)
	v_add3_u32 v42, v42, v122, v48
	v_add3_u32 v51, v51, v88, v86
	v_mul_i32_i24_e32 v86, v85, v209
	v_mul_i32_i24_e32 v88, v87, v210
	;; [unrolled: 1-line block ×3, first 2 shown]
	s_delay_alu instid0(VALU_DEP_2) | instskip(SKIP_2) | instid1(VALU_DEP_2)
	v_add3_u32 v52, v52, v88, v86
	v_bfe_i32 v86, v147, 0, 8
	v_bfe_i32 v88, v147, 16, 8
	v_mul_i32_i24_e32 v63, v86, v207
	s_delay_alu instid0(VALU_DEP_2) | instskip(SKIP_2) | instid1(VALU_DEP_3)
	v_mul_i32_i24_e32 v68, v88, v208
	v_mul_i32_i24_e32 v126, v86, v194
	;; [unrolled: 1-line block ×3, first 2 shown]
	v_add3_u32 v46, v46, v63, v68
	v_mul_i32_i24_e32 v63, v86, v219
	v_mul_i32_i24_e32 v68, v88, v220
	s_delay_alu instid0(VALU_DEP_4) | instskip(NEXT) | instid1(VALU_DEP_2)
	v_add3_u32 v45, v45, v126, v130
	v_add3_u32 v47, v47, v63, v68
	v_bfe_i32 v63, v151, 0, 8
	v_bfe_i32 v68, v151, 16, 8
	s_delay_alu instid0(VALU_DEP_2) | instskip(NEXT) | instid1(VALU_DEP_2)
	v_mul_i32_i24_e32 v48, v63, v207
	v_mul_i32_i24_e32 v122, v68, v208
	;; [unrolled: 1-line block ×4, first 2 shown]
	s_delay_alu instid0(VALU_DEP_3) | instskip(SKIP_2) | instid1(VALU_DEP_4)
	v_add3_u32 v48, v51, v48, v122
	v_mul_i32_i24_e32 v51, v63, v219
	v_mul_i32_i24_e32 v122, v68, v220
	v_add3_u32 v49, v49, v126, v130
	v_ashrrev_i32_e32 v130, 24, v149
	v_mul_i32_i24_e32 v63, v63, v137
	v_mul_i32_i24_e32 v68, v68, v138
	v_add3_u32 v51, v52, v51, v122
	v_bfe_i32 v52, v149, 0, 8
	v_mul_i32_i24_e32 v61, v130, v214
	v_mul_i32_i24_e32 v125, v130, v193
	s_delay_alu instid0(VALU_DEP_3) | instskip(SKIP_1) | instid1(VALU_DEP_2)
	v_mul_i32_i24_e32 v56, v52, v213
	v_mul_i32_i24_e32 v122, v52, v196
	v_add3_u32 v46, v46, v61, v56
	v_mul_i32_i24_e32 v56, v52, v223
	v_mul_i32_i24_e32 v61, v130, v224
	s_delay_alu instid0(VALU_DEP_4)
	v_add3_u32 v45, v45, v125, v122
	v_mul_i32_i24_e32 v122, v131, v193
	ds_load_2addr_b32 v[125:126], v50 offset1:3
	v_mul_i32_i24_e32 v52, v52, v134
	v_add3_u32 v47, v47, v61, v56
	v_bfe_i32 v56, v153, 0, 8
	s_delay_alu instid0(VALU_DEP_1) | instskip(NEXT) | instid1(VALU_DEP_1)
	v_mul_i32_i24_e32 v61, v56, v196
	v_add3_u32 v49, v49, v122, v61
	v_mul_i32_i24_e32 v61, v73, v121
	s_delay_alu instid0(VALU_DEP_1) | instskip(SKIP_4) | instid1(VALU_DEP_2)
	v_add3_u32 v42, v42, v65, v61
	v_mul_i32_i24_e32 v61, v56, v213
	v_mul_i32_i24_e32 v65, v131, v214
	s_wait_dscnt 0x0
	v_bfe_i32 v50, v126, 8, 8
	v_add3_u32 v48, v48, v65, v61
	v_mul_i32_i24_e32 v61, v56, v223
	v_mul_i32_i24_e32 v65, v131, v224
	;; [unrolled: 1-line block ×3, first 2 shown]
	s_delay_alu instid0(VALU_DEP_2) | instskip(SKIP_2) | instid1(VALU_DEP_2)
	v_add3_u32 v51, v51, v65, v61
	v_bfe_i32 v61, v149, 8, 8
	v_bfe_i32 v65, v149, 16, 8
	v_mul_i32_i24_e32 v73, v61, v201
	s_delay_alu instid0(VALU_DEP_2) | instskip(NEXT) | instid1(VALU_DEP_1)
	v_mul_i32_i24_e32 v121, v65, v200
	v_add3_u32 v45, v45, v73, v121
	v_mul_i32_i24_e32 v73, v75, v139
	s_delay_alu instid0(VALU_DEP_1) | instskip(SKIP_2) | instid1(VALU_DEP_1)
	v_add3_u32 v23, v23, v73, v71
	v_mul_i32_i24_e32 v71, v61, v216
	v_mul_i32_i24_e32 v73, v65, v215
	v_add3_u32 v46, v46, v71, v73
	v_mul_i32_i24_e32 v71, v61, v228
	v_mul_i32_i24_e32 v73, v65, v227
	v_mul_i32_i24_e32 v65, v65, v128
	v_mul_i32_i24_e32 v61, v61, v142
	s_delay_alu instid0(VALU_DEP_3) | instskip(SKIP_2) | instid1(VALU_DEP_2)
	v_add3_u32 v47, v47, v71, v73
	v_bfe_i32 v71, v153, 8, 8
	v_bfe_i32 v73, v153, 16, 8
	v_mul_i32_i24_e32 v75, v71, v201
	s_delay_alu instid0(VALU_DEP_2) | instskip(NEXT) | instid1(VALU_DEP_1)
	v_mul_i32_i24_e32 v121, v73, v200
	v_add3_u32 v49, v49, v75, v121
	ds_load_2addr_b32 v[121:122], v3 offset1:3
	v_mul_i32_i24_e32 v75, v87, v139
	s_delay_alu instid0(VALU_DEP_1) | instskip(SKIP_2) | instid1(VALU_DEP_3)
	v_add3_u32 v42, v42, v75, v85
	v_mul_i32_i24_e32 v75, v71, v216
	v_mul_i32_i24_e32 v85, v73, v215
	v_add3_u32 v42, v42, v63, v68
	v_mul_i32_i24_e32 v63, v50, v217
	s_delay_alu instid0(VALU_DEP_3) | instskip(SKIP_3) | instid1(VALU_DEP_2)
	v_add3_u32 v48, v48, v75, v85
	v_mul_i32_i24_e32 v75, v71, v228
	v_mul_i32_i24_e32 v85, v73, v227
	;; [unrolled: 1-line block ×3, first 2 shown]
	v_add3_u32 v51, v51, v75, v85
	s_wait_dscnt 0x0
	v_bfe_i32 v3, v122, 8, 8
	v_ashrrev_i32_e32 v75, 24, v122
	s_delay_alu instid0(VALU_DEP_2) | instskip(NEXT) | instid1(VALU_DEP_2)
	v_mul_i32_i24_e32 v85, v3, v198
	v_mul_i32_i24_e32 v87, v75, v197
	s_delay_alu instid0(VALU_DEP_1) | instskip(SKIP_2) | instid1(VALU_DEP_1)
	v_add3_u32 v45, v45, v87, v85
	v_mul_i32_i24_e32 v85, v86, v137
	v_mul_i32_i24_e32 v86, v88, v138
	v_add3_u32 v23, v23, v85, v86
	v_mul_i32_i24_e32 v85, v3, v217
	v_mul_i32_i24_e32 v86, v75, v218
	s_delay_alu instid0(VALU_DEP_1) | instskip(SKIP_3) | instid1(VALU_DEP_2)
	v_add3_u32 v46, v46, v86, v85
	v_mul_i32_i24_e32 v85, v3, v229
	v_mul_i32_i24_e32 v86, v75, v230
	;; [unrolled: 1-line block ×3, first 2 shown]
	v_add3_u32 v47, v47, v86, v85
	v_ashrrev_i32_e32 v86, 24, v126
	v_mul_i32_i24_e32 v85, v50, v198
	s_delay_alu instid0(VALU_DEP_2) | instskip(SKIP_1) | instid1(VALU_DEP_2)
	v_mul_i32_i24_e32 v68, v86, v218
	v_mul_i32_i24_e32 v87, v86, v197
	v_add3_u32 v48, v48, v68, v63
	v_mul_i32_i24_e32 v63, v50, v229
	v_mul_i32_i24_e32 v68, v86, v230
	s_delay_alu instid0(VALU_DEP_4) | instskip(SKIP_1) | instid1(VALU_DEP_3)
	v_add3_u32 v49, v49, v87, v85
	v_mul_i32_i24_e32 v50, v50, v141
	v_add3_u32 v51, v51, v68, v63
	v_bfe_i32 v63, v122, 0, 8
	v_bfe_i32 v68, v122, 16, 8
	s_delay_alu instid0(VALU_DEP_2) | instskip(NEXT) | instid1(VALU_DEP_2)
	v_mul_i32_i24_e32 v85, v63, v202
	v_mul_i32_i24_e32 v87, v68, v199
	s_delay_alu instid0(VALU_DEP_1) | instskip(SKIP_2) | instid1(VALU_DEP_2)
	v_add3_u32 v45, v45, v85, v87
	v_mul_i32_i24_e32 v85, v130, v132
	v_bfe_i32 v87, v126, 16, 8
	v_add3_u32 v23, v23, v85, v52
	v_mul_i32_i24_e32 v52, v63, v221
	v_mul_i32_i24_e32 v85, v68, v222
	s_delay_alu instid0(VALU_DEP_4) | instskip(NEXT) | instid1(VALU_DEP_4)
	v_mul_i32_i24_e32 v88, v87, v199
	v_add3_u32 v23, v23, v61, v65
	s_delay_alu instid0(VALU_DEP_3) | instskip(SKIP_2) | instid1(VALU_DEP_1)
	v_add3_u32 v46, v46, v52, v85
	v_mul_i32_i24_e32 v52, v63, v233
	v_mul_i32_i24_e32 v85, v68, v234
	v_add3_u32 v47, v47, v52, v85
	v_bfe_i32 v52, v126, 0, 8
	s_delay_alu instid0(VALU_DEP_1) | instskip(NEXT) | instid1(VALU_DEP_1)
	v_mul_i32_i24_e32 v85, v52, v202
	v_add3_u32 v49, v49, v85, v88
	v_mul_i32_i24_e32 v85, v131, v132
	s_delay_alu instid0(VALU_DEP_1) | instskip(SKIP_2) | instid1(VALU_DEP_1)
	v_add3_u32 v42, v42, v85, v56
	v_mul_i32_i24_e32 v56, v52, v221
	v_mul_i32_i24_e32 v85, v87, v222
	v_add3_u32 v48, v48, v56, v85
	v_mul_i32_i24_e32 v56, v52, v233
	v_mul_i32_i24_e32 v85, v87, v234
	;; [unrolled: 1-line block ×3, first 2 shown]
	s_delay_alu instid0(VALU_DEP_2) | instskip(SKIP_2) | instid1(VALU_DEP_2)
	v_add3_u32 v51, v51, v56, v85
	v_bfe_i32 v56, v66, 0, 8
	v_ashrrev_i32_e32 v85, 24, v66
	v_mul_i32_i24_e32 v61, v56, v225
	s_delay_alu instid0(VALU_DEP_2) | instskip(SKIP_2) | instid1(VALU_DEP_3)
	v_mul_i32_i24_e32 v65, v85, v226
	v_mul_i32_i24_e32 v88, v56, v212
	;; [unrolled: 1-line block ×3, first 2 shown]
	v_add3_u32 v46, v46, v65, v61
	v_mul_i32_i24_e32 v61, v56, v235
	v_mul_i32_i24_e32 v65, v85, v236
	s_delay_alu instid0(VALU_DEP_4) | instskip(SKIP_1) | instid1(VALU_DEP_3)
	v_add3_u32 v45, v45, v122, v88
	v_ashrrev_i32_e32 v88, 24, v74
	v_add3_u32 v47, v47, v65, v61
	v_bfe_i32 v61, v74, 0, 8
	s_delay_alu instid0(VALU_DEP_3) | instskip(NEXT) | instid1(VALU_DEP_2)
	v_mul_i32_i24_e32 v122, v88, v211
	v_mul_i32_i24_e32 v65, v61, v212
	s_delay_alu instid0(VALU_DEP_1) | instskip(SKIP_1) | instid1(VALU_DEP_1)
	v_add3_u32 v49, v49, v122, v65
	v_mul_i32_i24_e32 v65, v73, v128
	v_add3_u32 v42, v42, v71, v65
	v_mul_i32_i24_e32 v65, v61, v225
	v_mul_i32_i24_e32 v71, v88, v226
	s_delay_alu instid0(VALU_DEP_1) | instskip(SKIP_3) | instid1(VALU_DEP_2)
	v_add3_u32 v48, v48, v71, v65
	v_mul_i32_i24_e32 v65, v61, v235
	v_mul_i32_i24_e32 v71, v88, v236
	;; [unrolled: 1-line block ×3, first 2 shown]
	v_add3_u32 v51, v51, v71, v65
	v_bfe_i32 v65, v66, 8, 8
	v_bfe_i32 v66, v66, 16, 8
	s_delay_alu instid0(VALU_DEP_2) | instskip(NEXT) | instid1(VALU_DEP_2)
	v_mul_i32_i24_e32 v71, v65, v203
	v_mul_i32_i24_e32 v73, v66, v206
	s_delay_alu instid0(VALU_DEP_1) | instskip(SKIP_1) | instid1(VALU_DEP_1)
	v_add3_u32 v45, v45, v71, v73
	v_mul_i32_i24_e32 v71, v75, v133
	v_add3_u32 v3, v23, v71, v3
	v_mul_i32_i24_e32 v23, v65, v232
	v_mul_i32_i24_e32 v71, v66, v231
	s_delay_alu instid0(VALU_DEP_1) | instskip(SKIP_3) | instid1(VALU_DEP_2)
	v_add3_u32 v23, v46, v23, v71
	v_mul_i32_i24_e32 v46, v65, v238
	v_mul_i32_i24_e32 v71, v66, v237
	;; [unrolled: 1-line block ×3, first 2 shown]
	v_add3_u32 v46, v47, v46, v71
	v_bfe_i32 v47, v74, 8, 8
	v_bfe_i32 v71, v74, 16, 8
	s_delay_alu instid0(VALU_DEP_2) | instskip(NEXT) | instid1(VALU_DEP_2)
	v_mul_i32_i24_e32 v73, v47, v203
	v_mul_i32_i24_e32 v74, v71, v206
	;; [unrolled: 1-line block ×3, first 2 shown]
	s_delay_alu instid0(VALU_DEP_2) | instskip(SKIP_1) | instid1(VALU_DEP_1)
	v_add3_u32 v49, v49, v73, v74
	v_mul_i32_i24_e32 v73, v86, v133
	v_add3_u32 v42, v42, v73, v50
	v_mul_i32_i24_e32 v50, v47, v232
	v_mul_i32_i24_e32 v73, v71, v231
	s_delay_alu instid0(VALU_DEP_1) | instskip(SKIP_2) | instid1(VALU_DEP_1)
	v_add3_u32 v48, v48, v50, v73
	v_mul_i32_i24_e32 v50, v47, v238
	v_mul_i32_i24_e32 v73, v71, v237
	v_add3_u32 v50, v51, v50, v73
	v_mul_i32_i24_e32 v51, v63, v129
	v_mul_i32_i24_e32 v63, v68, v127
	s_delay_alu instid0(VALU_DEP_1) | instskip(SKIP_2) | instid1(VALU_DEP_2)
	v_add3_u32 v3, v3, v51, v63
	v_bfe_i32 v51, v121, 0, 8
	v_bfe_i32 v63, v121, 8, 8
	v_mul_i32_i24_e32 v68, v51, v114
	s_delay_alu instid0(VALU_DEP_2) | instskip(SKIP_1) | instid1(VALU_DEP_2)
	v_mul_i32_i24_e32 v73, v63, v115
	v_mul_i32_i24_e32 v47, v120, v63
	v_add3_u32 v23, v23, v68, v73
	v_mul_i32_i24_e32 v68, v51, v118
	v_mul_i32_i24_e32 v73, v63, v119
	s_delay_alu instid0(VALU_DEP_1) | instskip(SKIP_2) | instid1(VALU_DEP_2)
	v_add3_u32 v46, v46, v68, v73
	v_bfe_i32 v68, v125, 0, 8
	v_bfe_i32 v73, v125, 8, 8
	v_mul_i32_i24_e32 v74, v68, v107
	s_delay_alu instid0(VALU_DEP_2) | instskip(NEXT) | instid1(VALU_DEP_1)
	v_mul_i32_i24_e32 v75, v73, v108
	v_add3_u32 v49, v49, v74, v75
	v_mul_i32_i24_e32 v74, v51, v107
	v_mul_i32_i24_e32 v75, v63, v108
	s_delay_alu instid0(VALU_DEP_1) | instskip(SKIP_1) | instid1(VALU_DEP_1)
	v_add3_u32 v45, v45, v74, v75
	v_mul_i32_i24_e32 v74, v87, v127
	v_add3_u32 v42, v42, v52, v74
	v_mul_i32_i24_e32 v52, v68, v114
	v_mul_i32_i24_e32 v74, v73, v115
	s_delay_alu instid0(VALU_DEP_1) | instskip(SKIP_2) | instid1(VALU_DEP_1)
	v_add3_u32 v48, v48, v52, v74
	v_mul_i32_i24_e32 v52, v68, v118
	v_mul_i32_i24_e32 v74, v73, v119
	v_add3_u32 v50, v50, v52, v74
	v_mul_i32_i24_e32 v52, v56, v124
	v_mul_i32_i24_e32 v56, v85, v123
	s_delay_alu instid0(VALU_DEP_1) | instskip(SKIP_2) | instid1(VALU_DEP_2)
	v_add3_u32 v3, v3, v56, v52
	v_bfe_i32 v52, v121, 16, 8
	v_ashrrev_i32_e32 v56, 24, v121
	v_mul_i32_i24_e32 v74, v106, v52
	s_delay_alu instid0(VALU_DEP_2) | instskip(NEXT) | instid1(VALU_DEP_1)
	v_mul_i32_i24_e32 v75, v105, v56
	v_add3_u32 v45, v45, v74, v75
	v_bfe_i32 v74, v125, 16, 8
	v_ashrrev_i32_e32 v75, 24, v125
	s_delay_alu instid0(VALU_DEP_3) | instskip(NEXT) | instid1(VALU_DEP_3)
	v_cvt_f32_i32_e32 v45, v45
	v_mul_i32_i24_e32 v85, v106, v74
	s_delay_alu instid0(VALU_DEP_3) | instskip(NEXT) | instid1(VALU_DEP_1)
	v_mul_i32_i24_e32 v86, v105, v75
	v_add3_u32 v49, v49, v85, v86
	v_mul_i32_i24_e32 v85, v52, v112
	v_mul_i32_i24_e32 v86, v56, v113
	s_delay_alu instid0(VALU_DEP_1) | instskip(SKIP_2) | instid1(VALU_DEP_3)
	v_add3_u32 v23, v23, v85, v86
	v_mul_i32_i24_e32 v85, v52, v116
	v_mul_i32_i24_e32 v86, v56, v117
	v_cvt_f32_i32_e32 v23, v23
	s_delay_alu instid0(VALU_DEP_2) | instskip(SKIP_1) | instid1(VALU_DEP_2)
	v_add3_u32 v46, v46, v85, v86
	v_mul_i32_i24_e32 v85, v88, v123
	v_cvt_f32_i32_e32 v46, v46
	s_delay_alu instid0(VALU_DEP_2) | instskip(SKIP_2) | instid1(VALU_DEP_1)
	v_add3_u32 v42, v42, v85, v61
	v_mul_i32_i24_e32 v61, v74, v112
	v_mul_i32_i24_e32 v85, v75, v113
	v_add3_u32 v48, v48, v61, v85
	v_mul_i32_i24_e32 v61, v74, v116
	v_mul_i32_i24_e32 v85, v75, v117
	s_delay_alu instid0(VALU_DEP_3) | instskip(NEXT) | instid1(VALU_DEP_2)
	v_cvt_f32_i32_e32 v48, v48
	v_add3_u32 v50, v50, v61, v85
	v_mul_i32_i24_e32 v61, v66, v104
	s_delay_alu instid0(VALU_DEP_1)
	v_add3_u32 v3, v3, v65, v61
	v_mul_i32_i24_e32 v61, v71, v104
	ds_load_2addr_b32 v[65:66], v2 offset0:192 offset1:224
	v_add_nc_u32_e32 v2, 4, v2
	v_add3_u32 v15, v42, v15, v61
	v_mul_i32_i24_e32 v42, v111, v51
	s_delay_alu instid0(VALU_DEP_1) | instskip(SKIP_2) | instid1(VALU_DEP_1)
	v_add3_u32 v3, v3, v42, v47
	v_mul_i32_i24_e32 v42, v111, v68
	v_mul_i32_i24_e32 v47, v120, v73
	v_add3_u32 v15, v15, v42, v47
	v_mul_i32_i24_e32 v42, v52, v110
	v_mul_i32_i24_e32 v47, v56, v109
	s_delay_alu instid0(VALU_DEP_1) | instskip(SKIP_2) | instid1(VALU_DEP_3)
	v_add3_u32 v3, v3, v42, v47
	v_mul_i32_i24_e32 v42, v74, v110
	v_mul_i32_i24_e32 v47, v75, v109
	v_cvt_f32_i32_e32 v3, v3
	s_delay_alu instid0(VALU_DEP_2)
	v_add3_u32 v15, v15, v42, v47
	s_wait_dscnt 0x0
	v_lshrrev_b32_e32 v42, 16, v65
	v_cvt_f32_i32_e32 v47, v49
	v_cvt_f32_i32_e32 v49, v50
	;; [unrolled: 1-line block ×3, first 2 shown]
	s_delay_alu instid0(VALU_DEP_4) | instskip(NEXT) | instid1(VALU_DEP_1)
	v_cvt_f32_f16_e32 v42, v42
	v_mul_f32_e32 v42, 0x41000000, v42
	s_delay_alu instid0(VALU_DEP_1) | instskip(SKIP_4) | instid1(VALU_DEP_2)
	v_fma_mix_f32 v45, v65, v45, -v42 op_sel_hi:[1,0,0]
	v_fma_mix_f32 v23, v65, v23, -v42 op_sel_hi:[1,0,0]
	;; [unrolled: 1-line block ×4, first 2 shown]
	v_lshrrev_b32_e32 v42, 16, v66
	v_fmac_f32_e32 v53, v14, v3
	s_delay_alu instid0(VALU_DEP_2) | instskip(NEXT) | instid1(VALU_DEP_1)
	v_cvt_f32_f16_e32 v42, v42
	v_mul_f32_e32 v42, 0x41000000, v42
	s_delay_alu instid0(VALU_DEP_1)
	v_fma_mix_f32 v47, v66, v47, -v42 op_sel_hi:[1,0,0]
	v_fma_mix_f32 v48, v66, v48, -v42 op_sel_hi:[1,0,0]
	;; [unrolled: 1-line block ×4, first 2 shown]
	ds_load_b32 v42, v99
	v_add_nc_u32_e32 v99, 4, v99
	v_fmac_f32_e32 v0, v14, v15
	s_wait_dscnt 0x0
	v_fma_f32 v9, v42, v16, v9
	ds_load_b32 v16, v101
	v_fmac_f32_e32 v12, v42, v178
	v_fma_f32 v13, v42, v185, v13
	v_fma_f32 v11, v42, v246, v11
	v_fmac_f32_e32 v10, v42, v244
	v_fmac_f32_e32 v8, v42, v252
	v_fma_f32 v7, v42, v47, v7
	v_fmac_f32_e32 v6, v42, v45
	s_wait_dscnt 0x0
	v_dual_fmac_f32 v96, v16, v174 :: v_dual_add_nc_u32 v101, 4, v101
	v_fmac_f32_e32 v92, v16, v179
	v_fmac_f32_e32 v81, v16, v242
	;; [unrolled: 1-line block ×7, first 2 shown]
	ds_load_b32 v16, v102
	s_wait_dscnt 0x0
	v_dual_fmac_f32 v97, v16, v167 :: v_dual_add_nc_u32 v102, 4, v102
	v_fmac_f32_e32 v94, v16, v175
	v_fmac_f32_e32 v90, v16, v240
	;; [unrolled: 1-line block ×7, first 2 shown]
	s_cbranch_scc1 .LBB137_11
; %bb.12:                               ;   in Loop: Header=BB137_6 Depth=1
	s_wait_loadcnt 0x0
	s_barrier_signal -1
	s_barrier_wait -1
	global_inv scope:SCOPE_SE
	s_branch .LBB137_5
.LBB137_13:
	v_dual_mov_b32 v0, 0 :: v_dual_mov_b32 v31, 0
	v_dual_mov_b32 v2, 0 :: v_dual_mov_b32 v5, 0
	;; [unrolled: 1-line block ×14, first 2 shown]
	s_mov_b32 s0, exec_lo
	v_cmpx_gt_u32_e64 s4, v10
	s_cbranch_execnz .LBB137_16
.LBB137_14:
	s_nop 0
	s_sendmsg sendmsg(MSG_DEALLOC_VGPRS)
	s_endpgm
.LBB137_15:
	v_cvt_f16_f32_e32 v2, v13
	v_cvt_f16_f32_e32 v3, v12
	scratch_load_b32 v4, off, off offset:104 th:TH_LOAD_LU ; 4-byte Folded Reload
	v_cvt_f16_f32_e32 v34, v1
	v_cvt_f16_f32_e32 v1, v11
	;; [unrolled: 1-line block ×3, first 2 shown]
	v_pack_b32_f16 v31, v3, v2
	v_cvt_f16_f32_e32 v2, v10
	scratch_load_b32 v10, off, off offset:108 ; 4-byte Folded Reload
	v_cvt_f16_f32_e32 v33, v97
	v_cvt_f16_f32_e32 v32, v83
	;; [unrolled: 1-line block ×3, first 2 shown]
	v_pack_b32_f16 v24, v2, v1
	v_cvt_f16_f32_e32 v1, v9
	v_cvt_f16_f32_e32 v2, v8
	;; [unrolled: 1-line block ×6, first 2 shown]
	v_pack_b32_f16 v14, v2, v1
	v_cvt_f16_f32_e32 v1, v7
	v_cvt_f16_f32_e32 v2, v6
	;; [unrolled: 1-line block ×14, first 2 shown]
	v_pack_b32_f16 v2, v2, v1
	v_cvt_f16_f32_e32 v3, v0
	v_cvt_f16_f32_e32 v1, v54
	;; [unrolled: 1-line block ×3, first 2 shown]
	v_mov_b32_e32 v9, v17
	s_mov_b32 s0, exec_lo
	s_wait_loadcnt 0x0
	v_cmpx_gt_u32_e64 s4, v10
	s_cbranch_execz .LBB137_14
.LBB137_16:
	v_add_nc_u32_e32 v9, s14, v9
	v_mul_lo_u32 v16, v10, s6
	s_delay_alu instid0(VALU_DEP_2)
	v_cmp_gt_u32_e32 vcc_lo, s6, v9
	s_and_saveexec_b32 s1, vcc_lo
	s_cbranch_execz .LBB137_18
; %bb.17:
	s_delay_alu instid0(VALU_DEP_2) | instskip(NEXT) | instid1(VALU_DEP_1)
	v_dual_mov_b32 v11, 0 :: v_dual_add_nc_u32 v10, v9, v16
	v_lshlrev_b64_e32 v[10:11], 1, v[10:11]
	s_wait_kmcnt 0x0
	s_delay_alu instid0(VALU_DEP_1) | instskip(NEXT) | instid1(VALU_DEP_1)
	v_add_co_u32 v10, s0, s8, v10
	v_add_co_ci_u32_e64 v11, null, s9, v11, s0
	global_store_b16 v[10:11], v31, off
.LBB137_18:
	s_or_b32 exec_lo, exec_lo, s1
	v_add_nc_u32_e32 v10, 32, v9
	s_delay_alu instid0(VALU_DEP_1)
	v_cmp_gt_u32_e64 s0, s6, v10
	s_and_saveexec_b32 s2, s0
	s_cbranch_execz .LBB137_20
; %bb.19:
	v_dual_mov_b32 v18, 0 :: v_dual_add_nc_u32 v17, v10, v16
	s_delay_alu instid0(VALU_DEP_1) | instskip(SKIP_1) | instid1(VALU_DEP_1)
	v_lshlrev_b64_e32 v[17:18], 1, v[17:18]
	s_wait_kmcnt 0x0
	v_add_co_u32 v17, s1, s8, v17
	s_wait_alu 0xf1ff
	s_delay_alu instid0(VALU_DEP_2)
	v_add_co_ci_u32_e64 v18, null, s9, v18, s1
	global_store_b16 v[17:18], v34, off
.LBB137_20:
	s_wait_alu 0xfffe
	s_or_b32 exec_lo, exec_lo, s2
	v_add_nc_u32_e32 v11, 64, v9
	s_delay_alu instid0(VALU_DEP_1)
	v_cmp_gt_u32_e64 s1, s6, v11
	s_and_saveexec_b32 s3, s1
	s_cbranch_execz .LBB137_22
; %bb.21:
	v_dual_mov_b32 v18, 0 :: v_dual_add_nc_u32 v17, v11, v16
	s_delay_alu instid0(VALU_DEP_1) | instskip(SKIP_1) | instid1(VALU_DEP_1)
	v_lshlrev_b64_e32 v[17:18], 1, v[17:18]
	s_wait_kmcnt 0x0
	v_add_co_u32 v17, s2, s8, v17
	s_wait_alu 0xf1ff
	s_delay_alu instid0(VALU_DEP_2)
	v_add_co_ci_u32_e64 v18, null, s9, v18, s2
	global_store_b16 v[17:18], v12, off
.LBB137_22:
	s_wait_alu 0xfffe
	;; [unrolled: 18-line block ×3, first 2 shown]
	s_or_b32 exec_lo, exec_lo, s5
	v_add3_u32 v16, v4, s7, 8
	s_delay_alu instid0(VALU_DEP_1)
	v_cmp_gt_u32_e64 s3, s4, v16
	s_and_b32 exec_lo, exec_lo, s3
	s_cbranch_execz .LBB137_14
; %bb.25:
	v_mul_lo_u32 v16, v16, s6
	s_and_saveexec_b32 s5, vcc_lo
	s_cbranch_execnz .LBB137_65
; %bb.26:
	s_wait_alu 0xfffe
	s_or_b32 exec_lo, exec_lo, s5
	s_and_saveexec_b32 s5, s0
	s_cbranch_execnz .LBB137_66
.LBB137_27:
	s_wait_alu 0xfffe
	s_or_b32 exec_lo, exec_lo, s5
	s_and_saveexec_b32 s5, s1
	s_cbranch_execnz .LBB137_67
.LBB137_28:
	s_wait_alu 0xfffe
	s_or_b32 exec_lo, exec_lo, s5
	s_and_saveexec_b32 s5, s2
	s_cbranch_execz .LBB137_30
.LBB137_29:
	v_dual_mov_b32 v17, 0 :: v_dual_add_nc_u32 v16, v16, v12
	s_delay_alu instid0(VALU_DEP_1) | instskip(SKIP_1) | instid1(VALU_DEP_1)
	v_lshlrev_b64_e32 v[16:17], 1, v[16:17]
	s_wait_kmcnt 0x0
	v_add_co_u32 v16, s3, s8, v16
	s_wait_alu 0xf1ff
	s_delay_alu instid0(VALU_DEP_2)
	v_add_co_ci_u32_e64 v17, null, s9, v17, s3
	global_store_b16 v[16:17], v29, off
.LBB137_30:
	s_wait_alu 0xfffe
	s_or_b32 exec_lo, exec_lo, s5
	v_add3_u32 v16, v4, s7, 16
	s_delay_alu instid0(VALU_DEP_1)
	v_cmp_gt_u32_e64 s3, s4, v16
	s_and_b32 exec_lo, exec_lo, s3
	s_cbranch_execz .LBB137_14
; %bb.31:
	v_mul_lo_u32 v16, v16, s6
	s_and_saveexec_b32 s5, vcc_lo
	s_cbranch_execnz .LBB137_68
; %bb.32:
	s_wait_alu 0xfffe
	s_or_b32 exec_lo, exec_lo, s5
	s_and_saveexec_b32 s5, s0
	s_cbranch_execnz .LBB137_69
.LBB137_33:
	s_wait_alu 0xfffe
	s_or_b32 exec_lo, exec_lo, s5
	s_and_saveexec_b32 s5, s1
	s_cbranch_execnz .LBB137_70
.LBB137_34:
	s_wait_alu 0xfffe
	s_or_b32 exec_lo, exec_lo, s5
	s_and_saveexec_b32 s5, s2
	s_cbranch_execz .LBB137_36
.LBB137_35:
	v_dual_mov_b32 v17, 0 :: v_dual_add_nc_u32 v16, v16, v12
	s_delay_alu instid0(VALU_DEP_1) | instskip(SKIP_1) | instid1(VALU_DEP_1)
	v_lshlrev_b64_e32 v[16:17], 1, v[16:17]
	s_wait_kmcnt 0x0
	v_add_co_u32 v16, s3, s8, v16
	s_wait_alu 0xf1ff
	s_delay_alu instid0(VALU_DEP_2)
	v_add_co_ci_u32_e64 v17, null, s9, v17, s3
	global_store_b16 v[16:17], v26, off
.LBB137_36:
	s_wait_alu 0xfffe
	s_or_b32 exec_lo, exec_lo, s5
	v_add3_u32 v16, v4, s7, 24
	s_delay_alu instid0(VALU_DEP_1)
	v_cmp_gt_u32_e64 s3, s4, v16
	s_and_b32 exec_lo, exec_lo, s3
	s_cbranch_execz .LBB137_14
; %bb.37:
	v_mul_lo_u32 v16, v16, s6
	s_and_saveexec_b32 s5, vcc_lo
	s_cbranch_execnz .LBB137_71
; %bb.38:
	s_wait_alu 0xfffe
	s_or_b32 exec_lo, exec_lo, s5
	s_and_saveexec_b32 s5, s0
	s_cbranch_execnz .LBB137_72
.LBB137_39:
	s_wait_alu 0xfffe
	s_or_b32 exec_lo, exec_lo, s5
	s_and_saveexec_b32 s5, s1
	s_cbranch_execnz .LBB137_73
.LBB137_40:
	s_wait_alu 0xfffe
	s_or_b32 exec_lo, exec_lo, s5
	s_and_saveexec_b32 s5, s2
	s_cbranch_execz .LBB137_42
.LBB137_41:
	v_dual_mov_b32 v17, 0 :: v_dual_add_nc_u32 v16, v16, v12
	s_delay_alu instid0(VALU_DEP_1) | instskip(SKIP_1) | instid1(VALU_DEP_1)
	v_lshlrev_b64_e32 v[16:17], 1, v[16:17]
	s_wait_kmcnt 0x0
	v_add_co_u32 v16, s3, s8, v16
	s_wait_alu 0xf1ff
	s_delay_alu instid0(VALU_DEP_2)
	v_add_co_ci_u32_e64 v17, null, s9, v17, s3
	global_store_b16 v[16:17], v22, off
.LBB137_42:
	s_wait_alu 0xfffe
	s_or_b32 exec_lo, exec_lo, s5
	v_add3_u32 v16, v4, s7, 32
	s_delay_alu instid0(VALU_DEP_1)
	v_cmp_gt_u32_e64 s3, s4, v16
	s_and_b32 exec_lo, exec_lo, s3
	s_cbranch_execz .LBB137_14
; %bb.43:
	v_mul_lo_u32 v16, v16, s6
	s_and_saveexec_b32 s5, vcc_lo
	s_cbranch_execnz .LBB137_74
; %bb.44:
	s_wait_alu 0xfffe
	s_or_b32 exec_lo, exec_lo, s5
	s_and_saveexec_b32 s5, s0
	s_cbranch_execnz .LBB137_75
.LBB137_45:
	s_wait_alu 0xfffe
	s_or_b32 exec_lo, exec_lo, s5
	s_and_saveexec_b32 s5, s1
	s_cbranch_execnz .LBB137_76
.LBB137_46:
	s_wait_alu 0xfffe
	s_or_b32 exec_lo, exec_lo, s5
	s_and_saveexec_b32 s5, s2
	s_cbranch_execz .LBB137_48
.LBB137_47:
	v_dual_mov_b32 v17, 0 :: v_dual_add_nc_u32 v16, v16, v12
	s_delay_alu instid0(VALU_DEP_1) | instskip(SKIP_1) | instid1(VALU_DEP_1)
	v_lshlrev_b64_e32 v[16:17], 1, v[16:17]
	s_wait_kmcnt 0x0
	v_add_co_u32 v16, s3, s8, v16
	s_wait_alu 0xf1ff
	s_delay_alu instid0(VALU_DEP_2)
	v_add_co_ci_u32_e64 v17, null, s9, v17, s3
	global_store_b16 v[16:17], v19, off
.LBB137_48:
	s_wait_alu 0xfffe
	s_or_b32 exec_lo, exec_lo, s5
	v_add3_u32 v16, v4, s7, 40
	s_delay_alu instid0(VALU_DEP_1)
	v_cmp_gt_u32_e64 s3, s4, v16
	s_and_b32 exec_lo, exec_lo, s3
	s_cbranch_execz .LBB137_14
; %bb.49:
	v_mul_lo_u32 v16, v16, s6
	s_and_saveexec_b32 s5, vcc_lo
	s_cbranch_execnz .LBB137_77
; %bb.50:
	s_wait_alu 0xfffe
	s_or_b32 exec_lo, exec_lo, s5
	s_and_saveexec_b32 s5, s0
	s_cbranch_execnz .LBB137_78
.LBB137_51:
	s_wait_alu 0xfffe
	s_or_b32 exec_lo, exec_lo, s5
	s_and_saveexec_b32 s5, s1
	s_cbranch_execnz .LBB137_79
.LBB137_52:
	s_wait_alu 0xfffe
	s_or_b32 exec_lo, exec_lo, s5
	s_and_saveexec_b32 s5, s2
	s_cbranch_execz .LBB137_54
.LBB137_53:
	v_dual_mov_b32 v14, 0 :: v_dual_add_nc_u32 v13, v16, v12
	s_delay_alu instid0(VALU_DEP_1) | instskip(SKIP_1) | instid1(VALU_DEP_1)
	v_lshlrev_b64_e32 v[13:14], 1, v[13:14]
	s_wait_kmcnt 0x0
	v_add_co_u32 v13, s3, s8, v13
	s_wait_alu 0xf1ff
	s_delay_alu instid0(VALU_DEP_2)
	v_add_co_ci_u32_e64 v14, null, s9, v14, s3
	global_store_b16 v[13:14], v8, off
.LBB137_54:
	s_wait_alu 0xfffe
	s_or_b32 exec_lo, exec_lo, s5
	v_add3_u32 v8, v4, s7, 48
	s_delay_alu instid0(VALU_DEP_1)
	v_cmp_gt_u32_e64 s3, s4, v8
	s_and_b32 exec_lo, exec_lo, s3
	s_cbranch_execz .LBB137_14
; %bb.55:
	v_mul_lo_u32 v8, v8, s6
	s_and_saveexec_b32 s5, vcc_lo
	s_cbranch_execnz .LBB137_80
; %bb.56:
	s_wait_alu 0xfffe
	s_or_b32 exec_lo, exec_lo, s5
	s_and_saveexec_b32 s5, s0
	s_cbranch_execnz .LBB137_81
.LBB137_57:
	s_wait_alu 0xfffe
	s_or_b32 exec_lo, exec_lo, s5
	s_and_saveexec_b32 s5, s1
	s_cbranch_execnz .LBB137_82
.LBB137_58:
	s_wait_alu 0xfffe
	s_or_b32 exec_lo, exec_lo, s5
	s_and_saveexec_b32 s5, s2
	s_cbranch_execz .LBB137_60
.LBB137_59:
	v_dual_mov_b32 v7, 0 :: v_dual_add_nc_u32 v6, v8, v12
	s_delay_alu instid0(VALU_DEP_1) | instskip(SKIP_1) | instid1(VALU_DEP_1)
	v_lshlrev_b64_e32 v[6:7], 1, v[6:7]
	s_wait_kmcnt 0x0
	v_add_co_u32 v6, s3, s8, v6
	s_wait_alu 0xf1ff
	s_delay_alu instid0(VALU_DEP_2)
	v_add_co_ci_u32_e64 v7, null, s9, v7, s3
	global_store_b16 v[6:7], v5, off
.LBB137_60:
	s_wait_alu 0xfffe
	s_or_b32 exec_lo, exec_lo, s5
	v_add3_u32 v4, v4, s7, 56
	s_delay_alu instid0(VALU_DEP_1)
	v_cmp_gt_u32_e64 s3, s4, v4
	s_and_b32 exec_lo, exec_lo, s3
	s_cbranch_execz .LBB137_14
; %bb.61:
	v_mul_lo_u32 v4, v4, s6
	s_and_saveexec_b32 s3, vcc_lo
	s_cbranch_execnz .LBB137_83
; %bb.62:
	s_wait_alu 0xfffe
	s_or_b32 exec_lo, exec_lo, s3
	s_and_saveexec_b32 s3, s0
	s_cbranch_execnz .LBB137_84
.LBB137_63:
	s_wait_alu 0xfffe
	s_or_b32 exec_lo, exec_lo, s3
	s_and_saveexec_b32 s0, s1
	s_cbranch_execnz .LBB137_85
.LBB137_64:
	s_wait_alu 0xfffe
	s_or_b32 exec_lo, exec_lo, s0
	s_delay_alu instid0(SALU_CYCLE_1)
	s_and_b32 exec_lo, exec_lo, s2
	s_cbranch_execz .LBB137_14
	s_branch .LBB137_86
.LBB137_65:
	s_delay_alu instid0(VALU_DEP_1) | instskip(NEXT) | instid1(VALU_DEP_1)
	v_dual_mov_b32 v18, 0 :: v_dual_add_nc_u32 v17, v16, v9
	v_lshlrev_b64_e32 v[17:18], 1, v[17:18]
	s_wait_kmcnt 0x0
	s_delay_alu instid0(VALU_DEP_1) | instskip(SKIP_1) | instid1(VALU_DEP_2)
	v_add_co_u32 v17, s3, s8, v17
	s_wait_alu 0xf1ff
	v_add_co_ci_u32_e64 v18, null, s9, v18, s3
	global_store_d16_hi_b16 v[17:18], v31, off
	s_wait_alu 0xfffe
	s_or_b32 exec_lo, exec_lo, s5
	s_and_saveexec_b32 s5, s0
	s_cbranch_execz .LBB137_27
.LBB137_66:
	s_delay_alu instid0(VALU_DEP_1) | instskip(NEXT) | instid1(VALU_DEP_1)
	v_dual_mov_b32 v18, 0 :: v_dual_add_nc_u32 v17, v16, v10
	v_lshlrev_b64_e32 v[17:18], 1, v[17:18]
	s_wait_kmcnt 0x0
	s_delay_alu instid0(VALU_DEP_1) | instskip(SKIP_1) | instid1(VALU_DEP_2)
	v_add_co_u32 v17, s3, s8, v17
	s_wait_alu 0xf1ff
	v_add_co_ci_u32_e64 v18, null, s9, v18, s3
	global_store_b16 v[17:18], v32, off
	s_wait_alu 0xfffe
	s_or_b32 exec_lo, exec_lo, s5
	s_and_saveexec_b32 s5, s1
	s_cbranch_execz .LBB137_28
.LBB137_67:
	v_dual_mov_b32 v18, 0 :: v_dual_add_nc_u32 v17, v16, v11
	s_delay_alu instid0(VALU_DEP_1) | instskip(SKIP_1) | instid1(VALU_DEP_1)
	v_lshlrev_b64_e32 v[17:18], 1, v[17:18]
	s_wait_kmcnt 0x0
	v_add_co_u32 v17, s3, s8, v17
	s_wait_alu 0xf1ff
	s_delay_alu instid0(VALU_DEP_2)
	v_add_co_ci_u32_e64 v18, null, s9, v18, s3
	global_store_b16 v[17:18], v30, off
	s_wait_alu 0xfffe
	s_or_b32 exec_lo, exec_lo, s5
	s_and_saveexec_b32 s5, s2
	s_cbranch_execnz .LBB137_29
	s_branch .LBB137_30
.LBB137_68:
	s_delay_alu instid0(VALU_DEP_1) | instskip(NEXT) | instid1(VALU_DEP_1)
	v_dual_mov_b32 v18, 0 :: v_dual_add_nc_u32 v17, v16, v9
	v_lshlrev_b64_e32 v[17:18], 1, v[17:18]
	s_wait_kmcnt 0x0
	s_delay_alu instid0(VALU_DEP_1) | instskip(SKIP_1) | instid1(VALU_DEP_2)
	v_add_co_u32 v17, s3, s8, v17
	s_wait_alu 0xf1ff
	v_add_co_ci_u32_e64 v18, null, s9, v18, s3
	global_store_b16 v[17:18], v24, off
	s_wait_alu 0xfffe
	s_or_b32 exec_lo, exec_lo, s5
	s_and_saveexec_b32 s5, s0
	s_cbranch_execz .LBB137_33
.LBB137_69:
	s_delay_alu instid0(VALU_DEP_1) | instskip(NEXT) | instid1(VALU_DEP_1)
	v_dual_mov_b32 v18, 0 :: v_dual_add_nc_u32 v17, v16, v10
	v_lshlrev_b64_e32 v[17:18], 1, v[17:18]
	s_wait_kmcnt 0x0
	s_delay_alu instid0(VALU_DEP_1) | instskip(SKIP_1) | instid1(VALU_DEP_2)
	v_add_co_u32 v17, s3, s8, v17
	s_wait_alu 0xf1ff
	v_add_co_ci_u32_e64 v18, null, s9, v18, s3
	global_store_b16 v[17:18], v28, off
	s_wait_alu 0xfffe
	s_or_b32 exec_lo, exec_lo, s5
	s_and_saveexec_b32 s5, s1
	s_cbranch_execz .LBB137_34
.LBB137_70:
	v_dual_mov_b32 v18, 0 :: v_dual_add_nc_u32 v17, v16, v11
	s_delay_alu instid0(VALU_DEP_1) | instskip(SKIP_1) | instid1(VALU_DEP_1)
	v_lshlrev_b64_e32 v[17:18], 1, v[17:18]
	s_wait_kmcnt 0x0
	v_add_co_u32 v17, s3, s8, v17
	s_wait_alu 0xf1ff
	s_delay_alu instid0(VALU_DEP_2)
	v_add_co_ci_u32_e64 v18, null, s9, v18, s3
	global_store_b16 v[17:18], v27, off
	s_wait_alu 0xfffe
	s_or_b32 exec_lo, exec_lo, s5
	s_and_saveexec_b32 s5, s2
	s_cbranch_execnz .LBB137_35
	s_branch .LBB137_36
.LBB137_71:
	s_delay_alu instid0(VALU_DEP_1) | instskip(NEXT) | instid1(VALU_DEP_1)
	v_dual_mov_b32 v18, 0 :: v_dual_add_nc_u32 v17, v16, v9
	v_lshlrev_b64_e32 v[17:18], 1, v[17:18]
	s_wait_kmcnt 0x0
	s_delay_alu instid0(VALU_DEP_1) | instskip(SKIP_1) | instid1(VALU_DEP_2)
	v_add_co_u32 v17, s3, s8, v17
	s_wait_alu 0xf1ff
	v_add_co_ci_u32_e64 v18, null, s9, v18, s3
	global_store_d16_hi_b16 v[17:18], v24, off
	s_wait_alu 0xfffe
	s_or_b32 exec_lo, exec_lo, s5
	s_and_saveexec_b32 s5, s0
	s_cbranch_execz .LBB137_39
.LBB137_72:
	s_delay_alu instid0(VALU_DEP_1) | instskip(NEXT) | instid1(VALU_DEP_1)
	v_dual_mov_b32 v18, 0 :: v_dual_add_nc_u32 v17, v16, v10
	v_lshlrev_b64_e32 v[17:18], 1, v[17:18]
	s_wait_kmcnt 0x0
	s_delay_alu instid0(VALU_DEP_1) | instskip(SKIP_1) | instid1(VALU_DEP_2)
	v_add_co_u32 v17, s3, s8, v17
	s_wait_alu 0xf1ff
	v_add_co_ci_u32_e64 v18, null, s9, v18, s3
	global_store_b16 v[17:18], v25, off
	s_wait_alu 0xfffe
	s_or_b32 exec_lo, exec_lo, s5
	s_and_saveexec_b32 s5, s1
	s_cbranch_execz .LBB137_40
.LBB137_73:
	v_dual_mov_b32 v18, 0 :: v_dual_add_nc_u32 v17, v16, v11
	s_delay_alu instid0(VALU_DEP_1) | instskip(SKIP_1) | instid1(VALU_DEP_1)
	v_lshlrev_b64_e32 v[17:18], 1, v[17:18]
	s_wait_kmcnt 0x0
	v_add_co_u32 v17, s3, s8, v17
	s_wait_alu 0xf1ff
	s_delay_alu instid0(VALU_DEP_2)
	v_add_co_ci_u32_e64 v18, null, s9, v18, s3
	global_store_b16 v[17:18], v23, off
	s_wait_alu 0xfffe
	s_or_b32 exec_lo, exec_lo, s5
	s_and_saveexec_b32 s5, s2
	s_cbranch_execnz .LBB137_41
	s_branch .LBB137_42
.LBB137_74:
	s_delay_alu instid0(VALU_DEP_1) | instskip(NEXT) | instid1(VALU_DEP_1)
	v_dual_mov_b32 v18, 0 :: v_dual_add_nc_u32 v17, v16, v9
	v_lshlrev_b64_e32 v[17:18], 1, v[17:18]
	s_wait_kmcnt 0x0
	s_delay_alu instid0(VALU_DEP_1) | instskip(SKIP_1) | instid1(VALU_DEP_2)
	v_add_co_u32 v17, s3, s8, v17
	s_wait_alu 0xf1ff
	v_add_co_ci_u32_e64 v18, null, s9, v18, s3
	global_store_b16 v[17:18], v14, off
	s_wait_alu 0xfffe
	s_or_b32 exec_lo, exec_lo, s5
	s_and_saveexec_b32 s5, s0
	s_cbranch_execz .LBB137_45
.LBB137_75:
	s_delay_alu instid0(VALU_DEP_1) | instskip(NEXT) | instid1(VALU_DEP_1)
	v_dual_mov_b32 v18, 0 :: v_dual_add_nc_u32 v17, v16, v10
	v_lshlrev_b64_e32 v[17:18], 1, v[17:18]
	s_wait_kmcnt 0x0
	s_delay_alu instid0(VALU_DEP_1) | instskip(SKIP_1) | instid1(VALU_DEP_2)
	v_add_co_u32 v17, s3, s8, v17
	s_wait_alu 0xf1ff
	v_add_co_ci_u32_e64 v18, null, s9, v18, s3
	global_store_b16 v[17:18], v21, off
	s_wait_alu 0xfffe
	s_or_b32 exec_lo, exec_lo, s5
	s_and_saveexec_b32 s5, s1
	s_cbranch_execz .LBB137_46
.LBB137_76:
	v_dual_mov_b32 v18, 0 :: v_dual_add_nc_u32 v17, v16, v11
	s_delay_alu instid0(VALU_DEP_1) | instskip(SKIP_1) | instid1(VALU_DEP_1)
	v_lshlrev_b64_e32 v[17:18], 1, v[17:18]
	s_wait_kmcnt 0x0
	v_add_co_u32 v17, s3, s8, v17
	s_wait_alu 0xf1ff
	s_delay_alu instid0(VALU_DEP_2)
	v_add_co_ci_u32_e64 v18, null, s9, v18, s3
	global_store_b16 v[17:18], v20, off
	s_wait_alu 0xfffe
	s_or_b32 exec_lo, exec_lo, s5
	s_and_saveexec_b32 s5, s2
	s_cbranch_execnz .LBB137_47
	s_branch .LBB137_48
.LBB137_77:
	s_delay_alu instid0(VALU_DEP_1) | instskip(NEXT) | instid1(VALU_DEP_1)
	v_dual_mov_b32 v18, 0 :: v_dual_add_nc_u32 v17, v16, v9
	v_lshlrev_b64_e32 v[17:18], 1, v[17:18]
	s_wait_kmcnt 0x0
	s_delay_alu instid0(VALU_DEP_1) | instskip(SKIP_1) | instid1(VALU_DEP_2)
	v_add_co_u32 v17, s3, s8, v17
	s_wait_alu 0xf1ff
	v_add_co_ci_u32_e64 v18, null, s9, v18, s3
	global_store_d16_hi_b16 v[17:18], v14, off
	s_wait_alu 0xfffe
	s_or_b32 exec_lo, exec_lo, s5
	s_and_saveexec_b32 s5, s0
	s_cbranch_execz .LBB137_51
.LBB137_78:
	s_delay_alu instid0(VALU_DEP_1) | instskip(NEXT) | instid1(VALU_DEP_1)
	v_dual_mov_b32 v18, 0 :: v_dual_add_nc_u32 v17, v16, v10
	v_lshlrev_b64_e32 v[17:18], 1, v[17:18]
	s_wait_kmcnt 0x0
	s_delay_alu instid0(VALU_DEP_1) | instskip(SKIP_1) | instid1(VALU_DEP_2)
	v_add_co_u32 v17, s3, s8, v17
	s_wait_alu 0xf1ff
	v_add_co_ci_u32_e64 v18, null, s9, v18, s3
	global_store_b16 v[17:18], v15, off
	s_wait_alu 0xfffe
	s_or_b32 exec_lo, exec_lo, s5
	s_and_saveexec_b32 s5, s1
	s_cbranch_execz .LBB137_52
.LBB137_79:
	v_dual_mov_b32 v15, 0 :: v_dual_add_nc_u32 v14, v16, v11
	s_delay_alu instid0(VALU_DEP_1) | instskip(SKIP_1) | instid1(VALU_DEP_1)
	v_lshlrev_b64_e32 v[14:15], 1, v[14:15]
	s_wait_kmcnt 0x0
	v_add_co_u32 v14, s3, s8, v14
	s_wait_alu 0xf1ff
	s_delay_alu instid0(VALU_DEP_2)
	v_add_co_ci_u32_e64 v15, null, s9, v15, s3
	global_store_b16 v[14:15], v13, off
	s_wait_alu 0xfffe
	s_or_b32 exec_lo, exec_lo, s5
	s_and_saveexec_b32 s5, s2
	s_cbranch_execnz .LBB137_53
	s_branch .LBB137_54
.LBB137_80:
	s_delay_alu instid0(VALU_DEP_1) | instskip(NEXT) | instid1(VALU_DEP_1)
	v_dual_mov_b32 v14, 0 :: v_dual_add_nc_u32 v13, v8, v9
	v_lshlrev_b64_e32 v[13:14], 1, v[13:14]
	s_wait_kmcnt 0x0
	s_delay_alu instid0(VALU_DEP_1) | instskip(SKIP_1) | instid1(VALU_DEP_2)
	v_add_co_u32 v13, s3, s8, v13
	s_wait_alu 0xf1ff
	v_add_co_ci_u32_e64 v14, null, s9, v14, s3
	global_store_b16 v[13:14], v2, off
	s_wait_alu 0xfffe
	s_or_b32 exec_lo, exec_lo, s5
	s_and_saveexec_b32 s5, s0
	s_cbranch_execz .LBB137_57
.LBB137_81:
	s_delay_alu instid0(VALU_DEP_1) | instskip(NEXT) | instid1(VALU_DEP_1)
	v_dual_mov_b32 v14, 0 :: v_dual_add_nc_u32 v13, v8, v10
	v_lshlrev_b64_e32 v[13:14], 1, v[13:14]
	s_wait_kmcnt 0x0
	s_delay_alu instid0(VALU_DEP_1) | instskip(SKIP_1) | instid1(VALU_DEP_2)
	v_add_co_u32 v13, s3, s8, v13
	s_wait_alu 0xf1ff
	v_add_co_ci_u32_e64 v14, null, s9, v14, s3
	global_store_b16 v[13:14], v7, off
	s_wait_alu 0xfffe
	s_or_b32 exec_lo, exec_lo, s5
	s_and_saveexec_b32 s5, s1
	s_cbranch_execz .LBB137_58
.LBB137_82:
	v_dual_mov_b32 v14, 0 :: v_dual_add_nc_u32 v13, v8, v11
	s_delay_alu instid0(VALU_DEP_1) | instskip(SKIP_1) | instid1(VALU_DEP_1)
	v_lshlrev_b64_e32 v[13:14], 1, v[13:14]
	s_wait_kmcnt 0x0
	v_add_co_u32 v13, s3, s8, v13
	s_wait_alu 0xf1ff
	s_delay_alu instid0(VALU_DEP_2)
	v_add_co_ci_u32_e64 v14, null, s9, v14, s3
	global_store_b16 v[13:14], v6, off
	s_wait_alu 0xfffe
	s_or_b32 exec_lo, exec_lo, s5
	s_and_saveexec_b32 s5, s2
	s_cbranch_execnz .LBB137_59
	s_branch .LBB137_60
.LBB137_83:
	s_delay_alu instid0(VALU_DEP_1) | instskip(NEXT) | instid1(VALU_DEP_1)
	v_dual_mov_b32 v6, 0 :: v_dual_add_nc_u32 v5, v4, v9
	v_lshlrev_b64_e32 v[5:6], 1, v[5:6]
	s_wait_kmcnt 0x0
	s_delay_alu instid0(VALU_DEP_1) | instskip(SKIP_1) | instid1(VALU_DEP_2)
	v_add_co_u32 v5, vcc_lo, s8, v5
	s_wait_alu 0xfffd
	v_add_co_ci_u32_e64 v6, null, s9, v6, vcc_lo
	global_store_d16_hi_b16 v[5:6], v2, off
	s_wait_alu 0xfffe
	s_or_b32 exec_lo, exec_lo, s3
	s_and_saveexec_b32 s3, s0
	s_cbranch_execz .LBB137_63
.LBB137_84:
	s_delay_alu instid0(VALU_DEP_1) | instskip(NEXT) | instid1(VALU_DEP_1)
	v_dual_mov_b32 v6, 0 :: v_dual_add_nc_u32 v5, v4, v10
	v_lshlrev_b64_e32 v[5:6], 1, v[5:6]
	s_wait_kmcnt 0x0
	s_delay_alu instid0(VALU_DEP_1) | instskip(SKIP_1) | instid1(VALU_DEP_2)
	v_add_co_u32 v5, vcc_lo, s8, v5
	s_wait_alu 0xfffd
	v_add_co_ci_u32_e64 v6, null, s9, v6, vcc_lo
	global_store_b16 v[5:6], v3, off
	s_wait_alu 0xfffe
	s_or_b32 exec_lo, exec_lo, s3
	s_and_saveexec_b32 s0, s1
	s_cbranch_execz .LBB137_64
.LBB137_85:
	v_dual_mov_b32 v3, 0 :: v_dual_add_nc_u32 v2, v4, v11
	s_delay_alu instid0(VALU_DEP_1) | instskip(SKIP_1) | instid1(VALU_DEP_1)
	v_lshlrev_b64_e32 v[2:3], 1, v[2:3]
	s_wait_kmcnt 0x0
	v_add_co_u32 v2, vcc_lo, s8, v2
	s_wait_alu 0xfffd
	s_delay_alu instid0(VALU_DEP_2) | instskip(SKIP_3) | instid1(SALU_CYCLE_1)
	v_add_co_ci_u32_e64 v3, null, s9, v3, vcc_lo
	global_store_b16 v[2:3], v1, off
	s_wait_alu 0xfffe
	s_or_b32 exec_lo, exec_lo, s0
	s_and_b32 exec_lo, exec_lo, s2
	s_cbranch_execz .LBB137_14
.LBB137_86:
	v_dual_mov_b32 v2, 0 :: v_dual_add_nc_u32 v1, v4, v12
	s_delay_alu instid0(VALU_DEP_1) | instskip(SKIP_1) | instid1(VALU_DEP_1)
	v_lshlrev_b64_e32 v[1:2], 1, v[1:2]
	s_wait_kmcnt 0x0
	v_add_co_u32 v1, vcc_lo, s8, v1
	s_wait_alu 0xfffd
	s_delay_alu instid0(VALU_DEP_2)
	v_add_co_ci_u32_e64 v2, null, s9, v2, vcc_lo
	global_store_b16 v[1:2], v0, off
	s_nop 0
	s_sendmsg sendmsg(MSG_DEALLOC_VGPRS)
	s_endpgm
	.section	.rodata,"a",@progbits
	.p2align	6, 0x0
	.amdhsa_kernel _ZL12mul_mat_q4_0IN3c104HalfELb0EEvPKvS3_PT_iiiii
		.amdhsa_group_segment_fixed_size 30336
		.amdhsa_private_segment_fixed_size 116
		.amdhsa_kernarg_size 44
		.amdhsa_user_sgpr_count 2
		.amdhsa_user_sgpr_dispatch_ptr 0
		.amdhsa_user_sgpr_queue_ptr 0
		.amdhsa_user_sgpr_kernarg_segment_ptr 1
		.amdhsa_user_sgpr_dispatch_id 0
		.amdhsa_user_sgpr_private_segment_size 0
		.amdhsa_wavefront_size32 1
		.amdhsa_uses_dynamic_stack 0
		.amdhsa_enable_private_segment 1
		.amdhsa_system_sgpr_workgroup_id_x 1
		.amdhsa_system_sgpr_workgroup_id_y 1
		.amdhsa_system_sgpr_workgroup_id_z 0
		.amdhsa_system_sgpr_workgroup_info 0
		.amdhsa_system_vgpr_workitem_id 1
		.amdhsa_next_free_vgpr 256
		.amdhsa_next_free_sgpr 18
		.amdhsa_reserve_vcc 1
		.amdhsa_float_round_mode_32 0
		.amdhsa_float_round_mode_16_64 0
		.amdhsa_float_denorm_mode_32 3
		.amdhsa_float_denorm_mode_16_64 3
		.amdhsa_fp16_overflow 0
		.amdhsa_workgroup_processor_mode 1
		.amdhsa_memory_ordered 1
		.amdhsa_forward_progress 1
		.amdhsa_inst_pref_size 255
		.amdhsa_round_robin_scheduling 0
		.amdhsa_exception_fp_ieee_invalid_op 0
		.amdhsa_exception_fp_denorm_src 0
		.amdhsa_exception_fp_ieee_div_zero 0
		.amdhsa_exception_fp_ieee_overflow 0
		.amdhsa_exception_fp_ieee_underflow 0
		.amdhsa_exception_fp_ieee_inexact 0
		.amdhsa_exception_int_div_zero 0
	.end_amdhsa_kernel
	.section	.text._ZL12mul_mat_q4_0IN3c104HalfELb0EEvPKvS3_PT_iiiii,"axG",@progbits,_ZL12mul_mat_q4_0IN3c104HalfELb0EEvPKvS3_PT_iiiii,comdat
.Lfunc_end137:
	.size	_ZL12mul_mat_q4_0IN3c104HalfELb0EEvPKvS3_PT_iiiii, .Lfunc_end137-_ZL12mul_mat_q4_0IN3c104HalfELb0EEvPKvS3_PT_iiiii
                                        ; -- End function
	.set _ZL12mul_mat_q4_0IN3c104HalfELb0EEvPKvS3_PT_iiiii.num_vgpr, 256
	.set _ZL12mul_mat_q4_0IN3c104HalfELb0EEvPKvS3_PT_iiiii.num_agpr, 0
	.set _ZL12mul_mat_q4_0IN3c104HalfELb0EEvPKvS3_PT_iiiii.numbered_sgpr, 18
	.set _ZL12mul_mat_q4_0IN3c104HalfELb0EEvPKvS3_PT_iiiii.num_named_barrier, 0
	.set _ZL12mul_mat_q4_0IN3c104HalfELb0EEvPKvS3_PT_iiiii.private_seg_size, 116
	.set _ZL12mul_mat_q4_0IN3c104HalfELb0EEvPKvS3_PT_iiiii.uses_vcc, 1
	.set _ZL12mul_mat_q4_0IN3c104HalfELb0EEvPKvS3_PT_iiiii.uses_flat_scratch, 1
	.set _ZL12mul_mat_q4_0IN3c104HalfELb0EEvPKvS3_PT_iiiii.has_dyn_sized_stack, 0
	.set _ZL12mul_mat_q4_0IN3c104HalfELb0EEvPKvS3_PT_iiiii.has_recursion, 0
	.set _ZL12mul_mat_q4_0IN3c104HalfELb0EEvPKvS3_PT_iiiii.has_indirect_call, 0
	.section	.AMDGPU.csdata,"",@progbits
; Kernel info:
; codeLenInByte = 35260
; TotalNumSgprs: 20
; NumVgprs: 256
; ScratchSize: 116
; MemoryBound: 0
; FloatMode: 240
; IeeeMode: 1
; LDSByteSize: 30336 bytes/workgroup (compile time only)
; SGPRBlocks: 0
; VGPRBlocks: 31
; NumSGPRsForWavesPerEU: 20
; NumVGPRsForWavesPerEU: 256
; Occupancy: 5
; WaveLimiterHint : 0
; COMPUTE_PGM_RSRC2:SCRATCH_EN: 1
; COMPUTE_PGM_RSRC2:USER_SGPR: 2
; COMPUTE_PGM_RSRC2:TRAP_HANDLER: 0
; COMPUTE_PGM_RSRC2:TGID_X_EN: 1
; COMPUTE_PGM_RSRC2:TGID_Y_EN: 1
; COMPUTE_PGM_RSRC2:TGID_Z_EN: 0
; COMPUTE_PGM_RSRC2:TIDIG_COMP_CNT: 1
	.section	.text._ZL12mul_mat_q4_0IN3c104HalfELb1EEvPKvS3_PT_iiiii,"axG",@progbits,_ZL12mul_mat_q4_0IN3c104HalfELb1EEvPKvS3_PT_iiiii,comdat
	.globl	_ZL12mul_mat_q4_0IN3c104HalfELb1EEvPKvS3_PT_iiiii ; -- Begin function _ZL12mul_mat_q4_0IN3c104HalfELb1EEvPKvS3_PT_iiiii
	.p2align	8
	.type	_ZL12mul_mat_q4_0IN3c104HalfELb1EEvPKvS3_PT_iiiii,@function
_ZL12mul_mat_q4_0IN3c104HalfELb1EEvPKvS3_PT_iiiii: ; @_ZL12mul_mat_q4_0IN3c104HalfELb1EEvPKvS3_PT_iiiii
; %bb.0:
	s_clause 0x1
	s_load_b128 s[4:7], s[0:1], 0x18
	s_load_b32 s14, s[0:1], 0x28
	v_bfe_u32 v33, v0, 10, 10
	v_and_b32_e32 v1, 0x3ff, v0
	s_lshl_b32 s15, ttmp7, 6
	scratch_store_b32 off, v1, off          ; 4-byte Folded Spill
	s_wait_kmcnt 0x0
	s_cmp_gt_i32 s4, 31
	s_cbranch_scc1 .LBB138_2
; %bb.1:
	v_bfe_u32 v4, v0, 10, 10
	v_and_b32_e32 v9, 0x3ff, v0
	s_mov_b32 s2, 0
	s_delay_alu instid0(VALU_DEP_2)
	v_add_nc_u32_e32 v10, s15, v4
	s_branch .LBB138_3
.LBB138_2:
	s_mov_b32 s2, -1
                                        ; implicit-def: $vgpr4
                                        ; implicit-def: $vgpr9
                                        ; implicit-def: $vgpr10
.LBB138_3:
	s_load_b64 s[8:9], s[0:1], 0x10
	s_lshl_b32 s16, ttmp9, 7
	s_and_not1_b32 vcc_lo, exec_lo, s2
	s_mov_b32 s11, 0
	s_cbranch_vccnz .LBB138_14
; %bb.4:
	s_ashr_i32 s10, s4, 31
	v_dual_mov_b32 v1, 0 :: v_dual_and_b32 v4, 0x3ff, v0
	s_lshr_b32 s10, s10, 27
	v_add_nc_u32_e32 v34, 16, v33
	s_add_co_i32 s4, s4, s10
	s_not_b32 s10, s16
	v_dual_mov_b32 v73, v1 :: v_dual_add_nc_u32 v32, 8, v33
	v_add_nc_u32_e32 v49, 24, v33
	v_dual_mov_b32 v98, v1 :: v_dual_add_nc_u32 v61, 32, v33
	v_dual_mov_b32 v77, v1 :: v_dual_add_nc_u32 v62, 40, v33
	s_add_co_i32 s5, s5, s10
	v_dual_mov_b32 v84, v1 :: v_dual_add_nc_u32 v63, 48, v33
	v_add_nc_u32_e32 v64, 56, v33
	v_dual_mov_b32 v87, v1 :: v_dual_lshlrev_b32 v2, 2, v4
	v_min_i32_e32 v3, s5, v33
	v_mov_b32_e32 v107, v1
	v_min_i32_e32 v6, s5, v34
	v_min_i32_e32 v5, s5, v32
	;; [unrolled: 1-line block ×6, first 2 shown]
	s_ashr_i32 s17, s4, 5
	v_dual_mov_b32 v72, v1 :: v_dual_add_nc_u32 v11, 64, v33
	v_min_i32_e32 v12, s5, v64
	v_mad_co_u64_u32 v[42:43], null, 0x84, v3, v[2:3]
	v_mad_co_u64_u32 v[44:45], null, 0x84, v6, v[2:3]
	v_mul_lo_u32 v43, v5, s17
	v_mad_co_u64_u32 v[38:39], null, 0x84, v5, v[2:3]
	v_mul_lo_u32 v5, v6, s17
	v_mul_lo_u32 v45, v7, s17
	v_mad_co_u64_u32 v[6:7], null, 0x84, v7, v[2:3]
	v_mad_co_u64_u32 v[46:47], null, 0x84, v8, v[2:3]
	v_mul_lo_u32 v7, v8, s17
	v_mul_lo_u32 v47, v9, s17
	v_mad_co_u64_u32 v[8:9], null, 0x84, v9, v[2:3]
	s_ashr_i32 s12, s7, 31
	v_mul_lo_u32 v39, v10, s17
	v_mad_co_u64_u32 v[9:10], null, 0x84, v10, v[2:3]
	v_mul_lo_u32 v37, v3, s17
	v_min_i32_e32 v13, s5, v11
	v_mad_co_u64_u32 v[10:11], null, 0x84, v12, v[2:3]
	v_add_nc_u32_e32 v3, s15, v33
	s_lshr_b32 s4, s12, 27
	v_mul_lo_u32 v48, v12, s17
	s_wait_alu 0xfffe
	s_add_co_i32 s4, s7, s4
	s_add_co_i32 s7, s6, -1
	v_cvt_f64_u32_e32 v[20:21], v3
	v_cvt_f64_i32_e32 v[18:19], s7
	v_dual_mov_b32 v109, v1 :: v_dual_add_nc_u32 v12, 8, v3
	v_dual_mov_b32 v105, v1 :: v_dual_add_nc_u32 v14, 16, v3
	;; [unrolled: 1-line block ×3, first 2 shown]
	s_delay_alu instid0(VALU_DEP_3) | instskip(SKIP_1) | instid1(VALU_DEP_4)
	v_cvt_f64_u32_e32 v[22:23], v12
	v_dual_mov_b32 v93, v1 :: v_dual_add_nc_u32 v12, 24, v3
	v_cvt_f64_u32_e32 v[24:25], v14
	v_dual_mov_b32 v79, v1 :: v_dual_add_nc_u32 v14, 40, v3
	s_delay_alu instid0(VALU_DEP_3) | instskip(SKIP_2) | instid1(VALU_DEP_4)
	v_cvt_f64_u32_e32 v[26:27], v12
	v_cvt_f64_u32_e32 v[28:29], v16
	v_dual_mov_b32 v75, v1 :: v_dual_add_nc_u32 v12, 48, v3
	v_cvt_f64_u32_e32 v[30:31], v14
	v_add_nc_u32_e32 v16, 56, v3
	v_mul_lo_u32 v51, v13, s17
	s_delay_alu instid0(VALU_DEP_4) | instskip(SKIP_1) | instid1(VALU_DEP_4)
	v_cvt_f64_u32_e32 v[52:53], v12
	v_mad_co_u64_u32 v[40:41], null, 0x84, v13, v[2:3]
	v_cvt_f64_u32_e32 v[54:55], v16
	v_add_nc_u32_e32 v13, 0x48, v33
	v_add_nc_u32_e32 v50, 0x68, v33
	v_bfe_u32 v41, v0, 3, 7
	scratch_store_b32 off, v3, off offset:184 ; 4-byte Folded Spill
	v_dual_mov_b32 v96, v1 :: v_dual_add_nc_u32 v15, 0x50, v33
	v_min_i32_e32 v13, s5, v13
	v_add_nc_u32_e32 v14, 0x58, v33
	v_min_i32_e32 v56, s5, v50
	v_dual_mov_b32 v82, v1 :: v_dual_add_nc_u32 v57, 0x70, v33
	s_delay_alu instid0(VALU_DEP_4)
	v_mul_lo_u32 v3, v13, s17
	v_dual_mov_b32 v92, v1 :: v_dual_add_nc_u32 v17, 0x60, v33
	v_min_num_f64_e32 v[20:21], v[20:21], v[18:19]
	v_lshl_add_u32 v65, v33, 2, v41
	v_min_i32_e32 v15, s5, v15
	v_min_i32_e32 v16, s5, v14
	scratch_store_b32 off, v41, off offset:80 ; 4-byte Folded Spill
	v_mul_lo_u32 v41, v56, s17
	v_mad_co_u64_u32 v[94:95], null, 0x84, v56, v[2:3]
	v_min_num_f64_e32 v[22:23], v[22:23], v[18:19]
	v_min_i32_e32 v56, s5, v57
	v_min_num_f64_e32 v[24:25], v[24:25], v[18:19]
	v_min_i32_e32 v17, s5, v17
	v_min_i32_e32 v66, s5, v65
	v_min_num_f64_e32 v[26:27], v[26:27], v[18:19]
	v_min_num_f64_e32 v[28:29], v[28:29], v[18:19]
	v_add_nc_u32_e32 v67, 0x78, v33
	v_add_nc_u32_e32 v68, 32, v65
	v_min_num_f64_e32 v[30:31], v[30:31], v[18:19]
	v_mad_co_u64_u32 v[11:12], null, 0x84, v13, v[2:3]
	v_min_num_f64_e32 v[57:58], v[52:53], v[18:19]
	v_mad_co_u64_u32 v[13:14], null, 0x84, v15, v[2:3]
	v_min_num_f64_e32 v[59:60], v[54:55], v[18:19]
	v_mul_lo_u32 v12, v15, s17
	v_mul_lo_u32 v14, v16, s17
	v_mad_co_u64_u32 v[15:16], null, 0x84, v16, v[2:3]
	v_mul_lo_u32 v16, v17, s17
	v_mad_co_u64_u32 v[85:86], null, 0x84, v17, v[2:3]
	v_ashrrev_i32_e32 v17, 31, v66
	v_min_i32_e32 v19, s5, v67
	v_min_i32_e32 v67, s5, v68
	v_add_nc_u32_e32 v70, 64, v65
	v_add_nc_u32_e32 v65, 0x60, v65
	v_lshrrev_b32_e32 v17, 30, v17
	v_mul_lo_u32 v97, v19, s17
	v_cvt_i32_f64_e32 v20, v[20:21]
	v_ashrrev_i32_e32 v69, 31, v67
	v_dual_mov_b32 v112, v1 :: v_dual_and_b32 v53, 7, v0
	v_dual_mov_b32 v74, v1 :: v_dual_add_nc_u32 v55, v66, v17
	v_mad_co_u64_u32 v[17:18], null, 0x84, v56, v[2:3]
	v_mad_co_u64_u32 v[18:19], null, 0x84, v19, v[2:3]
	v_lshrrev_b32_e32 v19, 30, v69
	v_cvt_i32_f64_e32 v22, v[22:23]
	v_min_i32_e32 v21, s5, v65
	v_bfe_u32 v35, v0, 2, 8
	v_lshlrev_b32_e32 v68, 2, v53
	v_add_nc_u32_e32 v19, v67, v19
	v_cvt_i32_f64_e32 v24, v[24:25]
	v_cvt_i32_f64_e32 v25, v[26:27]
	v_ashrrev_i32_e32 v26, 31, v21
	v_min_i32_e32 v70, s5, v70
	v_and_b32_e32 v19, -4, v19
	v_cvt_i32_f64_e32 v27, v[28:29]
	v_cvt_i32_f64_e32 v28, v[30:31]
	v_lshl_add_u32 v31, v33, 3, v35
	v_ashrrev_i32_e32 v69, 31, v70
	v_add3_u32 v29, v19, v68, 0x6200
	v_lshrrev_b32_e32 v19, 30, v26
	v_cvt_i32_f64_e32 v30, v[57:58]
	v_and_b32_e32 v31, 63, v31
	v_mul_lo_u32 v50, v67, s17
	v_lshrrev_b32_e32 v23, 30, v69
	v_add_nc_u32_e32 v58, v21, v19
	v_and_b32_e32 v19, 3, v0
	v_cvt_i32_f64_e32 v26, v[59:60]
	v_lshlrev_b32_e32 v59, 5, v67
	v_or_b32_e32 v67, s15, v31
	v_mul_lo_u32 v95, v56, s17
	v_lshlrev_b32_e32 v69, 2, v19
	v_and_b32_e32 v56, -4, v55
	v_add_nc_u32_e32 v23, v70, v23
	v_mul_lo_u32 v52, v70, s17
	v_lshlrev_b32_e32 v65, 5, v70
	v_mul_lo_u32 v54, v21, s17
	v_lshlrev_b32_e32 v70, 5, v21
	v_min_i32_e32 v21, s7, v67
	s_wait_alu 0xfffe
	s_ashr_i32 s4, s4, 5
	v_lshl_or_b32 v31, v31, 4, v69
	v_add3_u32 v71, v56, v68, 0x6200
	s_load_b128 s[0:3], s[0:1], 0x0
	v_mad_co_u64_u32 v[55:56], null, v21, s4, v[19:20]
	s_delay_alu instid0(VALU_DEP_3)
	v_add_nc_u32_e32 v19, 0x7280, v31
	v_add_nc_u32_e32 v21, 64, v4
	v_dual_mov_b32 v111, v1 :: v_dual_and_b32 v36, 12, v2
	v_and_b32_e32 v2, 28, v2
	s_clause 0x1
	scratch_store_b32 off, v19, off offset:4
	scratch_store_b64 off, v[55:56], off offset:112
	v_mul_lo_u32 v19, s4, v20
	v_mul_lo_u32 v20, s4, v22
	v_lshlrev_b32_e32 v22, 7, v32
	v_lshlrev_b32_e32 v32, 5, v4
	v_and_b32_e32 v21, 0x1fc, v21
	v_and_b32_e32 v23, -4, v23
	v_dual_mov_b32 v69, v1 :: v_dual_and_b32 v60, -4, v58
	s_clause 0x1
	scratch_store_b32 off, v19, off offset:8
	scratch_store_b32 off, v20, off offset:12
	v_mul_lo_u32 v20, s4, v24
	v_lshlrev_b32_e32 v24, 7, v34
	v_add3_u32 v23, v23, v68, 0x6200
	v_add3_u32 v60, v60, v68, 0x6200
	v_and_b32_e32 v68, 31, v0
	v_and_b32_e32 v0, 0xfc, v0
	v_lshlrev_b32_e32 v19, 7, v33
	v_lshlrev_b32_e32 v31, 7, v64
	scratch_store_b32 off, v20, off offset:16 ; 4-byte Folded Spill
	v_mul_lo_u32 v20, s4, v25
	v_lshlrev_b32_e32 v25, 7, v49
	v_add_nc_u32_e32 v49, v32, v21
	v_add_nc_u32_e32 v0, v32, v0
	v_lshl_or_b32 v68, v68, 2, 0x4200
	v_mul_lo_u32 v99, v66, s17
	v_lshlrev_b32_e32 v66, 5, v66
	s_mul_i32 s12, s17, s16
	scratch_store_b32 off, v20, off offset:20 ; 4-byte Folded Spill
	v_mul_lo_u32 v20, s4, v27
	v_lshlrev_b32_e32 v27, 7, v61
	s_ashr_i32 s13, s12, 31
	v_add_nc_u32_e32 v56, v29, v59
	v_add_nc_u32_e32 v57, v23, v65
	;; [unrolled: 1-line block ×4, first 2 shown]
	v_mov_b32_e32 v70, v1
	scratch_store_b32 off, v20, off offset:24 ; 4-byte Folded Spill
	v_mul_lo_u32 v20, s4, v28
	v_lshlrev_b32_e32 v28, 7, v62
	s_mul_u64 s[12:13], s[12:13], 18
	s_add_co_i32 s7, s17, 3
	s_wait_kmcnt 0x0
	s_add_nc_u64 s[0:1], s[0:1], s[12:13]
	s_mov_b32 s10, s11
	scratch_store_b32 off, v20, off offset:28 ; 4-byte Folded Spill
	v_mul_lo_u32 v20, s4, v30
	v_lshlrev_b32_e32 v30, 7, v63
	scratch_store_b32 off, v20, off offset:32 ; 4-byte Folded Spill
	v_mul_lo_u32 v20, s4, v26
	v_add_nc_u32_e32 v26, 32, v4
	s_delay_alu instid0(VALU_DEP_1) | instskip(SKIP_4) | instid1(VALU_DEP_3)
	v_and_b32_e32 v34, 0x1fc, v26
	scratch_store_b32 off, v20, off offset:36 ; 4-byte Folded Spill
	v_add_nc_u32_e32 v20, 0x60, v4
	v_lshrrev_b32_e32 v4, 3, v26
	v_add_nc_u32_e32 v34, v32, v34
	v_and_b32_e32 v20, 0x1fc, v20
	s_delay_alu instid0(VALU_DEP_1) | instskip(SKIP_3) | instid1(VALU_DEP_3)
	v_add_nc_u32_e32 v26, v32, v20
	v_add_co_u32 v20, s4, s2, v2
	s_wait_alu 0xf1ff
	v_add_co_ci_u32_e64 v21, null, s3, 0, s4
	v_add_nc_u32_e32 v2, 0x6e00, v26
	s_clause 0x1
	scratch_store_b32 off, v4, off offset:160
	scratch_store_b32 off, v2, off offset:120
	v_add_nc_u32_e32 v2, 0x6a00, v49
	scratch_store_b32 off, v2, off offset:124 ; 4-byte Folded Spill
	v_add_nc_u32_e32 v2, 0x6600, v34
	scratch_store_b32 off, v2, off offset:128 ; 4-byte Folded Spill
	v_add_nc_u32_e32 v2, 0x6200, v0
	s_clause 0x1
	scratch_store_b32 off, v2, off offset:132
	scratch_store_b32 off, v33, off offset:180
	v_lshl_add_u32 v2, v33, 4, 0x7280
	v_add_nc_u32_e32 v0, 0x6210, v0
	scratch_store_b32 off, v0, off offset:176 ; 4-byte Folded Spill
	v_add_nc_u32_e32 v0, v68, v19
	scratch_store_b32 off, v2, off offset:40 ; 4-byte Folded Spill
	;; [unrolled: 2-line block ×10, first 2 shown]
	v_mov_b32_e32 v2, v1
	scratch_store_b32 off, v0, off offset:64 ; 4-byte Folded Spill
	v_dual_mov_b32 v29, v2 :: v_dual_add_nc_u32 v0, v68, v28
	v_mov_b32_e32 v27, v2
	v_mov_b32_e32 v25, v2
	;; [unrolled: 1-line block ×3, first 2 shown]
	scratch_store_b32 off, v0, off offset:68 ; 4-byte Folded Spill
	v_add_nc_u32_e32 v0, v68, v30
	v_mov_b32_e32 v28, v1
	v_mov_b32_e32 v26, v1
	;; [unrolled: 1-line block ×4, first 2 shown]
	scratch_store_b32 off, v0, off offset:72 ; 4-byte Folded Spill
	v_add_nc_u32_e32 v0, v68, v31
	v_mov_b32_e32 v68, v1
	scratch_store_b32 off, v0, off offset:76 ; 4-byte Folded Spill
	v_mov_b32_e32 v0, v1
	s_clause 0x8
	scratch_store_b64 off, v[17:18], off offset:84
	scratch_store_b64 off, v[18:19], off offset:92
	scratch_store_b32 off, v50, off offset:100
	scratch_store_b32 off, v52, off offset:104
	;; [unrolled: 1-line block ×3, first 2 shown]
	scratch_store_b64 off, v[15:16], off offset:136
	scratch_store_b32 off, v97, off offset:144
	scratch_store_b32 off, v99, off offset:148
	scratch_store_b64 off, v[11:12], off offset:152
	s_branch .LBB138_7
.LBB138_5:                              ;   in Loop: Header=BB138_7 Depth=1
	v_dual_mov_b32 v37, v7 :: v_dual_mov_b32 v38, v8
	v_dual_mov_b32 v5, v9 :: v_dual_mov_b32 v40, v15
	;; [unrolled: 1-line block ×3, first 2 shown]
	v_mov_b32_e32 v7, v11
	s_clause 0x1
	scratch_load_b64 v[11:12], off, off offset:152
	scratch_load_b64 v[15:16], off, off offset:136
	v_mov_b32_e32 v85, v17
	s_wait_loadcnt 0x1
	v_dual_mov_b32 v41, v18 :: v_dual_mov_b32 v12, v52
	s_wait_loadcnt 0x0
	v_dual_mov_b32 v9, v13 :: v_dual_mov_b32 v16, v97
	s_clause 0x1
	scratch_load_b64 v[17:18], off, off offset:84
	scratch_load_b32 v97, off, off offset:144
	v_dual_mov_b32 v39, v14 :: v_dual_mov_b32 v6, v10
	v_dual_mov_b32 v10, v50 :: v_dual_mov_b32 v13, v54
	v_mov_b32_e32 v14, v99
	s_wait_loadcnt 0x1
	s_clause 0x4
	scratch_load_b64 v[18:19], off, off offset:92
	scratch_load_b32 v99, off, off offset:148
	scratch_load_b32 v50, off, off offset:100
	;; [unrolled: 1-line block ×4, first 2 shown]
.LBB138_6:                              ;   in Loop: Header=BB138_7 Depth=1
	s_add_co_i32 s10, s10, 8
	s_add_co_i32 s7, s7, -8
	s_wait_alu 0xfffe
	s_cmp_ge_i32 s10, s17
	s_cbranch_scc1 .LBB138_16
.LBB138_7:                              ; =>This Loop Header: Depth=1
                                        ;     Child Loop BB138_9 Depth 2
                                        ;     Child Loop BB138_12 Depth 2
	s_mul_u64 s[4:5], s[10:11], 18
	s_wait_alu 0xfffe
	s_cmp_gt_u32 s7, 3
	s_add_nc_u64 s[4:5], s[0:1], s[4:5]
	s_wait_alu 0xfffe
	v_mad_co_u64_u32 v[30:31], null, v35, 18, s[4:5]
	s_delay_alu instid0(VALU_DEP_1) | instskip(SKIP_3) | instid1(VALU_DEP_4)
	v_mad_co_i64_i32 v[80:81], null, v37, 18, v[30:31]
	v_mad_co_i64_i32 v[88:89], null, v43, 18, v[30:31]
	;; [unrolled: 1-line block ×4, first 2 shown]
	v_add_co_u32 v80, vcc_lo, v80, v36
	v_mad_co_i64_i32 v[117:118], null, v7, 18, v[30:31]
	s_wait_alu 0xfffd
	v_add_co_ci_u32_e64 v81, null, 0, v81, vcc_lo
	v_add_co_u32 v88, vcc_lo, v88, v36
	v_mad_co_i64_i32 v[119:120], null, v47, 18, v[30:31]
	s_wait_alu 0xfffd
	v_add_co_ci_u32_e64 v89, null, 0, v89, vcc_lo
	;; [unrolled: 4-line block ×4, first 2 shown]
	v_add_co_u32 v117, vcc_lo, v117, v36
	s_wait_alu 0xfffd
	v_add_co_ci_u32_e64 v118, null, 0, v118, vcc_lo
	v_add_co_u32 v119, vcc_lo, v119, v36
	s_wait_alu 0xfffd
	v_add_co_ci_u32_e64 v120, null, 0, v120, vcc_lo
	;; [unrolled: 3-line block ×3, first 2 shown]
	v_add_co_u32 v123, vcc_lo, v123, v36
	v_mad_co_i64_i32 v[125:126], null, v51, 18, v[30:31]
	s_wait_alu 0xfffd
	v_add_co_ci_u32_e64 v124, null, 0, v124, vcc_lo
	global_load_b32 v2, v[80:81], off offset:2
	s_wait_loadcnt 0x5
	s_clause 0x6
	global_load_b32 v19, v[88:89], off offset:2
	global_load_b32 v34, v[113:114], off offset:2
	;; [unrolled: 1-line block ×7, first 2 shown]
	v_mad_co_i64_i32 v[80:81], null, v3, 18, v[30:31]
	v_mad_co_u64_u32 v[119:120], null, v53, 18, s[4:5]
	v_mad_co_i64_i32 v[113:114], null, v12, 18, v[30:31]
	v_mad_co_i64_i32 v[115:116], null, v14, 18, v[30:31]
	v_add_co_u32 v88, vcc_lo, v125, v36
	v_mad_co_i64_i32 v[117:118], null, v16, 18, v[30:31]
	s_wait_alu 0xfffd
	v_add_co_ci_u32_e64 v89, null, 0, v126, vcc_lo
	v_add_co_u32 v80, vcc_lo, v80, v36
	v_mad_co_i64_i32 v[121:122], null, v41, 18, v[30:31]
	s_wait_loadcnt 0xb
	v_mad_co_i64_i32 v[123:124], null, v99, 18, v[119:120]
	s_wait_loadcnt 0xa
	v_mad_co_i64_i32 v[125:126], null, v50, 18, v[119:120]
	s_wait_alu 0xfffd
	v_add_co_ci_u32_e64 v81, null, 0, v81, vcc_lo
	v_add_co_u32 v113, vcc_lo, v113, v36
	s_wait_loadcnt 0x9
	v_mad_co_i64_i32 v[127:128], null, v52, 18, v[119:120]
	v_mad_co_i64_i32 v[129:130], null, v95, 18, v[30:31]
	s_wait_loadcnt 0x8
	v_mad_co_i64_i32 v[119:120], null, v54, 18, v[119:120]
	s_wait_alu 0xfffd
	v_add_co_ci_u32_e64 v114, null, 0, v114, vcc_lo
	v_add_co_u32 v115, vcc_lo, v115, v36
	v_mad_co_i64_i32 v[30:31], null, v97, 18, v[30:31]
	s_wait_alu 0xfffd
	v_add_co_ci_u32_e64 v116, null, 0, v116, vcc_lo
	v_add_co_u32 v117, vcc_lo, v117, v36
	s_wait_alu 0xfffd
	v_add_co_ci_u32_e64 v118, null, 0, v118, vcc_lo
	s_clause 0x3
	global_load_u16 v63, v[123:124], off
	global_load_u16 v64, v[125:126], off
	;; [unrolled: 1-line block ×4, first 2 shown]
	v_add_co_u32 v119, vcc_lo, v121, v36
	s_wait_alu 0xfffd
	v_add_co_ci_u32_e64 v120, null, 0, v122, vcc_lo
	v_add_co_u32 v121, vcc_lo, v129, v36
	s_wait_alu 0xfffd
	v_add_co_ci_u32_e64 v122, null, 0, v130, vcc_lo
	;; [unrolled: 3-line block ×3, first 2 shown]
	s_clause 0x7
	global_load_b32 v71, v[88:89], off offset:2
	global_load_b32 v76, v[80:81], off offset:2
	global_load_b32 v78, v[113:114], off offset:2
	global_load_b32 v80, v[115:116], off offset:2
	global_load_b32 v81, v[117:118], off offset:2
	global_load_b32 v83, v[119:120], off offset:2
	global_load_b32 v86, v[121:122], off offset:2
	global_load_b32 v30, v[30:31], off offset:2
	s_wait_loadcnt 0xb
	v_cvt_f32_f16_e32 v31, v63
	s_wait_loadcnt 0xa
	v_cvt_f32_f16_e32 v63, v64
	s_wait_loadcnt 0x9
	v_cvt_f32_f16_e32 v64, v65
	s_wait_loadcnt 0x8
	v_cvt_f32_f16_e32 v65, v66
	ds_store_b32 v42, v2
	ds_store_b32 v55, v31
	;; [unrolled: 1-line block ×11, first 2 shown]
	s_wait_loadcnt 0x7
	ds_store_b32 v40, v71
	s_wait_loadcnt 0x6
	ds_store_b32 v11, v76
	s_wait_loadcnt 0x5
	ds_store_b32 v13, v78
	s_wait_loadcnt 0x4
	ds_store_b32 v15, v80
	s_wait_loadcnt 0x3
	ds_store_b32 v85, v81
	s_wait_loadcnt 0x2
	ds_store_b32 v94, v83
	s_wait_loadcnt 0x1
	ds_store_b32 v17, v86
	s_wait_loadcnt 0x0
	ds_store_b32 v18, v30
	ds_store_b32 v58, v65
	s_cbranch_scc0 .LBB138_6
; %bb.8:                                ;   in Loop: Header=BB138_7 Depth=1
	scratch_load_b32 v2, off, off offset:80 ; 4-byte Folded Reload
	v_dual_mov_b32 v97, v16 :: v_dual_mov_b32 v54, v13
	v_dual_mov_b32 v99, v14 :: v_dual_mov_b32 v52, v12
	;; [unrolled: 1-line block ×3, first 2 shown]
	v_mov_b32_e32 v12, v8
	v_mov_b32_e32 v8, v38
	v_dual_mov_b32 v18, v41 :: v_dual_mov_b32 v17, v85
	v_dual_mov_b32 v50, v10 :: v_dual_mov_b32 v13, v9
	;; [unrolled: 1-line block ×4, first 2 shown]
	v_mov_b32_e32 v9, v5
	s_mov_b32 s4, -4
	s_wait_loadcnt 0x0
	v_add_nc_u32_e32 v19, s10, v2
	scratch_load_b64 v[2:3], off, off offset:112 ; 8-byte Folded Reload
	s_wait_loadcnt 0x0
	scratch_load_b32 v3, off, off offset:8  ; 4-byte Folded Reload
	v_add_nc_u32_e32 v2, s10, v2
	s_wait_loadcnt 0x0
	v_add_nc_u32_e32 v30, v19, v3
	scratch_load_b32 v3, off, off offset:12 ; 4-byte Folded Reload
	v_mad_co_u64_u32 v[123:124], null, v2, 36, s[2:3]
	v_mad_co_i64_i32 v[30:31], null, v30, 36, v[20:21]
	s_wait_loadcnt 0x0
	v_add_nc_u32_e32 v34, v19, v3
	scratch_load_b32 v3, off, off offset:16 ; 4-byte Folded Reload
	v_mad_co_i64_i32 v[80:81], null, v34, 36, v[20:21]
	s_wait_loadcnt 0x0
	v_add_nc_u32_e32 v49, v19, v3
	scratch_load_b32 v3, off, off offset:20 ; 4-byte Folded Reload
	;; [unrolled: 4-line block ×6, first 2 shown]
	v_mad_co_i64_i32 v[119:120], null, v59, 36, v[20:21]
	s_wait_loadcnt 0x0
	v_add_nc_u32_e32 v19, v19, v3
	s_delay_alu instid0(VALU_DEP_1)
	v_mad_co_i64_i32 v[121:122], null, v19, 36, v[20:21]
	s_clause 0x8
	global_load_b32 v19, v[115:116], off offset:4
	global_load_b32 v30, v[30:31], off offset:4
	;; [unrolled: 1-line block ×8, first 2 shown]
	global_load_b32 v62, v[123:124], off
	s_clause 0x2
	scratch_load_b32 v113, off, off offset:44
	scratch_load_b32 v114, off, off offset:40
	scratch_load_b32 v3, off, off
	s_wait_loadcnt 0x0
	v_mul_u32_u24_e32 v119, 0x84, v3
	s_clause 0x4
	scratch_load_b32 v115, off, off offset:132
	scratch_load_b32 v116, off, off offset:128
	scratch_load_b32 v117, off, off offset:124
	scratch_load_b32 v118, off, off offset:120
	scratch_load_b32 v3, off, off offset:76
	s_wait_loadcnt 0x0
	ds_store_b32 v3, v19
	scratch_load_b32 v3, off, off offset:48 ; 4-byte Folded Reload
	s_wait_loadcnt 0x0
	ds_store_b32 v3, v30
	scratch_load_b32 v3, off, off offset:52 ; 4-byte Folded Reload
	s_wait_loadcnt 0x0
	ds_store_b32 v3, v31
	scratch_load_b32 v3, off, off offset:56 ; 4-byte Folded Reload
	s_wait_loadcnt 0x0
	ds_store_b32 v3, v34
	scratch_load_b32 v3, off, off offset:60 ; 4-byte Folded Reload
	s_wait_loadcnt 0x0
	ds_store_b32 v3, v49
	scratch_load_b32 v3, off, off offset:64 ; 4-byte Folded Reload
	s_wait_loadcnt 0x0
	ds_store_b32 v3, v59
	scratch_load_b32 v3, off, off offset:68 ; 4-byte Folded Reload
	s_wait_loadcnt 0x0
	ds_store_b32 v3, v60
	scratch_load_b32 v3, off, off offset:72 ; 4-byte Folded Reload
	s_wait_loadcnt 0x0
	ds_store_b32 v3, v61
	scratch_load_b32 v3, off, off offset:4  ; 4-byte Folded Reload
	s_wait_loadcnt 0x0
	ds_store_b32 v3, v62
	s_wait_storecnt_dscnt 0x0
	s_barrier_signal -1
	s_barrier_wait -1
	global_inv scope:SCOPE_SE
.LBB138_9:                              ;   Parent Loop BB138_7 Depth=1
                                        ; =>  This Inner Loop Header: Depth=2
	ds_load_2addr_b32 v[30:31], v113 offset1:3
	ds_load_2addr_b32 v[80:81], v119 offset1:1
	ds_load_2addr_b32 v[88:89], v113 offset0:4 offset1:7
	v_add_nc_u32_e32 v63, 0x2100, v119
	v_add_nc_u32_e32 v132, 0x404, v113
	s_wait_alu 0xfffe
	s_add_co_i32 s4, s4, 4
	s_wait_alu 0xfffe
	s_cmp_lt_u32 s4, 12
	s_wait_dscnt 0x2
	v_lshrrev_b16 v19, 8, v30
	s_wait_dscnt 0x1
	v_and_b32_e32 v123, 15, v80
	v_bfe_u32 v124, v80, 8, 4
	v_bfe_u32 v121, v80, 16, 4
	;; [unrolled: 1-line block ×3, first 2 shown]
	v_bfe_i32 v120, v19, 0, 8
	v_bfe_i32 v19, v30, 0, 8
	v_bfe_i32 v49, v30, 16, 8
	v_ashrrev_i32_e32 v59, 24, v30
	v_bfe_u32 v156, v80, 4, 4
	v_bfe_u32 v157, v80, 12, 4
	v_mul_i32_i24_e32 v34, v19, v123
	v_mul_i32_i24_e32 v30, v49, v121
	;; [unrolled: 1-line block ×3, first 2 shown]
	v_bfe_u32 v165, v80, 20, 4
	v_lshrrev_b32_e32 v164, 28, v80
	v_mad_i32_i24 v34, v120, v124, v34
	v_bfe_u32 v174, v81, 8, 4
	v_bfe_u32 v171, v81, 24, 4
	v_and_b32_e32 v168, 15, v81
	v_ashrrev_i32_e32 v227, 24, v31
	v_add3_u32 v30, v34, v30, v60
	s_wait_dscnt 0x0
	v_lshrrev_b16 v34, 8, v88
	v_bfe_i32 v60, v88, 0, 8
	v_ashrrev_i32_e32 v255, 24, v89
	v_bfe_i32 v248, v31, 16, 8
	v_bfe_i32 v32, v89, 16, 8
	;; [unrolled: 1-line block ×3, first 2 shown]
	v_mul_i32_i24_e32 v61, v60, v156
	v_bfe_i32 v222, v31, 0, 8
	v_bfe_i32 v67, v89, 0, 8
	v_bfe_u32 v185, v81, 16, 4
	v_mul_i32_i24_e32 v62, v34, v157
	v_bfe_u32 v202, v81, 20, 4
	s_delay_alu instid0(VALU_DEP_2)
	v_add3_u32 v61, v30, v62, v61
	v_add_nc_u32_e32 v30, 0x1080, v119
	v_add_nc_u32_e32 v62, 0x1088, v119
	ds_load_2addr_b32 v[159:160], v30 offset1:1
	ds_load_2addr_b32 v[182:183], v62 offset1:1
	;; [unrolled: 1-line block ×3, first 2 shown]
	v_ashrrev_i32_e32 v62, 24, v88
	s_wait_dscnt 0x2
	v_lshrrev_b32_e32 v151, 28, v159
	v_bfe_u32 v125, v159, 24, 4
	v_bfe_u32 v149, v160, 24, 4
	v_lshrrev_b32_e32 v139, 28, v160
	v_bfe_u32 v154, v159, 20, 4
	v_mul_i32_i24_e32 v30, v151, v62
	v_bfe_u32 v126, v159, 16, 4
	v_bfe_u32 v144, v160, 16, 4
	v_bfe_u32 v137, v160, 20, 4
	v_bfe_u32 v158, v159, 4, 4
	v_mad_i32_i24 v63, v125, v59, v30
	ds_load_b32 v30, v116
	ds_load_2addr_b32 v[161:162], v113 offset0:1 offset1:2
	ds_load_2addr_b32 v[194:195], v113 offset0:5 offset1:6
	v_and_b32_e32 v127, 15, v159
	v_and_b32_e32 v147, 15, v160
	v_bfe_u32 v141, v160, 4, 4
	s_wait_dscnt 0x3
	v_and_b32_e32 v130, 15, v190
	v_bfe_u32 v131, v190, 8, 4
	v_bfe_u32 v128, v190, 16, 4
	;; [unrolled: 1-line block ×6, first 2 shown]
	v_lshrrev_b32_e32 v170, 28, v190
	v_mul_i32_i24_e32 v101, v59, v129
	v_bfe_u32 v155, v182, 24, 4
	v_lshrrev_b32_e32 v146, 28, v182
	v_and_b32_e32 v152, 15, v182
	v_bfe_u32 v150, v182, 4, 4
	v_bfe_u32 v153, v182, 16, 4
	;; [unrolled: 1-line block ×3, first 2 shown]
	s_wait_dscnt 0x1
	v_ashrrev_i32_e32 v64, 24, v161
	s_wait_dscnt 0x0
	v_ashrrev_i32_e32 v65, 24, v194
	v_bfe_i32 v76, v161, 16, 8
	v_bfe_i32 v78, v194, 16, 8
	v_ashrrev_i32_e32 v192, 24, v162
	v_mul_i32_i24_e32 v66, v64, v149
	v_mul_i32_i24_e32 v71, v65, v139
	;; [unrolled: 1-line block ×4, first 2 shown]
	v_ashrrev_i32_e32 v196, 24, v195
	v_bfe_i32 v211, v162, 0, 8
	v_add3_u32 v63, v63, v66, v71
	v_bfe_i32 v66, v88, 16, 8
	v_bfe_i32 v88, v194, 0, 8
	;; [unrolled: 1-line block ×5, first 2 shown]
	v_mul_i32_i24_e32 v71, v154, v66
	v_mul_i32_i24_e32 v100, v88, v141
	v_bfe_u32 v177, v191, 8, 4
	v_bfe_u32 v178, v191, 24, 4
	v_bfe_i32 v193, v161, 8, 8
	v_mad_i32_i24 v71, v126, v49, v71
	v_bfe_u32 v148, v183, 24, 4
	v_and_b32_e32 v186, 15, v191
	v_bfe_u32 v187, v191, 16, 4
	v_bfe_i32 v213, v162, 8, 8
	v_add3_u32 v71, v71, v83, v86
	v_mul_i32_i24_e32 v83, v158, v60
	v_bfe_i32 v86, v161, 0, 8
	v_bfe_i32 v210, v194, 8, 8
	v_lshrrev_b32_e32 v198, 28, v191
	v_bfe_u32 v204, v191, 20, 4
	v_mad_i32_i24 v83, v127, v19, v83
	v_mul_i32_i24_e32 v90, v86, v147
	v_add_nc_u32_e32 v116, 4, v116
	s_delay_alu instid0(VALU_DEP_2) | instskip(SKIP_2) | instid1(VALU_DEP_2)
	v_add3_u32 v83, v83, v90, v100
	v_mul_i32_i24_e32 v90, v19, v130
	v_mul_i32_i24_e32 v100, v49, v128
	v_mad_i32_i24 v90, v120, v131, v90
	s_delay_alu instid0(VALU_DEP_1)
	v_add3_u32 v90, v90, v100, v101
	v_add_nc_u32_e32 v100, 0x3180, v119
	v_add_nc_u32_e32 v101, 0x3188, v119
	ds_load_2addr_b32 v[200:201], v100 offset1:1
	ds_load_2addr_b32 v[252:253], v101 offset1:1
	ds_load_2addr_b32 v[205:206], v132 offset1:1
	s_wait_dscnt 0x2
	v_and_b32_e32 v134, 15, v200
	v_bfe_u32 v132, v200, 16, 4
	v_bfe_u32 v133, v200, 24, 4
	;; [unrolled: 1-line block ×4, first 2 shown]
	v_mul_i32_i24_e32 v19, v19, v134
	v_mul_i32_i24_e32 v49, v49, v132
	;; [unrolled: 1-line block ×3, first 2 shown]
	v_bfe_u32 v172, v200, 4, 4
	v_bfe_u32 v175, v200, 20, 4
	v_mad_i32_i24 v19, v120, v135, v19
	v_lshrrev_b32_e32 v176, 28, v200
	s_wait_dscnt 0x0
	v_ashrrev_i32_e32 v203, 24, v205
	v_bfe_u32 v180, v201, 8, 4
	v_bfe_u32 v181, v201, 24, 4
	v_add3_u32 v19, v19, v49, v59
	v_add_nc_u32_e32 v49, 0x400, v113
	v_bfe_u32 v189, v201, 16, 4
	v_bfe_u32 v199, v201, 4, 4
	v_lshrrev_b32_e32 v200, 28, v201
	v_bfe_u32 v207, v201, 20, 4
	ds_load_2addr_b32 v[246:247], v49 offset0:4 offset1:7
	v_bfe_u32 v225, v252, 8, 4
	v_bfe_u32 v226, v252, 24, 4
	v_and_b32_e32 v235, 15, v252
	v_bfe_u32 v236, v252, 16, 4
	v_bfe_u32 v239, v252, 4, 4
	v_lshrrev_b32_e32 v240, 28, v252
	v_bfe_u32 v244, v252, 12, 4
	v_bfe_u32 v243, v252, 20, 4
	;; [unrolled: 1-line block ×3, first 2 shown]
	v_and_b32_e32 v249, 15, v253
	v_bfe_u32 v250, v253, 16, 4
	v_bfe_u32 v251, v253, 4, 4
	v_lshrrev_b32_e32 v252, 28, v253
	v_bfe_u32 v254, v253, 12, 4
	s_wait_dscnt 0x0
	v_bfe_i32 v59, v246, 8, 8
	v_bfe_i32 v100, v246, 0, 8
	;; [unrolled: 1-line block ×3, first 2 shown]
	v_ashrrev_i32_e32 v184, 24, v246
	v_bfe_u32 v246, v253, 24, 4
	v_mul_i32_i24_e32 v101, v59, v157
	v_bfe_u32 v253, v253, 20, 4
	v_mul_i32_i24_e32 v136, v80, v165
	v_mul_i32_i24_e32 v138, v184, v164
	v_mul_i32_i24_e32 v140, v184, v170
	v_mad_i32_i24 v101, v100, v156, v101
	v_mul_i32_i24_e32 v142, v184, v176
	s_delay_alu instid0(VALU_DEP_2) | instskip(SKIP_2) | instid1(VALU_DEP_2)
	v_add3_u32 v101, v101, v136, v138
	v_mul_i32_i24_e32 v136, v59, v167
	v_mul_i32_i24_e32 v138, v80, v169
	v_mad_i32_i24 v136, v100, v166, v136
	s_delay_alu instid0(VALU_DEP_1) | instskip(SKIP_3) | instid1(VALU_DEP_3)
	v_add3_u32 v136, v136, v138, v140
	v_mul_i32_i24_e32 v138, v59, v173
	v_mul_i32_i24_e32 v140, v80, v175
	;; [unrolled: 1-line block ×3, first 2 shown]
	v_mad_i32_i24 v138, v100, v172, v138
	s_delay_alu instid0(VALU_DEP_1) | instskip(SKIP_2) | instid1(VALU_DEP_1)
	v_add3_u32 v138, v138, v140, v142
	v_mul_i32_i24_e32 v140, v66, v165
	v_mul_i32_i24_e32 v142, v62, v164
	v_add3_u32 v61, v61, v140, v142
	v_mul_i32_i24_e32 v140, v192, v155
	v_mul_i32_i24_e32 v142, v196, v146
	s_delay_alu instid0(VALU_DEP_1) | instskip(SKIP_2) | instid1(VALU_DEP_1)
	v_add3_u32 v63, v63, v140, v142
	v_mul_i32_i24_e32 v140, v211, v152
	v_mul_i32_i24_e32 v142, v216, v150
	v_add3_u32 v83, v83, v140, v142
	v_mul_i32_i24_e32 v140, v219, v153
	v_mul_i32_i24_e32 v142, v220, v143
	s_delay_alu instid0(VALU_DEP_1) | instskip(SKIP_3) | instid1(VALU_DEP_2)
	v_add3_u32 v71, v71, v140, v142
	v_mul_i32_i24_e32 v140, v60, v166
	v_mul_i32_i24_e32 v142, v34, v167
	;; [unrolled: 1-line block ×3, first 2 shown]
	v_add3_u32 v90, v90, v142, v140
	v_mul_i32_i24_e32 v140, v34, v173
	v_mul_i32_i24_e32 v142, v203, v171
	s_delay_alu instid0(VALU_DEP_2) | instskip(SKIP_1) | instid1(VALU_DEP_1)
	v_add3_u32 v19, v19, v140, v60
	v_bfe_i32 v60, v205, 8, 8
	v_mul_i32_i24_e32 v140, v60, v174
	s_delay_alu instid0(VALU_DEP_1) | instskip(SKIP_2) | instid1(VALU_DEP_1)
	v_add3_u32 v101, v101, v142, v140
	v_mul_i32_i24_e32 v140, v60, v177
	v_mul_i32_i24_e32 v142, v203, v178
	v_add3_u32 v188, v136, v142, v140
	v_mul_i32_i24_e32 v136, v60, v180
	v_mul_i32_i24_e32 v140, v203, v181
	v_bfe_u32 v142, v183, 16, 4
	s_delay_alu instid0(VALU_DEP_2) | instskip(SKIP_4) | instid1(VALU_DEP_3)
	v_add3_u32 v190, v138, v140, v136
	v_mul_i32_i24_e32 v136, v193, v174
	v_mul_i32_i24_e32 v138, v86, v168
	v_and_b32_e32 v140, 0xf0f0f0f, v160
	v_lshrrev_b32_e32 v160, 4, v160
	v_add3_u32 v61, v61, v136, v138
	v_lshrrev_b32_e32 v138, 4, v159
	v_and_b32_e32 v136, 0xf0f0f0f, v159
	v_lshrrev_b16 v140, 8, v140
	v_lshrrev_b16 v160, 8, v160
	s_delay_alu instid0(VALU_DEP_4) | instskip(NEXT) | instid1(VALU_DEP_4)
	v_lshrrev_b16 v138, 8, v138
	v_lshrrev_b16 v136, 8, v136
	s_delay_alu instid0(VALU_DEP_4) | instskip(NEXT) | instid1(VALU_DEP_4)
	v_and_b32_e32 v163, 0xffff, v140
	v_and_b32_e32 v160, 15, v160
	s_delay_alu instid0(VALU_DEP_4) | instskip(NEXT) | instid1(VALU_DEP_4)
	v_and_b32_e32 v138, 15, v138
	v_and_b32_e32 v136, 0xffff, v136
	s_delay_alu instid0(VALU_DEP_4) | instskip(NEXT) | instid1(VALU_DEP_4)
	v_mul_i32_i24_e32 v60, v60, v163
	v_and_b32_e32 v162, 0xffff, v160
	s_delay_alu instid0(VALU_DEP_4) | instskip(NEXT) | instid1(VALU_DEP_4)
	v_and_b32_e32 v179, 0xffff, v138
	v_mul_i32_i24_e32 v120, v136, v120
	v_mul_i32_i24_e32 v138, v193, v163
	s_delay_alu instid0(VALU_DEP_4) | instskip(NEXT) | instid1(VALU_DEP_4)
	v_mul_i32_i24_e32 v194, v210, v162
	v_mul_i32_i24_e32 v34, v179, v34
	v_mul_i32_i24_e32 v59, v179, v59
	s_delay_alu instid0(VALU_DEP_2) | instskip(SKIP_2) | instid1(VALU_DEP_4)
	v_add3_u32 v34, v120, v34, v138
	v_lshrrev_b32_e32 v138, 28, v183
	v_mul_i32_i24_e32 v120, v227, v148
	v_mad_i32_i24 v59, v158, v100, v59
	v_mul_i32_i24_e32 v100, v151, v184
	v_bfe_i32 v184, v195, 8, 8
	v_mul_i32_i24_e32 v140, v255, v138
	v_bfe_i32 v195, v31, 8, 8
	v_lshrrev_b32_e32 v31, 4, v182
	v_add3_u32 v59, v59, v80, v100
	s_delay_alu instid0(VALU_DEP_4) | instskip(SKIP_3) | instid1(VALU_DEP_3)
	v_add3_u32 v63, v63, v120, v140
	v_bfe_u32 v120, v183, 20, 4
	v_mul_i32_i24_e32 v140, v248, v142
	v_lshrrev_b16 v31, 8, v31
	v_mul_i32_i24_e32 v145, v32, v120
	s_delay_alu instid0(VALU_DEP_2) | instskip(NEXT) | instid1(VALU_DEP_2)
	v_and_b32_e32 v31, 15, v31
	v_add3_u32 v71, v71, v140, v145
	v_and_b32_e32 v145, 15, v183
	v_bfe_u32 v140, v183, 4, 4
	s_delay_alu instid0(VALU_DEP_2) | instskip(NEXT) | instid1(VALU_DEP_2)
	v_mul_i32_i24_e32 v159, v222, v145
	v_mul_i32_i24_e32 v161, v67, v140
	s_delay_alu instid0(VALU_DEP_1) | instskip(SKIP_4) | instid1(VALU_DEP_3)
	v_add3_u32 v83, v83, v159, v161
	v_mul_i32_i24_e32 v159, v66, v169
	v_mul_i32_i24_e32 v161, v62, v170
	;; [unrolled: 1-line block ×4, first 2 shown]
	v_add3_u32 v90, v90, v159, v161
	s_delay_alu instid0(VALU_DEP_2) | instskip(SKIP_3) | instid1(VALU_DEP_3)
	v_add3_u32 v19, v19, v66, v62
	v_bfe_i32 v62, v205, 0, 8
	v_bfe_i32 v66, v205, 16, 8
	v_bfe_u32 v205, v191, 12, 4
	v_mul_i32_i24_e32 v159, v62, v168
	s_delay_alu instid0(VALU_DEP_3) | instskip(SKIP_1) | instid1(VALU_DEP_2)
	v_mul_i32_i24_e32 v161, v66, v185
	v_mul_i32_i24_e32 v197, v66, v189
	v_add3_u32 v101, v101, v159, v161
	v_mul_i32_i24_e32 v159, v62, v186
	v_mul_i32_i24_e32 v161, v66, v187
	;; [unrolled: 1-line block ×3, first 2 shown]
	s_delay_alu instid0(VALU_DEP_2) | instskip(SKIP_1) | instid1(VALU_DEP_1)
	v_add3_u32 v159, v188, v159, v161
	v_and_b32_e32 v188, 15, v201
	v_mul_i32_i24_e32 v161, v62, v188
	v_mul_i32_i24_e32 v62, v62, v147
	s_delay_alu instid0(VALU_DEP_2) | instskip(SKIP_2) | instid1(VALU_DEP_1)
	v_add3_u32 v190, v190, v161, v197
	v_mul_i32_i24_e32 v161, v76, v185
	v_mul_i32_i24_e32 v197, v64, v171
	v_add3_u32 v61, v61, v161, v197
	v_and_b32_e32 v161, 0xf0f0f0f, v182
	s_delay_alu instid0(VALU_DEP_1) | instskip(NEXT) | instid1(VALU_DEP_1)
	v_lshrrev_b16 v161, 8, v161
	v_and_b32_e32 v161, 0xffff, v161
	s_delay_alu instid0(VALU_DEP_1) | instskip(NEXT) | instid1(VALU_DEP_1)
	v_mul_i32_i24_e32 v160, v213, v161
	v_add3_u32 v34, v34, v194, v160
	v_mul_i32_i24_e32 v160, v86, v186
	v_mul_i32_i24_e32 v194, v193, v177
	;; [unrolled: 1-line block ×3, first 2 shown]
	s_delay_alu instid0(VALU_DEP_2) | instskip(SKIP_3) | instid1(VALU_DEP_3)
	v_add3_u32 v90, v90, v194, v160
	v_mul_i32_i24_e32 v160, v193, v180
	v_bfe_u32 v194, v81, 4, 4
	v_lshrrev_b32_e32 v193, 28, v81
	v_add3_u32 v19, v19, v160, v86
	v_add_nc_u32_e32 v86, 0x414, v113
	ds_load_2addr_b32 v[208:209], v86 offset1:1
	s_wait_dscnt 0x0
	v_bfe_i32 v86, v208, 0, 8
	v_ashrrev_i32_e32 v215, 24, v208
	s_delay_alu instid0(VALU_DEP_2) | instskip(NEXT) | instid1(VALU_DEP_2)
	v_mul_i32_i24_e32 v160, v86, v194
	v_mul_i32_i24_e32 v197, v215, v193
	;; [unrolled: 1-line block ×3, first 2 shown]
	s_delay_alu instid0(VALU_DEP_2) | instskip(SKIP_2) | instid1(VALU_DEP_2)
	v_add3_u32 v101, v101, v197, v160
	v_bfe_u32 v197, v191, 4, 4
	v_bfe_i32 v191, v89, 8, 8
	v_mul_i32_i24_e32 v80, v86, v197
	s_delay_alu instid0(VALU_DEP_1) | instskip(SKIP_2) | instid1(VALU_DEP_1)
	v_add3_u32 v80, v159, v100, v80
	v_mul_i32_i24_e32 v100, v86, v199
	v_mul_i32_i24_e32 v159, v215, v200
	v_add3_u32 v100, v190, v159, v100
	v_bfe_u32 v190, v81, 12, 4
	v_mul_i32_i24_e32 v159, v88, v194
	s_delay_alu instid0(VALU_DEP_2) | instskip(NEXT) | instid1(VALU_DEP_1)
	v_mul_i32_i24_e32 v160, v210, v190
	v_add3_u32 v61, v61, v159, v160
	v_and_b32_e32 v159, 0xf0f0f0f, v183
	v_and_b32_e32 v160, 0xffff, v31
	s_delay_alu instid0(VALU_DEP_2) | instskip(NEXT) | instid1(VALU_DEP_2)
	v_lshrrev_b16 v159, 8, v159
	v_mul_i32_i24_e32 v182, v184, v160
	s_delay_alu instid0(VALU_DEP_2) | instskip(NEXT) | instid1(VALU_DEP_1)
	v_and_b32_e32 v159, 0xffff, v159
	v_mul_i32_i24_e32 v31, v195, v159
	s_delay_alu instid0(VALU_DEP_1) | instskip(SKIP_3) | instid1(VALU_DEP_2)
	v_add3_u32 v34, v34, v182, v31
	v_mul_i32_i24_e32 v31, v76, v187
	v_mul_i32_i24_e32 v182, v64, v178
	;; [unrolled: 1-line block ×3, first 2 shown]
	v_add3_u32 v90, v90, v31, v182
	v_mul_i32_i24_e32 v31, v76, v189
	v_bfe_i32 v76, v208, 16, 8
	v_ashrrev_i32_e32 v182, 24, v206
	s_delay_alu instid0(VALU_DEP_3) | instskip(SKIP_1) | instid1(VALU_DEP_4)
	v_add3_u32 v19, v19, v31, v64
	v_bfe_i32 v64, v208, 8, 8
	v_mul_i32_i24_e32 v81, v76, v202
	v_bfe_u32 v208, v201, 12, 4
	s_delay_alu instid0(VALU_DEP_3) | instskip(NEXT) | instid1(VALU_DEP_1)
	v_mul_i32_i24_e32 v31, v64, v190
	v_add3_u32 v101, v101, v31, v81
	v_mul_i32_i24_e32 v31, v203, v149
	s_delay_alu instid0(VALU_DEP_4) | instskip(NEXT) | instid1(VALU_DEP_2)
	v_mul_i32_i24_e32 v81, v210, v208
	v_add3_u32 v59, v59, v31, v60
	v_mul_i32_i24_e32 v31, v64, v205
	v_mul_i32_i24_e32 v60, v76, v204
	s_delay_alu instid0(VALU_DEP_3) | instskip(SKIP_1) | instid1(VALU_DEP_3)
	v_add3_u32 v59, v59, v62, v66
	v_add_nc_u32_e32 v62, 0x2108, v119
	v_add3_u32 v60, v80, v31, v60
	v_mul_i32_i24_e32 v31, v64, v208
	v_mul_i32_i24_e32 v80, v76, v207
	;; [unrolled: 1-line block ×4, first 2 shown]
	s_delay_alu instid0(VALU_DEP_3) | instskip(SKIP_2) | instid1(VALU_DEP_1)
	v_add3_u32 v100, v100, v31, v80
	v_mul_i32_i24_e32 v31, v78, v202
	v_mul_i32_i24_e32 v80, v65, v193
	v_add3_u32 v61, v61, v31, v80
	v_lshrrev_b32_e32 v31, 4, v183
	s_delay_alu instid0(VALU_DEP_1) | instskip(NEXT) | instid1(VALU_DEP_1)
	v_lshrrev_b16 v31, 8, v31
	v_and_b32_e32 v31, 15, v31
	s_delay_alu instid0(VALU_DEP_1) | instskip(NEXT) | instid1(VALU_DEP_1)
	v_and_b32_e32 v31, 0xffff, v31
	v_mul_i32_i24_e32 v80, v191, v31
	s_delay_alu instid0(VALU_DEP_1) | instskip(SKIP_2) | instid1(VALU_DEP_3)
	v_add3_u32 v34, v34, v80, v63
	v_mul_i32_i24_e32 v63, v88, v197
	v_mul_i32_i24_e32 v80, v210, v205
	v_add3_u32 v34, v83, v71, v34
	v_mul_i32_i24_e32 v71, v65, v198
	s_delay_alu instid0(VALU_DEP_3)
	v_add3_u32 v63, v90, v63, v80
	v_mul_i32_i24_e32 v80, v88, v199
	v_bfe_i32 v90, v206, 8, 8
	v_mul_i32_i24_e32 v65, v65, v200
	v_mul_i32_i24_e32 v83, v215, v139
	v_cvt_f32_i32_e32 v34, v34
	v_add3_u32 v19, v19, v80, v81
	ds_load_2addr_b32 v[80:81], v119 offset0:2 offset1:3
	v_add_nc_u32_e32 v119, 16, v119
	s_wait_dscnt 0x0
	v_bfe_u32 v212, v80, 8, 4
	v_bfe_u32 v210, v80, 24, 4
	v_and_b32_e32 v203, 15, v80
	v_bfe_u32 v214, v80, 16, 4
	v_bfe_u32 v215, v80, 4, 4
	v_mul_i32_i24_e32 v88, v90, v212
	v_mul_i32_i24_e32 v89, v182, v210
	v_bfe_u32 v221, v80, 20, 4
	v_bfe_u32 v228, v81, 4, 4
	s_delay_alu instid0(VALU_DEP_3)
	v_add3_u32 v101, v101, v89, v88
	ds_load_2addr_b32 v[88:89], v62 offset1:1
	s_wait_dscnt 0x0
	v_bfe_u32 v217, v88, 8, 4
	v_bfe_u32 v218, v88, 24, 4
	v_and_b32_e32 v223, 15, v88
	v_bfe_u32 v224, v88, 16, 4
	v_bfe_u32 v229, v88, 4, 4
	v_mul_i32_i24_e32 v62, v90, v217
	v_mul_i32_i24_e32 v66, v182, v218
	v_lshrrev_b32_e32 v230, 28, v88
	v_bfe_u32 v232, v88, 12, 4
	v_bfe_u32 v231, v88, 20, 4
	;; [unrolled: 1-line block ×3, first 2 shown]
	v_add3_u32 v60, v60, v66, v62
	v_mul_i32_i24_e32 v62, v90, v225
	v_mul_i32_i24_e32 v66, v182, v226
	v_bfe_u32 v234, v89, 24, 4
	v_and_b32_e32 v237, 15, v89
	v_bfe_u32 v238, v89, 16, 4
	v_bfe_u32 v241, v89, 4, 4
	v_add3_u32 v62, v100, v66, v62
	v_mul_i32_i24_e32 v66, v213, v212
	v_mul_i32_i24_e32 v100, v211, v203
	v_lshrrev_b32_e32 v242, 28, v89
	s_delay_alu instid0(VALU_DEP_2) | instskip(SKIP_1) | instid1(VALU_DEP_1)
	v_add3_u32 v61, v61, v66, v100
	v_mul_i32_i24_e32 v66, v78, v204
	v_add3_u32 v63, v63, v66, v71
	v_mul_i32_i24_e32 v66, v78, v207
	s_delay_alu instid0(VALU_DEP_1) | instskip(SKIP_3) | instid1(VALU_DEP_3)
	v_add3_u32 v19, v19, v66, v65
	v_bfe_i32 v65, v206, 0, 8
	v_bfe_i32 v66, v206, 16, 8
	v_bfe_u32 v206, v80, 12, 4
	v_mul_i32_i24_e32 v71, v65, v203
	s_delay_alu instid0(VALU_DEP_3) | instskip(NEXT) | instid1(VALU_DEP_1)
	v_mul_i32_i24_e32 v78, v66, v214
	v_add3_u32 v71, v101, v71, v78
	v_mul_i32_i24_e32 v78, v86, v141
	s_delay_alu instid0(VALU_DEP_1) | instskip(SKIP_2) | instid1(VALU_DEP_3)
	v_add3_u32 v59, v59, v83, v78
	v_mul_i32_i24_e32 v78, v65, v223
	v_mul_i32_i24_e32 v83, v66, v224
	v_add3_u32 v59, v59, v64, v76
	s_delay_alu instid0(VALU_DEP_2) | instskip(SKIP_4) | instid1(VALU_DEP_3)
	v_add3_u32 v60, v60, v78, v83
	v_mul_i32_i24_e32 v78, v65, v235
	v_mul_i32_i24_e32 v83, v66, v236
	;; [unrolled: 1-line block ×4, first 2 shown]
	v_add3_u32 v62, v62, v78, v83
	v_mul_i32_i24_e32 v78, v219, v214
	v_mul_i32_i24_e32 v83, v192, v210
	s_delay_alu instid0(VALU_DEP_1) | instskip(SKIP_2) | instid1(VALU_DEP_1)
	v_add3_u32 v61, v61, v78, v83
	v_mul_i32_i24_e32 v78, v211, v223
	v_mul_i32_i24_e32 v83, v213, v217
	v_add3_u32 v63, v63, v83, v78
	v_mul_i32_i24_e32 v78, v211, v235
	v_mul_i32_i24_e32 v83, v213, v225
	v_lshrrev_b32_e32 v213, 28, v80
	v_bfe_u32 v211, v81, 12, 4
	s_delay_alu instid0(VALU_DEP_3) | instskip(SKIP_2) | instid1(VALU_DEP_2)
	v_add3_u32 v19, v19, v83, v78
	v_bfe_i32 v78, v209, 0, 8
	v_ashrrev_i32_e32 v83, 24, v209
	v_mul_i32_i24_e32 v64, v78, v229
	s_delay_alu instid0(VALU_DEP_2) | instskip(SKIP_2) | instid1(VALU_DEP_3)
	v_mul_i32_i24_e32 v76, v83, v230
	v_mul_i32_i24_e32 v86, v78, v215
	v_mul_i32_i24_e32 v100, v83, v213
	v_add3_u32 v60, v60, v76, v64
	v_mul_i32_i24_e32 v64, v78, v239
	v_mul_i32_i24_e32 v76, v83, v240
	s_delay_alu instid0(VALU_DEP_4) | instskip(SKIP_2) | instid1(VALU_DEP_4)
	v_add3_u32 v71, v71, v100, v86
	v_mul_i32_i24_e32 v78, v78, v150
	v_mul_i32_i24_e32 v83, v83, v146
	v_add3_u32 v62, v62, v76, v64
	v_mul_i32_i24_e32 v64, v216, v215
	v_mul_i32_i24_e32 v76, v184, v206
	s_delay_alu instid0(VALU_DEP_1) | instskip(SKIP_2) | instid1(VALU_DEP_1)
	v_add3_u32 v61, v61, v64, v76
	v_mul_i32_i24_e32 v64, v219, v224
	v_mul_i32_i24_e32 v76, v192, v218
	v_add3_u32 v63, v63, v64, v76
	v_mul_i32_i24_e32 v64, v219, v236
	v_mul_i32_i24_e32 v76, v192, v226
	v_bfe_u32 v219, v81, 8, 4
	s_delay_alu instid0(VALU_DEP_2) | instskip(SKIP_3) | instid1(VALU_DEP_3)
	v_add3_u32 v19, v19, v64, v76
	v_bfe_i32 v64, v209, 8, 8
	v_bfe_i32 v76, v209, 16, 8
	v_and_b32_e32 v209, 15, v81
	v_mul_i32_i24_e32 v80, v64, v206
	s_delay_alu instid0(VALU_DEP_3) | instskip(NEXT) | instid1(VALU_DEP_1)
	v_mul_i32_i24_e32 v86, v76, v221
	v_add3_u32 v71, v71, v80, v86
	v_mul_i32_i24_e32 v80, v182, v155
	v_mul_i32_i24_e32 v86, v90, v161
	ds_load_2addr_b32 v[182:183], v49 offset1:3
	v_add3_u32 v59, v59, v80, v86
	v_mul_i32_i24_e32 v80, v64, v232
	v_mul_i32_i24_e32 v86, v76, v231
	s_delay_alu instid0(VALU_DEP_3) | instskip(NEXT) | instid1(VALU_DEP_2)
	v_add3_u32 v59, v59, v65, v66
	v_add3_u32 v60, v60, v80, v86
	v_mul_i32_i24_e32 v80, v64, v244
	v_mul_i32_i24_e32 v86, v76, v243
	s_delay_alu instid0(VALU_DEP_4) | instskip(SKIP_2) | instid1(VALU_DEP_4)
	v_add3_u32 v59, v59, v83, v78
	v_mul_i32_i24_e32 v76, v76, v143
	v_mul_i32_i24_e32 v64, v64, v160
	v_add3_u32 v62, v62, v80, v86
	v_mul_i32_i24_e32 v80, v220, v221
	v_mul_i32_i24_e32 v86, v196, v213
	s_wait_dscnt 0x0
	v_bfe_i32 v49, v183, 8, 8
	v_add3_u32 v59, v59, v64, v76
	s_delay_alu instid0(VALU_DEP_3) | instskip(SKIP_3) | instid1(VALU_DEP_2)
	v_add3_u32 v61, v61, v80, v86
	v_mul_i32_i24_e32 v80, v216, v229
	v_mul_i32_i24_e32 v86, v184, v232
	;; [unrolled: 1-line block ×3, first 2 shown]
	v_add3_u32 v63, v63, v80, v86
	v_mul_i32_i24_e32 v80, v216, v239
	v_mul_i32_i24_e32 v86, v184, v244
	v_bfe_u32 v216, v81, 24, 4
	s_delay_alu instid0(VALU_DEP_2) | instskip(SKIP_2) | instid1(VALU_DEP_2)
	v_add3_u32 v19, v19, v80, v86
	v_ashrrev_i32_e32 v80, 24, v183
	v_mul_i32_i24_e32 v86, v49, v219
	v_mul_i32_i24_e32 v66, v80, v234
	;; [unrolled: 1-line block ×3, first 2 shown]
	s_delay_alu instid0(VALU_DEP_2)
	v_add3_u32 v60, v60, v66, v65
	v_mul_i32_i24_e32 v65, v49, v245
	v_mul_i32_i24_e32 v66, v80, v246
	;; [unrolled: 1-line block ×4, first 2 shown]
	v_add3_u32 v71, v71, v88, v86
	s_delay_alu instid0(VALU_DEP_4) | instskip(SKIP_3) | instid1(VALU_DEP_2)
	v_add3_u32 v62, v62, v66, v65
	v_mul_i32_i24_e32 v65, v195, v219
	v_mul_i32_i24_e32 v66, v222, v209
	v_add3_u32 v49, v59, v80, v49
	v_add3_u32 v61, v61, v65, v66
	v_mul_i32_i24_e32 v65, v220, v231
	v_mul_i32_i24_e32 v66, v196, v230
	s_delay_alu instid0(VALU_DEP_1) | instskip(SKIP_3) | instid1(VALU_DEP_2)
	v_add3_u32 v63, v63, v65, v66
	v_mul_i32_i24_e32 v65, v220, v243
	v_mul_i32_i24_e32 v66, v196, v240
	v_bfe_u32 v220, v81, 16, 4
	v_add3_u32 v19, v19, v65, v66
	v_bfe_i32 v65, v183, 0, 8
	v_bfe_i32 v66, v183, 16, 8
	s_delay_alu instid0(VALU_DEP_2) | instskip(NEXT) | instid1(VALU_DEP_2)
	v_mul_i32_i24_e32 v78, v65, v237
	v_mul_i32_i24_e32 v83, v66, v238
	;; [unrolled: 1-line block ×4, first 2 shown]
	s_delay_alu instid0(VALU_DEP_3)
	v_add3_u32 v60, v60, v78, v83
	v_mul_i32_i24_e32 v78, v65, v249
	v_mul_i32_i24_e32 v83, v66, v250
	;; [unrolled: 1-line block ×4, first 2 shown]
	v_add3_u32 v71, v71, v86, v88
	s_delay_alu instid0(VALU_DEP_4) | instskip(SKIP_3) | instid1(VALU_DEP_2)
	v_add3_u32 v62, v62, v78, v83
	v_mul_i32_i24_e32 v78, v248, v220
	v_mul_i32_i24_e32 v83, v227, v216
	v_add3_u32 v49, v49, v65, v66
	v_add3_u32 v61, v61, v78, v83
	v_mul_i32_i24_e32 v78, v222, v237
	v_mul_i32_i24_e32 v83, v195, v233
	s_delay_alu instid0(VALU_DEP_1) | instskip(SKIP_3) | instid1(VALU_DEP_2)
	v_add3_u32 v63, v63, v83, v78
	v_mul_i32_i24_e32 v78, v222, v249
	v_mul_i32_i24_e32 v83, v195, v245
	v_lshrrev_b32_e32 v222, 28, v81
	v_add3_u32 v19, v19, v83, v78
	v_bfe_i32 v78, v247, 0, 8
	v_ashrrev_i32_e32 v83, 24, v247
	s_delay_alu instid0(VALU_DEP_2) | instskip(NEXT) | instid1(VALU_DEP_2)
	v_mul_i32_i24_e32 v64, v78, v241
	v_mul_i32_i24_e32 v76, v83, v242
	;; [unrolled: 1-line block ×4, first 2 shown]
	s_delay_alu instid0(VALU_DEP_3) | instskip(SKIP_2) | instid1(VALU_DEP_4)
	v_add3_u32 v60, v60, v76, v64
	v_mul_i32_i24_e32 v64, v78, v251
	v_mul_i32_i24_e32 v76, v83, v252
	v_add3_u32 v71, v71, v88, v86
	s_delay_alu instid0(VALU_DEP_2) | instskip(SKIP_2) | instid1(VALU_DEP_1)
	v_add3_u32 v62, v62, v76, v64
	v_mul_i32_i24_e32 v64, v67, v228
	v_mul_i32_i24_e32 v76, v191, v211
	v_add3_u32 v61, v61, v64, v76
	v_mul_i32_i24_e32 v64, v248, v238
	v_mul_i32_i24_e32 v76, v227, v234
	s_delay_alu instid0(VALU_DEP_1) | instskip(SKIP_4) | instid1(VALU_DEP_3)
	v_add3_u32 v63, v63, v64, v76
	v_mul_i32_i24_e32 v64, v248, v250
	v_mul_i32_i24_e32 v76, v227, v246
	v_bfe_u32 v248, v89, 12, 4
	v_bfe_u32 v227, v81, 20, 4
	v_add3_u32 v19, v19, v64, v76
	v_bfe_i32 v64, v247, 8, 8
	v_bfe_i32 v76, v247, 16, 8
	v_bfe_u32 v247, v89, 20, 4
	s_delay_alu instid0(VALU_DEP_3) | instskip(SKIP_1) | instid1(VALU_DEP_3)
	v_mul_i32_i24_e32 v59, v64, v248
	v_mul_i32_i24_e32 v81, v64, v211
	;; [unrolled: 1-line block ×4, first 2 shown]
	s_delay_alu instid0(VALU_DEP_2) | instskip(SKIP_2) | instid1(VALU_DEP_4)
	v_add3_u32 v59, v60, v59, v80
	v_mul_i32_i24_e32 v60, v64, v254
	v_mul_i32_i24_e32 v80, v76, v253
	v_add3_u32 v71, v71, v81, v86
	v_mul_i32_i24_e32 v64, v64, v31
	s_delay_alu instid0(VALU_DEP_3) | instskip(SKIP_2) | instid1(VALU_DEP_1)
	v_add3_u32 v60, v62, v60, v80
	v_mul_i32_i24_e32 v62, v67, v241
	v_mul_i32_i24_e32 v80, v191, v248
	v_add3_u32 v62, v63, v62, v80
	v_mul_i32_i24_e32 v63, v67, v251
	v_mul_i32_i24_e32 v67, v191, v254
	s_delay_alu instid0(VALU_DEP_1) | instskip(SKIP_2) | instid1(VALU_DEP_2)
	v_add3_u32 v19, v19, v63, v67
	v_bfe_i32 v63, v182, 0, 8
	v_bfe_i32 v67, v182, 8, 8
	v_mul_i32_i24_e32 v65, v63, v130
	s_delay_alu instid0(VALU_DEP_2) | instskip(SKIP_2) | instid1(VALU_DEP_3)
	v_mul_i32_i24_e32 v66, v67, v131
	v_mul_i32_i24_e32 v80, v63, v123
	;; [unrolled: 1-line block ×3, first 2 shown]
	v_add3_u32 v59, v59, v65, v66
	v_mul_i32_i24_e32 v65, v63, v134
	v_mul_i32_i24_e32 v66, v67, v135
	s_delay_alu instid0(VALU_DEP_4)
	v_add3_u32 v71, v71, v80, v81
	v_mul_i32_i24_e32 v80, v32, v227
	v_mul_i32_i24_e32 v81, v255, v222
	;; [unrolled: 1-line block ×3, first 2 shown]
	v_add3_u32 v60, v60, v65, v66
	v_mul_i32_i24_e32 v65, v32, v247
	v_mul_i32_i24_e32 v66, v255, v242
	;; [unrolled: 1-line block ×3, first 2 shown]
	v_add3_u32 v61, v61, v80, v81
	s_delay_alu instid0(VALU_DEP_3) | instskip(SKIP_1) | instid1(VALU_DEP_1)
	v_add3_u32 v62, v62, v65, v66
	v_mul_i32_i24_e32 v65, v255, v252
	v_add3_u32 v19, v19, v32, v65
	v_bfe_i32 v32, v182, 16, 8
	v_ashrrev_i32_e32 v65, 24, v182
	s_delay_alu instid0(VALU_DEP_3) | instskip(NEXT) | instid1(VALU_DEP_3)
	v_cvt_f32_i32_e32 v19, v19
	v_mul_i32_i24_e32 v66, v32, v121
	s_delay_alu instid0(VALU_DEP_3) | instskip(NEXT) | instid1(VALU_DEP_1)
	v_mul_i32_i24_e32 v80, v65, v122
	v_add3_u32 v66, v71, v66, v80
	v_mul_i32_i24_e32 v71, v78, v140
	v_mul_i32_i24_e32 v78, v83, v138
	ds_load_2addr_b32 v[80:81], v114 offset1:32
	v_add3_u32 v49, v49, v78, v71
	v_mul_i32_i24_e32 v71, v32, v128
	v_mul_i32_i24_e32 v78, v65, v129
	s_delay_alu instid0(VALU_DEP_1) | instskip(SKIP_3) | instid1(VALU_DEP_2)
	v_add3_u32 v59, v59, v71, v78
	v_mul_i32_i24_e32 v71, v32, v132
	v_mul_i32_i24_e32 v78, v65, v133
	;; [unrolled: 1-line block ×3, first 2 shown]
	v_add3_u32 v60, v60, v71, v78
	v_mul_i32_i24_e32 v71, v76, v120
	v_add_nc_u32_e32 v76, 0xc00, v113
	s_delay_alu instid0(VALU_DEP_2) | instskip(SKIP_4) | instid1(VALU_DEP_1)
	v_add3_u32 v49, v49, v64, v71
	v_mul_i32_i24_e32 v64, v136, v67
	ds_load_2addr_b32 v[88:89], v76 offset0:4 offset1:7
	v_add3_u32 v49, v49, v63, v64
	v_mul_i32_i24_e32 v63, v125, v65
	v_add3_u32 v32, v49, v32, v63
	s_wait_dscnt 0x1
	v_lshrrev_b32_e32 v49, 16, v80
	v_add_nc_u32_e32 v63, 0xc04, v113
	s_delay_alu instid0(VALU_DEP_3) | instskip(NEXT) | instid1(VALU_DEP_3)
	v_cvt_f32_i32_e32 v32, v32
	v_cvt_f32_f16_e32 v49, v49
	s_wait_dscnt 0x0
	v_bfe_i32 v78, v88, 8, 8
	s_delay_alu instid0(VALU_DEP_2) | instskip(SKIP_2) | instid1(VALU_DEP_3)
	v_mul_f32_e32 v49, 0x41000000, v49
	v_bfe_i32 v83, v88, 16, 8
	v_ashrrev_i32_e32 v86, 24, v88
	v_fma_mix_f32 v183, v80, v19, -v49 op_sel_hi:[1,0,0]
	v_lshrrev_b32_e32 v19, 16, v81
	v_fma_mix_f32 v182, v80, v34, -v49 op_sel_hi:[1,0,0]
	v_cvt_f32_i32_e32 v34, v61
	v_cvt_f32_i32_e32 v61, v62
	s_delay_alu instid0(VALU_DEP_4) | instskip(NEXT) | instid1(VALU_DEP_4)
	v_cvt_f32_f16_e32 v19, v19
	v_fmac_f32_e32 v1, v30, v182
	s_delay_alu instid0(VALU_DEP_4) | instskip(NEXT) | instid1(VALU_DEP_4)
	v_fma_mix_f32 v195, v80, v34, -v49 op_sel_hi:[1,0,0]
	v_fma_mix_f32 v191, v80, v61, -v49 op_sel_hi:[1,0,0]
	v_cvt_f32_i32_e32 v34, v66
	v_mul_f32_e32 v19, 0x41000000, v19
	v_cvt_f32_i32_e32 v49, v59
	v_cvt_f32_i32_e32 v59, v60
	s_delay_alu instid0(VALU_DEP_3) | instskip(NEXT) | instid1(VALU_DEP_3)
	v_fma_mix_f32 v201, v81, v34, -v19 op_sel_hi:[1,0,0]
	v_fma_mix_f32 v196, v81, v49, -v19 op_sel_hi:[1,0,0]
	s_delay_alu instid0(VALU_DEP_3) | instskip(SKIP_1) | instid1(VALU_DEP_1)
	v_fma_mix_f32 v192, v81, v59, -v19 op_sel_hi:[1,0,0]
	v_fma_mix_f32 v184, v81, v32, -v19 op_sel_hi:[1,0,0]
	v_dual_fmac_f32 v98, v30, v184 :: v_dual_add_nc_u32 v19, 0x800, v113
	ds_load_2addr_b32 v[80:81], v19 offset0:4 offset1:7
	s_wait_dscnt 0x0
	v_bfe_i32 v32, v80, 8, 8
	v_bfe_i32 v34, v80, 0, 8
	;; [unrolled: 1-line block ×3, first 2 shown]
	v_ashrrev_i32_e32 v66, 24, v80
	v_bfe_i32 v80, v88, 0, 8
	v_mul_i32_i24_e32 v49, v32, v157
	s_delay_alu instid0(VALU_DEP_4) | instskip(NEXT) | instid1(VALU_DEP_4)
	v_mul_i32_i24_e32 v59, v65, v165
	v_mul_i32_i24_e32 v60, v66, v164
	;; [unrolled: 1-line block ×3, first 2 shown]
	s_delay_alu instid0(VALU_DEP_4) | instskip(NEXT) | instid1(VALU_DEP_1)
	v_mad_i32_i24 v49, v34, v156, v49
	v_add3_u32 v49, v49, v59, v60
	v_mul_i32_i24_e32 v59, v32, v167
	v_mul_i32_i24_e32 v60, v65, v169
	s_delay_alu instid0(VALU_DEP_2) | instskip(NEXT) | instid1(VALU_DEP_1)
	v_mad_i32_i24 v59, v34, v166, v59
	v_add3_u32 v67, v59, v60, v61
	v_mul_i32_i24_e32 v59, v32, v173
	v_mul_i32_i24_e32 v60, v65, v175
	;; [unrolled: 1-line block ×4, first 2 shown]
	s_delay_alu instid0(VALU_DEP_4) | instskip(NEXT) | instid1(VALU_DEP_2)
	v_mad_i32_i24 v59, v34, v172, v59
	v_mad_i32_i24 v32, v158, v34, v32
	v_mul_i32_i24_e32 v34, v154, v65
	s_delay_alu instid0(VALU_DEP_3) | instskip(SKIP_3) | instid1(VALU_DEP_3)
	v_add3_u32 v71, v59, v60, v61
	v_mul_i32_i24_e32 v59, v78, v157
	v_mul_i32_i24_e32 v60, v83, v165
	;; [unrolled: 1-line block ×3, first 2 shown]
	v_mad_i32_i24 v59, v80, v156, v59
	s_delay_alu instid0(VALU_DEP_1) | instskip(SKIP_3) | instid1(VALU_DEP_3)
	v_add3_u32 v88, v59, v60, v61
	v_mul_i32_i24_e32 v59, v78, v167
	v_mul_i32_i24_e32 v60, v83, v169
	v_mul_i32_i24_e32 v61, v86, v170
	v_mad_i32_i24 v59, v80, v166, v59
	s_delay_alu instid0(VALU_DEP_1) | instskip(SKIP_4) | instid1(VALU_DEP_4)
	v_add3_u32 v90, v59, v60, v61
	v_mul_i32_i24_e32 v59, v78, v173
	v_mul_i32_i24_e32 v60, v83, v175
	;; [unrolled: 1-line block ×4, first 2 shown]
	v_mad_i32_i24 v59, v80, v172, v59
	s_delay_alu instid0(VALU_DEP_2) | instskip(SKIP_1) | instid1(VALU_DEP_3)
	v_mad_i32_i24 v78, v158, v80, v78
	v_mul_i32_i24_e32 v80, v154, v83
	v_add3_u32 v100, v59, v60, v61
	v_add_nc_u32_e32 v59, 0x804, v113
	v_add_nc_u32_e32 v61, 0x814, v113
	ds_load_2addr_b32 v[59:60], v59 offset1:1
	ds_load_2addr_b32 v[61:62], v61 offset1:1
	;; [unrolled: 1-line block ×3, first 2 shown]
	v_mul_i32_i24_e32 v83, v151, v86
	s_delay_alu instid0(VALU_DEP_1) | instskip(SKIP_3) | instid1(VALU_DEP_2)
	v_add3_u32 v78, v78, v80, v83
	s_wait_dscnt 0x2
	v_bfe_i32 v101, v59, 8, 8
	v_ashrrev_i32_e32 v255, 24, v59
	v_mul_i32_i24_e32 v102, v101, v174
	s_delay_alu instid0(VALU_DEP_2) | instskip(NEXT) | instid1(VALU_DEP_1)
	v_mul_i32_i24_e32 v103, v255, v171
	v_add3_u32 v49, v49, v103, v102
	v_mul_i32_i24_e32 v102, v101, v177
	v_mul_i32_i24_e32 v103, v255, v178
	s_delay_alu instid0(VALU_DEP_1) | instskip(SKIP_2) | instid1(VALU_DEP_1)
	v_add3_u32 v67, v67, v103, v102
	v_mul_i32_i24_e32 v102, v101, v180
	v_mul_i32_i24_e32 v103, v255, v181
	v_add3_u32 v71, v71, v103, v102
	s_wait_dscnt 0x0
	v_bfe_i32 v102, v63, 8, 8
	v_ashrrev_i32_e32 v103, 24, v63
	s_delay_alu instid0(VALU_DEP_2) | instskip(NEXT) | instid1(VALU_DEP_2)
	v_mul_i32_i24_e32 v104, v102, v174
	v_mul_i32_i24_e32 v106, v103, v171
	s_delay_alu instid0(VALU_DEP_1) | instskip(SKIP_2) | instid1(VALU_DEP_1)
	v_add3_u32 v88, v88, v106, v104
	v_mul_i32_i24_e32 v104, v102, v177
	v_mul_i32_i24_e32 v106, v103, v178
	v_add3_u32 v90, v90, v106, v104
	v_mul_i32_i24_e32 v104, v102, v180
	v_mul_i32_i24_e32 v106, v103, v181
	s_delay_alu instid0(VALU_DEP_1) | instskip(SKIP_2) | instid1(VALU_DEP_2)
	v_add3_u32 v100, v100, v106, v104
	v_bfe_i32 v104, v59, 0, 8
	v_bfe_i32 v59, v59, 16, 8
	v_mul_i32_i24_e32 v106, v104, v168
	s_delay_alu instid0(VALU_DEP_2) | instskip(NEXT) | instid1(VALU_DEP_1)
	v_mul_i32_i24_e32 v108, v59, v185
	v_add3_u32 v49, v49, v106, v108
	v_mul_i32_i24_e32 v106, v104, v186
	v_mul_i32_i24_e32 v108, v59, v187
	s_delay_alu instid0(VALU_DEP_1) | instskip(SKIP_3) | instid1(VALU_DEP_2)
	v_add3_u32 v67, v67, v106, v108
	v_mul_i32_i24_e32 v106, v104, v188
	v_mul_i32_i24_e32 v108, v59, v189
	;; [unrolled: 1-line block ×3, first 2 shown]
	v_add3_u32 v71, v71, v106, v108
	v_bfe_i32 v106, v63, 0, 8
	v_bfe_i32 v63, v63, 16, 8
	s_delay_alu instid0(VALU_DEP_2) | instskip(NEXT) | instid1(VALU_DEP_2)
	v_mul_i32_i24_e32 v108, v106, v168
	v_mul_i32_i24_e32 v110, v63, v185
	s_delay_alu instid0(VALU_DEP_1) | instskip(SKIP_2) | instid1(VALU_DEP_1)
	v_add3_u32 v88, v88, v108, v110
	v_mul_i32_i24_e32 v108, v106, v186
	v_mul_i32_i24_e32 v110, v63, v187
	v_add3_u32 v90, v90, v108, v110
	v_mul_i32_i24_e32 v108, v106, v188
	v_mul_i32_i24_e32 v110, v63, v189
	v_mul_i32_i24_e32 v63, v63, v144
	s_delay_alu instid0(VALU_DEP_2) | instskip(SKIP_2) | instid1(VALU_DEP_2)
	v_add3_u32 v100, v100, v108, v110
	v_bfe_i32 v108, v61, 0, 8
	v_ashrrev_i32_e32 v110, 24, v61
	v_mul_i32_i24_e32 v85, v108, v194
	s_delay_alu instid0(VALU_DEP_2) | instskip(SKIP_1) | instid1(VALU_DEP_2)
	v_mul_i32_i24_e32 v33, v110, v193
	v_mul_i32_i24_e32 v65, v110, v200
	v_add3_u32 v33, v49, v33, v85
	v_mul_i32_i24_e32 v49, v151, v66
	s_delay_alu instid0(VALU_DEP_1) | instskip(SKIP_2) | instid1(VALU_DEP_1)
	v_add3_u32 v32, v32, v34, v49
	v_mul_i32_i24_e32 v34, v108, v197
	v_mul_i32_i24_e32 v49, v110, v198
	v_add3_u32 v34, v67, v49, v34
	v_mul_i32_i24_e32 v49, v108, v199
	s_delay_alu instid0(VALU_DEP_1)
	v_add3_u32 v49, v71, v65, v49
	v_add_nc_u32_e32 v65, 0xc14, v113
	ds_load_2addr_b32 v[65:66], v65 offset1:1
	s_wait_dscnt 0x0
	v_bfe_i32 v67, v65, 0, 8
	v_ashrrev_i32_e32 v71, 24, v65
	s_delay_alu instid0(VALU_DEP_2) | instskip(NEXT) | instid1(VALU_DEP_2)
	v_mul_i32_i24_e32 v85, v67, v194
	v_mul_i32_i24_e32 v37, v71, v193
	v_mul_i32_i24_e32 v80, v67, v197
	v_mul_i32_i24_e32 v83, v71, v198
	s_delay_alu instid0(VALU_DEP_3) | instskip(SKIP_1) | instid1(VALU_DEP_3)
	v_add3_u32 v37, v88, v37, v85
	v_mul_i32_i24_e32 v85, v71, v200
	v_add3_u32 v80, v90, v83, v80
	v_mul_i32_i24_e32 v83, v67, v199
	s_delay_alu instid0(VALU_DEP_1) | instskip(SKIP_2) | instid1(VALU_DEP_2)
	v_add3_u32 v83, v100, v85, v83
	v_bfe_i32 v85, v61, 8, 8
	v_bfe_i32 v61, v61, 16, 8
	v_mul_i32_i24_e32 v86, v85, v190
	s_delay_alu instid0(VALU_DEP_2) | instskip(NEXT) | instid1(VALU_DEP_1)
	v_mul_i32_i24_e32 v88, v61, v202
	v_add3_u32 v33, v33, v86, v88
	v_mul_i32_i24_e32 v86, v255, v149
	v_mul_i32_i24_e32 v88, v101, v163
	s_delay_alu instid0(VALU_DEP_1) | instskip(SKIP_2) | instid1(VALU_DEP_1)
	v_add3_u32 v32, v32, v86, v88
	v_mul_i32_i24_e32 v86, v85, v205
	v_mul_i32_i24_e32 v88, v61, v204
	v_add3_u32 v34, v34, v86, v88
	v_mul_i32_i24_e32 v86, v85, v208
	v_mul_i32_i24_e32 v88, v61, v207
	;; [unrolled: 1-line block ×3, first 2 shown]
	s_delay_alu instid0(VALU_DEP_2) | instskip(SKIP_2) | instid1(VALU_DEP_2)
	v_add3_u32 v49, v49, v86, v88
	v_bfe_i32 v86, v65, 8, 8
	v_bfe_i32 v65, v65, 16, 8
	v_mul_i32_i24_e32 v88, v86, v190
	s_delay_alu instid0(VALU_DEP_2) | instskip(NEXT) | instid1(VALU_DEP_1)
	v_mul_i32_i24_e32 v90, v65, v202
	v_add3_u32 v37, v37, v88, v90
	v_mul_i32_i24_e32 v88, v103, v149
	v_mul_i32_i24_e32 v90, v102, v163
	s_delay_alu instid0(VALU_DEP_1) | instskip(SKIP_2) | instid1(VALU_DEP_1)
	v_add3_u32 v78, v78, v88, v90
	v_mul_i32_i24_e32 v88, v86, v205
	v_mul_i32_i24_e32 v90, v65, v204
	v_add3_u32 v80, v80, v88, v90
	v_mul_i32_i24_e32 v88, v86, v208
	v_mul_i32_i24_e32 v90, v65, v207
	s_delay_alu instid0(VALU_DEP_1) | instskip(SKIP_2) | instid1(VALU_DEP_2)
	v_add3_u32 v83, v83, v88, v90
	v_bfe_i32 v88, v60, 8, 8
	v_ashrrev_i32_e32 v90, 24, v60
	v_mul_i32_i24_e32 v100, v88, v212
	s_delay_alu instid0(VALU_DEP_2) | instskip(NEXT) | instid1(VALU_DEP_1)
	v_mul_i32_i24_e32 v101, v90, v210
	v_add3_u32 v33, v33, v101, v100
	v_mul_i32_i24_e32 v100, v104, v147
	s_delay_alu instid0(VALU_DEP_1) | instskip(SKIP_2) | instid1(VALU_DEP_1)
	v_add3_u32 v32, v32, v100, v59
	v_mul_i32_i24_e32 v59, v88, v217
	v_mul_i32_i24_e32 v100, v90, v218
	v_add3_u32 v34, v34, v100, v59
	v_mul_i32_i24_e32 v59, v88, v225
	v_mul_i32_i24_e32 v100, v90, v226
	s_delay_alu instid0(VALU_DEP_1) | instskip(SKIP_2) | instid1(VALU_DEP_2)
	v_add3_u32 v49, v49, v100, v59
	v_bfe_i32 v59, v64, 8, 8
	v_ashrrev_i32_e32 v100, 24, v64
	v_mul_i32_i24_e32 v101, v59, v212
	s_delay_alu instid0(VALU_DEP_2) | instskip(NEXT) | instid1(VALU_DEP_1)
	v_mul_i32_i24_e32 v102, v100, v210
	v_add3_u32 v37, v37, v102, v101
	v_mul_i32_i24_e32 v101, v106, v147
	s_delay_alu instid0(VALU_DEP_1) | instskip(SKIP_2) | instid1(VALU_DEP_1)
	v_add3_u32 v63, v78, v101, v63
	v_mul_i32_i24_e32 v78, v59, v217
	v_mul_i32_i24_e32 v101, v100, v218
	v_add3_u32 v78, v80, v101, v78
	v_mul_i32_i24_e32 v80, v59, v225
	v_mul_i32_i24_e32 v101, v100, v226
	;; [unrolled: 1-line block ×3, first 2 shown]
	s_delay_alu instid0(VALU_DEP_2) | instskip(SKIP_2) | instid1(VALU_DEP_2)
	v_add3_u32 v80, v83, v101, v80
	v_bfe_i32 v83, v60, 0, 8
	v_bfe_i32 v101, v60, 16, 8
	v_mul_i32_i24_e32 v60, v83, v203
	s_delay_alu instid0(VALU_DEP_2) | instskip(NEXT) | instid1(VALU_DEP_1)
	v_mul_i32_i24_e32 v102, v101, v214
	v_add3_u32 v33, v33, v60, v102
	v_mul_i32_i24_e32 v60, v108, v141
	v_mul_i32_i24_e32 v102, v110, v139
	s_delay_alu instid0(VALU_DEP_1) | instskip(SKIP_2) | instid1(VALU_DEP_1)
	v_add3_u32 v32, v32, v102, v60
	v_mul_i32_i24_e32 v60, v83, v223
	v_mul_i32_i24_e32 v102, v101, v224
	v_add3_u32 v34, v34, v60, v102
	v_mul_i32_i24_e32 v60, v83, v235
	v_mul_i32_i24_e32 v102, v101, v236
	s_delay_alu instid0(VALU_DEP_1) | instskip(SKIP_2) | instid1(VALU_DEP_2)
	v_add3_u32 v49, v49, v60, v102
	v_bfe_i32 v102, v64, 0, 8
	v_bfe_i32 v64, v64, 16, 8
	v_mul_i32_i24_e32 v60, v102, v203
	s_delay_alu instid0(VALU_DEP_2) | instskip(NEXT) | instid1(VALU_DEP_1)
	v_mul_i32_i24_e32 v103, v64, v214
	v_add3_u32 v37, v37, v60, v103
	v_mul_i32_i24_e32 v60, v67, v141
	v_mul_i32_i24_e32 v67, v71, v139
	v_mul_i32_i24_e32 v71, v64, v236
	s_delay_alu instid0(VALU_DEP_2) | instskip(SKIP_3) | instid1(VALU_DEP_2)
	v_add3_u32 v60, v63, v67, v60
	v_mul_i32_i24_e32 v63, v102, v223
	v_mul_i32_i24_e32 v67, v64, v224
	;; [unrolled: 1-line block ×3, first 2 shown]
	v_add3_u32 v63, v78, v63, v67
	v_mul_i32_i24_e32 v67, v102, v235
	v_ashrrev_i32_e32 v78, 24, v62
	s_delay_alu instid0(VALU_DEP_2) | instskip(SKIP_1) | instid1(VALU_DEP_3)
	v_add3_u32 v67, v80, v67, v71
	v_bfe_i32 v71, v62, 0, 8
	v_mul_i32_i24_e32 v103, v78, v213
	s_delay_alu instid0(VALU_DEP_2) | instskip(NEXT) | instid1(VALU_DEP_1)
	v_mul_i32_i24_e32 v80, v71, v215
	v_add3_u32 v33, v33, v103, v80
	v_mul_i32_i24_e32 v80, v85, v162
	v_ashrrev_i32_e32 v85, 24, v66
	s_delay_alu instid0(VALU_DEP_2) | instskip(SKIP_2) | instid1(VALU_DEP_4)
	v_add3_u32 v32, v32, v80, v61
	v_mul_i32_i24_e32 v61, v71, v229
	v_mul_i32_i24_e32 v80, v78, v230
	;; [unrolled: 1-line block ×3, first 2 shown]
	s_delay_alu instid0(VALU_DEP_2) | instskip(SKIP_4) | instid1(VALU_DEP_3)
	v_add3_u32 v34, v34, v80, v61
	v_mul_i32_i24_e32 v61, v71, v239
	v_mul_i32_i24_e32 v80, v78, v240
	;; [unrolled: 1-line block ×4, first 2 shown]
	v_add3_u32 v49, v49, v80, v61
	v_bfe_i32 v80, v66, 0, 8
	s_delay_alu instid0(VALU_DEP_1) | instskip(NEXT) | instid1(VALU_DEP_1)
	v_mul_i32_i24_e32 v61, v80, v215
	v_add3_u32 v37, v37, v103, v61
	v_mul_i32_i24_e32 v61, v65, v137
	v_mul_i32_i24_e32 v65, v86, v162
	s_delay_alu instid0(VALU_DEP_1) | instskip(SKIP_2) | instid1(VALU_DEP_1)
	v_add3_u32 v60, v60, v65, v61
	v_mul_i32_i24_e32 v61, v80, v229
	v_mul_i32_i24_e32 v65, v85, v230
	v_add3_u32 v61, v63, v65, v61
	v_mul_i32_i24_e32 v63, v80, v239
	v_mul_i32_i24_e32 v65, v85, v240
	s_delay_alu instid0(VALU_DEP_1) | instskip(SKIP_2) | instid1(VALU_DEP_2)
	v_add3_u32 v63, v67, v65, v63
	v_bfe_i32 v65, v62, 8, 8
	v_bfe_i32 v67, v62, 16, 8
	v_mul_i32_i24_e32 v62, v65, v206
	s_delay_alu instid0(VALU_DEP_2) | instskip(NEXT) | instid1(VALU_DEP_1)
	v_mul_i32_i24_e32 v86, v67, v221
	v_add3_u32 v33, v33, v62, v86
	v_mul_i32_i24_e32 v62, v90, v155
	v_mul_i32_i24_e32 v86, v88, v161
	s_delay_alu instid0(VALU_DEP_1) | instskip(SKIP_2) | instid1(VALU_DEP_1)
	v_add3_u32 v32, v32, v62, v86
	v_mul_i32_i24_e32 v62, v65, v232
	v_mul_i32_i24_e32 v86, v67, v231
	v_add3_u32 v34, v34, v62, v86
	v_mul_i32_i24_e32 v62, v65, v244
	v_mul_i32_i24_e32 v86, v67, v243
	;; [unrolled: 1-line block ×4, first 2 shown]
	s_delay_alu instid0(VALU_DEP_3) | instskip(SKIP_2) | instid1(VALU_DEP_2)
	v_add3_u32 v49, v49, v62, v86
	v_bfe_i32 v86, v66, 8, 8
	v_bfe_i32 v66, v66, 16, 8
	v_mul_i32_i24_e32 v62, v86, v206
	s_delay_alu instid0(VALU_DEP_2) | instskip(NEXT) | instid1(VALU_DEP_1)
	v_mul_i32_i24_e32 v88, v66, v221
	v_add3_u32 v37, v37, v62, v88
	v_mul_i32_i24_e32 v62, v100, v155
	s_delay_alu instid0(VALU_DEP_1) | instskip(SKIP_2) | instid1(VALU_DEP_1)
	v_add3_u32 v88, v60, v62, v59
	v_mul_i32_i24_e32 v59, v86, v232
	v_mul_i32_i24_e32 v60, v66, v231
	v_add3_u32 v90, v61, v59, v60
	v_mul_i32_i24_e32 v59, v86, v244
	v_mul_i32_i24_e32 v60, v66, v243
	v_mul_i32_i24_e32 v66, v66, v143
	v_mul_i32_i24_e32 v86, v86, v160
	s_delay_alu instid0(VALU_DEP_3) | instskip(SKIP_4) | instid1(VALU_DEP_2)
	v_add3_u32 v63, v63, v59, v60
	ds_load_2addr_b32 v[59:60], v19 offset1:3
	s_wait_dscnt 0x0
	v_bfe_i32 v19, v60, 8, 8
	v_ashrrev_i32_e32 v100, 24, v60
	v_mul_i32_i24_e32 v61, v19, v219
	s_delay_alu instid0(VALU_DEP_2) | instskip(NEXT) | instid1(VALU_DEP_1)
	v_mul_i32_i24_e32 v62, v100, v216
	v_add3_u32 v33, v33, v62, v61
	v_mul_i32_i24_e32 v61, v83, v152
	v_mul_i32_i24_e32 v62, v101, v153
	s_delay_alu instid0(VALU_DEP_1) | instskip(SKIP_2) | instid1(VALU_DEP_3)
	v_add3_u32 v32, v32, v61, v62
	v_mul_i32_i24_e32 v61, v19, v233
	v_mul_i32_i24_e32 v62, v100, v234
	v_add3_u32 v32, v32, v78, v71
	s_delay_alu instid0(VALU_DEP_2) | instskip(SKIP_2) | instid1(VALU_DEP_4)
	v_add3_u32 v34, v34, v62, v61
	v_mul_i32_i24_e32 v61, v19, v245
	v_mul_i32_i24_e32 v62, v100, v246
	v_add3_u32 v32, v32, v65, v67
	v_mul_i32_i24_e32 v19, v19, v159
	s_delay_alu instid0(VALU_DEP_3) | instskip(SKIP_4) | instid1(VALU_DEP_2)
	v_add3_u32 v49, v49, v62, v61
	ds_load_2addr_b32 v[61:62], v76 offset1:3
	s_wait_dscnt 0x0
	v_bfe_i32 v76, v62, 8, 8
	v_ashrrev_i32_e32 v83, 24, v62
	v_mul_i32_i24_e32 v101, v76, v219
	s_delay_alu instid0(VALU_DEP_2) | instskip(NEXT) | instid1(VALU_DEP_1)
	v_mul_i32_i24_e32 v103, v83, v216
	v_add3_u32 v37, v37, v103, v101
	v_mul_i32_i24_e32 v101, v102, v152
	s_delay_alu instid0(VALU_DEP_1) | instskip(SKIP_2) | instid1(VALU_DEP_1)
	v_add3_u32 v64, v88, v101, v64
	v_mul_i32_i24_e32 v88, v76, v233
	v_mul_i32_i24_e32 v101, v83, v234
	v_add3_u32 v88, v90, v101, v88
	v_mul_i32_i24_e32 v90, v76, v245
	v_mul_i32_i24_e32 v101, v83, v246
	;; [unrolled: 1-line block ×4, first 2 shown]
	s_delay_alu instid0(VALU_DEP_3) | instskip(SKIP_2) | instid1(VALU_DEP_2)
	v_add3_u32 v63, v63, v101, v90
	v_bfe_i32 v90, v60, 0, 8
	v_bfe_i32 v60, v60, 16, 8
	v_mul_i32_i24_e32 v71, v90, v237
	s_delay_alu instid0(VALU_DEP_2) | instskip(SKIP_2) | instid1(VALU_DEP_3)
	v_mul_i32_i24_e32 v78, v60, v238
	v_mul_i32_i24_e32 v101, v90, v209
	;; [unrolled: 1-line block ×3, first 2 shown]
	v_add3_u32 v34, v34, v71, v78
	v_mul_i32_i24_e32 v71, v90, v249
	v_mul_i32_i24_e32 v78, v60, v250
	s_delay_alu instid0(VALU_DEP_4) | instskip(SKIP_1) | instid1(VALU_DEP_3)
	v_add3_u32 v33, v33, v101, v102
	v_mul_i32_i24_e32 v60, v60, v142
	v_add3_u32 v49, v49, v71, v78
	v_bfe_i32 v71, v62, 0, 8
	v_bfe_i32 v62, v62, 16, 8
	s_delay_alu instid0(VALU_DEP_2) | instskip(NEXT) | instid1(VALU_DEP_2)
	v_mul_i32_i24_e32 v78, v71, v209
	v_mul_i32_i24_e32 v101, v62, v220
	s_delay_alu instid0(VALU_DEP_1) | instskip(SKIP_3) | instid1(VALU_DEP_2)
	v_add3_u32 v37, v37, v78, v101
	v_mul_i32_i24_e32 v78, v80, v150
	v_mul_i32_i24_e32 v80, v85, v146
	;; [unrolled: 1-line block ×3, first 2 shown]
	v_add3_u32 v64, v64, v80, v78
	v_mul_i32_i24_e32 v78, v71, v237
	v_mul_i32_i24_e32 v80, v62, v238
	;; [unrolled: 1-line block ×3, first 2 shown]
	s_delay_alu instid0(VALU_DEP_4) | instskip(NEXT) | instid1(VALU_DEP_3)
	v_add3_u32 v64, v64, v86, v66
	v_add3_u32 v78, v88, v78, v80
	v_mul_i32_i24_e32 v80, v71, v249
	v_mul_i32_i24_e32 v71, v71, v145
	s_delay_alu instid0(VALU_DEP_4) | instskip(NEXT) | instid1(VALU_DEP_3)
	v_add3_u32 v64, v64, v83, v76
	v_add3_u32 v63, v63, v80, v85
	v_bfe_i32 v80, v81, 0, 8
	v_ashrrev_i32_e32 v85, 24, v81
	s_delay_alu instid0(VALU_DEP_4) | instskip(NEXT) | instid1(VALU_DEP_3)
	v_add3_u32 v62, v64, v71, v62
	v_mul_i32_i24_e32 v65, v80, v241
	s_delay_alu instid0(VALU_DEP_3) | instskip(SKIP_2) | instid1(VALU_DEP_3)
	v_mul_i32_i24_e32 v67, v85, v242
	v_mul_i32_i24_e32 v88, v80, v228
	;; [unrolled: 1-line block ×3, first 2 shown]
	v_add3_u32 v34, v34, v67, v65
	v_mul_i32_i24_e32 v65, v80, v251
	v_mul_i32_i24_e32 v67, v85, v252
	s_delay_alu instid0(VALU_DEP_4) | instskip(NEXT) | instid1(VALU_DEP_2)
	v_add3_u32 v33, v33, v101, v88
	v_add3_u32 v49, v49, v67, v65
	v_bfe_i32 v65, v89, 0, 8
	v_ashrrev_i32_e32 v67, 24, v89
	s_delay_alu instid0(VALU_DEP_2) | instskip(NEXT) | instid1(VALU_DEP_2)
	v_mul_i32_i24_e32 v66, v65, v241
	v_mul_i32_i24_e32 v86, v67, v242
	;; [unrolled: 1-line block ×4, first 2 shown]
	s_delay_alu instid0(VALU_DEP_3) | instskip(SKIP_2) | instid1(VALU_DEP_4)
	v_add3_u32 v66, v78, v86, v66
	v_mul_i32_i24_e32 v78, v65, v251
	v_mul_i32_i24_e32 v86, v67, v252
	v_add3_u32 v37, v37, v101, v88
	v_mul_i32_i24_e32 v65, v65, v140
	v_mul_i32_i24_e32 v67, v67, v138
	s_delay_alu instid0(VALU_DEP_4) | instskip(SKIP_2) | instid1(VALU_DEP_4)
	v_add3_u32 v63, v63, v86, v78
	v_bfe_i32 v78, v81, 8, 8
	v_bfe_i32 v81, v81, 16, 8
	v_add3_u32 v62, v62, v67, v65
	s_delay_alu instid0(VALU_DEP_3) | instskip(NEXT) | instid1(VALU_DEP_3)
	v_mul_i32_i24_e32 v86, v78, v211
	v_mul_i32_i24_e32 v88, v81, v227
	s_delay_alu instid0(VALU_DEP_1) | instskip(SKIP_1) | instid1(VALU_DEP_1)
	v_add3_u32 v33, v33, v86, v88
	v_mul_i32_i24_e32 v86, v100, v148
	v_add3_u32 v19, v32, v86, v19
	v_mul_i32_i24_e32 v32, v78, v248
	v_mul_i32_i24_e32 v86, v81, v247
	s_delay_alu instid0(VALU_DEP_1) | instskip(SKIP_2) | instid1(VALU_DEP_1)
	v_add3_u32 v32, v34, v32, v86
	v_mul_i32_i24_e32 v34, v78, v254
	v_mul_i32_i24_e32 v86, v81, v253
	v_add3_u32 v34, v49, v34, v86
	v_bfe_i32 v49, v89, 8, 8
	v_bfe_i32 v86, v89, 16, 8
	s_delay_alu instid0(VALU_DEP_2) | instskip(NEXT) | instid1(VALU_DEP_2)
	v_mul_i32_i24_e32 v76, v49, v248
	v_mul_i32_i24_e32 v83, v86, v247
	;; [unrolled: 1-line block ×4, first 2 shown]
	s_delay_alu instid0(VALU_DEP_3) | instskip(SKIP_2) | instid1(VALU_DEP_4)
	v_add3_u32 v66, v66, v76, v83
	v_mul_i32_i24_e32 v76, v49, v254
	v_mul_i32_i24_e32 v83, v86, v253
	v_add3_u32 v37, v37, v88, v89
	v_mul_i32_i24_e32 v49, v49, v31
	s_delay_alu instid0(VALU_DEP_3) | instskip(SKIP_2) | instid1(VALU_DEP_2)
	v_add3_u32 v63, v63, v76, v83
	v_bfe_i32 v76, v59, 0, 8
	v_bfe_i32 v83, v59, 8, 8
	v_mul_i32_i24_e32 v88, v76, v123
	s_delay_alu instid0(VALU_DEP_2) | instskip(NEXT) | instid1(VALU_DEP_1)
	v_mul_i32_i24_e32 v89, v83, v124
	v_add3_u32 v33, v33, v88, v89
	v_mul_i32_i24_e32 v88, v90, v145
	s_delay_alu instid0(VALU_DEP_1) | instskip(SKIP_2) | instid1(VALU_DEP_1)
	v_add3_u32 v19, v19, v88, v60
	v_mul_i32_i24_e32 v60, v76, v130
	v_mul_i32_i24_e32 v88, v83, v131
	v_add3_u32 v32, v32, v60, v88
	v_mul_i32_i24_e32 v60, v76, v134
	v_mul_i32_i24_e32 v88, v83, v135
	s_delay_alu instid0(VALU_DEP_1) | instskip(SKIP_2) | instid1(VALU_DEP_2)
	v_add3_u32 v34, v34, v60, v88
	v_bfe_i32 v60, v61, 0, 8
	v_bfe_i32 v88, v61, 8, 8
	v_mul_i32_i24_e32 v64, v60, v130
	s_delay_alu instid0(VALU_DEP_2) | instskip(SKIP_2) | instid1(VALU_DEP_3)
	v_mul_i32_i24_e32 v71, v88, v131
	v_mul_i32_i24_e32 v89, v60, v123
	;; [unrolled: 1-line block ×3, first 2 shown]
	v_add3_u32 v64, v66, v64, v71
	v_mul_i32_i24_e32 v66, v60, v134
	v_mul_i32_i24_e32 v71, v88, v135
	;; [unrolled: 1-line block ×3, first 2 shown]
	v_add3_u32 v37, v37, v89, v90
	s_delay_alu instid0(VALU_DEP_3) | instskip(SKIP_2) | instid1(VALU_DEP_1)
	v_add3_u32 v63, v63, v66, v71
	v_mul_i32_i24_e32 v66, v80, v140
	v_mul_i32_i24_e32 v71, v85, v138
	v_add3_u32 v19, v19, v71, v66
	v_bfe_i32 v66, v59, 16, 8
	v_ashrrev_i32_e32 v59, 24, v59
	s_delay_alu instid0(VALU_DEP_2) | instskip(NEXT) | instid1(VALU_DEP_2)
	v_mul_i32_i24_e32 v71, v66, v128
	v_mul_i32_i24_e32 v80, v59, v129
	s_delay_alu instid0(VALU_DEP_1) | instskip(SKIP_2) | instid1(VALU_DEP_3)
	v_add3_u32 v32, v32, v71, v80
	v_mul_i32_i24_e32 v71, v66, v132
	v_mul_i32_i24_e32 v80, v59, v133
	v_cvt_f32_i32_e32 v32, v32
	s_delay_alu instid0(VALU_DEP_2) | instskip(SKIP_3) | instid1(VALU_DEP_4)
	v_add3_u32 v34, v34, v71, v80
	v_mul_i32_i24_e32 v71, v66, v121
	v_mul_i32_i24_e32 v80, v59, v122
	;; [unrolled: 1-line block ×3, first 2 shown]
	v_cvt_f32_i32_e32 v34, v34
	s_delay_alu instid0(VALU_DEP_3) | instskip(SKIP_2) | instid1(VALU_DEP_3)
	v_add3_u32 v33, v33, v71, v80
	v_bfe_i32 v71, v61, 16, 8
	v_ashrrev_i32_e32 v61, 24, v61
	v_cvt_f32_i32_e32 v33, v33
	s_delay_alu instid0(VALU_DEP_3) | instskip(NEXT) | instid1(VALU_DEP_3)
	v_mul_i32_i24_e32 v65, v71, v128
	v_mul_i32_i24_e32 v67, v61, v129
	;; [unrolled: 1-line block ×4, first 2 shown]
	s_delay_alu instid0(VALU_DEP_3) | instskip(SKIP_2) | instid1(VALU_DEP_4)
	v_add3_u32 v64, v64, v65, v67
	v_mul_i32_i24_e32 v65, v71, v132
	v_mul_i32_i24_e32 v67, v61, v133
	v_add3_u32 v37, v37, v80, v85
	v_add_nc_u32_e32 v80, 0x1404, v113
	s_delay_alu instid0(VALU_DEP_3) | instskip(SKIP_3) | instid1(VALU_DEP_2)
	v_add3_u32 v63, v63, v65, v67
	v_mul_i32_i24_e32 v65, v81, v120
	v_mul_i32_i24_e32 v67, v78, v31
	v_add_nc_u32_e32 v78, 0x1400, v113
	v_add3_u32 v19, v19, v67, v65
	v_mul_i32_i24_e32 v65, v86, v120
	s_delay_alu instid0(VALU_DEP_1) | instskip(SKIP_2) | instid1(VALU_DEP_1)
	v_add3_u32 v49, v62, v49, v65
	v_mul_i32_i24_e32 v62, v127, v76
	v_mul_i32_i24_e32 v65, v136, v83
	v_add3_u32 v19, v19, v62, v65
	v_mul_i32_i24_e32 v62, v136, v88
	s_delay_alu instid0(VALU_DEP_1) | instskip(SKIP_1) | instid1(VALU_DEP_1)
	v_add3_u32 v49, v49, v60, v62
	v_mul_i32_i24_e32 v60, v126, v66
	v_add3_u32 v19, v19, v60, v59
	v_mul_i32_i24_e32 v59, v126, v71
	v_mul_i32_i24_e32 v60, v125, v61
	s_delay_alu instid0(VALU_DEP_3) | instskip(NEXT) | instid1(VALU_DEP_2)
	v_cvt_f32_i32_e32 v19, v19
	v_add3_u32 v49, v49, v59, v60
	ds_load_2addr_b32 v[59:60], v114 offset0:64 offset1:96
	s_wait_dscnt 0x0
	v_lshrrev_b32_e32 v61, 16, v59
	s_delay_alu instid0(VALU_DEP_1) | instskip(NEXT) | instid1(VALU_DEP_1)
	v_cvt_f32_f16_e32 v61, v61
	v_mul_f32_e32 v61, 0x41000000, v61
	s_delay_alu instid0(VALU_DEP_1)
	v_fma_mix_f32 v255, v59, v19, -v61 op_sel_hi:[1,0,0]
	v_lshrrev_b32_e32 v19, 16, v60
	v_fma_mix_f32 v88, v59, v32, -v61 op_sel_hi:[1,0,0]
	v_cvt_f32_i32_e32 v32, v37
	v_fma_mix_f32 v90, v59, v33, -v61 op_sel_hi:[1,0,0]
	v_fma_mix_f32 v71, v59, v34, -v61 op_sel_hi:[1,0,0]
	v_cvt_f32_f16_e32 v19, v19
	v_cvt_f32_i32_e32 v33, v64
	v_cvt_f32_i32_e32 v37, v63
	v_fmac_f32_e32 v87, v30, v255
	s_delay_alu instid0(VALU_DEP_4) | instskip(NEXT) | instid1(VALU_DEP_1)
	v_mul_f32_e32 v19, 0x41000000, v19
	v_fma_mix_f32 v34, v60, v32, -v19 op_sel_hi:[1,0,0]
	v_cvt_f32_i32_e32 v32, v49
	v_fma_mix_f32 v83, v60, v33, -v19 op_sel_hi:[1,0,0]
	v_fma_mix_f32 v89, v60, v37, -v19 op_sel_hi:[1,0,0]
	s_delay_alu instid0(VALU_DEP_3) | instskip(NEXT) | instid1(VALU_DEP_1)
	v_fma_mix_f32 v86, v60, v32, -v19 op_sel_hi:[1,0,0]
	v_dual_fmac_f32 v84, v30, v86 :: v_dual_add_nc_u32 v19, 0x1000, v113
	ds_load_2addr_b32 v[59:60], v19 offset0:4 offset1:7
	s_wait_dscnt 0x0
	v_bfe_i32 v32, v59, 8, 8
	v_bfe_i32 v33, v59, 0, 8
	;; [unrolled: 1-line block ×3, first 2 shown]
	v_ashrrev_i32_e32 v59, 24, v59
	s_delay_alu instid0(VALU_DEP_4) | instskip(NEXT) | instid1(VALU_DEP_3)
	v_mul_i32_i24_e32 v37, v32, v157
	v_mul_i32_i24_e32 v61, v49, v165
	s_delay_alu instid0(VALU_DEP_3) | instskip(SKIP_1) | instid1(VALU_DEP_4)
	v_mul_i32_i24_e32 v62, v59, v164
	v_mul_i32_i24_e32 v63, v59, v170
	v_mad_i32_i24 v37, v33, v156, v37
	s_delay_alu instid0(VALU_DEP_1) | instskip(SKIP_2) | instid1(VALU_DEP_2)
	v_add3_u32 v37, v37, v61, v62
	v_mul_i32_i24_e32 v61, v32, v167
	v_mul_i32_i24_e32 v62, v49, v169
	v_mad_i32_i24 v61, v33, v166, v61
	s_delay_alu instid0(VALU_DEP_1) | instskip(SKIP_4) | instid1(VALU_DEP_4)
	v_add3_u32 v67, v61, v62, v63
	v_mul_i32_i24_e32 v61, v32, v173
	v_mul_i32_i24_e32 v62, v49, v175
	;; [unrolled: 1-line block ×4, first 2 shown]
	v_mad_i32_i24 v61, v33, v172, v61
	s_delay_alu instid0(VALU_DEP_2) | instskip(SKIP_1) | instid1(VALU_DEP_3)
	v_mad_i32_i24 v32, v158, v33, v32
	v_mul_i32_i24_e32 v33, v154, v49
	v_add3_u32 v76, v61, v62, v63
	ds_load_2addr_b32 v[61:62], v78 offset0:4 offset1:7
	v_mul_i32_i24_e32 v49, v151, v59
	s_delay_alu instid0(VALU_DEP_1)
	v_add3_u32 v32, v32, v33, v49
	s_wait_dscnt 0x0
	v_bfe_i32 v85, v61, 8, 8
	v_bfe_i32 v102, v61, 0, 8
	;; [unrolled: 1-line block ×3, first 2 shown]
	v_ashrrev_i32_e32 v61, 24, v61
	s_delay_alu instid0(VALU_DEP_4) | instskip(NEXT) | instid1(VALU_DEP_3)
	v_mul_i32_i24_e32 v63, v85, v157
	v_mul_i32_i24_e32 v64, v103, v165
	s_delay_alu instid0(VALU_DEP_3) | instskip(NEXT) | instid1(VALU_DEP_3)
	v_mul_i32_i24_e32 v65, v61, v164
	v_mad_i32_i24 v63, v102, v156, v63
	s_delay_alu instid0(VALU_DEP_1) | instskip(SKIP_3) | instid1(VALU_DEP_3)
	v_add3_u32 v100, v63, v64, v65
	v_mul_i32_i24_e32 v63, v85, v167
	v_mul_i32_i24_e32 v64, v103, v169
	;; [unrolled: 1-line block ×3, first 2 shown]
	v_mad_i32_i24 v63, v102, v166, v63
	s_delay_alu instid0(VALU_DEP_1) | instskip(SKIP_4) | instid1(VALU_DEP_4)
	v_add3_u32 v101, v63, v64, v65
	v_mul_i32_i24_e32 v63, v85, v173
	v_mul_i32_i24_e32 v64, v103, v175
	;; [unrolled: 1-line block ×4, first 2 shown]
	v_mad_i32_i24 v63, v102, v172, v63
	s_delay_alu instid0(VALU_DEP_1)
	v_add3_u32 v104, v63, v64, v65
	v_add_nc_u32_e32 v63, 0x1004, v113
	v_add_nc_u32_e32 v65, 0x1014, v113
	ds_load_2addr_b32 v[63:64], v63 offset1:1
	ds_load_2addr_b32 v[65:66], v65 offset1:1
	;; [unrolled: 1-line block ×3, first 2 shown]
	s_wait_dscnt 0x2
	v_bfe_i32 v106, v63, 8, 8
	v_ashrrev_i32_e32 v108, 24, v63
	s_wait_dscnt 0x1
	v_bfe_i32 v40, v65, 0, 8
	v_ashrrev_i32_e32 v6, 24, v65
	v_mul_i32_i24_e32 v110, v106, v174
	v_mul_i32_i24_e32 v3, v108, v171
	s_delay_alu instid0(VALU_DEP_4) | instskip(NEXT) | instid1(VALU_DEP_4)
	v_mul_i32_i24_e32 v33, v40, v197
	v_mul_i32_i24_e32 v49, v6, v198
	s_delay_alu instid0(VALU_DEP_3) | instskip(SKIP_2) | instid1(VALU_DEP_1)
	v_add3_u32 v3, v37, v3, v110
	v_mul_i32_i24_e32 v37, v106, v177
	v_mul_i32_i24_e32 v110, v108, v178
	v_add3_u32 v37, v67, v110, v37
	v_mul_i32_i24_e32 v67, v106, v180
	v_mul_i32_i24_e32 v110, v108, v181
	s_delay_alu instid0(VALU_DEP_1) | instskip(SKIP_3) | instid1(VALU_DEP_2)
	v_add3_u32 v67, v76, v110, v67
	s_wait_dscnt 0x0
	v_bfe_i32 v76, v80, 8, 8
	v_ashrrev_i32_e32 v110, 24, v80
	v_mul_i32_i24_e32 v38, v76, v174
	s_delay_alu instid0(VALU_DEP_2) | instskip(NEXT) | instid1(VALU_DEP_1)
	v_mul_i32_i24_e32 v4, v110, v171
	v_add3_u32 v4, v100, v4, v38
	v_mul_i32_i24_e32 v38, v76, v177
	v_mul_i32_i24_e32 v100, v110, v178
	s_delay_alu instid0(VALU_DEP_1) | instskip(SKIP_3) | instid1(VALU_DEP_2)
	v_add3_u32 v38, v101, v100, v38
	v_mul_i32_i24_e32 v100, v76, v180
	v_mul_i32_i24_e32 v101, v110, v181
	;; [unrolled: 1-line block ×3, first 2 shown]
	v_add3_u32 v100, v104, v101, v100
	v_bfe_i32 v104, v63, 0, 8
	v_bfe_i32 v63, v63, 16, 8
	s_delay_alu instid0(VALU_DEP_2) | instskip(NEXT) | instid1(VALU_DEP_2)
	v_mul_i32_i24_e32 v101, v104, v168
	v_mul_i32_i24_e32 v39, v63, v185
	s_delay_alu instid0(VALU_DEP_1) | instskip(SKIP_2) | instid1(VALU_DEP_1)
	v_add3_u32 v3, v3, v101, v39
	v_mul_i32_i24_e32 v39, v104, v186
	v_mul_i32_i24_e32 v101, v63, v187
	v_add3_u32 v37, v37, v39, v101
	v_mul_i32_i24_e32 v39, v104, v188
	v_mul_i32_i24_e32 v101, v63, v189
	v_mul_i32_i24_e32 v63, v63, v144
	s_delay_alu instid0(VALU_DEP_4) | instskip(SKIP_1) | instid1(VALU_DEP_4)
	v_add3_u32 v33, v37, v49, v33
	v_mul_i32_i24_e32 v37, v40, v199
	v_add3_u32 v39, v67, v39, v101
	v_bfe_i32 v67, v80, 0, 8
	v_bfe_i32 v80, v80, 16, 8
	v_mul_i32_i24_e32 v49, v6, v200
	s_delay_alu instid0(VALU_DEP_3) | instskip(NEXT) | instid1(VALU_DEP_3)
	v_mul_i32_i24_e32 v101, v67, v168
	v_mul_i32_i24_e32 v5, v80, v185
	s_delay_alu instid0(VALU_DEP_3) | instskip(SKIP_1) | instid1(VALU_DEP_3)
	v_add3_u32 v37, v39, v49, v37
	v_add_nc_u32_e32 v39, 0x1414, v113
	v_add3_u32 v4, v4, v101, v5
	v_mul_i32_i24_e32 v5, v67, v186
	v_mul_i32_i24_e32 v101, v80, v187
	s_delay_alu instid0(VALU_DEP_1) | instskip(SKIP_4) | instid1(VALU_DEP_3)
	v_add3_u32 v5, v38, v5, v101
	v_mul_i32_i24_e32 v38, v67, v188
	v_mul_i32_i24_e32 v101, v80, v189
	;; [unrolled: 1-line block ×4, first 2 shown]
	v_add3_u32 v38, v100, v38, v101
	v_mul_i32_i24_e32 v100, v40, v194
	v_mul_i32_i24_e32 v101, v6, v193
	v_mul_i32_i24_e32 v40, v40, v141
	v_mul_i32_i24_e32 v6, v6, v139
	s_delay_alu instid0(VALU_DEP_3) | instskip(SKIP_4) | instid1(VALU_DEP_2)
	v_add3_u32 v3, v3, v101, v100
	ds_load_2addr_b32 v[100:101], v39 offset1:1
	s_wait_dscnt 0x0
	v_bfe_i32 v39, v100, 0, 8
	v_ashrrev_i32_e32 v49, 24, v100
	v_mul_i32_i24_e32 v59, v39, v194
	s_delay_alu instid0(VALU_DEP_2) | instskip(NEXT) | instid1(VALU_DEP_1)
	v_mul_i32_i24_e32 v41, v49, v193
	v_add3_u32 v4, v4, v41, v59
	v_mul_i32_i24_e32 v41, v179, v85
	v_mul_i32_i24_e32 v59, v154, v103
	s_delay_alu instid0(VALU_DEP_2) | instskip(NEXT) | instid1(VALU_DEP_1)
	v_mad_i32_i24 v41, v158, v102, v41
	v_add3_u32 v41, v41, v59, v61
	v_mul_i32_i24_e32 v59, v39, v197
	v_mul_i32_i24_e32 v61, v49, v198
	s_delay_alu instid0(VALU_DEP_1) | instskip(SKIP_4) | instid1(VALU_DEP_3)
	v_add3_u32 v5, v5, v61, v59
	v_mul_i32_i24_e32 v59, v39, v199
	v_mul_i32_i24_e32 v61, v49, v200
	;; [unrolled: 1-line block ×4, first 2 shown]
	v_add3_u32 v38, v38, v61, v59
	v_bfe_i32 v59, v65, 8, 8
	v_bfe_i32 v61, v65, 16, 8
	s_delay_alu instid0(VALU_DEP_2) | instskip(NEXT) | instid1(VALU_DEP_2)
	v_mul_i32_i24_e32 v65, v59, v190
	v_mul_i32_i24_e32 v85, v61, v202
	s_delay_alu instid0(VALU_DEP_1) | instskip(SKIP_2) | instid1(VALU_DEP_1)
	v_add3_u32 v3, v3, v65, v85
	v_mul_i32_i24_e32 v65, v108, v149
	v_mul_i32_i24_e32 v85, v106, v163
	v_add3_u32 v32, v32, v65, v85
	v_mul_i32_i24_e32 v65, v59, v205
	v_mul_i32_i24_e32 v85, v61, v204
	s_delay_alu instid0(VALU_DEP_1) | instskip(SKIP_4) | instid1(VALU_DEP_3)
	v_add3_u32 v33, v33, v65, v85
	v_mul_i32_i24_e32 v65, v59, v208
	v_mul_i32_i24_e32 v85, v61, v207
	;; [unrolled: 1-line block ×4, first 2 shown]
	v_add3_u32 v37, v37, v65, v85
	v_bfe_i32 v65, v100, 8, 8
	v_bfe_i32 v85, v100, 16, 8
	s_delay_alu instid0(VALU_DEP_2) | instskip(NEXT) | instid1(VALU_DEP_2)
	v_mul_i32_i24_e32 v100, v65, v190
	v_mul_i32_i24_e32 v102, v85, v202
	s_delay_alu instid0(VALU_DEP_1) | instskip(SKIP_1) | instid1(VALU_DEP_1)
	v_add3_u32 v4, v4, v100, v102
	v_mul_i32_i24_e32 v100, v110, v149
	v_add3_u32 v41, v41, v100, v76
	v_mul_i32_i24_e32 v76, v65, v205
	v_mul_i32_i24_e32 v100, v85, v204
	s_delay_alu instid0(VALU_DEP_3) | instskip(NEXT) | instid1(VALU_DEP_2)
	v_add3_u32 v41, v41, v67, v80
	v_add3_u32 v5, v5, v76, v100
	v_mul_i32_i24_e32 v76, v65, v208
	v_mul_i32_i24_e32 v100, v85, v207
	s_delay_alu instid0(VALU_DEP_4) | instskip(SKIP_1) | instid1(VALU_DEP_3)
	v_add3_u32 v39, v41, v49, v39
	v_mul_i32_i24_e32 v65, v65, v162
	v_add3_u32 v38, v38, v76, v100
	v_bfe_i32 v76, v64, 8, 8
	v_ashrrev_i32_e32 v100, 24, v64
	s_delay_alu instid0(VALU_DEP_2) | instskip(NEXT) | instid1(VALU_DEP_2)
	v_mul_i32_i24_e32 v102, v76, v212
	v_mul_i32_i24_e32 v103, v100, v210
	s_delay_alu instid0(VALU_DEP_1) | instskip(SKIP_1) | instid1(VALU_DEP_1)
	v_add3_u32 v3, v3, v103, v102
	v_mul_i32_i24_e32 v102, v104, v147
	v_add3_u32 v32, v32, v102, v63
	v_mul_i32_i24_e32 v63, v76, v217
	v_mul_i32_i24_e32 v102, v100, v218
	s_delay_alu instid0(VALU_DEP_3) | instskip(NEXT) | instid1(VALU_DEP_2)
	v_add3_u32 v6, v32, v6, v40
	v_add3_u32 v33, v33, v102, v63
	v_mul_i32_i24_e32 v63, v76, v225
	v_mul_i32_i24_e32 v102, v100, v226
	s_delay_alu instid0(VALU_DEP_4) | instskip(NEXT) | instid1(VALU_DEP_2)
	v_add3_u32 v6, v6, v59, v61
	v_add3_u32 v37, v37, v102, v63
	v_bfe_i32 v63, v81, 8, 8
	v_ashrrev_i32_e32 v102, 24, v81
	s_delay_alu instid0(VALU_DEP_2) | instskip(NEXT) | instid1(VALU_DEP_2)
	v_mul_i32_i24_e32 v67, v63, v217
	v_mul_i32_i24_e32 v80, v102, v218
	v_mul_i32_i24_e32 v103, v63, v212
	v_mul_i32_i24_e32 v104, v102, v210
	s_delay_alu instid0(VALU_DEP_3) | instskip(SKIP_2) | instid1(VALU_DEP_4)
	v_add3_u32 v5, v5, v80, v67
	v_mul_i32_i24_e32 v67, v63, v225
	v_mul_i32_i24_e32 v80, v102, v226
	v_add3_u32 v4, v4, v104, v103
	v_mul_i32_i24_e32 v63, v63, v161
	s_delay_alu instid0(VALU_DEP_3) | instskip(SKIP_2) | instid1(VALU_DEP_2)
	v_add3_u32 v38, v38, v80, v67
	v_bfe_i32 v67, v64, 0, 8
	v_bfe_i32 v80, v64, 16, 8
	v_mul_i32_i24_e32 v32, v67, v223
	s_delay_alu instid0(VALU_DEP_2) | instskip(SKIP_2) | instid1(VALU_DEP_3)
	v_mul_i32_i24_e32 v40, v80, v224
	v_mul_i32_i24_e32 v64, v67, v203
	;; [unrolled: 1-line block ×3, first 2 shown]
	v_add3_u32 v32, v33, v32, v40
	v_mul_i32_i24_e32 v33, v67, v235
	v_mul_i32_i24_e32 v40, v80, v236
	s_delay_alu instid0(VALU_DEP_4) | instskip(NEXT) | instid1(VALU_DEP_2)
	v_add3_u32 v3, v3, v64, v103
	v_add3_u32 v33, v37, v33, v40
	v_bfe_i32 v37, v81, 0, 8
	v_bfe_i32 v40, v81, 16, 8
	s_delay_alu instid0(VALU_DEP_2) | instskip(NEXT) | instid1(VALU_DEP_2)
	v_mul_i32_i24_e32 v41, v37, v223
	v_mul_i32_i24_e32 v49, v40, v224
	;; [unrolled: 1-line block ×4, first 2 shown]
	s_delay_alu instid0(VALU_DEP_3) | instskip(SKIP_2) | instid1(VALU_DEP_4)
	v_add3_u32 v5, v5, v41, v49
	v_mul_i32_i24_e32 v41, v37, v235
	v_mul_i32_i24_e32 v49, v40, v236
	v_add3_u32 v4, v4, v64, v81
	v_mul_i32_i24_e32 v37, v37, v152
	v_mul_i32_i24_e32 v40, v40, v153
	s_delay_alu instid0(VALU_DEP_4) | instskip(SKIP_2) | instid1(VALU_DEP_2)
	v_add3_u32 v38, v38, v41, v49
	v_bfe_i32 v41, v66, 0, 8
	v_ashrrev_i32_e32 v49, 24, v66
	v_mul_i32_i24_e32 v59, v41, v229
	s_delay_alu instid0(VALU_DEP_2) | instskip(SKIP_2) | instid1(VALU_DEP_3)
	v_mul_i32_i24_e32 v61, v49, v230
	v_mul_i32_i24_e32 v64, v41, v215
	;; [unrolled: 1-line block ×3, first 2 shown]
	v_add3_u32 v32, v32, v61, v59
	v_mul_i32_i24_e32 v59, v41, v239
	v_mul_i32_i24_e32 v61, v49, v240
	s_delay_alu instid0(VALU_DEP_4) | instskip(SKIP_2) | instid1(VALU_DEP_4)
	v_add3_u32 v3, v3, v81, v64
	v_mul_i32_i24_e32 v41, v41, v150
	v_mul_i32_i24_e32 v49, v49, v146
	v_add3_u32 v33, v33, v61, v59
	v_bfe_i32 v59, v101, 0, 8
	v_ashrrev_i32_e32 v61, 24, v101
	s_delay_alu instid0(VALU_DEP_2) | instskip(NEXT) | instid1(VALU_DEP_2)
	v_mul_i32_i24_e32 v64, v59, v215
	v_mul_i32_i24_e32 v81, v61, v213
	s_delay_alu instid0(VALU_DEP_1) | instskip(SKIP_3) | instid1(VALU_DEP_3)
	v_add3_u32 v4, v4, v81, v64
	v_mul_i32_i24_e32 v64, v85, v137
	v_bfe_i32 v81, v66, 8, 8
	v_bfe_i32 v85, v66, 16, 8
	v_add3_u32 v39, v39, v65, v64
	v_mul_i32_i24_e32 v64, v59, v229
	v_mul_i32_i24_e32 v65, v61, v230
	s_delay_alu instid0(VALU_DEP_1) | instskip(SKIP_4) | instid1(VALU_DEP_3)
	v_add3_u32 v5, v5, v65, v64
	v_mul_i32_i24_e32 v64, v59, v239
	v_mul_i32_i24_e32 v65, v61, v240
	;; [unrolled: 1-line block ×4, first 2 shown]
	v_add3_u32 v38, v38, v65, v64
	v_mul_i32_i24_e32 v64, v81, v206
	v_mul_i32_i24_e32 v65, v85, v221
	s_delay_alu instid0(VALU_DEP_1) | instskip(SKIP_4) | instid1(VALU_DEP_3)
	v_add3_u32 v3, v3, v64, v65
	v_mul_i32_i24_e32 v64, v100, v155
	v_mul_i32_i24_e32 v65, v76, v161
	v_bfe_i32 v76, v101, 8, 8
	v_bfe_i32 v100, v101, 16, 8
	v_add3_u32 v6, v6, v64, v65
	v_mul_i32_i24_e32 v64, v81, v232
	v_mul_i32_i24_e32 v65, v85, v231
	s_delay_alu instid0(VALU_DEP_1) | instskip(SKIP_2) | instid1(VALU_DEP_1)
	v_add3_u32 v32, v32, v64, v65
	v_mul_i32_i24_e32 v64, v81, v244
	v_mul_i32_i24_e32 v65, v85, v243
	v_add3_u32 v33, v33, v64, v65
	v_mul_i32_i24_e32 v64, v76, v206
	v_mul_i32_i24_e32 v65, v100, v221
	s_delay_alu instid0(VALU_DEP_1) | instskip(SKIP_1) | instid1(VALU_DEP_1)
	v_add3_u32 v4, v4, v64, v65
	v_mul_i32_i24_e32 v64, v102, v155
	v_add3_u32 v39, v39, v64, v63
	v_mul_i32_i24_e32 v63, v76, v232
	v_mul_i32_i24_e32 v64, v100, v231
	s_delay_alu instid0(VALU_DEP_3) | instskip(NEXT) | instid1(VALU_DEP_2)
	v_add3_u32 v37, v39, v37, v40
	v_add3_u32 v5, v5, v63, v64
	v_mul_i32_i24_e32 v63, v76, v244
	v_mul_i32_i24_e32 v64, v100, v243
	s_delay_alu instid0(VALU_DEP_4) | instskip(SKIP_1) | instid1(VALU_DEP_3)
	v_add3_u32 v37, v37, v61, v59
	v_mul_i32_i24_e32 v76, v76, v160
	v_add3_u32 v38, v38, v63, v64
	ds_load_2addr_b32 v[63:64], v19 offset1:3
	s_wait_dscnt 0x0
	v_bfe_i32 v19, v64, 8, 8
	v_ashrrev_i32_e32 v101, 24, v64
	s_delay_alu instid0(VALU_DEP_2) | instskip(NEXT) | instid1(VALU_DEP_2)
	v_mul_i32_i24_e32 v65, v19, v219
	v_mul_i32_i24_e32 v66, v101, v216
	s_delay_alu instid0(VALU_DEP_1) | instskip(SKIP_2) | instid1(VALU_DEP_1)
	v_add3_u32 v3, v3, v66, v65
	v_mul_i32_i24_e32 v65, v67, v152
	v_mul_i32_i24_e32 v66, v80, v153
	v_add3_u32 v6, v6, v65, v66
	v_mul_i32_i24_e32 v65, v19, v233
	v_mul_i32_i24_e32 v66, v101, v234
	s_delay_alu instid0(VALU_DEP_3) | instskip(NEXT) | instid1(VALU_DEP_2)
	v_add3_u32 v6, v6, v49, v41
	v_add3_u32 v32, v32, v66, v65
	v_mul_i32_i24_e32 v65, v19, v245
	v_mul_i32_i24_e32 v66, v101, v246
	;; [unrolled: 1-line block ×3, first 2 shown]
	s_delay_alu instid0(VALU_DEP_2) | instskip(SKIP_4) | instid1(VALU_DEP_2)
	v_add3_u32 v33, v33, v66, v65
	ds_load_2addr_b32 v[65:66], v78 offset1:3
	s_wait_dscnt 0x0
	v_bfe_i32 v67, v66, 8, 8
	v_ashrrev_i32_e32 v78, 24, v66
	v_mul_i32_i24_e32 v39, v67, v233
	s_delay_alu instid0(VALU_DEP_2) | instskip(SKIP_2) | instid1(VALU_DEP_3)
	v_mul_i32_i24_e32 v40, v78, v234
	v_mul_i32_i24_e32 v80, v67, v219
	;; [unrolled: 1-line block ×3, first 2 shown]
	v_add3_u32 v5, v5, v40, v39
	v_mul_i32_i24_e32 v39, v67, v245
	v_mul_i32_i24_e32 v40, v78, v246
	s_delay_alu instid0(VALU_DEP_4) | instskip(SKIP_2) | instid1(VALU_DEP_4)
	v_add3_u32 v4, v4, v102, v80
	v_mul_i32_i24_e32 v78, v78, v148
	v_mul_i32_i24_e32 v67, v67, v159
	v_add3_u32 v38, v38, v40, v39
	v_bfe_i32 v39, v64, 0, 8
	v_bfe_i32 v40, v64, 16, 8
	s_delay_alu instid0(VALU_DEP_2) | instskip(NEXT) | instid1(VALU_DEP_2)
	v_mul_i32_i24_e32 v41, v39, v237
	v_mul_i32_i24_e32 v49, v40, v238
	;; [unrolled: 1-line block ×4, first 2 shown]
	s_delay_alu instid0(VALU_DEP_3) | instskip(SKIP_2) | instid1(VALU_DEP_4)
	v_add3_u32 v32, v32, v41, v49
	v_mul_i32_i24_e32 v41, v39, v249
	v_mul_i32_i24_e32 v49, v40, v250
	v_add3_u32 v3, v3, v64, v80
	v_mul_i32_i24_e32 v39, v39, v145
	v_mul_i32_i24_e32 v40, v40, v142
	s_delay_alu instid0(VALU_DEP_4) | instskip(SKIP_2) | instid1(VALU_DEP_2)
	v_add3_u32 v33, v33, v41, v49
	v_bfe_i32 v41, v66, 0, 8
	v_bfe_i32 v49, v66, 16, 8
	v_mul_i32_i24_e32 v59, v41, v237
	s_delay_alu instid0(VALU_DEP_2) | instskip(SKIP_2) | instid1(VALU_DEP_3)
	v_mul_i32_i24_e32 v61, v49, v238
	v_mul_i32_i24_e32 v64, v41, v209
	;; [unrolled: 1-line block ×3, first 2 shown]
	v_add3_u32 v5, v5, v59, v61
	v_mul_i32_i24_e32 v59, v41, v249
	v_mul_i32_i24_e32 v61, v49, v250
	s_delay_alu instid0(VALU_DEP_4) | instskip(SKIP_2) | instid1(VALU_DEP_4)
	v_add3_u32 v4, v4, v64, v66
	v_mul_i32_i24_e32 v41, v41, v145
	v_mul_i32_i24_e32 v49, v49, v142
	v_add3_u32 v38, v38, v59, v61
	v_bfe_i32 v59, v60, 0, 8
	v_ashrrev_i32_e32 v61, 24, v60
	s_delay_alu instid0(VALU_DEP_2) | instskip(NEXT) | instid1(VALU_DEP_2)
	v_mul_i32_i24_e32 v64, v59, v228
	v_mul_i32_i24_e32 v66, v61, v222
	s_delay_alu instid0(VALU_DEP_1) | instskip(SKIP_2) | instid1(VALU_DEP_1)
	v_add3_u32 v3, v3, v66, v64
	v_mul_i32_i24_e32 v64, v85, v143
	v_mul_i32_i24_e32 v66, v81, v160
	v_add3_u32 v6, v6, v66, v64
	v_mul_i32_i24_e32 v64, v59, v241
	v_mul_i32_i24_e32 v66, v61, v242
	s_delay_alu instid0(VALU_DEP_1) | instskip(SKIP_2) | instid1(VALU_DEP_1)
	v_add3_u32 v32, v32, v66, v64
	v_mul_i32_i24_e32 v64, v59, v251
	v_mul_i32_i24_e32 v66, v61, v252
	v_add3_u32 v33, v33, v66, v64
	v_bfe_i32 v64, v62, 0, 8
	v_ashrrev_i32_e32 v66, 24, v62
	s_delay_alu instid0(VALU_DEP_2) | instskip(NEXT) | instid1(VALU_DEP_2)
	v_mul_i32_i24_e32 v80, v64, v228
	v_mul_i32_i24_e32 v81, v66, v222
	s_delay_alu instid0(VALU_DEP_1) | instskip(SKIP_2) | instid1(VALU_DEP_2)
	v_add3_u32 v4, v4, v81, v80
	v_mul_i32_i24_e32 v80, v100, v143
	v_add_nc_u32_e32 v100, 0x1c04, v113
	v_add3_u32 v37, v37, v76, v80
	v_mul_i32_i24_e32 v76, v64, v241
	v_mul_i32_i24_e32 v80, v66, v242
	s_delay_alu instid0(VALU_DEP_3) | instskip(NEXT) | instid1(VALU_DEP_2)
	v_add3_u32 v37, v37, v78, v67
	v_add3_u32 v5, v5, v80, v76
	v_mul_i32_i24_e32 v76, v64, v251
	v_mul_i32_i24_e32 v80, v66, v252
	s_delay_alu instid0(VALU_DEP_4) | instskip(NEXT) | instid1(VALU_DEP_2)
	v_add3_u32 v37, v37, v41, v49
	v_add3_u32 v38, v38, v80, v76
	v_bfe_i32 v76, v60, 8, 8
	v_bfe_i32 v60, v60, 16, 8
	s_delay_alu instid0(VALU_DEP_2) | instskip(NEXT) | instid1(VALU_DEP_2)
	v_mul_i32_i24_e32 v80, v76, v211
	v_mul_i32_i24_e32 v81, v60, v227
	s_delay_alu instid0(VALU_DEP_1) | instskip(SKIP_1) | instid1(VALU_DEP_1)
	v_add3_u32 v3, v3, v80, v81
	v_mul_i32_i24_e32 v80, v101, v148
	v_add3_u32 v6, v6, v80, v19
	v_mul_i32_i24_e32 v19, v76, v248
	v_mul_i32_i24_e32 v80, v60, v247
	s_delay_alu instid0(VALU_DEP_3) | instskip(NEXT) | instid1(VALU_DEP_2)
	v_add3_u32 v6, v6, v39, v40
	v_add3_u32 v19, v32, v19, v80
	v_mul_i32_i24_e32 v32, v76, v254
	v_mul_i32_i24_e32 v80, v60, v253
	;; [unrolled: 1-line block ×3, first 2 shown]
	s_delay_alu instid0(VALU_DEP_2) | instskip(SKIP_2) | instid1(VALU_DEP_2)
	v_add3_u32 v32, v33, v32, v80
	v_bfe_i32 v33, v62, 8, 8
	v_bfe_i32 v62, v62, 16, 8
	v_mul_i32_i24_e32 v67, v33, v248
	s_delay_alu instid0(VALU_DEP_2) | instskip(SKIP_2) | instid1(VALU_DEP_3)
	v_mul_i32_i24_e32 v78, v62, v247
	v_mul_i32_i24_e32 v80, v33, v211
	;; [unrolled: 1-line block ×3, first 2 shown]
	v_add3_u32 v5, v5, v67, v78
	v_mul_i32_i24_e32 v67, v33, v254
	v_mul_i32_i24_e32 v78, v62, v253
	s_delay_alu instid0(VALU_DEP_4) | instskip(SKIP_1) | instid1(VALU_DEP_3)
	v_add3_u32 v4, v4, v80, v81
	v_mul_i32_i24_e32 v33, v33, v31
	v_add3_u32 v38, v38, v67, v78
	v_bfe_i32 v67, v63, 0, 8
	v_bfe_i32 v78, v63, 8, 8
	s_delay_alu instid0(VALU_DEP_2) | instskip(NEXT) | instid1(VALU_DEP_2)
	v_mul_i32_i24_e32 v39, v67, v130
	v_mul_i32_i24_e32 v40, v78, v131
	;; [unrolled: 1-line block ×4, first 2 shown]
	s_delay_alu instid0(VALU_DEP_3) | instskip(SKIP_2) | instid1(VALU_DEP_4)
	v_add3_u32 v19, v19, v39, v40
	v_mul_i32_i24_e32 v39, v67, v134
	v_mul_i32_i24_e32 v40, v78, v135
	v_add3_u32 v3, v3, v80, v81
	s_delay_alu instid0(VALU_DEP_2) | instskip(SKIP_2) | instid1(VALU_DEP_2)
	v_add3_u32 v32, v32, v39, v40
	v_bfe_i32 v39, v65, 0, 8
	v_bfe_i32 v40, v65, 8, 8
	v_mul_i32_i24_e32 v41, v39, v130
	s_delay_alu instid0(VALU_DEP_2) | instskip(SKIP_2) | instid1(VALU_DEP_3)
	v_mul_i32_i24_e32 v49, v40, v131
	v_mul_i32_i24_e32 v80, v39, v123
	;; [unrolled: 1-line block ×3, first 2 shown]
	v_add3_u32 v5, v5, v41, v49
	v_mul_i32_i24_e32 v41, v39, v134
	v_mul_i32_i24_e32 v49, v40, v135
	s_delay_alu instid0(VALU_DEP_4) | instskip(NEXT) | instid1(VALU_DEP_2)
	v_add3_u32 v4, v4, v80, v81
	v_add3_u32 v38, v38, v41, v49
	v_mul_i32_i24_e32 v41, v59, v140
	v_mul_i32_i24_e32 v49, v61, v138
	s_delay_alu instid0(VALU_DEP_1) | instskip(SKIP_2) | instid1(VALU_DEP_2)
	v_add3_u32 v6, v6, v49, v41
	v_bfe_i32 v41, v63, 16, 8
	v_ashrrev_i32_e32 v49, 24, v63
	v_mul_i32_i24_e32 v59, v41, v128
	s_delay_alu instid0(VALU_DEP_2) | instskip(NEXT) | instid1(VALU_DEP_1)
	v_mul_i32_i24_e32 v61, v49, v129
	v_add3_u32 v19, v19, v59, v61
	v_mul_i32_i24_e32 v59, v41, v132
	v_mul_i32_i24_e32 v61, v49, v133
	s_delay_alu instid0(VALU_DEP_3) | instskip(NEXT) | instid1(VALU_DEP_2)
	v_cvt_f32_i32_e32 v19, v19
	v_add3_u32 v32, v32, v59, v61
	v_mul_i32_i24_e32 v59, v41, v121
	v_mul_i32_i24_e32 v61, v49, v122
	s_delay_alu instid0(VALU_DEP_3) | instskip(NEXT) | instid1(VALU_DEP_2)
	v_cvt_f32_i32_e32 v32, v32
	v_add3_u32 v3, v3, v59, v61
	v_bfe_i32 v59, v65, 16, 8
	v_ashrrev_i32_e32 v61, 24, v65
	s_delay_alu instid0(VALU_DEP_3) | instskip(NEXT) | instid1(VALU_DEP_3)
	v_cvt_f32_i32_e32 v3, v3
	v_mul_i32_i24_e32 v63, v59, v121
	s_delay_alu instid0(VALU_DEP_3) | instskip(NEXT) | instid1(VALU_DEP_1)
	v_mul_i32_i24_e32 v65, v61, v122
	v_add3_u32 v4, v4, v63, v65
	v_mul_i32_i24_e32 v63, v64, v140
	v_mul_i32_i24_e32 v64, v66, v138
	s_delay_alu instid0(VALU_DEP_3) | instskip(NEXT) | instid1(VALU_DEP_2)
	v_cvt_f32_i32_e32 v4, v4
	v_add3_u32 v37, v37, v64, v63
	v_mul_i32_i24_e32 v63, v59, v128
	v_mul_i32_i24_e32 v64, v61, v129
	s_delay_alu instid0(VALU_DEP_1) | instskip(SKIP_2) | instid1(VALU_DEP_3)
	v_add3_u32 v5, v5, v63, v64
	v_mul_i32_i24_e32 v63, v59, v132
	v_mul_i32_i24_e32 v64, v61, v133
	v_cvt_f32_i32_e32 v5, v5
	s_delay_alu instid0(VALU_DEP_2) | instskip(SKIP_1) | instid1(VALU_DEP_1)
	v_add3_u32 v38, v38, v63, v64
	v_mul_i32_i24_e32 v63, v76, v31
	v_add3_u32 v6, v6, v63, v60
	v_mul_i32_i24_e32 v60, v62, v120
	s_delay_alu instid0(VALU_DEP_1) | instskip(SKIP_2) | instid1(VALU_DEP_1)
	v_add3_u32 v33, v37, v33, v60
	v_mul_i32_i24_e32 v37, v127, v67
	v_mul_i32_i24_e32 v60, v136, v78
	v_add3_u32 v6, v6, v37, v60
	v_mul_i32_i24_e32 v37, v127, v39
	v_mul_i32_i24_e32 v39, v136, v40
	s_delay_alu instid0(VALU_DEP_1) | instskip(SKIP_2) | instid1(VALU_DEP_1)
	v_add3_u32 v33, v33, v37, v39
	v_mul_i32_i24_e32 v37, v126, v41
	v_mul_i32_i24_e32 v39, v125, v49
	v_add3_u32 v6, v6, v37, v39
	v_mul_i32_i24_e32 v37, v126, v59
	ds_load_2addr_b32 v[59:60], v114 offset0:128 offset1:160
	v_mul_i32_i24_e32 v39, v125, v61
	s_delay_alu instid0(VALU_DEP_1) | instskip(SKIP_2) | instid1(VALU_DEP_1)
	v_add3_u32 v33, v33, v37, v39
	s_wait_dscnt 0x0
	v_lshrrev_b32_e32 v37, 16, v59
	v_cvt_f32_f16_e32 v37, v37
	s_delay_alu instid0(VALU_DEP_1) | instskip(NEXT) | instid1(VALU_DEP_1)
	v_mul_f32_e32 v37, 0x41000000, v37
	v_fma_mix_f32 v49, v59, v3, -v37 op_sel_hi:[1,0,0]
	v_cvt_f32_i32_e32 v3, v6
	v_cvt_f32_i32_e32 v6, v38
	v_fma_mix_f32 v80, v59, v19, -v37 op_sel_hi:[1,0,0]
	v_fma_mix_f32 v78, v59, v32, -v37 op_sel_hi:[1,0,0]
	s_delay_alu instid0(VALU_DEP_4) | instskip(SKIP_1) | instid1(VALU_DEP_2)
	v_fma_mix_f32 v76, v59, v3, -v37 op_sel_hi:[1,0,0]
	v_lshrrev_b32_e32 v3, 16, v60
	v_fmac_f32_e32 v73, v30, v76
	s_delay_alu instid0(VALU_DEP_2) | instskip(NEXT) | instid1(VALU_DEP_1)
	v_cvt_f32_f16_e32 v3, v3
	v_mul_f32_e32 v3, 0x41000000, v3
	s_delay_alu instid0(VALU_DEP_1) | instskip(SKIP_3) | instid1(VALU_DEP_3)
	v_fma_mix_f32 v81, v60, v6, -v3 op_sel_hi:[1,0,0]
	v_cvt_f32_i32_e32 v6, v33
	v_fma_mix_f32 v4, v60, v4, -v3 op_sel_hi:[1,0,0]
	v_fma_mix_f32 v5, v60, v5, -v3 op_sel_hi:[1,0,0]
	;; [unrolled: 1-line block ×3, first 2 shown]
	s_delay_alu instid0(VALU_DEP_1)
	v_dual_fmac_f32 v72, v30, v19 :: v_dual_add_nc_u32 v3, 0x1800, v113
	ds_load_2addr_b32 v[59:60], v3 offset0:4 offset1:7
	s_wait_dscnt 0x0
	v_bfe_i32 v6, v59, 8, 8
	v_bfe_i32 v32, v59, 0, 8
	;; [unrolled: 1-line block ×3, first 2 shown]
	v_ashrrev_i32_e32 v38, 24, v59
	s_delay_alu instid0(VALU_DEP_4) | instskip(NEXT) | instid1(VALU_DEP_3)
	v_mul_i32_i24_e32 v33, v6, v157
	v_mul_i32_i24_e32 v39, v37, v165
	s_delay_alu instid0(VALU_DEP_3) | instskip(SKIP_1) | instid1(VALU_DEP_4)
	v_mul_i32_i24_e32 v40, v38, v164
	v_mul_i32_i24_e32 v41, v38, v170
	v_mad_i32_i24 v33, v32, v156, v33
	v_mul_i32_i24_e32 v59, v38, v176
	v_mul_i32_i24_e32 v38, v151, v38
	s_delay_alu instid0(VALU_DEP_3) | instskip(SKIP_2) | instid1(VALU_DEP_2)
	v_add3_u32 v33, v33, v39, v40
	v_mul_i32_i24_e32 v39, v6, v167
	v_mul_i32_i24_e32 v40, v37, v169
	v_mad_i32_i24 v39, v32, v166, v39
	s_delay_alu instid0(VALU_DEP_1) | instskip(SKIP_4) | instid1(VALU_DEP_4)
	v_add3_u32 v39, v39, v40, v41
	v_mul_i32_i24_e32 v40, v6, v173
	v_mul_i32_i24_e32 v41, v37, v175
	;; [unrolled: 1-line block ×4, first 2 shown]
	v_mad_i32_i24 v40, v32, v172, v40
	s_delay_alu instid0(VALU_DEP_3) | instskip(NEXT) | instid1(VALU_DEP_2)
	v_mad_i32_i24 v6, v158, v32, v6
	v_add3_u32 v40, v40, v41, v59
	v_add_nc_u32_e32 v41, 0x1c00, v113
	s_delay_alu instid0(VALU_DEP_3)
	v_add3_u32 v6, v6, v37, v38
	ds_load_2addr_b32 v[61:62], v41 offset0:4 offset1:7
	s_wait_dscnt 0x0
	v_bfe_i32 v59, v61, 8, 8
	v_bfe_i32 v67, v61, 0, 8
	v_bfe_i32 v85, v61, 16, 8
	v_ashrrev_i32_e32 v61, 24, v61
	s_delay_alu instid0(VALU_DEP_4) | instskip(NEXT) | instid1(VALU_DEP_3)
	v_mul_i32_i24_e32 v63, v59, v157
	v_mul_i32_i24_e32 v64, v85, v165
	s_delay_alu instid0(VALU_DEP_3) | instskip(NEXT) | instid1(VALU_DEP_3)
	v_mul_i32_i24_e32 v65, v61, v164
	v_mad_i32_i24 v63, v67, v156, v63
	s_delay_alu instid0(VALU_DEP_1) | instskip(SKIP_3) | instid1(VALU_DEP_3)
	v_add3_u32 v102, v63, v64, v65
	v_mul_i32_i24_e32 v63, v59, v167
	v_mul_i32_i24_e32 v64, v85, v169
	;; [unrolled: 1-line block ×3, first 2 shown]
	v_mad_i32_i24 v63, v67, v166, v63
	s_delay_alu instid0(VALU_DEP_1)
	v_add3_u32 v103, v63, v64, v65
	v_mul_i32_i24_e32 v63, v59, v173
	v_mul_i32_i24_e32 v64, v85, v175
	;; [unrolled: 1-line block ×5, first 2 shown]
	v_mad_i32_i24 v63, v67, v172, v63
	v_mul_i32_i24_e32 v61, v151, v61
	s_delay_alu instid0(VALU_DEP_4) | instskip(NEXT) | instid1(VALU_DEP_3)
	v_mad_i32_i24 v32, v158, v67, v59
	v_add3_u32 v104, v63, v64, v65
	v_add_nc_u32_e32 v63, 0x1804, v113
	v_add_nc_u32_e32 v65, 0x1814, v113
	ds_load_2addr_b32 v[63:64], v63 offset1:1
	ds_load_2addr_b32 v[65:66], v65 offset1:1
	;; [unrolled: 1-line block ×3, first 2 shown]
	v_add3_u32 v32, v32, v85, v61
	s_wait_dscnt 0x2
	v_bfe_i32 v106, v63, 8, 8
	v_ashrrev_i32_e32 v108, 24, v63
	s_wait_dscnt 0x0
	v_ashrrev_i32_e32 v164, 24, v100
	v_bfe_i32 v166, v100, 0, 8
	v_bfe_i32 v165, v63, 0, 8
	v_mul_i32_i24_e32 v110, v106, v174
	v_mul_i32_i24_e32 v156, v108, v171
	v_mul_i32_i24_e32 v157, v164, v171
	v_bfe_i32 v63, v63, 16, 8
	v_mul_i32_i24_e32 v59, v166, v186
	s_delay_alu instid0(VALU_DEP_4) | instskip(SKIP_2) | instid1(VALU_DEP_1)
	v_add3_u32 v33, v33, v156, v110
	v_mul_i32_i24_e32 v110, v106, v177
	v_mul_i32_i24_e32 v156, v108, v178
	v_add3_u32 v39, v39, v156, v110
	v_mul_i32_i24_e32 v110, v106, v180
	v_mul_i32_i24_e32 v156, v108, v181
	s_delay_alu instid0(VALU_DEP_1) | instskip(SKIP_2) | instid1(VALU_DEP_2)
	v_add3_u32 v40, v40, v156, v110
	v_bfe_i32 v110, v100, 8, 8
	v_bfe_i32 v100, v100, 16, 8
	v_mul_i32_i24_e32 v156, v110, v174
	s_delay_alu instid0(VALU_DEP_2) | instskip(NEXT) | instid1(VALU_DEP_2)
	v_mul_i32_i24_e32 v67, v100, v187
	v_add3_u32 v102, v102, v157, v156
	v_mul_i32_i24_e32 v156, v110, v177
	v_mul_i32_i24_e32 v157, v164, v178
	s_delay_alu instid0(VALU_DEP_1) | instskip(SKIP_2) | instid1(VALU_DEP_3)
	v_add3_u32 v103, v103, v157, v156
	v_mul_i32_i24_e32 v156, v110, v180
	v_mul_i32_i24_e32 v157, v164, v181
	v_add3_u32 v59, v103, v59, v67
	v_mul_i32_i24_e32 v67, v166, v188
	s_delay_alu instid0(VALU_DEP_3) | instskip(SKIP_3) | instid1(VALU_DEP_2)
	v_add3_u32 v104, v104, v157, v156
	v_mul_i32_i24_e32 v156, v165, v168
	v_mul_i32_i24_e32 v157, v63, v185
	;; [unrolled: 1-line block ×3, first 2 shown]
	v_add3_u32 v33, v33, v156, v157
	v_mul_i32_i24_e32 v156, v165, v186
	v_mul_i32_i24_e32 v157, v63, v187
	s_delay_alu instid0(VALU_DEP_4) | instskip(SKIP_2) | instid1(VALU_DEP_4)
	v_add3_u32 v67, v104, v67, v103
	v_bfe_i32 v103, v65, 0, 8
	v_ashrrev_i32_e32 v104, 24, v65
	v_add3_u32 v39, v39, v156, v157
	v_mul_i32_i24_e32 v156, v165, v188
	v_mul_i32_i24_e32 v157, v63, v189
	;; [unrolled: 1-line block ×5, first 2 shown]
	s_delay_alu instid0(VALU_DEP_4)
	v_add3_u32 v40, v40, v156, v157
	v_mul_i32_i24_e32 v156, v166, v168
	v_mul_i32_i24_e32 v157, v100, v185
	v_add3_u32 v37, v39, v38, v37
	v_mul_i32_i24_e32 v38, v103, v199
	v_mul_i32_i24_e32 v39, v104, v200
	;; [unrolled: 1-line block ×3, first 2 shown]
	v_add3_u32 v102, v102, v156, v157
	v_mul_i32_i24_e32 v156, v103, v194
	v_mul_i32_i24_e32 v157, v104, v193
	v_add3_u32 v38, v40, v39, v38
	v_add_nc_u32_e32 v39, 0x1c14, v113
	v_add_nc_u32_e32 v113, 32, v113
	s_delay_alu instid0(VALU_DEP_4) | instskip(SKIP_4) | instid1(VALU_DEP_2)
	v_add3_u32 v33, v33, v157, v156
	ds_load_2addr_b32 v[156:157], v39 offset1:1
	s_wait_dscnt 0x0
	v_bfe_i32 v39, v156, 0, 8
	v_ashrrev_i32_e32 v158, 24, v156
	v_mul_i32_i24_e32 v61, v39, v197
	s_delay_alu instid0(VALU_DEP_2) | instskip(SKIP_2) | instid1(VALU_DEP_3)
	v_mul_i32_i24_e32 v85, v158, v198
	v_mul_i32_i24_e32 v40, v39, v194
	v_mul_i32_i24_e32 v167, v158, v193
	v_add3_u32 v59, v59, v85, v61
	v_mul_i32_i24_e32 v61, v39, v199
	v_mul_i32_i24_e32 v85, v158, v200
	s_delay_alu instid0(VALU_DEP_4) | instskip(SKIP_1) | instid1(VALU_DEP_3)
	v_add3_u32 v40, v102, v167, v40
	v_mul_i32_i24_e32 v39, v39, v141
	v_add3_u32 v61, v67, v85, v61
	v_bfe_i32 v67, v65, 8, 8
	v_bfe_i32 v65, v65, 16, 8
	s_delay_alu instid0(VALU_DEP_2) | instskip(NEXT) | instid1(VALU_DEP_2)
	v_mul_i32_i24_e32 v85, v67, v190
	v_mul_i32_i24_e32 v102, v65, v202
	s_delay_alu instid0(VALU_DEP_1) | instskip(SKIP_3) | instid1(VALU_DEP_2)
	v_add3_u32 v33, v33, v85, v102
	v_mul_i32_i24_e32 v85, v108, v149
	v_mul_i32_i24_e32 v102, v106, v163
	v_bfe_i32 v106, v156, 16, 8
	v_add3_u32 v6, v6, v85, v102
	v_mul_i32_i24_e32 v85, v67, v205
	v_mul_i32_i24_e32 v102, v65, v204
	s_delay_alu instid0(VALU_DEP_4) | instskip(NEXT) | instid1(VALU_DEP_2)
	v_mul_i32_i24_e32 v108, v106, v202
	v_add3_u32 v37, v37, v85, v102
	v_mul_i32_i24_e32 v85, v67, v208
	v_mul_i32_i24_e32 v102, v65, v207
	s_delay_alu instid0(VALU_DEP_1) | instskip(SKIP_1) | instid1(VALU_DEP_1)
	v_add3_u32 v38, v38, v85, v102
	v_bfe_i32 v85, v156, 8, 8
	v_mul_i32_i24_e32 v102, v85, v190
	s_delay_alu instid0(VALU_DEP_1) | instskip(SKIP_2) | instid1(VALU_DEP_1)
	v_add3_u32 v40, v40, v102, v108
	v_mul_i32_i24_e32 v102, v164, v149
	v_mul_i32_i24_e32 v108, v110, v163
	v_add3_u32 v32, v32, v102, v108
	v_mul_i32_i24_e32 v102, v85, v205
	v_mul_i32_i24_e32 v108, v106, v204
	s_delay_alu instid0(VALU_DEP_1) | instskip(SKIP_2) | instid1(VALU_DEP_1)
	v_add3_u32 v59, v59, v102, v108
	v_mul_i32_i24_e32 v102, v85, v208
	v_mul_i32_i24_e32 v108, v106, v207
	v_add3_u32 v61, v61, v102, v108
	v_bfe_i32 v102, v64, 8, 8
	v_ashrrev_i32_e32 v108, 24, v64
	s_delay_alu instid0(VALU_DEP_2) | instskip(NEXT) | instid1(VALU_DEP_2)
	v_mul_i32_i24_e32 v110, v102, v212
	v_mul_i32_i24_e32 v149, v108, v210
	s_delay_alu instid0(VALU_DEP_1) | instskip(SKIP_2) | instid1(VALU_DEP_2)
	v_add3_u32 v33, v33, v149, v110
	v_mul_i32_i24_e32 v110, v165, v147
	v_ashrrev_i32_e32 v149, 24, v101
	v_add3_u32 v6, v6, v110, v63
	v_mul_i32_i24_e32 v63, v102, v217
	v_mul_i32_i24_e32 v110, v108, v218
	s_delay_alu instid0(VALU_DEP_4) | instskip(NEXT) | instid1(VALU_DEP_2)
	v_mul_i32_i24_e32 v151, v149, v210
	v_add3_u32 v37, v37, v110, v63
	v_mul_i32_i24_e32 v63, v102, v225
	v_mul_i32_i24_e32 v110, v108, v226
	s_delay_alu instid0(VALU_DEP_1) | instskip(SKIP_1) | instid1(VALU_DEP_1)
	v_add3_u32 v38, v38, v110, v63
	v_bfe_i32 v63, v101, 8, 8
	v_mul_i32_i24_e32 v110, v63, v212
	s_delay_alu instid0(VALU_DEP_1) | instskip(SKIP_1) | instid1(VALU_DEP_1)
	v_add3_u32 v40, v40, v151, v110
	v_mul_i32_i24_e32 v110, v166, v147
	v_add3_u32 v32, v32, v110, v100
	v_mul_i32_i24_e32 v100, v63, v217
	v_mul_i32_i24_e32 v110, v149, v218
	s_delay_alu instid0(VALU_DEP_1) | instskip(SKIP_3) | instid1(VALU_DEP_2)
	v_add3_u32 v59, v59, v110, v100
	v_mul_i32_i24_e32 v100, v63, v225
	v_mul_i32_i24_e32 v110, v149, v226
	;; [unrolled: 1-line block ×3, first 2 shown]
	v_add3_u32 v61, v61, v110, v100
	v_bfe_i32 v100, v64, 0, 8
	v_bfe_i32 v110, v64, 16, 8
	s_delay_alu instid0(VALU_DEP_2) | instskip(NEXT) | instid1(VALU_DEP_2)
	v_mul_i32_i24_e32 v64, v100, v203
	v_mul_i32_i24_e32 v144, v110, v214
	s_delay_alu instid0(VALU_DEP_1) | instskip(SKIP_2) | instid1(VALU_DEP_1)
	v_add3_u32 v33, v33, v64, v144
	v_mul_i32_i24_e32 v64, v103, v141
	v_mul_i32_i24_e32 v103, v104, v139
	v_add3_u32 v6, v6, v103, v64
	v_mul_i32_i24_e32 v64, v100, v223
	v_mul_i32_i24_e32 v103, v110, v224
	s_delay_alu instid0(VALU_DEP_1) | instskip(SKIP_2) | instid1(VALU_DEP_1)
	v_add3_u32 v37, v37, v64, v103
	v_mul_i32_i24_e32 v64, v100, v235
	v_mul_i32_i24_e32 v103, v110, v236
	v_add3_u32 v38, v38, v64, v103
	v_bfe_i32 v103, v101, 0, 8
	v_bfe_i32 v101, v101, 16, 8
	s_delay_alu instid0(VALU_DEP_2) | instskip(NEXT) | instid1(VALU_DEP_2)
	v_mul_i32_i24_e32 v64, v103, v203
	v_mul_i32_i24_e32 v104, v101, v214
	s_delay_alu instid0(VALU_DEP_1) | instskip(SKIP_2) | instid1(VALU_DEP_2)
	v_add3_u32 v40, v40, v64, v104
	v_mul_i32_i24_e32 v64, v158, v139
	v_ashrrev_i32_e32 v104, 24, v66
	v_add3_u32 v32, v32, v64, v39
	v_mul_i32_i24_e32 v39, v103, v223
	v_mul_i32_i24_e32 v64, v101, v224
	s_delay_alu instid0(VALU_DEP_4) | instskip(NEXT) | instid1(VALU_DEP_2)
	v_mul_i32_i24_e32 v139, v104, v213
	v_add3_u32 v39, v59, v39, v64
	v_mul_i32_i24_e32 v59, v103, v235
	v_mul_i32_i24_e32 v64, v101, v236
	;; [unrolled: 1-line block ×3, first 2 shown]
	s_delay_alu instid0(VALU_DEP_2) | instskip(SKIP_1) | instid1(VALU_DEP_1)
	v_add3_u32 v59, v61, v59, v64
	v_bfe_i32 v61, v66, 0, 8
	v_mul_i32_i24_e32 v64, v61, v215
	s_delay_alu instid0(VALU_DEP_1) | instskip(SKIP_4) | instid1(VALU_DEP_3)
	v_add3_u32 v33, v33, v139, v64
	v_mul_i32_i24_e32 v64, v65, v137
	v_mul_i32_i24_e32 v65, v67, v162
	v_bfe_i32 v67, v157, 0, 8
	v_ashrrev_i32_e32 v139, 24, v157
	v_add3_u32 v6, v6, v65, v64
	v_mul_i32_i24_e32 v64, v61, v229
	v_mul_i32_i24_e32 v65, v104, v230
	s_delay_alu instid0(VALU_DEP_1) | instskip(SKIP_3) | instid1(VALU_DEP_2)
	v_add3_u32 v37, v37, v65, v64
	v_mul_i32_i24_e32 v64, v61, v239
	v_mul_i32_i24_e32 v65, v104, v240
	;; [unrolled: 1-line block ×3, first 2 shown]
	v_add3_u32 v38, v38, v65, v64
	v_mul_i32_i24_e32 v64, v67, v215
	v_mul_i32_i24_e32 v65, v139, v213
	s_delay_alu instid0(VALU_DEP_1) | instskip(SKIP_4) | instid1(VALU_DEP_3)
	v_add3_u32 v40, v40, v65, v64
	v_mul_i32_i24_e32 v64, v106, v137
	v_mul_i32_i24_e32 v65, v85, v162
	v_bfe_i32 v85, v66, 8, 8
	v_bfe_i32 v106, v66, 16, 8
	v_add3_u32 v32, v32, v65, v64
	v_mul_i32_i24_e32 v64, v67, v229
	v_mul_i32_i24_e32 v65, v139, v230
	s_delay_alu instid0(VALU_DEP_1) | instskip(SKIP_3) | instid1(VALU_DEP_2)
	v_add3_u32 v39, v39, v65, v64
	v_mul_i32_i24_e32 v64, v67, v239
	v_mul_i32_i24_e32 v65, v139, v240
	;; [unrolled: 1-line block ×3, first 2 shown]
	v_add3_u32 v59, v59, v65, v64
	v_mul_i32_i24_e32 v64, v85, v206
	v_mul_i32_i24_e32 v65, v106, v221
	s_delay_alu instid0(VALU_DEP_1) | instskip(SKIP_4) | instid1(VALU_DEP_3)
	v_add3_u32 v33, v33, v64, v65
	v_mul_i32_i24_e32 v64, v108, v155
	v_mul_i32_i24_e32 v65, v102, v161
	v_bfe_i32 v102, v157, 8, 8
	v_bfe_i32 v108, v157, 16, 8
	v_add3_u32 v6, v6, v64, v65
	v_mul_i32_i24_e32 v64, v85, v232
	v_mul_i32_i24_e32 v65, v106, v231
	s_delay_alu instid0(VALU_DEP_1) | instskip(SKIP_3) | instid1(VALU_DEP_2)
	v_add3_u32 v37, v37, v64, v65
	v_mul_i32_i24_e32 v64, v85, v244
	v_mul_i32_i24_e32 v65, v106, v243
	;; [unrolled: 1-line block ×3, first 2 shown]
	v_add3_u32 v38, v38, v64, v65
	v_mul_i32_i24_e32 v64, v102, v206
	v_mul_i32_i24_e32 v65, v108, v221
	s_delay_alu instid0(VALU_DEP_1) | instskip(SKIP_1) | instid1(VALU_DEP_1)
	v_add3_u32 v40, v40, v64, v65
	v_mul_i32_i24_e32 v64, v149, v155
	v_add3_u32 v32, v32, v64, v63
	v_mul_i32_i24_e32 v63, v102, v232
	v_mul_i32_i24_e32 v64, v108, v231
	s_delay_alu instid0(VALU_DEP_1) | instskip(SKIP_3) | instid1(VALU_DEP_2)
	v_add3_u32 v39, v39, v63, v64
	v_mul_i32_i24_e32 v63, v102, v244
	v_mul_i32_i24_e32 v64, v108, v243
	;; [unrolled: 1-line block ×3, first 2 shown]
	v_add3_u32 v59, v59, v63, v64
	ds_load_2addr_b32 v[63:64], v3 offset1:3
	s_wait_dscnt 0x0
	v_bfe_i32 v3, v64, 8, 8
	v_ashrrev_i32_e32 v137, 24, v64
	s_delay_alu instid0(VALU_DEP_2) | instskip(NEXT) | instid1(VALU_DEP_2)
	v_mul_i32_i24_e32 v65, v3, v219
	v_mul_i32_i24_e32 v66, v137, v216
	s_delay_alu instid0(VALU_DEP_1) | instskip(SKIP_2) | instid1(VALU_DEP_1)
	v_add3_u32 v33, v33, v66, v65
	v_mul_i32_i24_e32 v65, v100, v152
	v_mul_i32_i24_e32 v66, v110, v153
	v_add3_u32 v6, v6, v65, v66
	v_mul_i32_i24_e32 v65, v3, v233
	v_mul_i32_i24_e32 v66, v137, v234
	s_delay_alu instid0(VALU_DEP_1) | instskip(SKIP_3) | instid1(VALU_DEP_2)
	v_add3_u32 v37, v37, v66, v65
	v_mul_i32_i24_e32 v65, v3, v245
	v_mul_i32_i24_e32 v66, v137, v246
	;; [unrolled: 1-line block ×3, first 2 shown]
	v_add3_u32 v38, v38, v66, v65
	ds_load_2addr_b32 v[65:66], v41 offset1:3
	s_wait_dscnt 0x0
	v_bfe_i32 v41, v66, 8, 8
	v_ashrrev_i32_e32 v110, 24, v66
	s_delay_alu instid0(VALU_DEP_2) | instskip(NEXT) | instid1(VALU_DEP_2)
	v_mul_i32_i24_e32 v100, v41, v219
	v_mul_i32_i24_e32 v141, v110, v216
	s_delay_alu instid0(VALU_DEP_1) | instskip(SKIP_1) | instid1(VALU_DEP_1)
	v_add3_u32 v40, v40, v141, v100
	v_mul_i32_i24_e32 v100, v103, v152
	v_add3_u32 v32, v32, v100, v101
	v_mul_i32_i24_e32 v100, v41, v233
	v_mul_i32_i24_e32 v101, v110, v234
	s_delay_alu instid0(VALU_DEP_1) | instskip(SKIP_3) | instid1(VALU_DEP_2)
	v_add3_u32 v39, v39, v101, v100
	v_mul_i32_i24_e32 v100, v41, v245
	v_mul_i32_i24_e32 v101, v110, v246
	;; [unrolled: 1-line block ×3, first 2 shown]
	v_add3_u32 v59, v59, v101, v100
	v_bfe_i32 v100, v64, 0, 8
	v_bfe_i32 v64, v64, 16, 8
	s_delay_alu instid0(VALU_DEP_2) | instskip(NEXT) | instid1(VALU_DEP_2)
	v_mul_i32_i24_e32 v101, v100, v209
	v_mul_i32_i24_e32 v103, v64, v220
	s_delay_alu instid0(VALU_DEP_1) | instskip(SKIP_1) | instid1(VALU_DEP_1)
	v_add3_u32 v33, v33, v101, v103
	v_mul_i32_i24_e32 v101, v104, v146
	v_add3_u32 v6, v6, v101, v61
	v_mul_i32_i24_e32 v61, v100, v237
	v_mul_i32_i24_e32 v101, v64, v238
	s_delay_alu instid0(VALU_DEP_1) | instskip(SKIP_4) | instid1(VALU_DEP_3)
	v_add3_u32 v37, v37, v61, v101
	v_mul_i32_i24_e32 v61, v100, v249
	v_mul_i32_i24_e32 v101, v64, v250
	;; [unrolled: 1-line block ×4, first 2 shown]
	v_add3_u32 v38, v38, v61, v101
	v_bfe_i32 v61, v66, 0, 8
	v_bfe_i32 v66, v66, 16, 8
	s_delay_alu instid0(VALU_DEP_2) | instskip(NEXT) | instid1(VALU_DEP_2)
	v_mul_i32_i24_e32 v101, v61, v209
	v_mul_i32_i24_e32 v103, v66, v220
	s_delay_alu instid0(VALU_DEP_1) | instskip(SKIP_1) | instid1(VALU_DEP_1)
	v_add3_u32 v40, v40, v101, v103
	v_mul_i32_i24_e32 v101, v139, v146
	v_add3_u32 v32, v32, v101, v67
	v_mul_i32_i24_e32 v67, v61, v237
	v_mul_i32_i24_e32 v101, v66, v238
	s_delay_alu instid0(VALU_DEP_1) | instskip(SKIP_4) | instid1(VALU_DEP_3)
	v_add3_u32 v39, v39, v67, v101
	v_mul_i32_i24_e32 v67, v61, v249
	v_mul_i32_i24_e32 v101, v66, v250
	;; [unrolled: 1-line block ×4, first 2 shown]
	v_add3_u32 v59, v59, v67, v101
	v_bfe_i32 v67, v60, 0, 8
	v_ashrrev_i32_e32 v101, 24, v60
	s_delay_alu instid0(VALU_DEP_2) | instskip(NEXT) | instid1(VALU_DEP_2)
	v_mul_i32_i24_e32 v103, v67, v228
	v_mul_i32_i24_e32 v104, v101, v222
	s_delay_alu instid0(VALU_DEP_1) | instskip(SKIP_2) | instid1(VALU_DEP_2)
	v_add3_u32 v33, v33, v104, v103
	v_mul_i32_i24_e32 v103, v106, v143
	v_ashrrev_i32_e32 v104, 24, v62
	v_add3_u32 v6, v6, v85, v103
	v_mul_i32_i24_e32 v85, v67, v241
	v_mul_i32_i24_e32 v103, v101, v242
	s_delay_alu instid0(VALU_DEP_4) | instskip(NEXT) | instid1(VALU_DEP_2)
	v_mul_i32_i24_e32 v106, v104, v222
	v_add3_u32 v37, v37, v103, v85
	v_mul_i32_i24_e32 v85, v67, v251
	v_mul_i32_i24_e32 v103, v101, v252
	s_delay_alu instid0(VALU_DEP_1) | instskip(SKIP_1) | instid1(VALU_DEP_1)
	v_add3_u32 v38, v38, v103, v85
	v_bfe_i32 v85, v62, 0, 8
	v_mul_i32_i24_e32 v103, v85, v228
	s_delay_alu instid0(VALU_DEP_1) | instskip(SKIP_1) | instid1(VALU_DEP_1)
	v_add3_u32 v40, v40, v106, v103
	v_mul_i32_i24_e32 v103, v108, v143
	v_add3_u32 v32, v32, v102, v103
	v_mul_i32_i24_e32 v102, v85, v241
	v_mul_i32_i24_e32 v103, v104, v242
	s_delay_alu instid0(VALU_DEP_1) | instskip(SKIP_2) | instid1(VALU_DEP_1)
	v_add3_u32 v39, v39, v103, v102
	v_mul_i32_i24_e32 v102, v85, v251
	v_mul_i32_i24_e32 v103, v104, v252
	v_add3_u32 v59, v59, v103, v102
	v_bfe_i32 v102, v60, 8, 8
	v_bfe_i32 v60, v60, 16, 8
	s_delay_alu instid0(VALU_DEP_2) | instskip(NEXT) | instid1(VALU_DEP_2)
	v_mul_i32_i24_e32 v103, v102, v211
	v_mul_i32_i24_e32 v106, v60, v227
	s_delay_alu instid0(VALU_DEP_1) | instskip(SKIP_1) | instid1(VALU_DEP_1)
	v_add3_u32 v33, v33, v103, v106
	v_mul_i32_i24_e32 v103, v137, v148
	v_add3_u32 v3, v6, v103, v3
	v_mul_i32_i24_e32 v6, v102, v248
	v_mul_i32_i24_e32 v103, v60, v247
	s_delay_alu instid0(VALU_DEP_3) | instskip(NEXT) | instid1(VALU_DEP_2)
	v_add3_u32 v3, v3, v100, v64
	v_add3_u32 v6, v37, v6, v103
	v_mul_i32_i24_e32 v37, v102, v254
	v_mul_i32_i24_e32 v103, v60, v253
	v_mul_i32_i24_e32 v60, v60, v120
	s_delay_alu instid0(VALU_DEP_2) | instskip(SKIP_2) | instid1(VALU_DEP_2)
	v_add3_u32 v37, v38, v37, v103
	v_bfe_i32 v38, v62, 8, 8
	v_bfe_i32 v62, v62, 16, 8
	v_mul_i32_i24_e32 v103, v38, v211
	s_delay_alu instid0(VALU_DEP_2) | instskip(NEXT) | instid1(VALU_DEP_1)
	v_mul_i32_i24_e32 v106, v62, v227
	v_add3_u32 v40, v40, v103, v106
	v_mul_i32_i24_e32 v103, v110, v148
	s_delay_alu instid0(VALU_DEP_1) | instskip(SKIP_2) | instid1(VALU_DEP_3)
	v_add3_u32 v32, v32, v103, v41
	v_mul_i32_i24_e32 v41, v38, v248
	v_mul_i32_i24_e32 v103, v62, v247
	v_add3_u32 v32, v32, v61, v66
	s_delay_alu instid0(VALU_DEP_2) | instskip(SKIP_2) | instid1(VALU_DEP_1)
	v_add3_u32 v39, v39, v41, v103
	v_mul_i32_i24_e32 v41, v38, v254
	v_mul_i32_i24_e32 v103, v62, v253
	v_add3_u32 v41, v59, v41, v103
	v_bfe_i32 v59, v63, 0, 8
	v_bfe_i32 v103, v63, 8, 8
	s_delay_alu instid0(VALU_DEP_2) | instskip(NEXT) | instid1(VALU_DEP_2)
	v_mul_i32_i24_e32 v64, v59, v130
	v_mul_i32_i24_e32 v100, v103, v131
	;; [unrolled: 1-line block ×4, first 2 shown]
	s_delay_alu instid0(VALU_DEP_3) | instskip(SKIP_2) | instid1(VALU_DEP_4)
	v_add3_u32 v6, v6, v64, v100
	v_mul_i32_i24_e32 v64, v59, v134
	v_mul_i32_i24_e32 v100, v103, v135
	v_add3_u32 v33, v33, v106, v108
	v_bfe_i32 v106, v65, 8, 8
	s_delay_alu instid0(VALU_DEP_3) | instskip(SKIP_1) | instid1(VALU_DEP_3)
	v_add3_u32 v37, v37, v64, v100
	v_bfe_i32 v64, v65, 0, 8
	v_mul_i32_i24_e32 v66, v106, v131
	v_mul_i32_i24_e32 v108, v106, v124
	s_delay_alu instid0(VALU_DEP_3) | instskip(SKIP_1) | instid1(VALU_DEP_2)
	v_mul_i32_i24_e32 v61, v64, v130
	v_mul_i32_i24_e32 v100, v64, v123
	v_add3_u32 v39, v39, v61, v66
	v_mul_i32_i24_e32 v61, v64, v134
	v_mul_i32_i24_e32 v66, v106, v135
	s_delay_alu instid0(VALU_DEP_4) | instskip(NEXT) | instid1(VALU_DEP_2)
	v_add3_u32 v40, v40, v100, v108
	v_add3_u32 v41, v41, v61, v66
	v_mul_i32_i24_e32 v61, v67, v140
	v_mul_i32_i24_e32 v66, v101, v138
	s_delay_alu instid0(VALU_DEP_1) | instskip(SKIP_2) | instid1(VALU_DEP_2)
	v_add3_u32 v3, v3, v66, v61
	v_bfe_i32 v61, v63, 16, 8
	v_ashrrev_i32_e32 v63, 24, v63
	v_mul_i32_i24_e32 v66, v61, v128
	s_delay_alu instid0(VALU_DEP_2) | instskip(NEXT) | instid1(VALU_DEP_1)
	v_mul_i32_i24_e32 v67, v63, v129
	v_add3_u32 v6, v6, v66, v67
	v_mul_i32_i24_e32 v66, v61, v132
	v_mul_i32_i24_e32 v67, v63, v133
	s_delay_alu instid0(VALU_DEP_3) | instskip(NEXT) | instid1(VALU_DEP_2)
	v_cvt_f32_i32_e32 v6, v6
	v_add3_u32 v37, v37, v66, v67
	v_mul_i32_i24_e32 v66, v61, v121
	v_mul_i32_i24_e32 v67, v63, v122
	s_delay_alu instid0(VALU_DEP_3) | instskip(NEXT) | instid1(VALU_DEP_2)
	v_cvt_f32_i32_e32 v37, v37
	v_add3_u32 v33, v33, v66, v67
	v_bfe_i32 v66, v65, 16, 8
	v_ashrrev_i32_e32 v65, 24, v65
	s_delay_alu instid0(VALU_DEP_3) | instskip(NEXT) | instid1(VALU_DEP_3)
	v_cvt_f32_i32_e32 v33, v33
	v_mul_i32_i24_e32 v67, v66, v121
	s_delay_alu instid0(VALU_DEP_3) | instskip(NEXT) | instid1(VALU_DEP_1)
	v_mul_i32_i24_e32 v100, v65, v122
	v_add3_u32 v40, v40, v67, v100
	v_mul_i32_i24_e32 v67, v85, v140
	v_mul_i32_i24_e32 v85, v104, v138
	s_delay_alu instid0(VALU_DEP_1) | instskip(SKIP_2) | instid1(VALU_DEP_1)
	v_add3_u32 v32, v32, v85, v67
	v_mul_i32_i24_e32 v67, v66, v128
	v_mul_i32_i24_e32 v85, v65, v129
	v_add3_u32 v39, v39, v67, v85
	v_mul_i32_i24_e32 v67, v66, v132
	v_mul_i32_i24_e32 v85, v65, v133
	s_delay_alu instid0(VALU_DEP_3) | instskip(NEXT) | instid1(VALU_DEP_2)
	v_cvt_f32_i32_e32 v39, v39
	v_add3_u32 v41, v41, v67, v85
	v_mul_i32_i24_e32 v67, v102, v31
	v_mul_i32_i24_e32 v31, v38, v31
	;; [unrolled: 1-line block ×3, first 2 shown]
	s_delay_alu instid0(VALU_DEP_3) | instskip(SKIP_1) | instid1(VALU_DEP_1)
	v_add3_u32 v3, v3, v67, v60
	v_mul_i32_i24_e32 v60, v62, v120
	v_add3_u32 v31, v32, v31, v60
	v_mul_i32_i24_e32 v32, v127, v59
	ds_load_2addr_b32 v[59:60], v114 offset0:192 offset1:224
	v_add_nc_u32_e32 v114, 4, v114
	v_add3_u32 v3, v3, v32, v38
	v_mul_i32_i24_e32 v32, v127, v64
	v_mul_i32_i24_e32 v38, v136, v106
	s_delay_alu instid0(VALU_DEP_1) | instskip(SKIP_2) | instid1(VALU_DEP_1)
	v_add3_u32 v31, v31, v32, v38
	v_mul_i32_i24_e32 v32, v126, v61
	v_mul_i32_i24_e32 v38, v125, v63
	v_add3_u32 v3, v3, v32, v38
	v_mul_i32_i24_e32 v32, v126, v66
	v_mul_i32_i24_e32 v38, v125, v65
	s_delay_alu instid0(VALU_DEP_3) | instskip(NEXT) | instid1(VALU_DEP_2)
	v_cvt_f32_i32_e32 v3, v3
	v_add3_u32 v31, v31, v32, v38
	s_wait_dscnt 0x0
	v_lshrrev_b32_e32 v32, 16, v59
	v_cvt_f32_i32_e32 v38, v40
	v_cvt_f32_i32_e32 v40, v41
	;; [unrolled: 1-line block ×3, first 2 shown]
	s_delay_alu instid0(VALU_DEP_4) | instskip(NEXT) | instid1(VALU_DEP_1)
	v_cvt_f32_f16_e32 v32, v32
	v_mul_f32_e32 v32, 0x41000000, v32
	s_delay_alu instid0(VALU_DEP_1) | instskip(SKIP_4) | instid1(VALU_DEP_2)
	v_fma_mix_f32 v33, v59, v33, -v32 op_sel_hi:[1,0,0]
	v_fma_mix_f32 v6, v59, v6, -v32 op_sel_hi:[1,0,0]
	;; [unrolled: 1-line block ×4, first 2 shown]
	v_lshrrev_b32_e32 v32, 16, v60
	v_fmac_f32_e32 v68, v30, v3
	s_delay_alu instid0(VALU_DEP_2) | instskip(NEXT) | instid1(VALU_DEP_1)
	v_cvt_f32_f16_e32 v32, v32
	v_mul_f32_e32 v32, 0x41000000, v32
	s_delay_alu instid0(VALU_DEP_1)
	v_fma_mix_f32 v38, v60, v38, -v32 op_sel_hi:[1,0,0]
	v_fma_mix_f32 v39, v60, v39, -v32 op_sel_hi:[1,0,0]
	;; [unrolled: 1-line block ×4, first 2 shown]
	ds_load_b32 v32, v115
	v_add_nc_u32_e32 v115, 4, v115
	v_fmac_f32_e32 v0, v30, v31
	s_wait_dscnt 0x0
	v_fma_f32 v25, v32, v4, v25
	ds_load_b32 v4, v117
	v_fmac_f32_e32 v28, v32, v195
	v_fma_f32 v29, v32, v201, v29
	v_fma_f32 v27, v32, v34, v27
	v_fmac_f32_e32 v26, v32, v90
	v_fmac_f32_e32 v24, v32, v49
	v_fma_f32 v23, v32, v38, v23
	v_fmac_f32_e32 v22, v32, v33
	v_add_nc_u32_e32 v117, 4, v117
	s_wait_dscnt 0x0
	v_fmac_f32_e32 v111, v4, v191
	v_fmac_f32_e32 v107, v4, v196
	;; [unrolled: 1-line block ×8, first 2 shown]
	ds_load_b32 v4, v118
	v_add_nc_u32_e32 v118, 4, v118
	s_wait_dscnt 0x0
	v_fmac_f32_e32 v112, v4, v183
	v_fmac_f32_e32 v109, v4, v192
	v_fmac_f32_e32 v105, v4, v71
	v_fmac_f32_e32 v93, v4, v89
	v_fmac_f32_e32 v91, v4, v78
	v_fmac_f32_e32 v79, v4, v81
	v_fmac_f32_e32 v75, v4, v37
	v_fmac_f32_e32 v74, v4, v40
	s_cbranch_scc1 .LBB138_9
; %bb.10:                               ;   in Loop: Header=BB138_7 Depth=1
	s_and_b32 s4, s7, -4
	s_wait_loadcnt 0x0
	s_wait_alu 0xfffe
	s_cmp_eq_u32 s4, 4
	s_barrier_signal -1
	s_barrier_wait -1
	global_inv scope:SCOPE_SE
	s_cbranch_scc1 .LBB138_5
; %bb.11:                               ;   in Loop: Header=BB138_7 Depth=1
	s_clause 0x4
	scratch_load_b32 v3, off, off offset:160
	scratch_load_b32 v4, off, off offset:8
	;; [unrolled: 1-line block ×5, first 2 shown]
	v_add_nc_u32_e32 v2, 4, v2
	s_mov_b32 s4, 12
	s_delay_alu instid0(VALU_DEP_1) | instskip(SKIP_3) | instid1(VALU_DEP_1)
	v_mad_co_u64_u32 v[113:114], null, v2, 36, s[2:3]
	s_wait_loadcnt 0x4
	v_add_nc_u32_e32 v3, s10, v3
	s_wait_loadcnt 0x3
	v_add_nc_u32_e32 v4, v3, v4
	;; [unrolled: 2-line block ×5, first 2 shown]
	v_mad_co_i64_i32 v[30:31], null, v4, 36, v[20:21]
	scratch_load_b32 v4, off, off offset:24 ; 4-byte Folded Reload
	v_mad_co_i64_i32 v[59:60], null, v5, 36, v[20:21]
	scratch_load_b32 v5, off, off offset:36 ; 4-byte Folded Reload
	;; [unrolled: 2-line block ×3, first 2 shown]
	v_mad_co_i64_i32 v[63:64], null, v19, 36, v[20:21]
	s_wait_loadcnt 0x2
	v_add_nc_u32_e32 v4, v3, v4
	s_delay_alu instid0(VALU_DEP_1) | instskip(SKIP_3) | instid1(VALU_DEP_1)
	v_mad_co_i64_i32 v[65:66], null, v4, 36, v[20:21]
	scratch_load_b32 v4, off, off offset:28 ; 4-byte Folded Reload
	s_wait_loadcnt 0x2
	v_add_nc_u32_e32 v5, v3, v5
	v_mad_co_i64_i32 v[80:81], null, v5, 36, v[20:21]
	s_wait_loadcnt 0x0
	v_add_nc_u32_e32 v4, v3, v4
	v_add_nc_u32_e32 v3, v3, v6
	s_delay_alu instid0(VALU_DEP_2) | instskip(NEXT) | instid1(VALU_DEP_2)
	v_mad_co_i64_i32 v[88:89], null, v4, 36, v[20:21]
	v_mad_co_i64_i32 v[100:101], null, v3, 36, v[20:21]
	s_clause 0x8
	global_load_b32 v3, v[80:81], off offset:4
	global_load_b32 v4, v[30:31], off offset:4
	;; [unrolled: 1-line block ×8, first 2 shown]
	global_load_b32 v33, v[113:114], off
	s_clause 0x2
	scratch_load_b32 v2, off, off offset:40
	scratch_load_b32 v113, off, off offset:44
	scratch_load_b32 v34, off, off
	s_wait_loadcnt 0x0
	v_mad_u32_u24 v118, 0x84, v34, 64
	s_clause 0x4
	scratch_load_b32 v114, off, off offset:176
	scratch_load_b32 v115, off, off offset:172
	;; [unrolled: 1-line block ×5, first 2 shown]
	s_wait_loadcnt 0x0
	ds_store_b32 v34, v3
	scratch_load_b32 v3, off, off offset:48 ; 4-byte Folded Reload
	s_wait_loadcnt 0x0
	ds_store_b32 v3, v4
	scratch_load_b32 v3, off, off offset:52 ; 4-byte Folded Reload
	s_wait_loadcnt 0x0
	ds_store_b32 v3, v5
	scratch_load_b32 v3, off, off offset:56 ; 4-byte Folded Reload
	s_wait_loadcnt 0x0
	ds_store_b32 v3, v6
	scratch_load_b32 v3, off, off offset:60 ; 4-byte Folded Reload
	s_wait_loadcnt 0x0
	ds_store_b32 v3, v19
	scratch_load_b32 v3, off, off offset:64 ; 4-byte Folded Reload
	s_wait_loadcnt 0x0
	ds_store_b32 v3, v30
	scratch_load_b32 v3, off, off offset:68 ; 4-byte Folded Reload
	s_wait_loadcnt 0x0
	ds_store_b32 v3, v31
	scratch_load_b32 v3, off, off offset:72 ; 4-byte Folded Reload
	s_wait_loadcnt 0x0
	ds_store_b32 v3, v32
	scratch_load_b32 v3, off, off offset:4  ; 4-byte Folded Reload
	s_wait_loadcnt 0x0
	ds_store_b32 v3, v33
	s_wait_dscnt 0x0
	s_barrier_signal -1
	s_barrier_wait -1
	global_inv scope:SCOPE_SE
.LBB138_12:                             ;   Parent Loop BB138_7 Depth=1
                                        ; =>  This Inner Loop Header: Depth=2
	ds_load_2addr_b32 v[30:31], v113 offset1:3
	ds_load_2addr_b32 v[59:60], v118 offset1:1
	v_add_nc_u32_e32 v32, 0x2100, v118
	v_add_nc_u32_e32 v85, 0x404, v113
	s_wait_alu 0xfffe
	s_add_co_i32 s4, s4, 4
	s_wait_alu 0xfffe
	s_cmp_lt_u32 s4, 28
	s_wait_dscnt 0x1
	v_lshrrev_b16 v3, 8, v30
	s_wait_dscnt 0x0
	v_and_b32_e32 v122, 15, v59
	v_bfe_u32 v123, v59, 8, 4
	v_ashrrev_i32_e32 v5, 24, v30
	v_bfe_i32 v6, v30, 16, 8
	v_bfe_i32 v119, v3, 0, 8
	;; [unrolled: 1-line block ×3, first 2 shown]
	v_bfe_u32 v121, v59, 16, 4
	v_bfe_u32 v120, v59, 24, 4
	;; [unrolled: 1-line block ×4, first 2 shown]
	v_mul_i32_i24_e32 v4, v3, v122
	v_mul_i32_i24_e32 v19, v121, v6
	;; [unrolled: 1-line block ×3, first 2 shown]
	v_bfe_u32 v164, v59, 20, 4
	v_lshrrev_b32_e32 v163, 28, v59
	v_mad_i32_i24 v4, v119, v123, v4
	v_bfe_u32 v168, v60, 8, 4
	v_bfe_u32 v167, v60, 24, 4
	v_bfe_i32 v194, v31, 16, 8
	v_bfe_i32 v218, v31, 0, 8
	v_add3_u32 v4, v4, v19, v30
	v_add_nc_u32_e32 v19, 0x1080, v118
	v_add_nc_u32_e32 v30, 0x1088, v118
	v_and_b32_e32 v183, 15, v60
	ds_load_2addr_b32 v[61:62], v19 offset1:1
	ds_load_2addr_b32 v[63:64], v30 offset1:1
	ds_load_2addr_b32 v[65:66], v32 offset1:1
	ds_load_2addr_b32 v[80:81], v113 offset0:4 offset1:7
	v_lshrrev_b32_e32 v191, 28, v60
	v_bfe_u32 v201, v60, 12, 4
	s_wait_dscnt 0x3
	v_lshrrev_b32_e32 v150, 28, v61
	v_bfe_u32 v124, v61, 24, 4
	v_bfe_u32 v146, v62, 24, 4
	s_wait_dscnt 0x0
	v_ashrrev_i32_e32 v19, 24, v80
	v_lshrrev_b32_e32 v137, 28, v62
	v_bfe_u32 v151, v61, 20, 4
	v_bfe_u32 v125, v61, 16, 4
	;; [unrolled: 1-line block ×3, first 2 shown]
	v_mul_i32_i24_e32 v30, v150, v19
	v_bfe_u32 v136, v62, 20, 4
	v_bfe_u32 v155, v61, 4, 4
	v_and_b32_e32 v126, 15, v61
	v_and_b32_e32 v145, 15, v62
	v_mad_i32_i24 v32, v124, v5, v30
	ds_load_b32 v30, v115
	ds_load_2addr_b32 v[88:89], v113 offset0:1 offset1:2
	ds_load_2addr_b32 v[100:101], v113 offset0:5 offset1:6
	v_bfe_u32 v140, v62, 4, 4
	v_and_b32_e32 v129, 15, v65
	v_bfe_u32 v130, v65, 8, 4
	v_bfe_u32 v127, v65, 16, 4
	;; [unrolled: 1-line block ×6, first 2 shown]
	v_lshrrev_b32_e32 v170, 28, v65
	v_mul_i32_i24_e32 v83, v5, v128
	v_bfe_u32 v154, v63, 24, 4
	v_lshrrev_b32_e32 v147, 28, v63
	v_and_b32_e32 v152, 15, v63
	v_bfe_u32 v149, v63, 4, 4
	v_bfe_u32 v153, v63, 16, 4
	;; [unrolled: 1-line block ×5, first 2 shown]
	s_wait_dscnt 0x1
	v_ashrrev_i32_e32 v33, 24, v88
	s_wait_dscnt 0x0
	v_ashrrev_i32_e32 v34, 24, v100
	v_bfe_i32 v39, v88, 16, 8
	v_bfe_i32 v40, v100, 16, 8
	;; [unrolled: 1-line block ×3, first 2 shown]
	v_mul_i32_i24_e32 v37, v33, v146
	v_mul_i32_i24_e32 v38, v34, v137
	;; [unrolled: 1-line block ×4, first 2 shown]
	v_bfe_i32 v71, v100, 0, 8
	v_mul_i32_i24_e32 v76, v67, v145
	v_add3_u32 v32, v32, v37, v38
	v_bfe_i32 v37, v80, 16, 8
	v_bfe_i32 v88, v88, 8, 8
	v_mul_i32_i24_e32 v78, v71, v140
	v_ashrrev_i32_e32 v184, 24, v81
	v_bfe_u32 v148, v64, 24, 4
	v_mul_i32_i24_e32 v38, v151, v37
	v_bfe_i32 v200, v81, 16, 8
	v_bfe_u32 v142, v64, 16, 4
	v_bfe_i32 v254, v81, 0, 8
	v_and_b32_e32 v185, 15, v66
	v_mad_i32_i24 v38, v125, v6, v38
	v_bfe_u32 v186, v66, 16, 4
	v_bfe_i32 v100, v100, 8, 8
	v_bfe_u32 v195, v66, 4, 4
	v_lshrrev_b32_e32 v196, 28, v66
	v_add3_u32 v38, v38, v41, v49
	v_bfe_i32 v41, v80, 0, 8
	v_lshrrev_b16 v80, 8, v80
	v_bfe_u32 v203, v66, 12, 4
	v_bfe_u32 v202, v66, 20, 4
	v_bfe_i32 v66, v81, 8, 8
	v_mul_i32_i24_e32 v49, v155, v41
	v_bfe_i32 v80, v80, 0, 8
	v_add_nc_u32_e32 v115, 4, v115
	s_delay_alu instid0(VALU_DEP_3) | instskip(NEXT) | instid1(VALU_DEP_1)
	v_mad_i32_i24 v49, v126, v3, v49
	v_add3_u32 v49, v49, v76, v78
	v_mul_i32_i24_e32 v76, v3, v129
	v_mul_i32_i24_e32 v78, v6, v127
	s_delay_alu instid0(VALU_DEP_2) | instskip(NEXT) | instid1(VALU_DEP_1)
	v_mad_i32_i24 v76, v119, v130, v76
	v_add3_u32 v76, v76, v78, v83
	v_add_nc_u32_e32 v78, 0x3180, v118
	v_add_nc_u32_e32 v83, 0x3188, v118
	ds_load_2addr_b32 v[179:180], v78 offset1:1
	ds_load_2addr_b32 v[189:190], v83 offset1:1
	;; [unrolled: 1-line block ×3, first 2 shown]
	s_wait_dscnt 0x2
	v_and_b32_e32 v133, 15, v179
	v_bfe_u32 v131, v179, 16, 4
	v_bfe_u32 v132, v179, 24, 4
	;; [unrolled: 1-line block ×4, first 2 shown]
	v_mul_i32_i24_e32 v3, v3, v133
	v_mul_i32_i24_e32 v6, v6, v131
	;; [unrolled: 1-line block ×3, first 2 shown]
	v_bfe_u32 v172, v179, 4, 4
	v_bfe_u32 v174, v179, 20, 4
	v_mad_i32_i24 v3, v119, v134, v3
	v_lshrrev_b32_e32 v175, 28, v179
	v_bfe_u32 v178, v180, 8, 4
	v_bfe_u32 v179, v180, 24, 4
	v_and_b32_e32 v187, 15, v180
	v_add3_u32 v3, v3, v6, v5
	v_add_nc_u32_e32 v5, 0x400, v113
	v_bfe_u32 v188, v180, 16, 4
	v_bfe_u32 v197, v180, 4, 4
	v_lshrrev_b32_e32 v198, 28, v180
	v_bfe_u32 v206, v180, 12, 4
	ds_load_2addr_b32 v[181:182], v5 offset0:4 offset1:7
	v_bfe_u32 v205, v180, 20, 4
	s_wait_dscnt 0x1
	v_ashrrev_i32_e32 v81, 24, v193
	v_bfe_u32 v224, v189, 8, 4
	v_bfe_u32 v225, v189, 24, 4
	v_and_b32_e32 v234, 15, v189
	v_bfe_u32 v235, v189, 16, 4
	v_bfe_u32 v238, v189, 4, 4
	v_lshrrev_b32_e32 v239, 28, v189
	v_bfe_u32 v243, v189, 12, 4
	v_bfe_u32 v242, v189, 20, 4
	;; [unrolled: 1-line block ×4, first 2 shown]
	v_and_b32_e32 v248, 15, v190
	v_bfe_u32 v249, v190, 16, 4
	v_bfe_u32 v250, v190, 4, 4
	v_lshrrev_b32_e32 v251, 28, v190
	v_bfe_u32 v253, v190, 12, 4
	v_bfe_u32 v252, v190, 20, 4
	s_wait_dscnt 0x0
	v_bfe_i32 v6, v181, 8, 8
	v_bfe_i32 v78, v181, 0, 8
	;; [unrolled: 1-line block ×3, first 2 shown]
	v_ashrrev_i32_e32 v85, 24, v181
	v_bfe_u32 v181, v60, 16, 4
	v_mul_i32_i24_e32 v83, v6, v162
	s_delay_alu instid0(VALU_DEP_4) | instskip(NEXT) | instid1(VALU_DEP_4)
	v_mul_i32_i24_e32 v86, v59, v164
	v_mul_i32_i24_e32 v90, v85, v163
	;; [unrolled: 1-line block ×3, first 2 shown]
	s_delay_alu instid0(VALU_DEP_4) | instskip(SKIP_1) | instid1(VALU_DEP_2)
	v_mad_i32_i24 v83, v78, v161, v83
	v_mul_i32_i24_e32 v102, v85, v175
	v_add3_u32 v83, v83, v86, v90
	v_mul_i32_i24_e32 v86, v41, v161
	v_mul_i32_i24_e32 v90, v80, v162
	s_delay_alu instid0(VALU_DEP_1) | instskip(SKIP_2) | instid1(VALU_DEP_2)
	v_add3_u32 v4, v4, v90, v86
	v_mul_i32_i24_e32 v86, v6, v166
	v_mul_i32_i24_e32 v90, v85, v170
	v_mad_i32_i24 v86, v78, v165, v86
	s_delay_alu instid0(VALU_DEP_1) | instskip(SKIP_3) | instid1(VALU_DEP_3)
	v_add3_u32 v65, v86, v65, v90
	v_mul_i32_i24_e32 v86, v6, v173
	v_mul_i32_i24_e32 v90, v59, v174
	;; [unrolled: 1-line block ×3, first 2 shown]
	v_mad_i32_i24 v86, v78, v172, v86
	s_delay_alu instid0(VALU_DEP_1) | instskip(SKIP_2) | instid1(VALU_DEP_2)
	v_add3_u32 v86, v86, v90, v102
	v_ashrrev_i32_e32 v90, 24, v89
	v_ashrrev_i32_e32 v102, 24, v101
	v_mul_i32_i24_e32 v103, v90, v154
	s_delay_alu instid0(VALU_DEP_2) | instskip(NEXT) | instid1(VALU_DEP_1)
	v_mul_i32_i24_e32 v104, v102, v147
	v_add3_u32 v32, v32, v103, v104
	v_bfe_i32 v103, v89, 0, 8
	v_bfe_i32 v104, v101, 0, 8
	s_delay_alu instid0(VALU_DEP_2) | instskip(NEXT) | instid1(VALU_DEP_2)
	v_mul_i32_i24_e32 v106, v103, v152
	v_mul_i32_i24_e32 v108, v104, v149
	s_delay_alu instid0(VALU_DEP_1) | instskip(SKIP_3) | instid1(VALU_DEP_3)
	v_add3_u32 v49, v49, v106, v108
	v_bfe_i32 v106, v89, 16, 8
	v_bfe_i32 v108, v101, 16, 8
	;; [unrolled: 1-line block ×3, first 2 shown]
	v_mul_i32_i24_e32 v110, v106, v153
	s_delay_alu instid0(VALU_DEP_3) | instskip(NEXT) | instid1(VALU_DEP_1)
	v_mul_i32_i24_e32 v135, v108, v143
	v_add3_u32 v38, v38, v110, v135
	v_mul_i32_i24_e32 v110, v41, v165
	v_mul_i32_i24_e32 v135, v80, v166
	;; [unrolled: 1-line block ×3, first 2 shown]
	s_delay_alu instid0(VALU_DEP_2) | instskip(SKIP_1) | instid1(VALU_DEP_1)
	v_add3_u32 v76, v76, v135, v110
	v_mul_i32_i24_e32 v110, v80, v173
	v_add3_u32 v3, v3, v110, v41
	v_bfe_i32 v41, v192, 8, 8
	v_ashrrev_i32_e32 v110, 24, v192
	s_delay_alu instid0(VALU_DEP_2) | instskip(NEXT) | instid1(VALU_DEP_2)
	v_mul_i32_i24_e32 v135, v41, v168
	v_mul_i32_i24_e32 v138, v110, v167
	s_delay_alu instid0(VALU_DEP_1) | instskip(SKIP_2) | instid1(VALU_DEP_1)
	v_add3_u32 v83, v83, v138, v135
	v_mul_i32_i24_e32 v135, v37, v164
	v_mul_i32_i24_e32 v138, v19, v163
	v_add3_u32 v4, v4, v135, v138
	v_mul_i32_i24_e32 v135, v41, v176
	v_mul_i32_i24_e32 v138, v110, v177
	s_delay_alu instid0(VALU_DEP_1) | instskip(SKIP_2) | instid1(VALU_DEP_1)
	v_add3_u32 v65, v65, v138, v135
	v_mul_i32_i24_e32 v135, v41, v178
	v_mul_i32_i24_e32 v138, v110, v179
	v_add3_u32 v86, v86, v138, v135
	v_lshrrev_b32_e32 v135, 4, v61
	v_and_b32_e32 v61, 0xf0f0f0f, v61
	v_and_b32_e32 v138, 0xf0f0f0f, v62
	v_lshrrev_b32_e32 v62, 4, v62
	s_delay_alu instid0(VALU_DEP_4) | instskip(NEXT) | instid1(VALU_DEP_4)
	v_lshrrev_b16 v135, 8, v135
	v_lshrrev_b16 v61, 8, v61
	s_delay_alu instid0(VALU_DEP_4) | instskip(NEXT) | instid1(VALU_DEP_4)
	v_lshrrev_b16 v138, 8, v138
	v_lshrrev_b16 v62, 8, v62
	s_delay_alu instid0(VALU_DEP_4) | instskip(NEXT) | instid1(VALU_DEP_4)
	v_and_b32_e32 v139, 15, v135
	v_and_b32_e32 v135, 0xffff, v61
	s_delay_alu instid0(VALU_DEP_4)
	v_and_b32_e32 v160, 0xffff, v138
	v_lshrrev_b32_e32 v138, 28, v64
	v_and_b32_e32 v62, 15, v62
	v_and_b32_e32 v171, 0xffff, v139
	v_mul_i32_i24_e32 v61, v135, v119
	v_mul_i32_i24_e32 v119, v88, v160
	;; [unrolled: 1-line block ×3, first 2 shown]
	v_and_b32_e32 v159, 0xffff, v62
	v_mul_i32_i24_e32 v80, v171, v80
	v_mul_i32_i24_e32 v6, v171, v6
	;; [unrolled: 1-line block ×3, first 2 shown]
	s_delay_alu instid0(VALU_DEP_3) | instskip(SKIP_1) | instid1(VALU_DEP_4)
	v_add3_u32 v61, v61, v80, v119
	v_ashrrev_i32_e32 v80, 24, v31
	v_mad_i32_i24 v6, v155, v78, v6
	v_mul_i32_i24_e32 v78, v150, v85
	v_bfe_i32 v85, v31, 8, 8
	v_lshrrev_b32_e32 v31, 4, v63
	v_mul_i32_i24_e32 v119, v80, v148
	s_delay_alu instid0(VALU_DEP_4) | instskip(NEXT) | instid1(VALU_DEP_3)
	v_add3_u32 v6, v6, v59, v78
	v_lshrrev_b16 v31, 8, v31
	s_delay_alu instid0(VALU_DEP_3) | instskip(SKIP_2) | instid1(VALU_DEP_4)
	v_add3_u32 v32, v32, v119, v139
	v_bfe_u32 v119, v64, 20, 4
	v_mul_i32_i24_e32 v139, v194, v142
	v_and_b32_e32 v31, 15, v31
	s_delay_alu instid0(VALU_DEP_3) | instskip(NEXT) | instid1(VALU_DEP_1)
	v_mul_i32_i24_e32 v144, v200, v119
	v_add3_u32 v38, v38, v139, v144
	v_and_b32_e32 v144, 15, v64
	v_bfe_u32 v139, v64, 4, 4
	s_delay_alu instid0(VALU_DEP_2) | instskip(NEXT) | instid1(VALU_DEP_2)
	v_mul_i32_i24_e32 v156, v218, v144
	v_mul_i32_i24_e32 v157, v254, v139
	s_delay_alu instid0(VALU_DEP_1) | instskip(SKIP_4) | instid1(VALU_DEP_3)
	v_add3_u32 v49, v49, v156, v157
	v_mul_i32_i24_e32 v156, v37, v169
	v_mul_i32_i24_e32 v157, v19, v170
	;; [unrolled: 1-line block ×4, first 2 shown]
	v_add3_u32 v76, v76, v156, v157
	s_delay_alu instid0(VALU_DEP_2) | instskip(SKIP_3) | instid1(VALU_DEP_3)
	v_add3_u32 v3, v3, v37, v19
	v_bfe_i32 v19, v192, 0, 8
	v_bfe_i32 v37, v192, 16, 8
	v_bfe_u32 v192, v60, 4, 4
	v_mul_i32_i24_e32 v156, v19, v183
	s_delay_alu instid0(VALU_DEP_3) | instskip(NEXT) | instid1(VALU_DEP_1)
	v_mul_i32_i24_e32 v157, v37, v181
	v_add3_u32 v83, v83, v156, v157
	v_mul_i32_i24_e32 v156, v88, v168
	v_mul_i32_i24_e32 v157, v67, v183
	s_delay_alu instid0(VALU_DEP_1) | instskip(SKIP_2) | instid1(VALU_DEP_1)
	v_add3_u32 v4, v4, v156, v157
	v_mul_i32_i24_e32 v156, v19, v185
	v_mul_i32_i24_e32 v157, v37, v186
	v_add3_u32 v65, v65, v156, v157
	v_mul_i32_i24_e32 v156, v19, v187
	v_mul_i32_i24_e32 v157, v37, v188
	;; [unrolled: 1-line block ×4, first 2 shown]
	s_delay_alu instid0(VALU_DEP_3) | instskip(SKIP_2) | instid1(VALU_DEP_2)
	v_add3_u32 v86, v86, v156, v157
	v_and_b32_e32 v156, 0xf0f0f0f, v63
	v_and_b32_e32 v63, 0xf0f0f0f, v64
	v_lshrrev_b16 v156, 8, v156
	s_delay_alu instid0(VALU_DEP_2) | instskip(NEXT) | instid1(VALU_DEP_2)
	v_lshrrev_b16 v63, 8, v63
	v_and_b32_e32 v158, 0xffff, v156
	v_mul_i32_i24_e32 v156, v100, v159
	s_delay_alu instid0(VALU_DEP_2) | instskip(NEXT) | instid1(VALU_DEP_1)
	v_mul_i32_i24_e32 v62, v89, v158
	v_add3_u32 v199, v61, v156, v62
	v_mul_i32_i24_e32 v61, v67, v185
	v_mul_i32_i24_e32 v62, v88, v176
	s_delay_alu instid0(VALU_DEP_1) | instskip(SKIP_2) | instid1(VALU_DEP_1)
	v_add3_u32 v76, v76, v62, v61
	v_mul_i32_i24_e32 v61, v67, v187
	v_mul_i32_i24_e32 v62, v88, v178
	v_add3_u32 v3, v3, v62, v61
	v_add_nc_u32_e32 v61, 0x414, v113
	ds_load_2addr_b32 v[61:62], v61 offset1:1
	s_wait_dscnt 0x0
	v_bfe_i32 v67, v61, 0, 8
	v_ashrrev_i32_e32 v88, 24, v61
	s_delay_alu instid0(VALU_DEP_2) | instskip(NEXT) | instid1(VALU_DEP_2)
	v_mul_i32_i24_e32 v156, v67, v192
	v_mul_i32_i24_e32 v157, v88, v191
	;; [unrolled: 1-line block ×4, first 2 shown]
	s_delay_alu instid0(VALU_DEP_3) | instskip(SKIP_2) | instid1(VALU_DEP_4)
	v_add3_u32 v83, v83, v157, v156
	v_mul_i32_i24_e32 v156, v39, v181
	v_mul_i32_i24_e32 v157, v33, v167
	v_add3_u32 v59, v65, v78, v59
	v_mul_i32_i24_e32 v65, v67, v197
	v_mul_i32_i24_e32 v78, v88, v198
	s_delay_alu instid0(VALU_DEP_4) | instskip(SKIP_2) | instid1(VALU_DEP_4)
	v_add3_u32 v4, v4, v156, v157
	v_and_b32_e32 v156, 0xffff, v63
	v_and_b32_e32 v157, 0xffff, v31
	v_add3_u32 v65, v86, v78, v65
	v_bfe_i32 v78, v101, 8, 8
	v_mul_i32_i24_e32 v86, v33, v177
	v_mul_i32_i24_e32 v31, v85, v156
	;; [unrolled: 1-line block ×3, first 2 shown]
	s_delay_alu instid0(VALU_DEP_4) | instskip(NEXT) | instid1(VALU_DEP_1)
	v_mul_i32_i24_e32 v63, v78, v157
	v_add3_u32 v63, v199, v63, v31
	v_mul_i32_i24_e32 v31, v39, v186
	v_bfe_u32 v199, v60, 20, 4
	s_delay_alu instid0(VALU_DEP_2) | instskip(SKIP_2) | instid1(VALU_DEP_2)
	v_add3_u32 v76, v76, v31, v86
	v_mul_i32_i24_e32 v31, v39, v188
	v_bfe_i32 v39, v61, 16, 8
	v_add3_u32 v3, v3, v31, v33
	v_bfe_i32 v33, v61, 8, 8
	s_delay_alu instid0(VALU_DEP_3) | instskip(NEXT) | instid1(VALU_DEP_2)
	v_mul_i32_i24_e32 v60, v39, v199
	v_mul_i32_i24_e32 v31, v33, v201
	s_delay_alu instid0(VALU_DEP_1) | instskip(SKIP_2) | instid1(VALU_DEP_1)
	v_add3_u32 v61, v83, v31, v60
	v_mul_i32_i24_e32 v31, v71, v192
	v_mul_i32_i24_e32 v60, v100, v201
	v_add3_u32 v4, v4, v31, v60
	v_mul_i32_i24_e32 v31, v110, v146
	v_mul_i32_i24_e32 v60, v100, v203
	s_delay_alu instid0(VALU_DEP_2) | instskip(SKIP_2) | instid1(VALU_DEP_3)
	v_add3_u32 v6, v6, v31, v41
	v_mul_i32_i24_e32 v31, v33, v203
	v_mul_i32_i24_e32 v41, v39, v202
	v_add3_u32 v6, v6, v19, v37
	v_add_nc_u32_e32 v19, 0x2108, v118
	s_delay_alu instid0(VALU_DEP_3) | instskip(SKIP_4) | instid1(VALU_DEP_3)
	v_add3_u32 v41, v59, v31, v41
	v_mul_i32_i24_e32 v31, v33, v206
	v_mul_i32_i24_e32 v59, v39, v205
	;; [unrolled: 1-line block ×4, first 2 shown]
	v_add3_u32 v65, v65, v31, v59
	v_lshrrev_b32_e32 v31, 4, v64
	s_delay_alu instid0(VALU_DEP_1) | instskip(NEXT) | instid1(VALU_DEP_1)
	v_lshrrev_b16 v31, 8, v31
	v_and_b32_e32 v31, 15, v31
	s_delay_alu instid0(VALU_DEP_1) | instskip(NEXT) | instid1(VALU_DEP_1)
	v_and_b32_e32 v31, 0xffff, v31
	v_mul_i32_i24_e32 v59, v66, v31
	s_delay_alu instid0(VALU_DEP_1) | instskip(SKIP_1) | instid1(VALU_DEP_2)
	v_add3_u32 v32, v63, v59, v32
	v_mul_i32_i24_e32 v59, v71, v195
	v_add3_u32 v32, v49, v38, v32
	s_delay_alu instid0(VALU_DEP_2)
	v_add3_u32 v76, v76, v59, v60
	v_mul_i32_i24_e32 v59, v71, v197
	v_mul_i32_i24_e32 v60, v100, v206
	v_bfe_i32 v71, v193, 8, 8
	v_mul_i32_i24_e32 v38, v40, v202
	v_cvt_f32_i32_e32 v32, v32
	s_delay_alu instid0(VALU_DEP_4)
	v_add3_u32 v3, v3, v59, v60
	ds_load_2addr_b32 v[59:60], v118 offset0:2 offset1:3
	v_add_nc_u32_e32 v118, 16, v118
	s_wait_dscnt 0x0
	v_bfe_u32 v207, v59, 8, 4
	v_bfe_u32 v204, v59, 24, 4
	v_and_b32_e32 v209, 15, v59
	v_bfe_u32 v210, v59, 16, 4
	v_bfe_u32 v211, v59, 4, 4
	v_mul_i32_i24_e32 v63, v71, v207
	v_mul_i32_i24_e32 v64, v81, v204
	v_lshrrev_b32_e32 v208, 28, v59
	v_bfe_u32 v216, v59, 12, 4
	v_bfe_u32 v215, v59, 20, 4
	;; [unrolled: 1-line block ×3, first 2 shown]
	v_add3_u32 v61, v61, v64, v63
	v_mul_i32_i24_e32 v63, v40, v199
	v_mul_i32_i24_e32 v64, v34, v191
	;; [unrolled: 1-line block ×3, first 2 shown]
	v_bfe_u32 v212, v60, 24, 4
	v_and_b32_e32 v217, 15, v60
	v_bfe_u32 v214, v60, 16, 4
	v_add3_u32 v4, v4, v63, v64
	ds_load_2addr_b32 v[63:64], v19 offset1:1
	v_bfe_u32 v227, v60, 4, 4
	v_lshrrev_b32_e32 v226, 28, v60
	v_bfe_u32 v221, v60, 20, 4
	s_wait_dscnt 0x0
	v_bfe_u32 v219, v63, 8, 4
	v_bfe_u32 v220, v63, 24, 4
	v_and_b32_e32 v222, 15, v63
	v_bfe_u32 v223, v63, 16, 4
	v_bfe_u32 v228, v63, 4, 4
	v_mul_i32_i24_e32 v19, v71, v219
	v_mul_i32_i24_e32 v37, v81, v220
	v_lshrrev_b32_e32 v229, 28, v63
	v_bfe_u32 v231, v63, 12, 4
	v_bfe_u32 v230, v63, 20, 4
	;; [unrolled: 1-line block ×3, first 2 shown]
	v_add3_u32 v19, v41, v37, v19
	v_mul_i32_i24_e32 v37, v71, v224
	v_mul_i32_i24_e32 v41, v81, v225
	v_bfe_u32 v233, v64, 24, 4
	v_and_b32_e32 v236, 15, v64
	v_bfe_u32 v237, v64, 16, 4
	v_bfe_u32 v240, v64, 4, 4
	v_add3_u32 v37, v65, v41, v37
	v_mul_i32_i24_e32 v41, v34, v196
	v_mul_i32_i24_e32 v34, v34, v198
	v_ashrrev_i32_e32 v65, 24, v62
	v_lshrrev_b32_e32 v241, 28, v64
	v_bfe_u32 v247, v64, 12, 4
	v_add3_u32 v38, v76, v38, v41
	v_add3_u32 v3, v3, v40, v34
	v_bfe_i32 v34, v193, 0, 8
	v_bfe_i32 v40, v193, 16, 8
	v_bfe_u32 v246, v64, 20, 4
	s_delay_alu instid0(VALU_DEP_3) | instskip(NEXT) | instid1(VALU_DEP_3)
	v_mul_i32_i24_e32 v41, v34, v209
	v_mul_i32_i24_e32 v49, v40, v210
	s_delay_alu instid0(VALU_DEP_1) | instskip(SKIP_2) | instid1(VALU_DEP_1)
	v_add3_u32 v41, v61, v41, v49
	v_mul_i32_i24_e32 v49, v103, v209
	v_mul_i32_i24_e32 v61, v89, v207
	v_add3_u32 v4, v4, v61, v49
	v_mul_i32_i24_e32 v49, v67, v140
	v_mul_i32_i24_e32 v61, v88, v137
	v_mul_i32_i24_e32 v67, v65, v208
	s_delay_alu instid0(VALU_DEP_2) | instskip(SKIP_2) | instid1(VALU_DEP_3)
	v_add3_u32 v6, v6, v61, v49
	v_mul_i32_i24_e32 v49, v34, v222
	v_mul_i32_i24_e32 v61, v40, v223
	v_add3_u32 v6, v6, v33, v39
	v_mul_i32_i24_e32 v39, v65, v229
	s_delay_alu instid0(VALU_DEP_3) | instskip(SKIP_4) | instid1(VALU_DEP_3)
	v_add3_u32 v19, v19, v49, v61
	v_mul_i32_i24_e32 v49, v34, v234
	v_mul_i32_i24_e32 v61, v40, v235
	;; [unrolled: 1-line block ×4, first 2 shown]
	v_add3_u32 v37, v37, v49, v61
	v_mul_i32_i24_e32 v49, v103, v222
	v_mul_i32_i24_e32 v61, v89, v219
	s_delay_alu instid0(VALU_DEP_1) | instskip(SKIP_2) | instid1(VALU_DEP_1)
	v_add3_u32 v38, v38, v61, v49
	v_mul_i32_i24_e32 v49, v103, v234
	v_mul_i32_i24_e32 v61, v89, v224
	v_add3_u32 v3, v3, v61, v49
	v_bfe_i32 v49, v62, 0, 8
	s_delay_alu instid0(VALU_DEP_1) | instskip(SKIP_1) | instid1(VALU_DEP_2)
	v_mul_i32_i24_e32 v33, v49, v228
	v_mul_i32_i24_e32 v61, v49, v211
	v_add3_u32 v19, v19, v39, v33
	v_mul_i32_i24_e32 v33, v49, v238
	v_mul_i32_i24_e32 v39, v65, v239
	s_delay_alu instid0(VALU_DEP_4)
	v_add3_u32 v41, v41, v67, v61
	v_mul_i32_i24_e32 v61, v106, v210
	v_mul_i32_i24_e32 v67, v90, v204
	;; [unrolled: 1-line block ×3, first 2 shown]
	v_add3_u32 v33, v37, v39, v33
	v_mul_i32_i24_e32 v37, v106, v223
	v_mul_i32_i24_e32 v39, v90, v220
	v_add3_u32 v4, v4, v61, v67
	s_delay_alu instid0(VALU_DEP_2) | instskip(SKIP_2) | instid1(VALU_DEP_1)
	v_add3_u32 v37, v38, v37, v39
	v_mul_i32_i24_e32 v38, v106, v235
	v_mul_i32_i24_e32 v39, v90, v225
	v_add3_u32 v3, v3, v38, v39
	v_bfe_i32 v38, v62, 8, 8
	v_bfe_i32 v39, v62, 16, 8
	s_delay_alu instid0(VALU_DEP_2) | instskip(NEXT) | instid1(VALU_DEP_2)
	v_mul_i32_i24_e32 v59, v38, v216
	v_mul_i32_i24_e32 v61, v39, v215
	s_delay_alu instid0(VALU_DEP_1) | instskip(SKIP_2) | instid1(VALU_DEP_1)
	v_add3_u32 v41, v41, v59, v61
	v_mul_i32_i24_e32 v59, v104, v211
	v_mul_i32_i24_e32 v61, v78, v216
	v_add3_u32 v4, v4, v59, v61
	v_mul_i32_i24_e32 v59, v81, v154
	v_mul_i32_i24_e32 v61, v71, v158
	s_delay_alu instid0(VALU_DEP_1) | instskip(SKIP_2) | instid1(VALU_DEP_3)
	v_add3_u32 v6, v6, v59, v61
	v_mul_i32_i24_e32 v59, v38, v231
	v_mul_i32_i24_e32 v61, v39, v230
	v_add3_u32 v6, v6, v34, v40
	s_delay_alu instid0(VALU_DEP_2) | instskip(SKIP_4) | instid1(VALU_DEP_3)
	v_add3_u32 v19, v19, v59, v61
	v_mul_i32_i24_e32 v59, v38, v243
	v_mul_i32_i24_e32 v61, v39, v242
	;; [unrolled: 1-line block ×4, first 2 shown]
	v_add3_u32 v33, v33, v59, v61
	v_mul_i32_i24_e32 v59, v104, v228
	v_mul_i32_i24_e32 v61, v78, v231
	s_delay_alu instid0(VALU_DEP_1) | instskip(SKIP_2) | instid1(VALU_DEP_1)
	v_add3_u32 v37, v37, v59, v61
	v_mul_i32_i24_e32 v59, v104, v238
	v_mul_i32_i24_e32 v61, v78, v243
	v_add3_u32 v3, v3, v59, v61
	ds_load_2addr_b32 v[61:62], v5 offset1:3
	s_wait_dscnt 0x0
	v_bfe_i32 v5, v62, 8, 8
	v_ashrrev_i32_e32 v59, 24, v62
	s_delay_alu instid0(VALU_DEP_2) | instskip(NEXT) | instid1(VALU_DEP_2)
	v_mul_i32_i24_e32 v34, v5, v232
	v_mul_i32_i24_e32 v40, v59, v233
	;; [unrolled: 1-line block ×4, first 2 shown]
	s_delay_alu instid0(VALU_DEP_3) | instskip(SKIP_2) | instid1(VALU_DEP_4)
	v_add3_u32 v19, v19, v40, v34
	v_mul_i32_i24_e32 v34, v5, v244
	v_mul_i32_i24_e32 v40, v59, v245
	v_add3_u32 v41, v41, v67, v63
	v_mul_i32_i24_e32 v63, v108, v215
	v_mul_i32_i24_e32 v67, v102, v208
	;; [unrolled: 1-line block ×3, first 2 shown]
	v_add3_u32 v33, v33, v40, v34
	v_mul_i32_i24_e32 v34, v108, v230
	v_mul_i32_i24_e32 v40, v102, v229
	v_add3_u32 v4, v4, v63, v67
	v_mul_i32_i24_e32 v5, v5, v156
	v_add_nc_u32_e32 v67, 0xc04, v113
	s_delay_alu instid0(VALU_DEP_4) | instskip(SKIP_2) | instid1(VALU_DEP_1)
	v_add3_u32 v34, v37, v34, v40
	v_mul_i32_i24_e32 v37, v108, v242
	v_mul_i32_i24_e32 v40, v102, v239
	v_add3_u32 v3, v3, v37, v40
	v_bfe_i32 v37, v62, 0, 8
	v_bfe_i32 v40, v62, 16, 8
	s_delay_alu instid0(VALU_DEP_2) | instskip(NEXT) | instid1(VALU_DEP_2)
	v_mul_i32_i24_e32 v62, v37, v217
	v_mul_i32_i24_e32 v63, v40, v214
	s_delay_alu instid0(VALU_DEP_1) | instskip(SKIP_2) | instid1(VALU_DEP_1)
	v_add3_u32 v41, v41, v62, v63
	v_mul_i32_i24_e32 v62, v218, v217
	v_mul_i32_i24_e32 v63, v85, v213
	v_add3_u32 v4, v4, v63, v62
	v_mul_i32_i24_e32 v62, v65, v147
	s_delay_alu instid0(VALU_DEP_1) | instskip(SKIP_2) | instid1(VALU_DEP_3)
	v_add3_u32 v6, v6, v62, v49
	v_mul_i32_i24_e32 v49, v37, v236
	v_mul_i32_i24_e32 v62, v40, v237
	v_add3_u32 v6, v6, v38, v39
	s_delay_alu instid0(VALU_DEP_2) | instskip(SKIP_2) | instid1(VALU_DEP_4)
	v_add3_u32 v19, v19, v49, v62
	v_mul_i32_i24_e32 v49, v37, v248
	v_mul_i32_i24_e32 v62, v40, v249
	v_add3_u32 v5, v6, v59, v5
	v_mul_i32_i24_e32 v37, v37, v144
	v_mul_i32_i24_e32 v40, v40, v142
	s_delay_alu instid0(VALU_DEP_4) | instskip(SKIP_2) | instid1(VALU_DEP_4)
	v_add3_u32 v33, v33, v49, v62
	v_mul_i32_i24_e32 v49, v218, v236
	v_mul_i32_i24_e32 v62, v85, v232
	v_add3_u32 v5, v5, v37, v40
	s_delay_alu instid0(VALU_DEP_2) | instskip(SKIP_3) | instid1(VALU_DEP_2)
	v_add3_u32 v34, v34, v62, v49
	v_mul_i32_i24_e32 v49, v85, v244
	v_mul_i32_i24_e32 v62, v218, v248
	v_bfe_u32 v218, v60, 12, 4
	v_add3_u32 v3, v3, v49, v62
	v_mul_i32_i24_e32 v49, v194, v214
	v_mul_i32_i24_e32 v62, v80, v212
	s_delay_alu instid0(VALU_DEP_1) | instskip(SKIP_2) | instid1(VALU_DEP_2)
	v_add3_u32 v4, v4, v49, v62
	v_bfe_i32 v49, v182, 0, 8
	v_ashrrev_i32_e32 v62, 24, v182
	v_mul_i32_i24_e32 v38, v49, v240
	s_delay_alu instid0(VALU_DEP_2) | instskip(SKIP_2) | instid1(VALU_DEP_3)
	v_mul_i32_i24_e32 v39, v62, v241
	v_mul_i32_i24_e32 v63, v49, v227
	v_mul_i32_i24_e32 v65, v62, v226
	v_add3_u32 v19, v19, v39, v38
	v_mul_i32_i24_e32 v38, v49, v250
	v_mul_i32_i24_e32 v39, v62, v251
	s_delay_alu instid0(VALU_DEP_4) | instskip(SKIP_2) | instid1(VALU_DEP_4)
	v_add3_u32 v41, v41, v65, v63
	v_mul_i32_i24_e32 v49, v49, v139
	v_add_nc_u32_e32 v65, 0x814, v113
	v_add3_u32 v33, v33, v39, v38
	v_mul_i32_i24_e32 v38, v194, v237
	v_mul_i32_i24_e32 v39, v80, v233
	s_delay_alu instid0(VALU_DEP_1) | instskip(SKIP_2) | instid1(VALU_DEP_1)
	v_add3_u32 v34, v34, v38, v39
	v_mul_i32_i24_e32 v38, v80, v245
	v_mul_i32_i24_e32 v39, v194, v249
	v_add3_u32 v3, v3, v39, v38
	v_bfe_i32 v38, v182, 8, 8
	v_bfe_i32 v39, v182, 16, 8
	s_delay_alu instid0(VALU_DEP_2) | instskip(NEXT) | instid1(VALU_DEP_2)
	v_mul_i32_i24_e32 v6, v38, v247
	v_mul_i32_i24_e32 v59, v39, v246
	;; [unrolled: 1-line block ×4, first 2 shown]
	s_delay_alu instid0(VALU_DEP_3) | instskip(SKIP_2) | instid1(VALU_DEP_4)
	v_add3_u32 v6, v19, v6, v59
	v_mul_i32_i24_e32 v19, v38, v253
	v_mul_i32_i24_e32 v59, v39, v252
	v_add3_u32 v41, v41, v60, v63
	v_mul_i32_i24_e32 v60, v254, v227
	v_mul_i32_i24_e32 v63, v66, v218
	;; [unrolled: 1-line block ×3, first 2 shown]
	v_add3_u32 v19, v33, v19, v59
	v_mul_i32_i24_e32 v33, v254, v240
	v_mul_i32_i24_e32 v59, v66, v247
	v_add3_u32 v4, v4, v60, v63
	v_mul_i32_i24_e32 v38, v38, v31
	s_delay_alu instid0(VALU_DEP_3) | instskip(SKIP_2) | instid1(VALU_DEP_1)
	v_add3_u32 v33, v34, v33, v59
	v_mul_i32_i24_e32 v34, v254, v250
	v_mul_i32_i24_e32 v59, v66, v253
	v_add3_u32 v3, v3, v34, v59
	v_bfe_i32 v34, v61, 0, 8
	v_bfe_i32 v59, v61, 8, 8
	s_delay_alu instid0(VALU_DEP_2) | instskip(NEXT) | instid1(VALU_DEP_2)
	v_mul_i32_i24_e32 v37, v34, v129
	v_mul_i32_i24_e32 v40, v59, v130
	;; [unrolled: 1-line block ×4, first 2 shown]
	s_delay_alu instid0(VALU_DEP_3) | instskip(SKIP_2) | instid1(VALU_DEP_4)
	v_add3_u32 v6, v6, v37, v40
	v_mul_i32_i24_e32 v37, v34, v133
	v_mul_i32_i24_e32 v40, v59, v134
	v_add3_u32 v41, v41, v60, v63
	v_mul_i32_i24_e32 v60, v200, v221
	v_mul_i32_i24_e32 v63, v184, v226
	;; [unrolled: 1-line block ×3, first 2 shown]
	v_add3_u32 v19, v19, v37, v40
	v_mul_i32_i24_e32 v37, v200, v246
	v_mul_i32_i24_e32 v40, v184, v241
	v_add3_u32 v4, v4, v60, v63
	s_delay_alu instid0(VALU_DEP_2) | instskip(SKIP_2) | instid1(VALU_DEP_4)
	v_add3_u32 v33, v33, v37, v40
	v_mul_i32_i24_e32 v37, v200, v252
	v_mul_i32_i24_e32 v40, v184, v251
	v_cvt_f32_i32_e32 v4, v4
	s_delay_alu instid0(VALU_DEP_2) | instskip(SKIP_2) | instid1(VALU_DEP_3)
	v_add3_u32 v3, v3, v37, v40
	v_bfe_i32 v37, v61, 16, 8
	v_ashrrev_i32_e32 v40, 24, v61
	v_cvt_f32_i32_e32 v3, v3
	s_delay_alu instid0(VALU_DEP_3) | instskip(NEXT) | instid1(VALU_DEP_3)
	v_mul_i32_i24_e32 v60, v37, v121
	v_mul_i32_i24_e32 v61, v40, v120
	s_delay_alu instid0(VALU_DEP_1) | instskip(SKIP_1) | instid1(VALU_DEP_1)
	v_add3_u32 v41, v41, v60, v61
	v_mul_i32_i24_e32 v60, v62, v138
	v_add3_u32 v5, v5, v60, v49
	v_mul_i32_i24_e32 v49, v37, v127
	v_mul_i32_i24_e32 v60, v40, v128
	s_delay_alu instid0(VALU_DEP_3) | instskip(SKIP_1) | instid1(VALU_DEP_3)
	v_add3_u32 v5, v5, v38, v39
	v_mul_i32_i24_e32 v38, v135, v59
	v_add3_u32 v6, v6, v49, v60
	v_mul_i32_i24_e32 v49, v37, v131
	v_mul_i32_i24_e32 v60, v40, v132
	s_delay_alu instid0(VALU_DEP_4) | instskip(SKIP_2) | instid1(VALU_DEP_4)
	v_add3_u32 v5, v5, v34, v38
	v_mul_i32_i24_e32 v34, v125, v37
	v_mul_i32_i24_e32 v37, v124, v40
	v_add3_u32 v19, v19, v49, v60
	ds_load_2addr_b32 v[59:60], v2 offset1:32
	v_cvt_f32_i32_e32 v6, v6
	v_add3_u32 v5, v5, v34, v37
	v_cvt_f32_i32_e32 v19, v19
	s_wait_dscnt 0x0
	v_lshrrev_b32_e32 v34, 16, v59
	s_delay_alu instid0(VALU_DEP_1) | instskip(NEXT) | instid1(VALU_DEP_1)
	v_cvt_f32_f16_e32 v34, v34
	v_mul_f32_e32 v34, 0x41000000, v34
	s_delay_alu instid0(VALU_DEP_1)
	v_fma_mix_f32 v182, v59, v3, -v34 op_sel_hi:[1,0,0]
	v_lshrrev_b32_e32 v3, 16, v60
	v_fma_mix_f32 v193, v59, v4, -v34 op_sel_hi:[1,0,0]
	v_cvt_f32_i32_e32 v4, v41
	v_fma_mix_f32 v180, v59, v32, -v34 op_sel_hi:[1,0,0]
	v_cvt_f32_i32_e32 v32, v33
	v_cvt_f32_f16_e32 v3, v3
	s_delay_alu instid0(VALU_DEP_3) | instskip(NEXT) | instid1(VALU_DEP_3)
	v_fmac_f32_e32 v1, v30, v180
	v_fma_mix_f32 v189, v59, v32, -v34 op_sel_hi:[1,0,0]
	s_delay_alu instid0(VALU_DEP_3) | instskip(NEXT) | instid1(VALU_DEP_1)
	v_mul_f32_e32 v3, 0x41000000, v3
	v_fma_mix_f32 v200, v60, v4, -v3 op_sel_hi:[1,0,0]
	v_cvt_f32_i32_e32 v4, v5
	v_fma_mix_f32 v194, v60, v6, -v3 op_sel_hi:[1,0,0]
	v_fma_mix_f32 v190, v60, v19, -v3 op_sel_hi:[1,0,0]
	s_delay_alu instid0(VALU_DEP_3) | instskip(NEXT) | instid1(VALU_DEP_1)
	v_fma_mix_f32 v184, v60, v4, -v3 op_sel_hi:[1,0,0]
	v_dual_fmac_f32 v98, v30, v184 :: v_dual_add_nc_u32 v3, 0x800, v113
	ds_load_2addr_b32 v[59:60], v3 offset0:4 offset1:7
	s_wait_dscnt 0x0
	v_bfe_i32 v4, v59, 8, 8
	v_bfe_i32 v5, v59, 0, 8
	;; [unrolled: 1-line block ×3, first 2 shown]
	v_ashrrev_i32_e32 v32, 24, v59
	s_delay_alu instid0(VALU_DEP_4) | instskip(NEXT) | instid1(VALU_DEP_3)
	v_mul_i32_i24_e32 v6, v4, v162
	v_mul_i32_i24_e32 v33, v19, v164
	s_delay_alu instid0(VALU_DEP_3) | instskip(SKIP_1) | instid1(VALU_DEP_4)
	v_mul_i32_i24_e32 v34, v32, v163
	v_mul_i32_i24_e32 v37, v32, v170
	v_mad_i32_i24 v6, v5, v161, v6
	v_mul_i32_i24_e32 v38, v32, v175
	s_delay_alu instid0(VALU_DEP_2) | instskip(SKIP_2) | instid1(VALU_DEP_2)
	v_add3_u32 v6, v6, v33, v34
	v_mul_i32_i24_e32 v33, v4, v166
	v_mul_i32_i24_e32 v34, v19, v169
	v_mad_i32_i24 v33, v5, v165, v33
	s_delay_alu instid0(VALU_DEP_1) | instskip(SKIP_3) | instid1(VALU_DEP_3)
	v_add3_u32 v33, v33, v34, v37
	v_mul_i32_i24_e32 v34, v4, v173
	v_mul_i32_i24_e32 v37, v19, v174
	v_mul_i32_i24_e32 v4, v171, v4
	v_mad_i32_i24 v34, v5, v172, v34
	s_delay_alu instid0(VALU_DEP_2) | instskip(SKIP_2) | instid1(VALU_DEP_4)
	v_mad_i32_i24 v4, v155, v5, v4
	v_mul_i32_i24_e32 v5, v151, v19
	v_mul_i32_i24_e32 v19, v150, v32
	v_add3_u32 v34, v34, v37, v38
	v_add_nc_u32_e32 v37, 0xc00, v113
	s_delay_alu instid0(VALU_DEP_3)
	v_add3_u32 v4, v4, v5, v19
	ds_load_2addr_b32 v[61:62], v37 offset0:4 offset1:7
	s_wait_dscnt 0x0
	v_bfe_i32 v38, v61, 8, 8
	v_bfe_i32 v39, v61, 0, 8
	;; [unrolled: 1-line block ×3, first 2 shown]
	v_ashrrev_i32_e32 v49, 24, v61
	s_delay_alu instid0(VALU_DEP_4) | instskip(NEXT) | instid1(VALU_DEP_3)
	v_mul_i32_i24_e32 v40, v38, v162
	v_mul_i32_i24_e32 v59, v41, v164
	s_delay_alu instid0(VALU_DEP_3) | instskip(SKIP_1) | instid1(VALU_DEP_4)
	v_mul_i32_i24_e32 v61, v49, v163
	v_mul_i32_i24_e32 v63, v49, v170
	v_mad_i32_i24 v40, v39, v161, v40
	v_mul_i32_i24_e32 v64, v49, v175
	s_delay_alu instid0(VALU_DEP_2) | instskip(SKIP_2) | instid1(VALU_DEP_2)
	v_add3_u32 v40, v40, v59, v61
	v_mul_i32_i24_e32 v59, v38, v166
	v_mul_i32_i24_e32 v61, v41, v169
	v_mad_i32_i24 v59, v39, v165, v59
	s_delay_alu instid0(VALU_DEP_1) | instskip(SKIP_3) | instid1(VALU_DEP_3)
	v_add3_u32 v59, v59, v61, v63
	v_mul_i32_i24_e32 v61, v38, v173
	v_mul_i32_i24_e32 v63, v41, v174
	;; [unrolled: 1-line block ×3, first 2 shown]
	v_mad_i32_i24 v61, v39, v172, v61
	s_delay_alu instid0(VALU_DEP_2) | instskip(SKIP_1) | instid1(VALU_DEP_3)
	v_mad_i32_i24 v38, v155, v39, v38
	v_mul_i32_i24_e32 v39, v151, v41
	v_add3_u32 v61, v61, v63, v64
	v_add_nc_u32_e32 v63, 0x804, v113
	ds_load_2addr_b32 v[63:64], v63 offset1:1
	ds_load_2addr_b32 v[65:66], v65 offset1:1
	;; [unrolled: 1-line block ×3, first 2 shown]
	s_wait_dscnt 0x2
	v_bfe_i32 v67, v63, 8, 8
	v_ashrrev_i32_e32 v71, 24, v63
	s_wait_dscnt 0x1
	v_ashrrev_i32_e32 v90, 24, v65
	s_delay_alu instid0(VALU_DEP_3) | instskip(NEXT) | instid1(VALU_DEP_3)
	v_mul_i32_i24_e32 v76, v67, v168
	v_mul_i32_i24_e32 v78, v71, v167
	s_delay_alu instid0(VALU_DEP_3) | instskip(SKIP_2) | instid1(VALU_DEP_4)
	v_mul_i32_i24_e32 v19, v90, v196
	v_mul_i32_i24_e32 v32, v90, v198
	;; [unrolled: 1-line block ×3, first 2 shown]
	v_add3_u32 v6, v6, v78, v76
	v_mul_i32_i24_e32 v76, v67, v176
	v_mul_i32_i24_e32 v78, v71, v177
	s_delay_alu instid0(VALU_DEP_1) | instskip(SKIP_2) | instid1(VALU_DEP_1)
	v_add3_u32 v33, v33, v78, v76
	v_mul_i32_i24_e32 v76, v67, v178
	v_mul_i32_i24_e32 v78, v71, v179
	v_add3_u32 v34, v34, v78, v76
	s_wait_dscnt 0x0
	v_bfe_i32 v76, v80, 8, 8
	v_ashrrev_i32_e32 v78, 24, v80
	s_delay_alu instid0(VALU_DEP_2) | instskip(NEXT) | instid1(VALU_DEP_2)
	v_mul_i32_i24_e32 v83, v76, v168
	v_mul_i32_i24_e32 v85, v78, v167
	s_delay_alu instid0(VALU_DEP_1) | instskip(SKIP_2) | instid1(VALU_DEP_1)
	v_add3_u32 v40, v40, v85, v83
	v_mul_i32_i24_e32 v83, v76, v176
	v_mul_i32_i24_e32 v85, v78, v177
	v_add3_u32 v59, v59, v85, v83
	v_mul_i32_i24_e32 v83, v76, v178
	v_mul_i32_i24_e32 v85, v78, v179
	s_delay_alu instid0(VALU_DEP_1) | instskip(SKIP_2) | instid1(VALU_DEP_2)
	v_add3_u32 v61, v61, v85, v83
	v_bfe_i32 v83, v63, 0, 8
	v_bfe_i32 v63, v63, 16, 8
	v_mul_i32_i24_e32 v85, v83, v183
	s_delay_alu instid0(VALU_DEP_2) | instskip(NEXT) | instid1(VALU_DEP_1)
	v_mul_i32_i24_e32 v86, v63, v181
	v_add3_u32 v6, v6, v85, v86
	v_mul_i32_i24_e32 v85, v83, v185
	v_mul_i32_i24_e32 v86, v63, v186
	s_delay_alu instid0(VALU_DEP_1) | instskip(SKIP_3) | instid1(VALU_DEP_2)
	v_add3_u32 v33, v33, v85, v86
	v_mul_i32_i24_e32 v85, v83, v187
	v_mul_i32_i24_e32 v86, v63, v188
	;; [unrolled: 1-line block ×3, first 2 shown]
	v_add3_u32 v34, v34, v85, v86
	v_bfe_i32 v85, v80, 0, 8
	v_bfe_i32 v80, v80, 16, 8
	s_delay_alu instid0(VALU_DEP_2) | instskip(NEXT) | instid1(VALU_DEP_2)
	v_mul_i32_i24_e32 v86, v85, v183
	v_mul_i32_i24_e32 v88, v80, v181
	s_delay_alu instid0(VALU_DEP_1) | instskip(SKIP_2) | instid1(VALU_DEP_1)
	v_add3_u32 v40, v40, v86, v88
	v_mul_i32_i24_e32 v86, v85, v185
	v_mul_i32_i24_e32 v88, v80, v186
	v_add3_u32 v59, v59, v86, v88
	v_mul_i32_i24_e32 v86, v85, v187
	v_mul_i32_i24_e32 v88, v80, v188
	s_delay_alu instid0(VALU_DEP_1) | instskip(SKIP_1) | instid1(VALU_DEP_1)
	v_add3_u32 v61, v61, v86, v88
	v_bfe_i32 v86, v65, 0, 8
	v_mul_i32_i24_e32 v5, v86, v195
	v_mul_i32_i24_e32 v88, v86, v192
	s_delay_alu instid0(VALU_DEP_2) | instskip(SKIP_1) | instid1(VALU_DEP_3)
	v_add3_u32 v5, v33, v19, v5
	v_mul_i32_i24_e32 v19, v86, v197
	v_add3_u32 v6, v6, v89, v88
	s_delay_alu instid0(VALU_DEP_2)
	v_add3_u32 v19, v34, v32, v19
	v_add_nc_u32_e32 v32, 0xc14, v113
	ds_load_2addr_b32 v[88:89], v32 offset1:1
	s_wait_dscnt 0x0
	v_bfe_i32 v32, v88, 0, 8
	v_ashrrev_i32_e32 v33, 24, v88
	s_delay_alu instid0(VALU_DEP_2) | instskip(NEXT) | instid1(VALU_DEP_2)
	v_mul_i32_i24_e32 v34, v32, v192
	v_mul_i32_i24_e32 v100, v33, v191
	;; [unrolled: 1-line block ×3, first 2 shown]
	s_delay_alu instid0(VALU_DEP_2) | instskip(SKIP_2) | instid1(VALU_DEP_2)
	v_add3_u32 v34, v40, v100, v34
	v_mul_i32_i24_e32 v40, v150, v49
	v_bfe_i32 v49, v65, 16, 8
	v_add3_u32 v38, v38, v39, v40
	v_mul_i32_i24_e32 v39, v32, v195
	v_mul_i32_i24_e32 v40, v33, v196
	;; [unrolled: 1-line block ×3, first 2 shown]
	s_delay_alu instid0(VALU_DEP_2) | instskip(SKIP_2) | instid1(VALU_DEP_2)
	v_add3_u32 v39, v59, v40, v39
	v_mul_i32_i24_e32 v40, v32, v197
	v_mul_i32_i24_e32 v32, v32, v140
	v_add3_u32 v40, v61, v41, v40
	v_bfe_i32 v41, v65, 8, 8
	v_mul_i32_i24_e32 v61, v49, v199
	s_delay_alu instid0(VALU_DEP_2) | instskip(NEXT) | instid1(VALU_DEP_1)
	v_mul_i32_i24_e32 v59, v41, v201
	v_add3_u32 v6, v6, v59, v61
	v_mul_i32_i24_e32 v59, v71, v146
	v_mul_i32_i24_e32 v61, v67, v160
	s_delay_alu instid0(VALU_DEP_1) | instskip(SKIP_2) | instid1(VALU_DEP_1)
	v_add3_u32 v4, v4, v59, v61
	v_mul_i32_i24_e32 v59, v41, v203
	v_mul_i32_i24_e32 v61, v49, v202
	v_add3_u32 v5, v5, v59, v61
	v_mul_i32_i24_e32 v59, v41, v206
	v_mul_i32_i24_e32 v61, v49, v205
	;; [unrolled: 1-line block ×4, first 2 shown]
	s_delay_alu instid0(VALU_DEP_3) | instskip(SKIP_2) | instid1(VALU_DEP_2)
	v_add3_u32 v19, v19, v59, v61
	v_bfe_i32 v59, v88, 8, 8
	v_bfe_i32 v61, v88, 16, 8
	v_mul_i32_i24_e32 v65, v59, v201
	s_delay_alu instid0(VALU_DEP_2) | instskip(NEXT) | instid1(VALU_DEP_1)
	v_mul_i32_i24_e32 v67, v61, v199
	v_add3_u32 v34, v34, v65, v67
	v_mul_i32_i24_e32 v65, v78, v146
	v_mul_i32_i24_e32 v67, v76, v160
	s_delay_alu instid0(VALU_DEP_1) | instskip(SKIP_2) | instid1(VALU_DEP_1)
	v_add3_u32 v38, v38, v65, v67
	v_mul_i32_i24_e32 v65, v59, v203
	v_mul_i32_i24_e32 v67, v61, v202
	v_add3_u32 v39, v39, v65, v67
	v_mul_i32_i24_e32 v65, v59, v206
	v_mul_i32_i24_e32 v67, v61, v205
	;; [unrolled: 1-line block ×4, first 2 shown]
	s_delay_alu instid0(VALU_DEP_3) | instskip(SKIP_2) | instid1(VALU_DEP_2)
	v_add3_u32 v40, v40, v65, v67
	v_bfe_i32 v65, v64, 8, 8
	v_ashrrev_i32_e32 v67, 24, v64
	v_mul_i32_i24_e32 v71, v65, v207
	s_delay_alu instid0(VALU_DEP_2) | instskip(NEXT) | instid1(VALU_DEP_1)
	v_mul_i32_i24_e32 v76, v67, v204
	v_add3_u32 v6, v6, v76, v71
	v_mul_i32_i24_e32 v71, v83, v145
	s_delay_alu instid0(VALU_DEP_1) | instskip(SKIP_2) | instid1(VALU_DEP_1)
	v_add3_u32 v4, v4, v71, v63
	v_mul_i32_i24_e32 v63, v65, v219
	v_mul_i32_i24_e32 v71, v67, v220
	v_add3_u32 v5, v5, v71, v63
	v_mul_i32_i24_e32 v63, v65, v224
	v_mul_i32_i24_e32 v71, v67, v225
	;; [unrolled: 1-line block ×3, first 2 shown]
	s_delay_alu instid0(VALU_DEP_2) | instskip(SKIP_2) | instid1(VALU_DEP_2)
	v_add3_u32 v19, v19, v71, v63
	v_bfe_i32 v63, v81, 8, 8
	v_ashrrev_i32_e32 v71, 24, v81
	v_mul_i32_i24_e32 v76, v63, v207
	s_delay_alu instid0(VALU_DEP_2) | instskip(NEXT) | instid1(VALU_DEP_1)
	v_mul_i32_i24_e32 v78, v71, v204
	v_add3_u32 v34, v34, v78, v76
	v_mul_i32_i24_e32 v76, v85, v145
	v_mul_i32_i24_e32 v78, v80, v141
	s_delay_alu instid0(VALU_DEP_1) | instskip(SKIP_2) | instid1(VALU_DEP_3)
	v_add3_u32 v38, v38, v76, v78
	v_mul_i32_i24_e32 v76, v63, v219
	v_mul_i32_i24_e32 v78, v71, v220
	v_add3_u32 v32, v38, v33, v32
	s_delay_alu instid0(VALU_DEP_2) | instskip(SKIP_2) | instid1(VALU_DEP_4)
	v_add3_u32 v39, v39, v78, v76
	v_mul_i32_i24_e32 v76, v63, v224
	v_mul_i32_i24_e32 v78, v71, v225
	v_add3_u32 v32, v32, v59, v61
	v_mul_i32_i24_e32 v63, v63, v158
	s_delay_alu instid0(VALU_DEP_3) | instskip(SKIP_2) | instid1(VALU_DEP_2)
	v_add3_u32 v40, v40, v78, v76
	v_bfe_i32 v76, v64, 0, 8
	v_bfe_i32 v78, v64, 16, 8
	v_mul_i32_i24_e32 v64, v76, v209
	s_delay_alu instid0(VALU_DEP_2) | instskip(NEXT) | instid1(VALU_DEP_1)
	v_mul_i32_i24_e32 v80, v78, v210
	v_add3_u32 v6, v6, v64, v80
	v_mul_i32_i24_e32 v64, v86, v140
	v_mul_i32_i24_e32 v80, v90, v137
	s_delay_alu instid0(VALU_DEP_1) | instskip(SKIP_2) | instid1(VALU_DEP_3)
	v_add3_u32 v4, v4, v80, v64
	v_mul_i32_i24_e32 v64, v76, v222
	v_mul_i32_i24_e32 v80, v78, v223
	v_add3_u32 v4, v4, v41, v49
	s_delay_alu instid0(VALU_DEP_2) | instskip(SKIP_2) | instid1(VALU_DEP_1)
	v_add3_u32 v5, v5, v64, v80
	v_mul_i32_i24_e32 v64, v76, v234
	v_mul_i32_i24_e32 v80, v78, v235
	v_add3_u32 v19, v19, v64, v80
	v_bfe_i32 v80, v81, 0, 8
	v_bfe_i32 v81, v81, 16, 8
	s_delay_alu instid0(VALU_DEP_2) | instskip(NEXT) | instid1(VALU_DEP_2)
	v_mul_i32_i24_e32 v33, v80, v222
	v_mul_i32_i24_e32 v38, v81, v223
	;; [unrolled: 1-line block ×4, first 2 shown]
	s_delay_alu instid0(VALU_DEP_3) | instskip(SKIP_2) | instid1(VALU_DEP_4)
	v_add3_u32 v33, v39, v33, v38
	v_mul_i32_i24_e32 v38, v80, v234
	v_mul_i32_i24_e32 v39, v81, v235
	v_add3_u32 v34, v34, v64, v83
	s_delay_alu instid0(VALU_DEP_2) | instskip(SKIP_2) | instid1(VALU_DEP_2)
	v_add3_u32 v38, v40, v38, v39
	v_bfe_i32 v39, v66, 0, 8
	v_ashrrev_i32_e32 v40, 24, v66
	v_mul_i32_i24_e32 v41, v39, v228
	s_delay_alu instid0(VALU_DEP_2) | instskip(SKIP_2) | instid1(VALU_DEP_3)
	v_mul_i32_i24_e32 v49, v40, v229
	v_mul_i32_i24_e32 v64, v39, v211
	v_mul_i32_i24_e32 v83, v40, v208
	v_add3_u32 v5, v5, v49, v41
	v_mul_i32_i24_e32 v41, v39, v238
	v_mul_i32_i24_e32 v49, v40, v239
	s_delay_alu instid0(VALU_DEP_4) | instskip(SKIP_2) | instid1(VALU_DEP_4)
	v_add3_u32 v6, v6, v83, v64
	v_mul_i32_i24_e32 v39, v39, v149
	v_mul_i32_i24_e32 v40, v40, v147
	v_add3_u32 v19, v19, v49, v41
	v_bfe_i32 v41, v89, 0, 8
	v_ashrrev_i32_e32 v49, 24, v89
	s_delay_alu instid0(VALU_DEP_2) | instskip(NEXT) | instid1(VALU_DEP_2)
	v_mul_i32_i24_e32 v59, v41, v228
	v_mul_i32_i24_e32 v61, v49, v229
	v_mul_i32_i24_e32 v64, v41, v211
	v_mul_i32_i24_e32 v83, v49, v208
	s_delay_alu instid0(VALU_DEP_3) | instskip(SKIP_2) | instid1(VALU_DEP_4)
	v_add3_u32 v33, v33, v61, v59
	v_mul_i32_i24_e32 v59, v41, v238
	v_mul_i32_i24_e32 v61, v49, v239
	v_add3_u32 v34, v34, v83, v64
	v_bfe_i32 v83, v89, 16, 8
	v_mul_i32_i24_e32 v41, v41, v149
	v_mul_i32_i24_e32 v49, v49, v147
	v_add3_u32 v38, v38, v61, v59
	v_bfe_i32 v59, v66, 8, 8
	v_bfe_i32 v61, v66, 16, 8
	s_delay_alu instid0(VALU_DEP_2) | instskip(NEXT) | instid1(VALU_DEP_2)
	v_mul_i32_i24_e32 v64, v59, v216
	v_mul_i32_i24_e32 v66, v61, v215
	s_delay_alu instid0(VALU_DEP_1) | instskip(SKIP_2) | instid1(VALU_DEP_2)
	v_add3_u32 v6, v6, v64, v66
	v_mul_i32_i24_e32 v64, v67, v154
	v_bfe_i32 v67, v89, 8, 8
	v_add3_u32 v4, v4, v64, v65
	v_mul_i32_i24_e32 v64, v59, v231
	v_mul_i32_i24_e32 v65, v61, v230
	s_delay_alu instid0(VALU_DEP_1) | instskip(SKIP_4) | instid1(VALU_DEP_3)
	v_add3_u32 v5, v5, v64, v65
	v_mul_i32_i24_e32 v64, v59, v243
	v_mul_i32_i24_e32 v65, v61, v242
	;; [unrolled: 1-line block ×4, first 2 shown]
	v_add3_u32 v19, v19, v64, v65
	v_mul_i32_i24_e32 v64, v67, v216
	v_mul_i32_i24_e32 v65, v83, v215
	s_delay_alu instid0(VALU_DEP_1) | instskip(SKIP_1) | instid1(VALU_DEP_1)
	v_add3_u32 v34, v34, v64, v65
	v_mul_i32_i24_e32 v64, v71, v154
	v_add3_u32 v32, v32, v64, v63
	v_mul_i32_i24_e32 v63, v67, v231
	v_mul_i32_i24_e32 v64, v83, v230
	s_delay_alu instid0(VALU_DEP_1) | instskip(SKIP_3) | instid1(VALU_DEP_2)
	v_add3_u32 v33, v33, v63, v64
	v_mul_i32_i24_e32 v63, v67, v243
	v_mul_i32_i24_e32 v64, v83, v242
	v_mul_i32_i24_e32 v67, v67, v157
	v_add3_u32 v38, v38, v63, v64
	ds_load_2addr_b32 v[63:64], v3 offset1:3
	s_wait_dscnt 0x0
	v_bfe_i32 v3, v64, 8, 8
	v_ashrrev_i32_e32 v71, 24, v64
	s_delay_alu instid0(VALU_DEP_2) | instskip(NEXT) | instid1(VALU_DEP_2)
	v_mul_i32_i24_e32 v65, v3, v213
	v_mul_i32_i24_e32 v66, v71, v212
	s_delay_alu instid0(VALU_DEP_1) | instskip(SKIP_2) | instid1(VALU_DEP_1)
	v_add3_u32 v6, v6, v66, v65
	v_mul_i32_i24_e32 v65, v76, v152
	v_mul_i32_i24_e32 v66, v78, v153
	v_add3_u32 v4, v4, v65, v66
	v_mul_i32_i24_e32 v65, v3, v232
	v_mul_i32_i24_e32 v66, v71, v233
	s_delay_alu instid0(VALU_DEP_3) | instskip(NEXT) | instid1(VALU_DEP_2)
	v_add3_u32 v4, v4, v40, v39
	v_add3_u32 v5, v5, v66, v65
	v_mul_i32_i24_e32 v65, v3, v244
	v_mul_i32_i24_e32 v66, v71, v245
	s_delay_alu instid0(VALU_DEP_4) | instskip(SKIP_1) | instid1(VALU_DEP_3)
	v_add3_u32 v4, v4, v59, v61
	v_mul_i32_i24_e32 v3, v3, v156
	v_add3_u32 v19, v19, v66, v65
	ds_load_2addr_b32 v[65:66], v37 offset1:3
	s_wait_dscnt 0x0
	v_bfe_i32 v37, v66, 8, 8
	v_ashrrev_i32_e32 v76, 24, v66
	s_delay_alu instid0(VALU_DEP_2) | instskip(NEXT) | instid1(VALU_DEP_2)
	v_mul_i32_i24_e32 v78, v37, v213
	v_mul_i32_i24_e32 v85, v76, v212
	s_delay_alu instid0(VALU_DEP_1) | instskip(SKIP_2) | instid1(VALU_DEP_1)
	v_add3_u32 v34, v34, v85, v78
	v_mul_i32_i24_e32 v78, v80, v152
	v_mul_i32_i24_e32 v80, v81, v153
	v_add3_u32 v32, v32, v78, v80
	v_mul_i32_i24_e32 v78, v37, v232
	v_mul_i32_i24_e32 v80, v76, v233
	s_delay_alu instid0(VALU_DEP_3) | instskip(NEXT) | instid1(VALU_DEP_2)
	v_add3_u32 v32, v32, v49, v41
	v_add3_u32 v33, v33, v80, v78
	v_mul_i32_i24_e32 v78, v37, v244
	v_mul_i32_i24_e32 v80, v76, v245
	v_mul_i32_i24_e32 v37, v37, v156
	s_delay_alu instid0(VALU_DEP_2) | instskip(SKIP_2) | instid1(VALU_DEP_2)
	v_add3_u32 v38, v38, v80, v78
	v_bfe_i32 v78, v64, 0, 8
	v_bfe_i32 v64, v64, 16, 8
	v_mul_i32_i24_e32 v39, v78, v236
	s_delay_alu instid0(VALU_DEP_2) | instskip(SKIP_2) | instid1(VALU_DEP_3)
	v_mul_i32_i24_e32 v40, v64, v237
	v_mul_i32_i24_e32 v80, v78, v217
	;; [unrolled: 1-line block ×3, first 2 shown]
	v_add3_u32 v5, v5, v39, v40
	v_mul_i32_i24_e32 v39, v78, v248
	v_mul_i32_i24_e32 v40, v64, v249
	s_delay_alu instid0(VALU_DEP_4) | instskip(SKIP_1) | instid1(VALU_DEP_3)
	v_add3_u32 v6, v6, v80, v81
	v_mul_i32_i24_e32 v64, v64, v142
	v_add3_u32 v19, v19, v39, v40
	v_bfe_i32 v39, v66, 0, 8
	v_bfe_i32 v40, v66, 16, 8
	s_delay_alu instid0(VALU_DEP_2) | instskip(NEXT) | instid1(VALU_DEP_2)
	v_mul_i32_i24_e32 v41, v39, v236
	v_mul_i32_i24_e32 v49, v40, v237
	;; [unrolled: 1-line block ×4, first 2 shown]
	s_delay_alu instid0(VALU_DEP_3) | instskip(SKIP_2) | instid1(VALU_DEP_4)
	v_add3_u32 v33, v33, v41, v49
	v_mul_i32_i24_e32 v41, v39, v248
	v_mul_i32_i24_e32 v49, v40, v249
	v_add3_u32 v34, v34, v66, v80
	v_mul_i32_i24_e32 v39, v39, v144
	v_mul_i32_i24_e32 v40, v40, v142
	s_delay_alu instid0(VALU_DEP_4) | instskip(SKIP_2) | instid1(VALU_DEP_2)
	v_add3_u32 v38, v38, v41, v49
	v_bfe_i32 v41, v60, 0, 8
	v_ashrrev_i32_e32 v49, 24, v60
	v_mul_i32_i24_e32 v59, v41, v240
	s_delay_alu instid0(VALU_DEP_2) | instskip(SKIP_2) | instid1(VALU_DEP_3)
	v_mul_i32_i24_e32 v61, v49, v241
	v_mul_i32_i24_e32 v66, v41, v227
	;; [unrolled: 1-line block ×3, first 2 shown]
	v_add3_u32 v5, v5, v61, v59
	v_mul_i32_i24_e32 v59, v41, v250
	v_mul_i32_i24_e32 v61, v49, v251
	s_delay_alu instid0(VALU_DEP_4) | instskip(NEXT) | instid1(VALU_DEP_2)
	v_add3_u32 v6, v6, v80, v66
	v_add3_u32 v19, v19, v61, v59
	v_bfe_i32 v59, v62, 0, 8
	v_ashrrev_i32_e32 v61, 24, v62
	s_delay_alu instid0(VALU_DEP_2) | instskip(NEXT) | instid1(VALU_DEP_2)
	v_mul_i32_i24_e32 v66, v59, v227
	v_mul_i32_i24_e32 v80, v61, v226
	s_delay_alu instid0(VALU_DEP_1) | instskip(SKIP_1) | instid1(VALU_DEP_1)
	v_add3_u32 v34, v34, v80, v66
	v_mul_i32_i24_e32 v66, v83, v143
	v_add3_u32 v32, v32, v67, v66
	v_mul_i32_i24_e32 v66, v59, v240
	v_mul_i32_i24_e32 v67, v61, v241
	s_delay_alu instid0(VALU_DEP_1) | instskip(SKIP_4) | instid1(VALU_DEP_3)
	v_add3_u32 v33, v33, v67, v66
	v_mul_i32_i24_e32 v66, v59, v250
	v_mul_i32_i24_e32 v67, v61, v251
	;; [unrolled: 1-line block ×4, first 2 shown]
	v_add3_u32 v38, v38, v67, v66
	v_bfe_i32 v66, v60, 8, 8
	v_bfe_i32 v60, v60, 16, 8
	s_delay_alu instid0(VALU_DEP_2) | instskip(NEXT) | instid1(VALU_DEP_2)
	v_mul_i32_i24_e32 v67, v66, v218
	v_mul_i32_i24_e32 v80, v60, v221
	s_delay_alu instid0(VALU_DEP_1) | instskip(SKIP_1) | instid1(VALU_DEP_1)
	v_add3_u32 v6, v6, v67, v80
	v_mul_i32_i24_e32 v67, v71, v148
	v_add3_u32 v3, v4, v67, v3
	v_mul_i32_i24_e32 v4, v66, v247
	v_mul_i32_i24_e32 v67, v60, v246
	s_delay_alu instid0(VALU_DEP_1) | instskip(SKIP_2) | instid1(VALU_DEP_1)
	v_add3_u32 v4, v5, v4, v67
	v_mul_i32_i24_e32 v5, v66, v253
	v_mul_i32_i24_e32 v67, v60, v252
	v_add3_u32 v5, v19, v5, v67
	v_bfe_i32 v19, v62, 8, 8
	v_bfe_i32 v62, v62, 16, 8
	s_delay_alu instid0(VALU_DEP_2) | instskip(NEXT) | instid1(VALU_DEP_2)
	v_mul_i32_i24_e32 v67, v19, v218
	v_mul_i32_i24_e32 v71, v62, v221
	s_delay_alu instid0(VALU_DEP_1) | instskip(SKIP_1) | instid1(VALU_DEP_1)
	v_add3_u32 v34, v34, v67, v71
	v_mul_i32_i24_e32 v67, v76, v148
	v_add3_u32 v32, v32, v67, v37
	v_mul_i32_i24_e32 v37, v19, v247
	v_mul_i32_i24_e32 v67, v62, v246
	s_delay_alu instid0(VALU_DEP_3) | instskip(NEXT) | instid1(VALU_DEP_2)
	v_add3_u32 v32, v32, v39, v40
	v_add3_u32 v33, v33, v37, v67
	v_mul_i32_i24_e32 v37, v19, v253
	v_mul_i32_i24_e32 v67, v62, v252
	s_delay_alu instid0(VALU_DEP_4) | instskip(SKIP_1) | instid1(VALU_DEP_3)
	v_add3_u32 v32, v32, v61, v59
	v_mul_i32_i24_e32 v19, v19, v31
	v_add3_u32 v37, v38, v37, v67
	v_mul_i32_i24_e32 v38, v78, v144
	s_delay_alu instid0(VALU_DEP_1) | instskip(SKIP_2) | instid1(VALU_DEP_2)
	v_add3_u32 v3, v3, v38, v64
	v_bfe_i32 v38, v63, 0, 8
	v_bfe_i32 v64, v63, 8, 8
	v_mul_i32_i24_e32 v67, v38, v129
	s_delay_alu instid0(VALU_DEP_2) | instskip(NEXT) | instid1(VALU_DEP_1)
	v_mul_i32_i24_e32 v71, v64, v130
	v_add3_u32 v4, v4, v67, v71
	v_mul_i32_i24_e32 v67, v38, v133
	v_mul_i32_i24_e32 v71, v64, v134
	s_delay_alu instid0(VALU_DEP_1) | instskip(SKIP_2) | instid1(VALU_DEP_2)
	v_add3_u32 v5, v5, v67, v71
	v_bfe_i32 v67, v65, 0, 8
	v_bfe_i32 v71, v65, 8, 8
	v_mul_i32_i24_e32 v39, v67, v129
	s_delay_alu instid0(VALU_DEP_2) | instskip(SKIP_2) | instid1(VALU_DEP_3)
	v_mul_i32_i24_e32 v40, v71, v130
	v_mul_i32_i24_e32 v76, v67, v122
	;; [unrolled: 1-line block ×3, first 2 shown]
	v_add3_u32 v33, v33, v39, v40
	v_mul_i32_i24_e32 v39, v67, v133
	v_mul_i32_i24_e32 v40, v71, v134
	s_delay_alu instid0(VALU_DEP_4) | instskip(SKIP_2) | instid1(VALU_DEP_4)
	v_add3_u32 v34, v34, v76, v78
	v_mul_i32_i24_e32 v76, v38, v122
	v_mul_i32_i24_e32 v78, v64, v123
	v_add3_u32 v37, v37, v39, v40
	v_mul_i32_i24_e32 v39, v41, v139
	v_mul_i32_i24_e32 v40, v49, v138
	s_delay_alu instid0(VALU_DEP_4) | instskip(SKIP_1) | instid1(VALU_DEP_3)
	v_add3_u32 v6, v6, v76, v78
	v_add_nc_u32_e32 v76, 0x1404, v113
	v_add3_u32 v3, v3, v40, v39
	v_bfe_i32 v39, v63, 16, 8
	v_ashrrev_i32_e32 v40, 24, v63
	s_delay_alu instid0(VALU_DEP_2) | instskip(NEXT) | instid1(VALU_DEP_2)
	v_mul_i32_i24_e32 v41, v121, v39
	v_mul_i32_i24_e32 v49, v120, v40
	s_delay_alu instid0(VALU_DEP_1) | instskip(SKIP_2) | instid1(VALU_DEP_3)
	v_add3_u32 v6, v6, v41, v49
	v_bfe_i32 v41, v65, 16, 8
	v_ashrrev_i32_e32 v49, 24, v65
	v_cvt_f32_i32_e32 v6, v6
	s_delay_alu instid0(VALU_DEP_3) | instskip(NEXT) | instid1(VALU_DEP_3)
	v_mul_i32_i24_e32 v59, v41, v127
	v_mul_i32_i24_e32 v61, v49, v128
	;; [unrolled: 1-line block ×4, first 2 shown]
	s_delay_alu instid0(VALU_DEP_3) | instskip(SKIP_2) | instid1(VALU_DEP_4)
	v_add3_u32 v33, v33, v59, v61
	v_mul_i32_i24_e32 v59, v41, v131
	v_mul_i32_i24_e32 v61, v49, v132
	v_add3_u32 v34, v34, v63, v65
	v_mul_i32_i24_e32 v63, v39, v127
	v_mul_i32_i24_e32 v65, v40, v128
	s_delay_alu instid0(VALU_DEP_4) | instskip(SKIP_2) | instid1(VALU_DEP_4)
	v_add3_u32 v37, v37, v59, v61
	v_mul_i32_i24_e32 v59, v60, v119
	v_mul_i32_i24_e32 v60, v66, v31
	v_add3_u32 v4, v4, v63, v65
	v_mul_i32_i24_e32 v63, v39, v131
	v_mul_i32_i24_e32 v65, v40, v132
	s_delay_alu instid0(VALU_DEP_4) | instskip(SKIP_2) | instid1(VALU_DEP_4)
	v_add3_u32 v3, v3, v60, v59
	v_mul_i32_i24_e32 v59, v62, v119
	v_cvt_f32_i32_e32 v4, v4
	v_add3_u32 v5, v5, v63, v65
	s_delay_alu instid0(VALU_DEP_3)
	v_add3_u32 v19, v32, v19, v59
	v_mul_i32_i24_e32 v32, v126, v38
	v_mul_i32_i24_e32 v38, v135, v64
	ds_load_2addr_b32 v[59:60], v2 offset0:64 offset1:96
	v_cvt_f32_i32_e32 v5, v5
	v_add3_u32 v3, v3, v32, v38
	v_mul_i32_i24_e32 v32, v126, v67
	v_mul_i32_i24_e32 v38, v135, v71
	s_delay_alu instid0(VALU_DEP_1) | instskip(SKIP_2) | instid1(VALU_DEP_1)
	v_add3_u32 v19, v19, v32, v38
	v_mul_i32_i24_e32 v32, v39, v125
	v_mul_i32_i24_e32 v38, v40, v124
	v_add3_u32 v3, v3, v32, v38
	v_mul_i32_i24_e32 v32, v41, v125
	v_mul_i32_i24_e32 v38, v49, v124
	s_delay_alu instid0(VALU_DEP_3) | instskip(NEXT) | instid1(VALU_DEP_2)
	v_cvt_f32_i32_e32 v3, v3
	v_add3_u32 v19, v19, v32, v38
	s_wait_dscnt 0x0
	v_lshrrev_b32_e32 v32, 16, v59
	s_delay_alu instid0(VALU_DEP_1) | instskip(NEXT) | instid1(VALU_DEP_1)
	v_cvt_f32_f16_e32 v32, v32
	v_mul_f32_e32 v32, 0x41000000, v32
	s_delay_alu instid0(VALU_DEP_1)
	v_fma_mix_f32 v254, v59, v3, -v32 op_sel_hi:[1,0,0]
	v_lshrrev_b32_e32 v3, 16, v60
	v_fma_mix_f32 v88, v59, v4, -v32 op_sel_hi:[1,0,0]
	v_cvt_f32_i32_e32 v4, v34
	v_fma_mix_f32 v90, v59, v6, -v32 op_sel_hi:[1,0,0]
	v_fma_mix_f32 v71, v59, v5, -v32 op_sel_hi:[1,0,0]
	v_cvt_f32_f16_e32 v3, v3
	v_cvt_f32_i32_e32 v5, v33
	v_cvt_f32_i32_e32 v6, v37
	v_fmac_f32_e32 v87, v30, v254
	s_delay_alu instid0(VALU_DEP_4) | instskip(NEXT) | instid1(VALU_DEP_1)
	v_mul_f32_e32 v3, 0x41000000, v3
	v_fma_mix_f32 v34, v60, v4, -v3 op_sel_hi:[1,0,0]
	v_cvt_f32_i32_e32 v4, v19
	v_fma_mix_f32 v83, v60, v5, -v3 op_sel_hi:[1,0,0]
	v_fma_mix_f32 v89, v60, v6, -v3 op_sel_hi:[1,0,0]
	s_delay_alu instid0(VALU_DEP_3) | instskip(NEXT) | instid1(VALU_DEP_1)
	v_fma_mix_f32 v86, v60, v4, -v3 op_sel_hi:[1,0,0]
	v_dual_fmac_f32 v84, v30, v86 :: v_dual_add_nc_u32 v3, 0x1000, v113
	ds_load_2addr_b32 v[59:60], v3 offset0:4 offset1:7
	s_wait_dscnt 0x0
	v_bfe_i32 v4, v59, 8, 8
	v_bfe_i32 v5, v59, 0, 8
	;; [unrolled: 1-line block ×3, first 2 shown]
	v_ashrrev_i32_e32 v32, 24, v59
	s_delay_alu instid0(VALU_DEP_4) | instskip(NEXT) | instid1(VALU_DEP_3)
	v_mul_i32_i24_e32 v6, v4, v162
	v_mul_i32_i24_e32 v33, v19, v164
	s_delay_alu instid0(VALU_DEP_3) | instskip(SKIP_1) | instid1(VALU_DEP_4)
	v_mul_i32_i24_e32 v37, v32, v163
	v_mul_i32_i24_e32 v38, v32, v170
	v_mad_i32_i24 v6, v5, v161, v6
	v_mul_i32_i24_e32 v39, v32, v175
	s_delay_alu instid0(VALU_DEP_2) | instskip(SKIP_2) | instid1(VALU_DEP_2)
	v_add3_u32 v6, v6, v33, v37
	v_mul_i32_i24_e32 v33, v4, v166
	v_mul_i32_i24_e32 v37, v19, v169
	v_mad_i32_i24 v33, v5, v165, v33
	s_delay_alu instid0(VALU_DEP_1) | instskip(SKIP_3) | instid1(VALU_DEP_3)
	v_add3_u32 v33, v33, v37, v38
	v_mul_i32_i24_e32 v37, v4, v173
	v_mul_i32_i24_e32 v38, v19, v174
	;; [unrolled: 1-line block ×3, first 2 shown]
	v_mad_i32_i24 v37, v5, v172, v37
	s_delay_alu instid0(VALU_DEP_2) | instskip(SKIP_2) | instid1(VALU_DEP_4)
	v_mad_i32_i24 v4, v155, v5, v4
	v_mul_i32_i24_e32 v5, v151, v19
	v_mul_i32_i24_e32 v19, v150, v32
	v_add3_u32 v37, v37, v38, v39
	v_add_nc_u32_e32 v38, 0x1400, v113
	s_delay_alu instid0(VALU_DEP_3)
	v_add3_u32 v4, v4, v5, v19
	ds_load_2addr_b32 v[61:62], v38 offset0:4 offset1:7
	s_wait_dscnt 0x0
	v_bfe_i32 v39, v61, 8, 8
	v_bfe_i32 v40, v61, 0, 8
	;; [unrolled: 1-line block ×3, first 2 shown]
	v_ashrrev_i32_e32 v59, 24, v61
	s_delay_alu instid0(VALU_DEP_4) | instskip(NEXT) | instid1(VALU_DEP_3)
	v_mul_i32_i24_e32 v41, v39, v162
	v_mul_i32_i24_e32 v61, v49, v164
	s_delay_alu instid0(VALU_DEP_3) | instskip(SKIP_1) | instid1(VALU_DEP_4)
	v_mul_i32_i24_e32 v63, v59, v163
	v_mul_i32_i24_e32 v64, v59, v170
	v_mad_i32_i24 v41, v40, v161, v41
	v_mul_i32_i24_e32 v65, v59, v175
	s_delay_alu instid0(VALU_DEP_2) | instskip(SKIP_2) | instid1(VALU_DEP_2)
	v_add3_u32 v41, v41, v61, v63
	v_mul_i32_i24_e32 v61, v39, v166
	v_mul_i32_i24_e32 v63, v49, v169
	v_mad_i32_i24 v61, v40, v165, v61
	s_delay_alu instid0(VALU_DEP_1) | instskip(SKIP_3) | instid1(VALU_DEP_3)
	v_add3_u32 v61, v61, v63, v64
	v_mul_i32_i24_e32 v63, v39, v173
	v_mul_i32_i24_e32 v64, v49, v174
	;; [unrolled: 1-line block ×3, first 2 shown]
	v_mad_i32_i24 v63, v40, v172, v63
	s_delay_alu instid0(VALU_DEP_2) | instskip(SKIP_1) | instid1(VALU_DEP_3)
	v_mad_i32_i24 v39, v155, v40, v39
	v_mul_i32_i24_e32 v40, v151, v49
	v_add3_u32 v67, v63, v64, v65
	v_add_nc_u32_e32 v63, 0x1004, v113
	v_add_nc_u32_e32 v65, 0x1014, v113
	ds_load_2addr_b32 v[63:64], v63 offset1:1
	ds_load_2addr_b32 v[65:66], v65 offset1:1
	;; [unrolled: 1-line block ×3, first 2 shown]
	s_wait_dscnt 0x2
	v_bfe_i32 v76, v63, 8, 8
	v_ashrrev_i32_e32 v78, 24, v63
	s_wait_dscnt 0x0
	v_ashrrev_i32_e32 v102, 24, v80
	v_bfe_i32 v103, v63, 0, 8
	v_bfe_i32 v63, v63, 16, 8
	v_mul_i32_i24_e32 v85, v76, v168
	v_mul_i32_i24_e32 v100, v78, v167
	;; [unrolled: 1-line block ×3, first 2 shown]
	v_bfe_i32 v104, v80, 0, 8
	v_bfe_i32 v106, v65, 0, 8
	v_ashrrev_i32_e32 v108, 24, v65
	v_add3_u32 v6, v6, v100, v85
	v_mul_i32_i24_e32 v85, v76, v176
	v_mul_i32_i24_e32 v100, v78, v177
	;; [unrolled: 1-line block ×5, first 2 shown]
	s_delay_alu instid0(VALU_DEP_4) | instskip(SKIP_2) | instid1(VALU_DEP_1)
	v_add3_u32 v33, v33, v100, v85
	v_mul_i32_i24_e32 v85, v76, v178
	v_mul_i32_i24_e32 v100, v78, v179
	v_add3_u32 v37, v37, v100, v85
	v_bfe_i32 v85, v80, 8, 8
	v_bfe_i32 v80, v80, 16, 8
	s_delay_alu instid0(VALU_DEP_2) | instskip(NEXT) | instid1(VALU_DEP_1)
	v_mul_i32_i24_e32 v100, v85, v168
	v_add3_u32 v41, v41, v101, v100
	v_mul_i32_i24_e32 v100, v85, v176
	v_mul_i32_i24_e32 v101, v102, v177
	s_delay_alu instid0(VALU_DEP_1) | instskip(SKIP_2) | instid1(VALU_DEP_1)
	v_add3_u32 v61, v61, v101, v100
	v_mul_i32_i24_e32 v100, v85, v178
	v_mul_i32_i24_e32 v101, v102, v179
	v_add3_u32 v67, v67, v101, v100
	v_mul_i32_i24_e32 v100, v103, v183
	v_mul_i32_i24_e32 v101, v63, v181
	s_delay_alu instid0(VALU_DEP_1) | instskip(SKIP_2) | instid1(VALU_DEP_1)
	v_add3_u32 v6, v6, v100, v101
	v_mul_i32_i24_e32 v100, v103, v185
	v_mul_i32_i24_e32 v101, v63, v186
	v_add3_u32 v33, v33, v100, v101
	v_mul_i32_i24_e32 v100, v103, v187
	v_mul_i32_i24_e32 v101, v63, v188
	;; [unrolled: 1-line block ×3, first 2 shown]
	s_delay_alu instid0(VALU_DEP_4) | instskip(SKIP_1) | instid1(VALU_DEP_4)
	v_add3_u32 v5, v33, v19, v5
	v_mul_i32_i24_e32 v19, v106, v197
	v_add3_u32 v37, v37, v100, v101
	v_mul_i32_i24_e32 v100, v104, v183
	v_mul_i32_i24_e32 v101, v80, v181
	s_delay_alu instid0(VALU_DEP_3) | instskip(SKIP_1) | instid1(VALU_DEP_3)
	v_add3_u32 v19, v37, v32, v19
	v_add_nc_u32_e32 v32, 0x1414, v113
	v_add3_u32 v41, v41, v100, v101
	v_mul_i32_i24_e32 v100, v104, v185
	v_mul_i32_i24_e32 v101, v80, v186
	s_delay_alu instid0(VALU_DEP_1) | instskip(SKIP_3) | instid1(VALU_DEP_2)
	v_add3_u32 v61, v61, v100, v101
	v_mul_i32_i24_e32 v100, v104, v187
	v_mul_i32_i24_e32 v101, v80, v188
	;; [unrolled: 1-line block ×3, first 2 shown]
	v_add3_u32 v67, v67, v100, v101
	v_mul_i32_i24_e32 v100, v106, v192
	v_mul_i32_i24_e32 v101, v108, v191
	s_delay_alu instid0(VALU_DEP_1) | instskip(SKIP_4) | instid1(VALU_DEP_2)
	v_add3_u32 v6, v6, v101, v100
	ds_load_2addr_b32 v[100:101], v32 offset1:1
	s_wait_dscnt 0x0
	v_bfe_i32 v32, v100, 0, 8
	v_ashrrev_i32_e32 v33, 24, v100
	v_mul_i32_i24_e32 v37, v32, v192
	s_delay_alu instid0(VALU_DEP_2) | instskip(SKIP_1) | instid1(VALU_DEP_2)
	v_mul_i32_i24_e32 v110, v33, v191
	v_mul_i32_i24_e32 v49, v33, v198
	v_add3_u32 v37, v41, v110, v37
	v_mul_i32_i24_e32 v41, v150, v59
	v_bfe_i32 v59, v65, 16, 8
	s_delay_alu instid0(VALU_DEP_2) | instskip(SKIP_3) | instid1(VALU_DEP_2)
	v_add3_u32 v39, v39, v40, v41
	v_mul_i32_i24_e32 v40, v32, v195
	v_mul_i32_i24_e32 v41, v33, v196
	;; [unrolled: 1-line block ×3, first 2 shown]
	v_add3_u32 v40, v61, v41, v40
	v_mul_i32_i24_e32 v41, v32, v197
	v_mul_i32_i24_e32 v32, v32, v140
	s_delay_alu instid0(VALU_DEP_2) | instskip(SKIP_2) | instid1(VALU_DEP_2)
	v_add3_u32 v41, v67, v49, v41
	v_bfe_i32 v49, v65, 8, 8
	v_mul_i32_i24_e32 v65, v59, v199
	v_mul_i32_i24_e32 v61, v49, v201
	s_delay_alu instid0(VALU_DEP_1) | instskip(SKIP_2) | instid1(VALU_DEP_1)
	v_add3_u32 v6, v6, v61, v65
	v_mul_i32_i24_e32 v61, v78, v146
	v_mul_i32_i24_e32 v65, v76, v160
	v_add3_u32 v4, v4, v61, v65
	v_mul_i32_i24_e32 v61, v49, v203
	v_mul_i32_i24_e32 v65, v59, v202
	s_delay_alu instid0(VALU_DEP_1) | instskip(SKIP_4) | instid1(VALU_DEP_3)
	v_add3_u32 v5, v5, v61, v65
	v_mul_i32_i24_e32 v61, v49, v206
	v_mul_i32_i24_e32 v65, v59, v205
	;; [unrolled: 1-line block ×4, first 2 shown]
	v_add3_u32 v19, v19, v61, v65
	v_bfe_i32 v61, v100, 8, 8
	v_bfe_i32 v65, v100, 16, 8
	s_delay_alu instid0(VALU_DEP_2) | instskip(NEXT) | instid1(VALU_DEP_2)
	v_mul_i32_i24_e32 v67, v61, v201
	v_mul_i32_i24_e32 v76, v65, v199
	s_delay_alu instid0(VALU_DEP_1) | instskip(SKIP_2) | instid1(VALU_DEP_1)
	v_add3_u32 v37, v37, v67, v76
	v_mul_i32_i24_e32 v67, v102, v146
	v_mul_i32_i24_e32 v76, v85, v160
	v_add3_u32 v39, v39, v67, v76
	v_mul_i32_i24_e32 v67, v61, v203
	v_mul_i32_i24_e32 v76, v65, v202
	s_delay_alu instid0(VALU_DEP_1) | instskip(SKIP_3) | instid1(VALU_DEP_2)
	v_add3_u32 v40, v40, v67, v76
	v_mul_i32_i24_e32 v67, v61, v206
	v_mul_i32_i24_e32 v76, v65, v205
	;; [unrolled: 1-line block ×3, first 2 shown]
	v_add3_u32 v41, v41, v67, v76
	v_bfe_i32 v67, v64, 8, 8
	v_ashrrev_i32_e32 v76, 24, v64
	s_delay_alu instid0(VALU_DEP_2) | instskip(NEXT) | instid1(VALU_DEP_2)
	v_mul_i32_i24_e32 v78, v67, v207
	v_mul_i32_i24_e32 v85, v76, v204
	s_delay_alu instid0(VALU_DEP_1) | instskip(SKIP_1) | instid1(VALU_DEP_1)
	v_add3_u32 v6, v6, v85, v78
	v_mul_i32_i24_e32 v78, v103, v145
	v_add3_u32 v4, v4, v78, v63
	v_mul_i32_i24_e32 v63, v67, v219
	v_mul_i32_i24_e32 v78, v76, v220
	s_delay_alu instid0(VALU_DEP_1) | instskip(SKIP_2) | instid1(VALU_DEP_1)
	v_add3_u32 v5, v5, v78, v63
	v_mul_i32_i24_e32 v63, v67, v224
	v_mul_i32_i24_e32 v78, v76, v225
	v_add3_u32 v19, v19, v78, v63
	v_bfe_i32 v63, v81, 8, 8
	v_ashrrev_i32_e32 v78, 24, v81
	s_delay_alu instid0(VALU_DEP_2) | instskip(NEXT) | instid1(VALU_DEP_2)
	v_mul_i32_i24_e32 v85, v63, v207
	v_mul_i32_i24_e32 v100, v78, v204
	s_delay_alu instid0(VALU_DEP_1) | instskip(SKIP_1) | instid1(VALU_DEP_1)
	v_add3_u32 v37, v37, v100, v85
	v_mul_i32_i24_e32 v85, v104, v145
	v_add3_u32 v39, v39, v85, v80
	v_mul_i32_i24_e32 v80, v63, v219
	v_mul_i32_i24_e32 v85, v78, v220
	s_delay_alu instid0(VALU_DEP_3) | instskip(NEXT) | instid1(VALU_DEP_2)
	v_add3_u32 v32, v39, v33, v32
	v_add3_u32 v40, v40, v85, v80
	v_mul_i32_i24_e32 v80, v63, v224
	v_mul_i32_i24_e32 v85, v78, v225
	;; [unrolled: 1-line block ×3, first 2 shown]
	s_delay_alu instid0(VALU_DEP_2) | instskip(SKIP_2) | instid1(VALU_DEP_2)
	v_add3_u32 v41, v41, v85, v80
	v_bfe_i32 v80, v64, 0, 8
	v_bfe_i32 v85, v64, 16, 8
	v_mul_i32_i24_e32 v64, v80, v209
	s_delay_alu instid0(VALU_DEP_2) | instskip(NEXT) | instid1(VALU_DEP_1)
	v_mul_i32_i24_e32 v100, v85, v210
	v_add3_u32 v6, v6, v64, v100
	v_mul_i32_i24_e32 v64, v106, v140
	v_mul_i32_i24_e32 v100, v108, v137
	s_delay_alu instid0(VALU_DEP_1) | instskip(SKIP_2) | instid1(VALU_DEP_3)
	v_add3_u32 v4, v4, v100, v64
	v_mul_i32_i24_e32 v64, v80, v222
	v_mul_i32_i24_e32 v100, v85, v223
	v_add3_u32 v4, v4, v49, v59
	s_delay_alu instid0(VALU_DEP_2) | instskip(SKIP_2) | instid1(VALU_DEP_1)
	v_add3_u32 v5, v5, v64, v100
	v_mul_i32_i24_e32 v64, v80, v234
	v_mul_i32_i24_e32 v100, v85, v235
	v_add3_u32 v19, v19, v64, v100
	v_bfe_i32 v100, v81, 0, 8
	v_bfe_i32 v81, v81, 16, 8
	s_delay_alu instid0(VALU_DEP_2) | instskip(NEXT) | instid1(VALU_DEP_2)
	v_mul_i32_i24_e32 v33, v100, v222
	v_mul_i32_i24_e32 v39, v81, v223
	v_mul_i32_i24_e32 v64, v100, v209
	v_mul_i32_i24_e32 v102, v81, v210
	s_delay_alu instid0(VALU_DEP_3) | instskip(SKIP_2) | instid1(VALU_DEP_4)
	v_add3_u32 v33, v40, v33, v39
	v_mul_i32_i24_e32 v39, v100, v234
	v_mul_i32_i24_e32 v40, v81, v235
	v_add3_u32 v37, v37, v64, v102
	v_mul_i32_i24_e32 v81, v81, v153
	s_delay_alu instid0(VALU_DEP_3) | instskip(SKIP_2) | instid1(VALU_DEP_2)
	v_add3_u32 v39, v41, v39, v40
	v_bfe_i32 v40, v66, 0, 8
	v_ashrrev_i32_e32 v41, 24, v66
	v_mul_i32_i24_e32 v49, v40, v228
	s_delay_alu instid0(VALU_DEP_2) | instskip(SKIP_2) | instid1(VALU_DEP_3)
	v_mul_i32_i24_e32 v59, v41, v229
	v_mul_i32_i24_e32 v64, v40, v211
	;; [unrolled: 1-line block ×3, first 2 shown]
	v_add3_u32 v5, v5, v59, v49
	v_mul_i32_i24_e32 v49, v40, v238
	v_mul_i32_i24_e32 v59, v41, v239
	s_delay_alu instid0(VALU_DEP_4) | instskip(SKIP_2) | instid1(VALU_DEP_4)
	v_add3_u32 v6, v6, v102, v64
	v_mul_i32_i24_e32 v40, v40, v149
	v_mul_i32_i24_e32 v41, v41, v147
	v_add3_u32 v19, v19, v59, v49
	v_bfe_i32 v49, v101, 0, 8
	v_ashrrev_i32_e32 v59, 24, v101
	s_delay_alu instid0(VALU_DEP_2) | instskip(NEXT) | instid1(VALU_DEP_2)
	v_mul_i32_i24_e32 v64, v49, v211
	v_mul_i32_i24_e32 v102, v59, v208
	s_delay_alu instid0(VALU_DEP_1) | instskip(SKIP_2) | instid1(VALU_DEP_2)
	v_add3_u32 v37, v37, v102, v64
	v_mul_i32_i24_e32 v64, v65, v136
	v_bfe_i32 v102, v66, 16, 8
	v_add3_u32 v32, v32, v61, v64
	v_mul_i32_i24_e32 v61, v49, v228
	v_mul_i32_i24_e32 v64, v59, v229
	s_delay_alu instid0(VALU_DEP_4) | instskip(NEXT) | instid1(VALU_DEP_2)
	v_mul_i32_i24_e32 v65, v102, v215
	v_add3_u32 v33, v33, v64, v61
	v_mul_i32_i24_e32 v61, v49, v238
	v_mul_i32_i24_e32 v64, v59, v239
	;; [unrolled: 1-line block ×4, first 2 shown]
	s_delay_alu instid0(VALU_DEP_3) | instskip(SKIP_1) | instid1(VALU_DEP_1)
	v_add3_u32 v39, v39, v64, v61
	v_bfe_i32 v61, v66, 8, 8
	v_mul_i32_i24_e32 v64, v61, v216
	s_delay_alu instid0(VALU_DEP_1) | instskip(SKIP_4) | instid1(VALU_DEP_3)
	v_add3_u32 v6, v6, v64, v65
	v_mul_i32_i24_e32 v64, v76, v154
	v_mul_i32_i24_e32 v65, v67, v158
	v_bfe_i32 v67, v101, 8, 8
	v_bfe_i32 v76, v101, 16, 8
	v_add3_u32 v4, v4, v64, v65
	v_mul_i32_i24_e32 v64, v61, v231
	v_mul_i32_i24_e32 v65, v102, v230
	s_delay_alu instid0(VALU_DEP_1) | instskip(SKIP_3) | instid1(VALU_DEP_2)
	v_add3_u32 v5, v5, v64, v65
	v_mul_i32_i24_e32 v64, v61, v243
	v_mul_i32_i24_e32 v65, v102, v242
	;; [unrolled: 1-line block ×3, first 2 shown]
	v_add3_u32 v19, v19, v64, v65
	v_mul_i32_i24_e32 v64, v67, v216
	v_mul_i32_i24_e32 v65, v76, v215
	s_delay_alu instid0(VALU_DEP_1) | instskip(SKIP_1) | instid1(VALU_DEP_1)
	v_add3_u32 v37, v37, v64, v65
	v_mul_i32_i24_e32 v64, v78, v154
	v_add3_u32 v32, v32, v64, v63
	v_mul_i32_i24_e32 v63, v67, v231
	v_mul_i32_i24_e32 v64, v76, v230
	s_delay_alu instid0(VALU_DEP_1) | instskip(SKIP_4) | instid1(VALU_DEP_3)
	v_add3_u32 v33, v33, v63, v64
	v_mul_i32_i24_e32 v63, v67, v243
	v_mul_i32_i24_e32 v64, v76, v242
	;; [unrolled: 1-line block ×4, first 2 shown]
	v_add3_u32 v39, v39, v63, v64
	ds_load_2addr_b32 v[63:64], v3 offset1:3
	s_wait_dscnt 0x0
	v_bfe_i32 v3, v64, 8, 8
	v_ashrrev_i32_e32 v78, 24, v64
	s_delay_alu instid0(VALU_DEP_2) | instskip(NEXT) | instid1(VALU_DEP_2)
	v_mul_i32_i24_e32 v65, v3, v213
	v_mul_i32_i24_e32 v66, v78, v212
	s_delay_alu instid0(VALU_DEP_1) | instskip(SKIP_2) | instid1(VALU_DEP_1)
	v_add3_u32 v6, v6, v66, v65
	v_mul_i32_i24_e32 v65, v80, v152
	v_mul_i32_i24_e32 v66, v85, v153
	v_add3_u32 v4, v4, v65, v66
	v_mul_i32_i24_e32 v65, v3, v232
	v_mul_i32_i24_e32 v66, v78, v233
	s_delay_alu instid0(VALU_DEP_3) | instskip(NEXT) | instid1(VALU_DEP_2)
	v_add3_u32 v4, v4, v41, v40
	v_add3_u32 v5, v5, v66, v65
	v_mul_i32_i24_e32 v65, v3, v244
	v_mul_i32_i24_e32 v66, v78, v245
	;; [unrolled: 1-line block ×3, first 2 shown]
	s_delay_alu instid0(VALU_DEP_2) | instskip(SKIP_4) | instid1(VALU_DEP_2)
	v_add3_u32 v19, v19, v66, v65
	ds_load_2addr_b32 v[65:66], v38 offset1:3
	s_wait_dscnt 0x0
	v_bfe_i32 v38, v66, 8, 8
	v_ashrrev_i32_e32 v80, 24, v66
	v_mul_i32_i24_e32 v85, v38, v213
	s_delay_alu instid0(VALU_DEP_2) | instskip(NEXT) | instid1(VALU_DEP_1)
	v_mul_i32_i24_e32 v101, v80, v212
	v_add3_u32 v37, v37, v101, v85
	v_mul_i32_i24_e32 v85, v100, v152
	s_delay_alu instid0(VALU_DEP_1) | instskip(SKIP_2) | instid1(VALU_DEP_3)
	v_add3_u32 v32, v32, v85, v81
	v_mul_i32_i24_e32 v81, v38, v232
	v_mul_i32_i24_e32 v85, v80, v233
	v_add3_u32 v32, v32, v59, v49
	s_delay_alu instid0(VALU_DEP_2) | instskip(SKIP_2) | instid1(VALU_DEP_4)
	v_add3_u32 v33, v33, v85, v81
	v_mul_i32_i24_e32 v81, v38, v244
	v_mul_i32_i24_e32 v85, v80, v245
	v_add3_u32 v32, v32, v67, v76
	v_mul_i32_i24_e32 v38, v38, v156
	s_delay_alu instid0(VALU_DEP_3) | instskip(SKIP_2) | instid1(VALU_DEP_2)
	v_add3_u32 v39, v39, v85, v81
	v_bfe_i32 v81, v64, 0, 8
	v_bfe_i32 v64, v64, 16, 8
	v_mul_i32_i24_e32 v40, v81, v236
	s_delay_alu instid0(VALU_DEP_2) | instskip(SKIP_2) | instid1(VALU_DEP_3)
	v_mul_i32_i24_e32 v41, v64, v237
	v_mul_i32_i24_e32 v85, v81, v217
	;; [unrolled: 1-line block ×3, first 2 shown]
	v_add3_u32 v5, v5, v40, v41
	v_mul_i32_i24_e32 v40, v81, v248
	v_mul_i32_i24_e32 v41, v64, v249
	s_delay_alu instid0(VALU_DEP_4) | instskip(SKIP_1) | instid1(VALU_DEP_3)
	v_add3_u32 v6, v6, v85, v100
	v_mul_i32_i24_e32 v64, v64, v142
	v_add3_u32 v19, v19, v40, v41
	v_bfe_i32 v40, v66, 0, 8
	v_bfe_i32 v41, v66, 16, 8
	s_delay_alu instid0(VALU_DEP_2) | instskip(NEXT) | instid1(VALU_DEP_2)
	v_mul_i32_i24_e32 v49, v40, v236
	v_mul_i32_i24_e32 v59, v41, v237
	;; [unrolled: 1-line block ×4, first 2 shown]
	s_delay_alu instid0(VALU_DEP_3) | instskip(SKIP_2) | instid1(VALU_DEP_4)
	v_add3_u32 v33, v33, v49, v59
	v_mul_i32_i24_e32 v49, v40, v248
	v_mul_i32_i24_e32 v59, v41, v249
	v_add3_u32 v37, v37, v66, v85
	v_mul_i32_i24_e32 v40, v40, v144
	v_mul_i32_i24_e32 v41, v41, v142
	s_delay_alu instid0(VALU_DEP_4) | instskip(SKIP_2) | instid1(VALU_DEP_2)
	v_add3_u32 v39, v39, v49, v59
	v_bfe_i32 v49, v60, 0, 8
	v_ashrrev_i32_e32 v59, 24, v60
	v_mul_i32_i24_e32 v66, v49, v227
	s_delay_alu instid0(VALU_DEP_2) | instskip(NEXT) | instid1(VALU_DEP_1)
	v_mul_i32_i24_e32 v85, v59, v226
	v_add3_u32 v6, v6, v85, v66
	v_mul_i32_i24_e32 v66, v102, v143
	s_delay_alu instid0(VALU_DEP_1) | instskip(SKIP_2) | instid1(VALU_DEP_1)
	v_add3_u32 v4, v4, v61, v66
	v_mul_i32_i24_e32 v61, v49, v240
	v_mul_i32_i24_e32 v66, v59, v241
	v_add3_u32 v5, v5, v66, v61
	v_mul_i32_i24_e32 v61, v49, v250
	v_mul_i32_i24_e32 v66, v59, v251
	s_delay_alu instid0(VALU_DEP_1) | instskip(SKIP_2) | instid1(VALU_DEP_2)
	v_add3_u32 v19, v19, v66, v61
	v_bfe_i32 v61, v62, 0, 8
	v_ashrrev_i32_e32 v66, 24, v62
	v_mul_i32_i24_e32 v67, v61, v240
	s_delay_alu instid0(VALU_DEP_2) | instskip(SKIP_2) | instid1(VALU_DEP_3)
	v_mul_i32_i24_e32 v76, v66, v241
	v_mul_i32_i24_e32 v85, v61, v227
	v_mul_i32_i24_e32 v100, v66, v226
	v_add3_u32 v33, v33, v76, v67
	v_mul_i32_i24_e32 v67, v61, v250
	v_mul_i32_i24_e32 v76, v66, v251
	s_delay_alu instid0(VALU_DEP_4) | instskip(SKIP_2) | instid1(VALU_DEP_4)
	v_add3_u32 v37, v37, v100, v85
	v_mul_i32_i24_e32 v61, v61, v139
	v_add_nc_u32_e32 v100, 0x1c04, v113
	v_add3_u32 v39, v39, v76, v67
	v_bfe_i32 v67, v60, 8, 8
	v_bfe_i32 v60, v60, 16, 8
	s_delay_alu instid0(VALU_DEP_2) | instskip(NEXT) | instid1(VALU_DEP_2)
	v_mul_i32_i24_e32 v76, v67, v218
	v_mul_i32_i24_e32 v85, v60, v221
	s_delay_alu instid0(VALU_DEP_1) | instskip(SKIP_1) | instid1(VALU_DEP_1)
	v_add3_u32 v6, v6, v76, v85
	v_mul_i32_i24_e32 v76, v78, v148
	v_add3_u32 v3, v4, v76, v3
	v_mul_i32_i24_e32 v4, v67, v247
	v_mul_i32_i24_e32 v76, v60, v246
	s_delay_alu instid0(VALU_DEP_1) | instskip(SKIP_3) | instid1(VALU_DEP_2)
	v_add3_u32 v4, v5, v4, v76
	v_mul_i32_i24_e32 v5, v67, v253
	v_mul_i32_i24_e32 v76, v60, v252
	;; [unrolled: 1-line block ×3, first 2 shown]
	v_add3_u32 v5, v19, v5, v76
	v_bfe_i32 v19, v62, 8, 8
	v_bfe_i32 v62, v62, 16, 8
	s_delay_alu instid0(VALU_DEP_2) | instskip(NEXT) | instid1(VALU_DEP_2)
	v_mul_i32_i24_e32 v76, v19, v218
	v_mul_i32_i24_e32 v78, v62, v221
	s_delay_alu instid0(VALU_DEP_1) | instskip(SKIP_1) | instid1(VALU_DEP_1)
	v_add3_u32 v37, v37, v76, v78
	v_mul_i32_i24_e32 v76, v80, v148
	v_add3_u32 v32, v32, v76, v38
	v_mul_i32_i24_e32 v38, v19, v247
	v_mul_i32_i24_e32 v76, v62, v246
	s_delay_alu instid0(VALU_DEP_3) | instskip(NEXT) | instid1(VALU_DEP_2)
	v_add3_u32 v32, v32, v40, v41
	v_add3_u32 v33, v33, v38, v76
	v_mul_i32_i24_e32 v38, v19, v253
	v_mul_i32_i24_e32 v76, v62, v252
	;; [unrolled: 1-line block ×3, first 2 shown]
	s_delay_alu instid0(VALU_DEP_2) | instskip(SKIP_1) | instid1(VALU_DEP_1)
	v_add3_u32 v38, v39, v38, v76
	v_mul_i32_i24_e32 v39, v81, v144
	v_add3_u32 v3, v3, v39, v64
	v_bfe_i32 v39, v63, 0, 8
	v_bfe_i32 v64, v63, 8, 8
	s_delay_alu instid0(VALU_DEP_2) | instskip(NEXT) | instid1(VALU_DEP_2)
	v_mul_i32_i24_e32 v76, v39, v129
	v_mul_i32_i24_e32 v78, v64, v130
	s_delay_alu instid0(VALU_DEP_1) | instskip(SKIP_2) | instid1(VALU_DEP_1)
	v_add3_u32 v4, v4, v76, v78
	v_mul_i32_i24_e32 v76, v39, v133
	v_mul_i32_i24_e32 v78, v64, v134
	v_add3_u32 v5, v5, v76, v78
	v_bfe_i32 v76, v65, 0, 8
	v_bfe_i32 v78, v65, 8, 8
	s_delay_alu instid0(VALU_DEP_2) | instskip(NEXT) | instid1(VALU_DEP_2)
	v_mul_i32_i24_e32 v40, v76, v129
	v_mul_i32_i24_e32 v41, v78, v130
	;; [unrolled: 1-line block ×4, first 2 shown]
	s_delay_alu instid0(VALU_DEP_3) | instskip(SKIP_2) | instid1(VALU_DEP_4)
	v_add3_u32 v33, v33, v40, v41
	v_mul_i32_i24_e32 v40, v76, v133
	v_mul_i32_i24_e32 v41, v78, v134
	v_add3_u32 v37, v37, v80, v81
	v_mul_i32_i24_e32 v80, v39, v122
	v_mul_i32_i24_e32 v81, v64, v123
	s_delay_alu instid0(VALU_DEP_4) | instskip(SKIP_2) | instid1(VALU_DEP_4)
	v_add3_u32 v38, v38, v40, v41
	v_mul_i32_i24_e32 v40, v49, v139
	v_mul_i32_i24_e32 v41, v59, v138
	v_add3_u32 v6, v6, v80, v81
	s_delay_alu instid0(VALU_DEP_2) | instskip(SKIP_2) | instid1(VALU_DEP_2)
	v_add3_u32 v3, v3, v41, v40
	v_bfe_i32 v40, v63, 16, 8
	v_ashrrev_i32_e32 v41, 24, v63
	v_mul_i32_i24_e32 v49, v121, v40
	s_delay_alu instid0(VALU_DEP_2) | instskip(NEXT) | instid1(VALU_DEP_1)
	v_mul_i32_i24_e32 v59, v120, v41
	v_add3_u32 v6, v6, v49, v59
	v_bfe_i32 v49, v65, 16, 8
	v_ashrrev_i32_e32 v59, 24, v65
	s_delay_alu instid0(VALU_DEP_3) | instskip(NEXT) | instid1(VALU_DEP_3)
	v_cvt_f32_i32_e32 v6, v6
	v_mul_i32_i24_e32 v63, v121, v49
	s_delay_alu instid0(VALU_DEP_3) | instskip(NEXT) | instid1(VALU_DEP_1)
	v_mul_i32_i24_e32 v65, v120, v59
	v_add3_u32 v37, v37, v63, v65
	v_mul_i32_i24_e32 v63, v40, v127
	v_mul_i32_i24_e32 v65, v41, v128
	s_delay_alu instid0(VALU_DEP_1) | instskip(SKIP_2) | instid1(VALU_DEP_3)
	v_add3_u32 v4, v4, v63, v65
	v_mul_i32_i24_e32 v63, v40, v131
	v_mul_i32_i24_e32 v65, v41, v132
	v_cvt_f32_i32_e32 v4, v4
	s_delay_alu instid0(VALU_DEP_2) | instskip(SKIP_1) | instid1(VALU_DEP_2)
	v_add3_u32 v5, v5, v63, v65
	v_mul_i32_i24_e32 v63, v66, v138
	v_cvt_f32_i32_e32 v5, v5
	s_delay_alu instid0(VALU_DEP_2) | instskip(SKIP_2) | instid1(VALU_DEP_1)
	v_add3_u32 v32, v32, v63, v61
	v_mul_i32_i24_e32 v61, v49, v127
	v_mul_i32_i24_e32 v63, v59, v128
	v_add3_u32 v33, v33, v61, v63
	v_mul_i32_i24_e32 v61, v49, v131
	v_mul_i32_i24_e32 v63, v59, v132
	s_delay_alu instid0(VALU_DEP_1) | instskip(SKIP_1) | instid1(VALU_DEP_1)
	v_add3_u32 v38, v38, v61, v63
	v_mul_i32_i24_e32 v61, v67, v31
	v_add3_u32 v3, v3, v61, v60
	v_mul_i32_i24_e32 v60, v62, v119
	s_delay_alu instid0(VALU_DEP_1) | instskip(SKIP_2) | instid1(VALU_DEP_1)
	v_add3_u32 v19, v32, v19, v60
	v_mul_i32_i24_e32 v32, v126, v39
	v_mul_i32_i24_e32 v39, v135, v64
	v_add3_u32 v3, v3, v32, v39
	v_mul_i32_i24_e32 v32, v126, v76
	v_mul_i32_i24_e32 v39, v135, v78
	s_delay_alu instid0(VALU_DEP_1) | instskip(SKIP_2) | instid1(VALU_DEP_1)
	v_add3_u32 v19, v19, v32, v39
	v_mul_i32_i24_e32 v32, v40, v125
	v_mul_i32_i24_e32 v39, v41, v124
	v_add3_u32 v3, v3, v32, v39
	v_mul_i32_i24_e32 v39, v59, v124
	ds_load_2addr_b32 v[59:60], v2 offset0:128 offset1:160
	v_mul_i32_i24_e32 v32, v49, v125
	v_cvt_f32_i32_e32 v3, v3
	s_delay_alu instid0(VALU_DEP_2) | instskip(SKIP_2) | instid1(VALU_DEP_1)
	v_add3_u32 v19, v19, v32, v39
	s_wait_dscnt 0x0
	v_lshrrev_b32_e32 v32, 16, v59
	v_cvt_f32_f16_e32 v32, v32
	s_delay_alu instid0(VALU_DEP_1) | instskip(NEXT) | instid1(VALU_DEP_1)
	v_mul_f32_e32 v32, 0x41000000, v32
	v_fma_mix_f32 v76, v59, v3, -v32 op_sel_hi:[1,0,0]
	v_lshrrev_b32_e32 v3, 16, v60
	v_fma_mix_f32 v49, v59, v6, -v32 op_sel_hi:[1,0,0]
	v_cvt_f32_i32_e32 v6, v38
	v_fma_mix_f32 v80, v59, v4, -v32 op_sel_hi:[1,0,0]
	v_fma_mix_f32 v78, v59, v5, -v32 op_sel_hi:[1,0,0]
	v_cvt_f32_f16_e32 v3, v3
	v_cvt_f32_i32_e32 v4, v37
	v_cvt_f32_i32_e32 v5, v33
	v_fmac_f32_e32 v73, v30, v76
	s_delay_alu instid0(VALU_DEP_4) | instskip(NEXT) | instid1(VALU_DEP_1)
	v_mul_f32_e32 v3, 0x41000000, v3
	v_fma_mix_f32 v81, v60, v6, -v3 op_sel_hi:[1,0,0]
	v_cvt_f32_i32_e32 v6, v19
	v_fma_mix_f32 v4, v60, v4, -v3 op_sel_hi:[1,0,0]
	v_fma_mix_f32 v5, v60, v5, -v3 op_sel_hi:[1,0,0]
	s_delay_alu instid0(VALU_DEP_3) | instskip(NEXT) | instid1(VALU_DEP_1)
	v_fma_mix_f32 v19, v60, v6, -v3 op_sel_hi:[1,0,0]
	v_dual_fmac_f32 v72, v30, v19 :: v_dual_add_nc_u32 v3, 0x1800, v113
	ds_load_2addr_b32 v[59:60], v3 offset0:4 offset1:7
	s_wait_dscnt 0x0
	v_bfe_i32 v6, v59, 8, 8
	v_bfe_i32 v32, v59, 0, 8
	;; [unrolled: 1-line block ×3, first 2 shown]
	v_ashrrev_i32_e32 v38, 24, v59
	s_delay_alu instid0(VALU_DEP_4) | instskip(NEXT) | instid1(VALU_DEP_3)
	v_mul_i32_i24_e32 v33, v6, v162
	v_mul_i32_i24_e32 v39, v37, v164
	s_delay_alu instid0(VALU_DEP_3) | instskip(SKIP_1) | instid1(VALU_DEP_4)
	v_mul_i32_i24_e32 v40, v38, v163
	v_mul_i32_i24_e32 v41, v38, v170
	v_mad_i32_i24 v33, v32, v161, v33
	v_mul_i32_i24_e32 v59, v38, v175
	v_mul_i32_i24_e32 v38, v150, v38
	s_delay_alu instid0(VALU_DEP_3) | instskip(SKIP_2) | instid1(VALU_DEP_2)
	v_add3_u32 v33, v33, v39, v40
	v_mul_i32_i24_e32 v39, v6, v166
	v_mul_i32_i24_e32 v40, v37, v169
	v_mad_i32_i24 v39, v32, v165, v39
	s_delay_alu instid0(VALU_DEP_1) | instskip(SKIP_4) | instid1(VALU_DEP_4)
	v_add3_u32 v39, v39, v40, v41
	v_mul_i32_i24_e32 v40, v6, v173
	v_mul_i32_i24_e32 v41, v37, v174
	v_mul_i32_i24_e32 v6, v171, v6
	v_mul_i32_i24_e32 v37, v151, v37
	v_mad_i32_i24 v40, v32, v172, v40
	s_delay_alu instid0(VALU_DEP_3) | instskip(NEXT) | instid1(VALU_DEP_2)
	v_mad_i32_i24 v6, v155, v32, v6
	v_add3_u32 v40, v40, v41, v59
	v_add_nc_u32_e32 v41, 0x1c00, v113
	s_delay_alu instid0(VALU_DEP_3)
	v_add3_u32 v6, v6, v37, v38
	ds_load_2addr_b32 v[61:62], v41 offset0:4 offset1:7
	s_wait_dscnt 0x0
	v_bfe_i32 v59, v61, 8, 8
	v_bfe_i32 v67, v61, 0, 8
	;; [unrolled: 1-line block ×3, first 2 shown]
	v_ashrrev_i32_e32 v61, 24, v61
	s_delay_alu instid0(VALU_DEP_4) | instskip(NEXT) | instid1(VALU_DEP_3)
	v_mul_i32_i24_e32 v63, v59, v162
	v_mul_i32_i24_e32 v64, v85, v164
	s_delay_alu instid0(VALU_DEP_3) | instskip(NEXT) | instid1(VALU_DEP_3)
	v_mul_i32_i24_e32 v65, v61, v163
	v_mad_i32_i24 v63, v67, v161, v63
	s_delay_alu instid0(VALU_DEP_1) | instskip(SKIP_3) | instid1(VALU_DEP_3)
	v_add3_u32 v102, v63, v64, v65
	v_mul_i32_i24_e32 v63, v59, v166
	v_mul_i32_i24_e32 v64, v85, v169
	;; [unrolled: 1-line block ×3, first 2 shown]
	v_mad_i32_i24 v63, v67, v165, v63
	s_delay_alu instid0(VALU_DEP_1)
	v_add3_u32 v103, v63, v64, v65
	v_mul_i32_i24_e32 v63, v59, v173
	v_mul_i32_i24_e32 v64, v85, v174
	;; [unrolled: 1-line block ×5, first 2 shown]
	v_mad_i32_i24 v63, v67, v172, v63
	v_mul_i32_i24_e32 v61, v150, v61
	s_delay_alu instid0(VALU_DEP_4) | instskip(NEXT) | instid1(VALU_DEP_3)
	v_mad_i32_i24 v32, v155, v67, v59
	v_add3_u32 v104, v63, v64, v65
	v_add_nc_u32_e32 v63, 0x1804, v113
	v_add_nc_u32_e32 v65, 0x1814, v113
	ds_load_2addr_b32 v[63:64], v63 offset1:1
	ds_load_2addr_b32 v[65:66], v65 offset1:1
	;; [unrolled: 1-line block ×3, first 2 shown]
	v_add3_u32 v32, v32, v85, v61
	s_wait_dscnt 0x2
	v_bfe_i32 v106, v63, 8, 8
	v_ashrrev_i32_e32 v108, 24, v63
	s_wait_dscnt 0x0
	v_ashrrev_i32_e32 v163, 24, v100
	v_bfe_i32 v165, v100, 0, 8
	v_bfe_i32 v164, v63, 0, 8
	v_mul_i32_i24_e32 v110, v106, v168
	v_mul_i32_i24_e32 v161, v108, v167
	;; [unrolled: 1-line block ×3, first 2 shown]
	v_bfe_i32 v63, v63, 16, 8
	v_mul_i32_i24_e32 v59, v165, v185
	s_delay_alu instid0(VALU_DEP_4) | instskip(SKIP_2) | instid1(VALU_DEP_1)
	v_add3_u32 v33, v33, v161, v110
	v_mul_i32_i24_e32 v110, v106, v176
	v_mul_i32_i24_e32 v161, v108, v177
	v_add3_u32 v39, v39, v161, v110
	v_mul_i32_i24_e32 v110, v106, v178
	v_mul_i32_i24_e32 v161, v108, v179
	s_delay_alu instid0(VALU_DEP_1) | instskip(SKIP_2) | instid1(VALU_DEP_2)
	v_add3_u32 v40, v40, v161, v110
	v_bfe_i32 v110, v100, 8, 8
	v_bfe_i32 v100, v100, 16, 8
	v_mul_i32_i24_e32 v161, v110, v168
	s_delay_alu instid0(VALU_DEP_2) | instskip(NEXT) | instid1(VALU_DEP_2)
	v_mul_i32_i24_e32 v67, v100, v186
	v_add3_u32 v102, v102, v162, v161
	v_mul_i32_i24_e32 v161, v110, v176
	v_mul_i32_i24_e32 v162, v163, v177
	s_delay_alu instid0(VALU_DEP_1) | instskip(SKIP_2) | instid1(VALU_DEP_3)
	v_add3_u32 v103, v103, v162, v161
	v_mul_i32_i24_e32 v161, v110, v178
	v_mul_i32_i24_e32 v162, v163, v179
	v_add3_u32 v59, v103, v59, v67
	v_mul_i32_i24_e32 v67, v165, v187
	s_delay_alu instid0(VALU_DEP_3) | instskip(SKIP_3) | instid1(VALU_DEP_2)
	v_add3_u32 v104, v104, v162, v161
	v_mul_i32_i24_e32 v161, v164, v183
	v_mul_i32_i24_e32 v162, v63, v181
	;; [unrolled: 1-line block ×3, first 2 shown]
	v_add3_u32 v33, v33, v161, v162
	v_mul_i32_i24_e32 v161, v164, v185
	v_mul_i32_i24_e32 v162, v63, v186
	s_delay_alu instid0(VALU_DEP_4) | instskip(SKIP_2) | instid1(VALU_DEP_4)
	v_add3_u32 v67, v104, v67, v103
	v_bfe_i32 v103, v65, 0, 8
	v_ashrrev_i32_e32 v104, 24, v65
	v_add3_u32 v39, v39, v161, v162
	v_mul_i32_i24_e32 v161, v164, v187
	v_mul_i32_i24_e32 v162, v63, v188
	;; [unrolled: 1-line block ×6, first 2 shown]
	v_add3_u32 v40, v40, v161, v162
	v_mul_i32_i24_e32 v161, v165, v183
	v_mul_i32_i24_e32 v162, v100, v181
	v_add3_u32 v37, v39, v38, v37
	v_mul_i32_i24_e32 v38, v103, v197
	v_mul_i32_i24_e32 v39, v104, v198
	;; [unrolled: 1-line block ×3, first 2 shown]
	v_add3_u32 v102, v102, v161, v162
	v_mul_i32_i24_e32 v161, v104, v191
	s_delay_alu instid0(VALU_DEP_4) | instskip(SKIP_2) | instid1(VALU_DEP_4)
	v_add3_u32 v38, v40, v39, v38
	v_add_nc_u32_e32 v39, 0x1c14, v113
	v_add_nc_u32_e32 v113, 32, v113
	v_add3_u32 v33, v33, v161, v155
	ds_load_2addr_b32 v[161:162], v39 offset1:1
	s_wait_dscnt 0x0
	v_bfe_i32 v39, v161, 0, 8
	v_ashrrev_i32_e32 v155, 24, v161
	s_delay_alu instid0(VALU_DEP_2) | instskip(NEXT) | instid1(VALU_DEP_2)
	v_mul_i32_i24_e32 v61, v39, v195
	v_mul_i32_i24_e32 v85, v155, v196
	;; [unrolled: 1-line block ×4, first 2 shown]
	s_delay_alu instid0(VALU_DEP_3) | instskip(SKIP_2) | instid1(VALU_DEP_4)
	v_add3_u32 v59, v59, v85, v61
	v_mul_i32_i24_e32 v61, v39, v197
	v_mul_i32_i24_e32 v85, v155, v198
	v_add3_u32 v40, v102, v166, v40
	v_mul_i32_i24_e32 v39, v39, v140
	s_delay_alu instid0(VALU_DEP_3) | instskip(SKIP_2) | instid1(VALU_DEP_2)
	v_add3_u32 v61, v67, v85, v61
	v_bfe_i32 v67, v65, 8, 8
	v_bfe_i32 v65, v65, 16, 8
	v_mul_i32_i24_e32 v85, v67, v201
	s_delay_alu instid0(VALU_DEP_2) | instskip(NEXT) | instid1(VALU_DEP_1)
	v_mul_i32_i24_e32 v102, v65, v199
	v_add3_u32 v33, v33, v85, v102
	v_mul_i32_i24_e32 v85, v108, v146
	v_mul_i32_i24_e32 v102, v106, v160
	v_bfe_i32 v106, v161, 16, 8
	s_delay_alu instid0(VALU_DEP_2) | instskip(SKIP_2) | instid1(VALU_DEP_4)
	v_add3_u32 v6, v6, v85, v102
	v_mul_i32_i24_e32 v85, v67, v203
	v_mul_i32_i24_e32 v102, v65, v202
	;; [unrolled: 1-line block ×3, first 2 shown]
	s_delay_alu instid0(VALU_DEP_2) | instskip(SKIP_2) | instid1(VALU_DEP_1)
	v_add3_u32 v37, v37, v85, v102
	v_mul_i32_i24_e32 v85, v67, v206
	v_mul_i32_i24_e32 v102, v65, v205
	v_add3_u32 v38, v38, v85, v102
	v_bfe_i32 v85, v161, 8, 8
	s_delay_alu instid0(VALU_DEP_1) | instskip(NEXT) | instid1(VALU_DEP_1)
	v_mul_i32_i24_e32 v102, v85, v201
	v_add3_u32 v40, v40, v102, v108
	v_mul_i32_i24_e32 v102, v163, v146
	v_mul_i32_i24_e32 v108, v110, v160
	s_delay_alu instid0(VALU_DEP_1) | instskip(SKIP_2) | instid1(VALU_DEP_1)
	v_add3_u32 v32, v32, v102, v108
	v_mul_i32_i24_e32 v102, v85, v203
	v_mul_i32_i24_e32 v108, v106, v202
	v_add3_u32 v59, v59, v102, v108
	v_mul_i32_i24_e32 v102, v85, v206
	v_mul_i32_i24_e32 v108, v106, v205
	s_delay_alu instid0(VALU_DEP_1) | instskip(SKIP_2) | instid1(VALU_DEP_2)
	v_add3_u32 v61, v61, v102, v108
	v_bfe_i32 v102, v64, 8, 8
	v_ashrrev_i32_e32 v108, 24, v64
	v_mul_i32_i24_e32 v110, v102, v207
	s_delay_alu instid0(VALU_DEP_2) | instskip(NEXT) | instid1(VALU_DEP_1)
	v_mul_i32_i24_e32 v146, v108, v204
	v_add3_u32 v33, v33, v146, v110
	v_mul_i32_i24_e32 v110, v164, v145
	v_ashrrev_i32_e32 v146, 24, v101
	s_delay_alu instid0(VALU_DEP_2) | instskip(SKIP_2) | instid1(VALU_DEP_4)
	v_add3_u32 v6, v6, v110, v63
	v_mul_i32_i24_e32 v63, v102, v219
	v_mul_i32_i24_e32 v110, v108, v220
	;; [unrolled: 1-line block ×3, first 2 shown]
	s_delay_alu instid0(VALU_DEP_2) | instskip(SKIP_2) | instid1(VALU_DEP_1)
	v_add3_u32 v37, v37, v110, v63
	v_mul_i32_i24_e32 v63, v102, v224
	v_mul_i32_i24_e32 v110, v108, v225
	v_add3_u32 v38, v38, v110, v63
	v_bfe_i32 v63, v101, 8, 8
	s_delay_alu instid0(VALU_DEP_1) | instskip(NEXT) | instid1(VALU_DEP_1)
	v_mul_i32_i24_e32 v110, v63, v207
	v_add3_u32 v40, v40, v150, v110
	v_mul_i32_i24_e32 v110, v165, v145
	s_delay_alu instid0(VALU_DEP_1) | instskip(SKIP_2) | instid1(VALU_DEP_1)
	v_add3_u32 v32, v32, v110, v100
	v_mul_i32_i24_e32 v100, v63, v219
	v_mul_i32_i24_e32 v110, v146, v220
	v_add3_u32 v59, v59, v110, v100
	v_mul_i32_i24_e32 v100, v63, v224
	v_mul_i32_i24_e32 v110, v146, v225
	;; [unrolled: 1-line block ×3, first 2 shown]
	s_delay_alu instid0(VALU_DEP_2) | instskip(SKIP_2) | instid1(VALU_DEP_2)
	v_add3_u32 v61, v61, v110, v100
	v_bfe_i32 v100, v64, 0, 8
	v_bfe_i32 v110, v64, 16, 8
	v_mul_i32_i24_e32 v64, v100, v209
	s_delay_alu instid0(VALU_DEP_2) | instskip(NEXT) | instid1(VALU_DEP_1)
	v_mul_i32_i24_e32 v141, v110, v210
	v_add3_u32 v33, v33, v64, v141
	v_mul_i32_i24_e32 v64, v103, v140
	v_mul_i32_i24_e32 v103, v104, v137
	s_delay_alu instid0(VALU_DEP_1) | instskip(SKIP_2) | instid1(VALU_DEP_1)
	v_add3_u32 v6, v6, v103, v64
	v_mul_i32_i24_e32 v64, v100, v222
	v_mul_i32_i24_e32 v103, v110, v223
	v_add3_u32 v37, v37, v64, v103
	v_mul_i32_i24_e32 v64, v100, v234
	v_mul_i32_i24_e32 v103, v110, v235
	s_delay_alu instid0(VALU_DEP_1) | instskip(SKIP_2) | instid1(VALU_DEP_2)
	v_add3_u32 v38, v38, v64, v103
	v_bfe_i32 v103, v101, 0, 8
	v_bfe_i32 v101, v101, 16, 8
	v_mul_i32_i24_e32 v64, v103, v209
	s_delay_alu instid0(VALU_DEP_2) | instskip(NEXT) | instid1(VALU_DEP_1)
	v_mul_i32_i24_e32 v104, v101, v210
	v_add3_u32 v40, v40, v64, v104
	v_mul_i32_i24_e32 v64, v155, v137
	v_ashrrev_i32_e32 v104, 24, v66
	s_delay_alu instid0(VALU_DEP_2) | instskip(SKIP_2) | instid1(VALU_DEP_4)
	v_add3_u32 v32, v32, v64, v39
	v_mul_i32_i24_e32 v39, v103, v222
	v_mul_i32_i24_e32 v64, v101, v223
	;; [unrolled: 1-line block ×3, first 2 shown]
	s_delay_alu instid0(VALU_DEP_2) | instskip(SKIP_3) | instid1(VALU_DEP_2)
	v_add3_u32 v39, v59, v39, v64
	v_mul_i32_i24_e32 v59, v103, v234
	v_mul_i32_i24_e32 v64, v101, v235
	;; [unrolled: 1-line block ×3, first 2 shown]
	v_add3_u32 v59, v61, v59, v64
	v_bfe_i32 v61, v66, 0, 8
	s_delay_alu instid0(VALU_DEP_1) | instskip(NEXT) | instid1(VALU_DEP_1)
	v_mul_i32_i24_e32 v64, v61, v211
	v_add3_u32 v33, v33, v137, v64
	v_mul_i32_i24_e32 v64, v65, v136
	v_mul_i32_i24_e32 v65, v67, v159
	v_bfe_i32 v67, v162, 0, 8
	v_ashrrev_i32_e32 v137, 24, v162
	s_delay_alu instid0(VALU_DEP_3) | instskip(SKIP_2) | instid1(VALU_DEP_1)
	v_add3_u32 v6, v6, v65, v64
	v_mul_i32_i24_e32 v64, v61, v228
	v_mul_i32_i24_e32 v65, v104, v229
	v_add3_u32 v37, v37, v65, v64
	v_mul_i32_i24_e32 v64, v61, v238
	v_mul_i32_i24_e32 v65, v104, v239
	;; [unrolled: 1-line block ×3, first 2 shown]
	s_delay_alu instid0(VALU_DEP_2) | instskip(SKIP_2) | instid1(VALU_DEP_1)
	v_add3_u32 v38, v38, v65, v64
	v_mul_i32_i24_e32 v64, v67, v211
	v_mul_i32_i24_e32 v65, v137, v208
	v_add3_u32 v40, v40, v65, v64
	v_mul_i32_i24_e32 v64, v106, v136
	v_mul_i32_i24_e32 v65, v85, v159
	v_bfe_i32 v85, v66, 8, 8
	v_bfe_i32 v106, v66, 16, 8
	s_delay_alu instid0(VALU_DEP_3) | instskip(SKIP_2) | instid1(VALU_DEP_1)
	v_add3_u32 v32, v32, v65, v64
	v_mul_i32_i24_e32 v64, v67, v228
	v_mul_i32_i24_e32 v65, v137, v229
	v_add3_u32 v39, v39, v65, v64
	v_mul_i32_i24_e32 v64, v67, v238
	v_mul_i32_i24_e32 v65, v137, v239
	;; [unrolled: 1-line block ×3, first 2 shown]
	s_delay_alu instid0(VALU_DEP_2) | instskip(SKIP_2) | instid1(VALU_DEP_1)
	v_add3_u32 v59, v59, v65, v64
	v_mul_i32_i24_e32 v64, v85, v216
	v_mul_i32_i24_e32 v65, v106, v215
	v_add3_u32 v33, v33, v64, v65
	v_mul_i32_i24_e32 v64, v108, v154
	v_mul_i32_i24_e32 v65, v102, v158
	v_bfe_i32 v102, v162, 8, 8
	v_bfe_i32 v108, v162, 16, 8
	s_delay_alu instid0(VALU_DEP_3) | instskip(SKIP_2) | instid1(VALU_DEP_1)
	v_add3_u32 v6, v6, v64, v65
	v_mul_i32_i24_e32 v64, v85, v231
	v_mul_i32_i24_e32 v65, v106, v230
	v_add3_u32 v37, v37, v64, v65
	v_mul_i32_i24_e32 v64, v85, v243
	v_mul_i32_i24_e32 v65, v106, v242
	;; [unrolled: 1-line block ×3, first 2 shown]
	s_delay_alu instid0(VALU_DEP_2) | instskip(SKIP_2) | instid1(VALU_DEP_1)
	v_add3_u32 v38, v38, v64, v65
	v_mul_i32_i24_e32 v64, v102, v216
	v_mul_i32_i24_e32 v65, v108, v215
	v_add3_u32 v40, v40, v64, v65
	v_mul_i32_i24_e32 v64, v146, v154
	s_delay_alu instid0(VALU_DEP_1) | instskip(SKIP_2) | instid1(VALU_DEP_1)
	v_add3_u32 v32, v32, v64, v63
	v_mul_i32_i24_e32 v63, v102, v231
	v_mul_i32_i24_e32 v64, v108, v230
	v_add3_u32 v39, v39, v63, v64
	v_mul_i32_i24_e32 v63, v102, v243
	v_mul_i32_i24_e32 v64, v108, v242
	;; [unrolled: 1-line block ×3, first 2 shown]
	s_delay_alu instid0(VALU_DEP_2) | instskip(SKIP_4) | instid1(VALU_DEP_2)
	v_add3_u32 v59, v59, v63, v64
	ds_load_2addr_b32 v[63:64], v3 offset1:3
	s_wait_dscnt 0x0
	v_bfe_i32 v3, v64, 8, 8
	v_ashrrev_i32_e32 v136, 24, v64
	v_mul_i32_i24_e32 v65, v3, v213
	s_delay_alu instid0(VALU_DEP_2) | instskip(NEXT) | instid1(VALU_DEP_1)
	v_mul_i32_i24_e32 v66, v136, v212
	v_add3_u32 v33, v33, v66, v65
	v_mul_i32_i24_e32 v65, v100, v152
	v_mul_i32_i24_e32 v66, v110, v153
	s_delay_alu instid0(VALU_DEP_1) | instskip(SKIP_2) | instid1(VALU_DEP_1)
	v_add3_u32 v6, v6, v65, v66
	v_mul_i32_i24_e32 v65, v3, v232
	v_mul_i32_i24_e32 v66, v136, v233
	v_add3_u32 v37, v37, v66, v65
	v_mul_i32_i24_e32 v65, v3, v244
	v_mul_i32_i24_e32 v66, v136, v245
	;; [unrolled: 1-line block ×3, first 2 shown]
	s_delay_alu instid0(VALU_DEP_2) | instskip(SKIP_4) | instid1(VALU_DEP_2)
	v_add3_u32 v38, v38, v66, v65
	ds_load_2addr_b32 v[65:66], v41 offset1:3
	s_wait_dscnt 0x0
	v_bfe_i32 v41, v66, 8, 8
	v_ashrrev_i32_e32 v110, 24, v66
	v_mul_i32_i24_e32 v100, v41, v213
	s_delay_alu instid0(VALU_DEP_2) | instskip(NEXT) | instid1(VALU_DEP_1)
	v_mul_i32_i24_e32 v140, v110, v212
	v_add3_u32 v40, v40, v140, v100
	v_mul_i32_i24_e32 v100, v103, v152
	s_delay_alu instid0(VALU_DEP_1) | instskip(SKIP_2) | instid1(VALU_DEP_1)
	v_add3_u32 v32, v32, v100, v101
	v_mul_i32_i24_e32 v100, v41, v232
	v_mul_i32_i24_e32 v101, v110, v233
	v_add3_u32 v39, v39, v101, v100
	v_mul_i32_i24_e32 v100, v41, v244
	v_mul_i32_i24_e32 v101, v110, v245
	;; [unrolled: 1-line block ×3, first 2 shown]
	s_delay_alu instid0(VALU_DEP_2) | instskip(SKIP_2) | instid1(VALU_DEP_2)
	v_add3_u32 v59, v59, v101, v100
	v_bfe_i32 v100, v64, 0, 8
	v_bfe_i32 v64, v64, 16, 8
	v_mul_i32_i24_e32 v101, v100, v217
	s_delay_alu instid0(VALU_DEP_2) | instskip(NEXT) | instid1(VALU_DEP_1)
	v_mul_i32_i24_e32 v103, v64, v214
	v_add3_u32 v33, v33, v101, v103
	v_mul_i32_i24_e32 v101, v104, v147
	s_delay_alu instid0(VALU_DEP_1) | instskip(SKIP_2) | instid1(VALU_DEP_1)
	v_add3_u32 v6, v6, v101, v61
	v_mul_i32_i24_e32 v61, v100, v236
	v_mul_i32_i24_e32 v101, v64, v237
	v_add3_u32 v37, v37, v61, v101
	v_mul_i32_i24_e32 v61, v100, v248
	v_mul_i32_i24_e32 v101, v64, v249
	;; [unrolled: 1-line block ×3, first 2 shown]
	s_delay_alu instid0(VALU_DEP_2) | instskip(SKIP_2) | instid1(VALU_DEP_2)
	v_add3_u32 v38, v38, v61, v101
	v_bfe_i32 v61, v66, 0, 8
	v_bfe_i32 v66, v66, 16, 8
	v_mul_i32_i24_e32 v101, v61, v217
	s_delay_alu instid0(VALU_DEP_2) | instskip(NEXT) | instid1(VALU_DEP_1)
	v_mul_i32_i24_e32 v103, v66, v214
	v_add3_u32 v40, v40, v101, v103
	v_mul_i32_i24_e32 v101, v137, v147
	s_delay_alu instid0(VALU_DEP_1) | instskip(SKIP_2) | instid1(VALU_DEP_1)
	v_add3_u32 v32, v32, v101, v67
	v_mul_i32_i24_e32 v67, v61, v236
	v_mul_i32_i24_e32 v101, v66, v237
	v_add3_u32 v39, v39, v67, v101
	v_mul_i32_i24_e32 v67, v61, v248
	v_mul_i32_i24_e32 v101, v66, v249
	;; [unrolled: 1-line block ×4, first 2 shown]
	s_delay_alu instid0(VALU_DEP_3) | instskip(SKIP_2) | instid1(VALU_DEP_2)
	v_add3_u32 v59, v59, v67, v101
	v_bfe_i32 v67, v60, 0, 8
	v_ashrrev_i32_e32 v101, 24, v60
	v_mul_i32_i24_e32 v103, v67, v227
	s_delay_alu instid0(VALU_DEP_2) | instskip(NEXT) | instid1(VALU_DEP_1)
	v_mul_i32_i24_e32 v104, v101, v226
	v_add3_u32 v33, v33, v104, v103
	v_mul_i32_i24_e32 v103, v106, v143
	v_ashrrev_i32_e32 v104, 24, v62
	s_delay_alu instid0(VALU_DEP_2) | instskip(SKIP_2) | instid1(VALU_DEP_4)
	v_add3_u32 v6, v6, v85, v103
	v_mul_i32_i24_e32 v85, v67, v240
	v_mul_i32_i24_e32 v103, v101, v241
	;; [unrolled: 1-line block ×3, first 2 shown]
	s_delay_alu instid0(VALU_DEP_2) | instskip(SKIP_2) | instid1(VALU_DEP_1)
	v_add3_u32 v37, v37, v103, v85
	v_mul_i32_i24_e32 v85, v67, v250
	v_mul_i32_i24_e32 v103, v101, v251
	v_add3_u32 v38, v38, v103, v85
	v_bfe_i32 v85, v62, 0, 8
	s_delay_alu instid0(VALU_DEP_1) | instskip(NEXT) | instid1(VALU_DEP_1)
	v_mul_i32_i24_e32 v103, v85, v227
	v_add3_u32 v40, v40, v106, v103
	v_mul_i32_i24_e32 v103, v108, v143
	s_delay_alu instid0(VALU_DEP_1) | instskip(SKIP_2) | instid1(VALU_DEP_1)
	v_add3_u32 v32, v32, v102, v103
	v_mul_i32_i24_e32 v102, v85, v240
	v_mul_i32_i24_e32 v103, v104, v241
	v_add3_u32 v39, v39, v103, v102
	v_mul_i32_i24_e32 v102, v85, v250
	v_mul_i32_i24_e32 v103, v104, v251
	s_delay_alu instid0(VALU_DEP_1) | instskip(SKIP_2) | instid1(VALU_DEP_2)
	v_add3_u32 v59, v59, v103, v102
	v_bfe_i32 v102, v60, 8, 8
	v_bfe_i32 v60, v60, 16, 8
	v_mul_i32_i24_e32 v103, v102, v218
	s_delay_alu instid0(VALU_DEP_2) | instskip(NEXT) | instid1(VALU_DEP_1)
	v_mul_i32_i24_e32 v106, v60, v221
	v_add3_u32 v33, v33, v103, v106
	v_mul_i32_i24_e32 v103, v136, v148
	s_delay_alu instid0(VALU_DEP_1) | instskip(SKIP_2) | instid1(VALU_DEP_1)
	v_add3_u32 v3, v6, v103, v3
	v_mul_i32_i24_e32 v6, v102, v247
	v_mul_i32_i24_e32 v103, v60, v246
	v_add3_u32 v6, v37, v6, v103
	v_mul_i32_i24_e32 v37, v102, v253
	v_mul_i32_i24_e32 v103, v60, v252
	;; [unrolled: 1-line block ×3, first 2 shown]
	s_delay_alu instid0(VALU_DEP_2) | instskip(SKIP_2) | instid1(VALU_DEP_2)
	v_add3_u32 v37, v38, v37, v103
	v_bfe_i32 v38, v62, 8, 8
	v_bfe_i32 v62, v62, 16, 8
	v_mul_i32_i24_e32 v103, v38, v218
	s_delay_alu instid0(VALU_DEP_2) | instskip(NEXT) | instid1(VALU_DEP_1)
	v_mul_i32_i24_e32 v106, v62, v221
	v_add3_u32 v40, v40, v103, v106
	v_mul_i32_i24_e32 v103, v110, v148
	s_delay_alu instid0(VALU_DEP_1) | instskip(SKIP_2) | instid1(VALU_DEP_3)
	v_add3_u32 v32, v32, v103, v41
	v_mul_i32_i24_e32 v41, v38, v247
	v_mul_i32_i24_e32 v103, v62, v246
	v_add3_u32 v32, v32, v61, v66
	s_delay_alu instid0(VALU_DEP_2) | instskip(SKIP_2) | instid1(VALU_DEP_1)
	v_add3_u32 v39, v39, v41, v103
	v_mul_i32_i24_e32 v41, v38, v253
	v_mul_i32_i24_e32 v103, v62, v252
	v_add3_u32 v41, v59, v41, v103
	v_mul_i32_i24_e32 v59, v100, v144
	s_delay_alu instid0(VALU_DEP_1) | instskip(SKIP_2) | instid1(VALU_DEP_2)
	v_add3_u32 v3, v3, v59, v64
	v_bfe_i32 v59, v63, 0, 8
	v_bfe_i32 v64, v63, 8, 8
	v_mul_i32_i24_e32 v100, v59, v129
	s_delay_alu instid0(VALU_DEP_2) | instskip(NEXT) | instid1(VALU_DEP_1)
	v_mul_i32_i24_e32 v103, v64, v130
	v_add3_u32 v6, v6, v100, v103
	v_mul_i32_i24_e32 v100, v59, v133
	v_mul_i32_i24_e32 v103, v64, v134
	s_delay_alu instid0(VALU_DEP_1) | instskip(SKIP_2) | instid1(VALU_DEP_2)
	v_add3_u32 v37, v37, v100, v103
	v_bfe_i32 v100, v65, 0, 8
	v_bfe_i32 v103, v65, 8, 8
	v_mul_i32_i24_e32 v61, v100, v129
	s_delay_alu instid0(VALU_DEP_2) | instskip(SKIP_2) | instid1(VALU_DEP_3)
	v_mul_i32_i24_e32 v66, v103, v130
	v_mul_i32_i24_e32 v106, v100, v122
	;; [unrolled: 1-line block ×3, first 2 shown]
	v_add3_u32 v39, v39, v61, v66
	v_mul_i32_i24_e32 v61, v100, v133
	v_mul_i32_i24_e32 v66, v103, v134
	s_delay_alu instid0(VALU_DEP_4) | instskip(SKIP_2) | instid1(VALU_DEP_4)
	v_add3_u32 v40, v40, v106, v108
	v_mul_i32_i24_e32 v106, v59, v122
	v_mul_i32_i24_e32 v108, v64, v123
	v_add3_u32 v41, v41, v61, v66
	v_mul_i32_i24_e32 v61, v67, v139
	v_mul_i32_i24_e32 v66, v101, v138
	s_delay_alu instid0(VALU_DEP_4) | instskip(NEXT) | instid1(VALU_DEP_2)
	v_add3_u32 v33, v33, v106, v108
	v_add3_u32 v3, v3, v66, v61
	v_bfe_i32 v61, v63, 16, 8
	v_ashrrev_i32_e32 v63, 24, v63
	s_delay_alu instid0(VALU_DEP_2) | instskip(NEXT) | instid1(VALU_DEP_2)
	v_mul_i32_i24_e32 v66, v121, v61
	v_mul_i32_i24_e32 v67, v120, v63
	s_delay_alu instid0(VALU_DEP_1) | instskip(SKIP_2) | instid1(VALU_DEP_3)
	v_add3_u32 v33, v33, v66, v67
	v_bfe_i32 v66, v65, 16, 8
	v_ashrrev_i32_e32 v65, 24, v65
	v_cvt_f32_i32_e32 v33, v33
	s_delay_alu instid0(VALU_DEP_3) | instskip(NEXT) | instid1(VALU_DEP_3)
	v_mul_i32_i24_e32 v67, v121, v66
	v_mul_i32_i24_e32 v101, v120, v65
	s_delay_alu instid0(VALU_DEP_1) | instskip(SKIP_2) | instid1(VALU_DEP_1)
	v_add3_u32 v40, v40, v67, v101
	v_mul_i32_i24_e32 v67, v61, v127
	v_mul_i32_i24_e32 v101, v63, v128
	v_add3_u32 v6, v6, v67, v101
	v_mul_i32_i24_e32 v67, v61, v131
	v_mul_i32_i24_e32 v101, v63, v132
	s_delay_alu instid0(VALU_DEP_3) | instskip(NEXT) | instid1(VALU_DEP_2)
	v_cvt_f32_i32_e32 v6, v6
	v_add3_u32 v37, v37, v67, v101
	v_mul_i32_i24_e32 v67, v85, v139
	v_mul_i32_i24_e32 v85, v104, v138
	s_delay_alu instid0(VALU_DEP_3) | instskip(NEXT) | instid1(VALU_DEP_2)
	v_cvt_f32_i32_e32 v37, v37
	v_add3_u32 v32, v32, v85, v67
	v_mul_i32_i24_e32 v67, v66, v127
	v_mul_i32_i24_e32 v85, v65, v128
	s_delay_alu instid0(VALU_DEP_1) | instskip(SKIP_2) | instid1(VALU_DEP_3)
	v_add3_u32 v39, v39, v67, v85
	v_mul_i32_i24_e32 v67, v66, v131
	v_mul_i32_i24_e32 v85, v65, v132
	v_cvt_f32_i32_e32 v39, v39
	s_delay_alu instid0(VALU_DEP_2) | instskip(SKIP_3) | instid1(VALU_DEP_3)
	v_add3_u32 v41, v41, v67, v85
	v_mul_i32_i24_e32 v67, v102, v31
	v_mul_i32_i24_e32 v31, v38, v31
	;; [unrolled: 1-line block ×3, first 2 shown]
	v_add3_u32 v3, v3, v67, v60
	v_mul_i32_i24_e32 v60, v62, v119
	s_delay_alu instid0(VALU_DEP_1)
	v_add3_u32 v31, v32, v31, v60
	v_mul_i32_i24_e32 v32, v126, v59
	ds_load_2addr_b32 v[59:60], v2 offset0:192 offset1:224
	v_add_nc_u32_e32 v2, 4, v2
	v_add3_u32 v3, v3, v32, v38
	v_mul_i32_i24_e32 v32, v126, v100
	v_mul_i32_i24_e32 v38, v135, v103
	s_delay_alu instid0(VALU_DEP_1) | instskip(SKIP_2) | instid1(VALU_DEP_1)
	v_add3_u32 v31, v31, v32, v38
	v_mul_i32_i24_e32 v32, v61, v125
	v_mul_i32_i24_e32 v38, v63, v124
	v_add3_u32 v3, v3, v32, v38
	v_mul_i32_i24_e32 v32, v66, v125
	v_mul_i32_i24_e32 v38, v65, v124
	s_delay_alu instid0(VALU_DEP_3) | instskip(NEXT) | instid1(VALU_DEP_2)
	v_cvt_f32_i32_e32 v3, v3
	v_add3_u32 v31, v31, v32, v38
	s_wait_dscnt 0x0
	v_lshrrev_b32_e32 v32, 16, v59
	v_cvt_f32_i32_e32 v38, v40
	v_cvt_f32_i32_e32 v40, v41
	;; [unrolled: 1-line block ×3, first 2 shown]
	s_delay_alu instid0(VALU_DEP_4) | instskip(NEXT) | instid1(VALU_DEP_1)
	v_cvt_f32_f16_e32 v32, v32
	v_mul_f32_e32 v32, 0x41000000, v32
	s_delay_alu instid0(VALU_DEP_1) | instskip(SKIP_4) | instid1(VALU_DEP_2)
	v_fma_mix_f32 v33, v59, v33, -v32 op_sel_hi:[1,0,0]
	v_fma_mix_f32 v6, v59, v6, -v32 op_sel_hi:[1,0,0]
	;; [unrolled: 1-line block ×4, first 2 shown]
	v_lshrrev_b32_e32 v32, 16, v60
	v_fmac_f32_e32 v68, v30, v3
	s_delay_alu instid0(VALU_DEP_2) | instskip(NEXT) | instid1(VALU_DEP_1)
	v_cvt_f32_f16_e32 v32, v32
	v_mul_f32_e32 v32, 0x41000000, v32
	s_delay_alu instid0(VALU_DEP_1)
	v_fma_mix_f32 v38, v60, v38, -v32 op_sel_hi:[1,0,0]
	v_fma_mix_f32 v39, v60, v39, -v32 op_sel_hi:[1,0,0]
	;; [unrolled: 1-line block ×4, first 2 shown]
	ds_load_b32 v32, v114
	v_add_nc_u32_e32 v114, 4, v114
	v_fmac_f32_e32 v0, v30, v31
	s_wait_dscnt 0x0
	v_fma_f32 v25, v32, v4, v25
	ds_load_b32 v4, v116
	v_fmac_f32_e32 v28, v32, v193
	v_fma_f32 v29, v32, v200, v29
	v_fma_f32 v27, v32, v34, v27
	v_fmac_f32_e32 v26, v32, v90
	v_fmac_f32_e32 v24, v32, v49
	v_fma_f32 v23, v32, v38, v23
	v_fmac_f32_e32 v22, v32, v33
	s_wait_dscnt 0x0
	v_dual_fmac_f32 v111, v4, v189 :: v_dual_add_nc_u32 v116, 4, v116
	v_fmac_f32_e32 v107, v4, v194
	v_fmac_f32_e32 v96, v4, v88
	;; [unrolled: 1-line block ×7, first 2 shown]
	ds_load_b32 v4, v117
	s_wait_dscnt 0x0
	v_dual_fmac_f32 v112, v4, v182 :: v_dual_add_nc_u32 v117, 4, v117
	v_fmac_f32_e32 v109, v4, v190
	v_fmac_f32_e32 v105, v4, v71
	;; [unrolled: 1-line block ×7, first 2 shown]
	s_cbranch_scc1 .LBB138_12
; %bb.13:                               ;   in Loop: Header=BB138_7 Depth=1
	s_wait_loadcnt 0x0
	s_barrier_signal -1
	s_barrier_wait -1
	global_inv scope:SCOPE_SE
	s_branch .LBB138_5
.LBB138_14:
	v_dual_mov_b32 v0, 0 :: v_dual_mov_b32 v21, 0
	v_dual_mov_b32 v2, 0 :: v_dual_mov_b32 v5, 0
	;; [unrolled: 1-line block ×14, first 2 shown]
	s_mov_b32 s0, exec_lo
	v_cmpx_gt_u32_e64 s6, v10
	s_cbranch_execnz .LBB138_17
.LBB138_15:
	s_nop 0
	s_sendmsg sendmsg(MSG_DEALLOC_VGPRS)
	s_endpgm
.LBB138_16:
	s_clause 0x2
	scratch_load_b32 v4, off, off offset:180 th:TH_LOAD_LU
	scratch_load_b32 v9, off, off th:TH_LOAD_LU
	scratch_load_b32 v10, off, off offset:184
	v_cvt_f16_f32_e32 v2, v29
	v_cvt_f16_f32_e32 v3, v28
	;; [unrolled: 1-line block ×6, first 2 shown]
	v_pack_b32_f16 v34, v3, v2
	v_cvt_f16_f32_e32 v2, v26
	v_cvt_f16_f32_e32 v35, v98
	;; [unrolled: 1-line block ×5, first 2 shown]
	v_pack_b32_f16 v21, v2, v1
	v_cvt_f16_f32_e32 v1, v25
	v_cvt_f16_f32_e32 v2, v24
	v_cvt_f16_f32_e32 v28, v96
	v_cvt_f16_f32_e32 v27, v105
	v_cvt_f16_f32_e32 v26, v84
	v_cvt_f16_f32_e32 v20, v92
	v_pack_b32_f16 v14, v2, v1
	v_cvt_f16_f32_e32 v1, v23
	v_cvt_f16_f32_e32 v2, v22
	s_wait_loadcnt 0x7
	v_cvt_f16_f32_e32 v19, v93
	v_cvt_f16_f32_e32 v18, v73
	;; [unrolled: 1-line block ×10, first 2 shown]
	v_pack_b32_f16 v2, v2, v1
	v_cvt_f16_f32_e32 v3, v0
	v_cvt_f16_f32_e32 v1, v69
	;; [unrolled: 1-line block ×3, first 2 shown]
	s_mov_b32 s0, exec_lo
	s_wait_loadcnt 0x0
	v_cmpx_gt_u32_e64 s6, v10
	s_cbranch_execz .LBB138_15
.LBB138_17:
	v_add_nc_u32_e32 v9, s16, v9
	v_mul_lo_u32 v22, v10, s14
	s_delay_alu instid0(VALU_DEP_2)
	v_cmp_gt_u32_e32 vcc_lo, s14, v9
	s_and_saveexec_b32 s1, vcc_lo
	s_cbranch_execz .LBB138_19
; %bb.18:
	s_delay_alu instid0(VALU_DEP_2) | instskip(NEXT) | instid1(VALU_DEP_1)
	v_dual_mov_b32 v24, 0 :: v_dual_add_nc_u32 v23, v9, v22
	v_lshlrev_b64_e32 v[23:24], 1, v[23:24]
	s_wait_kmcnt 0x0
	s_delay_alu instid0(VALU_DEP_1) | instskip(NEXT) | instid1(VALU_DEP_1)
	v_add_co_u32 v23, s0, s8, v23
	v_add_co_ci_u32_e64 v24, null, s9, v24, s0
	global_store_b16 v[23:24], v34, off
.LBB138_19:
	s_or_b32 exec_lo, exec_lo, s1
	v_add_nc_u32_e32 v10, 32, v9
	s_delay_alu instid0(VALU_DEP_1)
	v_cmp_gt_u32_e64 s0, s14, v10
	s_and_saveexec_b32 s2, s0
	s_cbranch_execz .LBB138_21
; %bb.20:
	v_dual_mov_b32 v24, 0 :: v_dual_add_nc_u32 v23, v10, v22
	s_delay_alu instid0(VALU_DEP_1) | instskip(SKIP_1) | instid1(VALU_DEP_1)
	v_lshlrev_b64_e32 v[23:24], 1, v[23:24]
	s_wait_kmcnt 0x0
	v_add_co_u32 v23, s1, s8, v23
	s_wait_alu 0xf1ff
	s_delay_alu instid0(VALU_DEP_2)
	v_add_co_ci_u32_e64 v24, null, s9, v24, s1
	global_store_b16 v[23:24], v11, off
.LBB138_21:
	s_wait_alu 0xfffe
	s_or_b32 exec_lo, exec_lo, s2
	v_add_nc_u32_e32 v11, 64, v9
	s_delay_alu instid0(VALU_DEP_1)
	v_cmp_gt_u32_e64 s1, s14, v11
	s_and_saveexec_b32 s3, s1
	s_cbranch_execz .LBB138_23
; %bb.22:
	v_dual_mov_b32 v24, 0 :: v_dual_add_nc_u32 v23, v11, v22
	s_delay_alu instid0(VALU_DEP_1) | instskip(SKIP_1) | instid1(VALU_DEP_1)
	v_lshlrev_b64_e32 v[23:24], 1, v[23:24]
	s_wait_kmcnt 0x0
	v_add_co_u32 v23, s2, s8, v23
	s_wait_alu 0xf1ff
	s_delay_alu instid0(VALU_DEP_2)
	v_add_co_ci_u32_e64 v24, null, s9, v24, s2
	global_store_b16 v[23:24], v12, off
.LBB138_23:
	s_wait_alu 0xfffe
	;; [unrolled: 18-line block ×3, first 2 shown]
	s_or_b32 exec_lo, exec_lo, s4
	v_add3_u32 v22, v4, s15, 8
	s_delay_alu instid0(VALU_DEP_1)
	v_cmp_gt_u32_e64 s3, s6, v22
	s_and_b32 exec_lo, exec_lo, s3
	s_cbranch_execz .LBB138_15
; %bb.26:
	v_mul_lo_u32 v22, v22, s14
	s_and_saveexec_b32 s4, vcc_lo
	s_cbranch_execnz .LBB138_66
; %bb.27:
	s_wait_alu 0xfffe
	s_or_b32 exec_lo, exec_lo, s4
	s_and_saveexec_b32 s4, s0
	s_cbranch_execnz .LBB138_67
.LBB138_28:
	s_wait_alu 0xfffe
	s_or_b32 exec_lo, exec_lo, s4
	s_and_saveexec_b32 s4, s1
	s_cbranch_execnz .LBB138_68
.LBB138_29:
	s_wait_alu 0xfffe
	s_or_b32 exec_lo, exec_lo, s4
	s_and_saveexec_b32 s4, s2
	s_cbranch_execz .LBB138_31
.LBB138_30:
	v_dual_mov_b32 v23, 0 :: v_dual_add_nc_u32 v22, v22, v12
	s_delay_alu instid0(VALU_DEP_1) | instskip(SKIP_1) | instid1(VALU_DEP_1)
	v_lshlrev_b64_e32 v[22:23], 1, v[22:23]
	s_wait_kmcnt 0x0
	v_add_co_u32 v22, s3, s8, v22
	s_wait_alu 0xf1ff
	s_delay_alu instid0(VALU_DEP_2)
	v_add_co_ci_u32_e64 v23, null, s9, v23, s3
	global_store_b16 v[22:23], v30, off
.LBB138_31:
	s_wait_alu 0xfffe
	s_or_b32 exec_lo, exec_lo, s4
	v_add3_u32 v22, v4, s15, 16
	s_delay_alu instid0(VALU_DEP_1)
	v_cmp_gt_u32_e64 s3, s6, v22
	s_and_b32 exec_lo, exec_lo, s3
	s_cbranch_execz .LBB138_15
; %bb.32:
	v_mul_lo_u32 v22, v22, s14
	s_and_saveexec_b32 s4, vcc_lo
	s_cbranch_execnz .LBB138_69
; %bb.33:
	s_wait_alu 0xfffe
	s_or_b32 exec_lo, exec_lo, s4
	s_and_saveexec_b32 s4, s0
	s_cbranch_execnz .LBB138_70
.LBB138_34:
	s_wait_alu 0xfffe
	s_or_b32 exec_lo, exec_lo, s4
	s_and_saveexec_b32 s4, s1
	s_cbranch_execnz .LBB138_71
.LBB138_35:
	s_wait_alu 0xfffe
	s_or_b32 exec_lo, exec_lo, s4
	s_and_saveexec_b32 s4, s2
	s_cbranch_execz .LBB138_37
.LBB138_36:
	v_dual_mov_b32 v23, 0 :: v_dual_add_nc_u32 v22, v22, v12
	s_delay_alu instid0(VALU_DEP_1) | instskip(SKIP_1) | instid1(VALU_DEP_1)
	v_lshlrev_b64_e32 v[22:23], 1, v[22:23]
	s_wait_kmcnt 0x0
	v_add_co_u32 v22, s3, s8, v22
	s_wait_alu 0xf1ff
	s_delay_alu instid0(VALU_DEP_2)
	v_add_co_ci_u32_e64 v23, null, s9, v23, s3
	global_store_b16 v[22:23], v27, off
.LBB138_37:
	s_wait_alu 0xfffe
	s_or_b32 exec_lo, exec_lo, s4
	v_add3_u32 v22, v4, s15, 24
	s_delay_alu instid0(VALU_DEP_1)
	v_cmp_gt_u32_e64 s3, s6, v22
	s_and_b32 exec_lo, exec_lo, s3
	s_cbranch_execz .LBB138_15
; %bb.38:
	v_mul_lo_u32 v22, v22, s14
	s_and_saveexec_b32 s4, vcc_lo
	s_cbranch_execnz .LBB138_72
; %bb.39:
	s_wait_alu 0xfffe
	s_or_b32 exec_lo, exec_lo, s4
	s_and_saveexec_b32 s4, s0
	s_cbranch_execnz .LBB138_73
.LBB138_40:
	s_wait_alu 0xfffe
	s_or_b32 exec_lo, exec_lo, s4
	s_and_saveexec_b32 s4, s1
	s_cbranch_execnz .LBB138_74
.LBB138_41:
	s_wait_alu 0xfffe
	s_or_b32 exec_lo, exec_lo, s4
	s_and_saveexec_b32 s4, s2
	s_cbranch_execz .LBB138_43
.LBB138_42:
	v_dual_mov_b32 v21, 0 :: v_dual_add_nc_u32 v20, v22, v12
	s_delay_alu instid0(VALU_DEP_1) | instskip(SKIP_1) | instid1(VALU_DEP_1)
	v_lshlrev_b64_e32 v[20:21], 1, v[20:21]
	s_wait_kmcnt 0x0
	v_add_co_u32 v20, s3, s8, v20
	s_wait_alu 0xf1ff
	s_delay_alu instid0(VALU_DEP_2)
	v_add_co_ci_u32_e64 v21, null, s9, v21, s3
	global_store_b16 v[20:21], v19, off
.LBB138_43:
	s_wait_alu 0xfffe
	s_or_b32 exec_lo, exec_lo, s4
	v_add3_u32 v19, v4, s15, 32
	s_delay_alu instid0(VALU_DEP_1)
	v_cmp_gt_u32_e64 s3, s6, v19
	s_and_b32 exec_lo, exec_lo, s3
	s_cbranch_execz .LBB138_15
; %bb.44:
	v_mul_lo_u32 v19, v19, s14
	s_and_saveexec_b32 s4, vcc_lo
	s_cbranch_execnz .LBB138_75
; %bb.45:
	s_wait_alu 0xfffe
	s_or_b32 exec_lo, exec_lo, s4
	s_and_saveexec_b32 s4, s0
	s_cbranch_execnz .LBB138_76
.LBB138_46:
	s_wait_alu 0xfffe
	s_or_b32 exec_lo, exec_lo, s4
	s_and_saveexec_b32 s4, s1
	s_cbranch_execnz .LBB138_77
.LBB138_47:
	s_wait_alu 0xfffe
	s_or_b32 exec_lo, exec_lo, s4
	s_and_saveexec_b32 s4, s2
	s_cbranch_execz .LBB138_49
.LBB138_48:
	v_dual_mov_b32 v18, 0 :: v_dual_add_nc_u32 v17, v19, v12
	s_delay_alu instid0(VALU_DEP_1) | instskip(SKIP_1) | instid1(VALU_DEP_1)
	v_lshlrev_b64_e32 v[17:18], 1, v[17:18]
	s_wait_kmcnt 0x0
	v_add_co_u32 v17, s3, s8, v17
	s_wait_alu 0xf1ff
	s_delay_alu instid0(VALU_DEP_2)
	v_add_co_ci_u32_e64 v18, null, s9, v18, s3
	global_store_b16 v[17:18], v16, off
.LBB138_49:
	s_wait_alu 0xfffe
	s_or_b32 exec_lo, exec_lo, s4
	v_add3_u32 v16, v4, s15, 40
	s_delay_alu instid0(VALU_DEP_1)
	v_cmp_gt_u32_e64 s3, s6, v16
	s_and_b32 exec_lo, exec_lo, s3
	s_cbranch_execz .LBB138_15
; %bb.50:
	v_mul_lo_u32 v16, v16, s14
	s_and_saveexec_b32 s4, vcc_lo
	s_cbranch_execnz .LBB138_78
; %bb.51:
	s_wait_alu 0xfffe
	s_or_b32 exec_lo, exec_lo, s4
	s_and_saveexec_b32 s4, s0
	s_cbranch_execnz .LBB138_79
.LBB138_52:
	s_wait_alu 0xfffe
	s_or_b32 exec_lo, exec_lo, s4
	s_and_saveexec_b32 s4, s1
	s_cbranch_execnz .LBB138_80
.LBB138_53:
	s_wait_alu 0xfffe
	s_or_b32 exec_lo, exec_lo, s4
	s_and_saveexec_b32 s4, s2
	s_cbranch_execz .LBB138_55
.LBB138_54:
	v_dual_mov_b32 v14, 0 :: v_dual_add_nc_u32 v13, v16, v12
	s_delay_alu instid0(VALU_DEP_1) | instskip(SKIP_1) | instid1(VALU_DEP_1)
	v_lshlrev_b64_e32 v[13:14], 1, v[13:14]
	s_wait_kmcnt 0x0
	v_add_co_u32 v13, s3, s8, v13
	s_wait_alu 0xf1ff
	s_delay_alu instid0(VALU_DEP_2)
	v_add_co_ci_u32_e64 v14, null, s9, v14, s3
	global_store_b16 v[13:14], v8, off
.LBB138_55:
	s_wait_alu 0xfffe
	s_or_b32 exec_lo, exec_lo, s4
	v_add3_u32 v8, v4, s15, 48
	s_delay_alu instid0(VALU_DEP_1)
	v_cmp_gt_u32_e64 s3, s6, v8
	s_and_b32 exec_lo, exec_lo, s3
	s_cbranch_execz .LBB138_15
; %bb.56:
	v_mul_lo_u32 v8, v8, s14
	s_and_saveexec_b32 s4, vcc_lo
	s_cbranch_execnz .LBB138_81
; %bb.57:
	s_wait_alu 0xfffe
	s_or_b32 exec_lo, exec_lo, s4
	s_and_saveexec_b32 s4, s0
	s_cbranch_execnz .LBB138_82
.LBB138_58:
	s_wait_alu 0xfffe
	s_or_b32 exec_lo, exec_lo, s4
	s_and_saveexec_b32 s4, s1
	s_cbranch_execnz .LBB138_83
.LBB138_59:
	s_wait_alu 0xfffe
	s_or_b32 exec_lo, exec_lo, s4
	s_and_saveexec_b32 s4, s2
	s_cbranch_execz .LBB138_61
.LBB138_60:
	v_dual_mov_b32 v7, 0 :: v_dual_add_nc_u32 v6, v8, v12
	s_delay_alu instid0(VALU_DEP_1) | instskip(SKIP_1) | instid1(VALU_DEP_1)
	v_lshlrev_b64_e32 v[6:7], 1, v[6:7]
	s_wait_kmcnt 0x0
	v_add_co_u32 v6, s3, s8, v6
	s_wait_alu 0xf1ff
	s_delay_alu instid0(VALU_DEP_2)
	v_add_co_ci_u32_e64 v7, null, s9, v7, s3
	global_store_b16 v[6:7], v5, off
.LBB138_61:
	s_wait_alu 0xfffe
	s_or_b32 exec_lo, exec_lo, s4
	v_add3_u32 v4, v4, s15, 56
	s_delay_alu instid0(VALU_DEP_1)
	v_cmp_gt_u32_e64 s3, s6, v4
	s_and_b32 exec_lo, exec_lo, s3
	s_cbranch_execz .LBB138_15
; %bb.62:
	v_mul_lo_u32 v4, v4, s14
	s_and_saveexec_b32 s3, vcc_lo
	s_cbranch_execnz .LBB138_84
; %bb.63:
	s_wait_alu 0xfffe
	s_or_b32 exec_lo, exec_lo, s3
	s_and_saveexec_b32 s3, s0
	s_cbranch_execnz .LBB138_85
.LBB138_64:
	s_wait_alu 0xfffe
	s_or_b32 exec_lo, exec_lo, s3
	s_and_saveexec_b32 s0, s1
	s_cbranch_execnz .LBB138_86
.LBB138_65:
	s_wait_alu 0xfffe
	s_or_b32 exec_lo, exec_lo, s0
	s_delay_alu instid0(SALU_CYCLE_1)
	s_and_b32 exec_lo, exec_lo, s2
	s_cbranch_execz .LBB138_15
	s_branch .LBB138_87
.LBB138_66:
	s_delay_alu instid0(VALU_DEP_1) | instskip(NEXT) | instid1(VALU_DEP_1)
	v_dual_mov_b32 v24, 0 :: v_dual_add_nc_u32 v23, v22, v9
	v_lshlrev_b64_e32 v[23:24], 1, v[23:24]
	s_wait_kmcnt 0x0
	s_delay_alu instid0(VALU_DEP_1) | instskip(SKIP_1) | instid1(VALU_DEP_2)
	v_add_co_u32 v23, s3, s8, v23
	s_wait_alu 0xf1ff
	v_add_co_ci_u32_e64 v24, null, s9, v24, s3
	global_store_d16_hi_b16 v[23:24], v34, off
	s_wait_alu 0xfffe
	s_or_b32 exec_lo, exec_lo, s4
	s_and_saveexec_b32 s4, s0
	s_cbranch_execz .LBB138_28
.LBB138_67:
	s_delay_alu instid0(VALU_DEP_1) | instskip(NEXT) | instid1(VALU_DEP_1)
	v_dual_mov_b32 v24, 0 :: v_dual_add_nc_u32 v23, v22, v10
	v_lshlrev_b64_e32 v[23:24], 1, v[23:24]
	s_wait_kmcnt 0x0
	s_delay_alu instid0(VALU_DEP_1) | instskip(SKIP_1) | instid1(VALU_DEP_2)
	v_add_co_u32 v23, s3, s8, v23
	s_wait_alu 0xf1ff
	v_add_co_ci_u32_e64 v24, null, s9, v24, s3
	global_store_b16 v[23:24], v35, off
	s_wait_alu 0xfffe
	s_or_b32 exec_lo, exec_lo, s4
	s_and_saveexec_b32 s4, s1
	s_cbranch_execz .LBB138_29
.LBB138_68:
	v_dual_mov_b32 v24, 0 :: v_dual_add_nc_u32 v23, v22, v11
	s_delay_alu instid0(VALU_DEP_1) | instskip(SKIP_1) | instid1(VALU_DEP_1)
	v_lshlrev_b64_e32 v[23:24], 1, v[23:24]
	s_wait_kmcnt 0x0
	v_add_co_u32 v23, s3, s8, v23
	s_wait_alu 0xf1ff
	s_delay_alu instid0(VALU_DEP_2)
	v_add_co_ci_u32_e64 v24, null, s9, v24, s3
	global_store_b16 v[23:24], v31, off
	s_wait_alu 0xfffe
	s_or_b32 exec_lo, exec_lo, s4
	s_and_saveexec_b32 s4, s2
	s_cbranch_execnz .LBB138_30
	s_branch .LBB138_31
.LBB138_69:
	s_delay_alu instid0(VALU_DEP_1) | instskip(NEXT) | instid1(VALU_DEP_1)
	v_dual_mov_b32 v24, 0 :: v_dual_add_nc_u32 v23, v22, v9
	v_lshlrev_b64_e32 v[23:24], 1, v[23:24]
	s_wait_kmcnt 0x0
	s_delay_alu instid0(VALU_DEP_1) | instskip(SKIP_1) | instid1(VALU_DEP_2)
	v_add_co_u32 v23, s3, s8, v23
	s_wait_alu 0xf1ff
	v_add_co_ci_u32_e64 v24, null, s9, v24, s3
	global_store_b16 v[23:24], v21, off
	s_wait_alu 0xfffe
	s_or_b32 exec_lo, exec_lo, s4
	s_and_saveexec_b32 s4, s0
	s_cbranch_execz .LBB138_34
.LBB138_70:
	s_delay_alu instid0(VALU_DEP_1) | instskip(NEXT) | instid1(VALU_DEP_1)
	v_dual_mov_b32 v24, 0 :: v_dual_add_nc_u32 v23, v22, v10
	v_lshlrev_b64_e32 v[23:24], 1, v[23:24]
	s_wait_kmcnt 0x0
	s_delay_alu instid0(VALU_DEP_1) | instskip(SKIP_1) | instid1(VALU_DEP_2)
	v_add_co_u32 v23, s3, s8, v23
	s_wait_alu 0xf1ff
	v_add_co_ci_u32_e64 v24, null, s9, v24, s3
	global_store_b16 v[23:24], v29, off
	s_wait_alu 0xfffe
	s_or_b32 exec_lo, exec_lo, s4
	s_and_saveexec_b32 s4, s1
	s_cbranch_execz .LBB138_35
.LBB138_71:
	v_dual_mov_b32 v24, 0 :: v_dual_add_nc_u32 v23, v22, v11
	s_delay_alu instid0(VALU_DEP_1) | instskip(SKIP_1) | instid1(VALU_DEP_1)
	v_lshlrev_b64_e32 v[23:24], 1, v[23:24]
	s_wait_kmcnt 0x0
	v_add_co_u32 v23, s3, s8, v23
	s_wait_alu 0xf1ff
	s_delay_alu instid0(VALU_DEP_2)
	v_add_co_ci_u32_e64 v24, null, s9, v24, s3
	global_store_b16 v[23:24], v28, off
	s_wait_alu 0xfffe
	s_or_b32 exec_lo, exec_lo, s4
	s_and_saveexec_b32 s4, s2
	s_cbranch_execnz .LBB138_36
	s_branch .LBB138_37
.LBB138_72:
	s_delay_alu instid0(VALU_DEP_1) | instskip(NEXT) | instid1(VALU_DEP_1)
	v_dual_mov_b32 v24, 0 :: v_dual_add_nc_u32 v23, v22, v9
	v_lshlrev_b64_e32 v[23:24], 1, v[23:24]
	s_wait_kmcnt 0x0
	s_delay_alu instid0(VALU_DEP_1) | instskip(SKIP_1) | instid1(VALU_DEP_2)
	v_add_co_u32 v23, s3, s8, v23
	s_wait_alu 0xf1ff
	v_add_co_ci_u32_e64 v24, null, s9, v24, s3
	global_store_d16_hi_b16 v[23:24], v21, off
	s_wait_alu 0xfffe
	s_or_b32 exec_lo, exec_lo, s4
	s_and_saveexec_b32 s4, s0
	s_cbranch_execz .LBB138_40
.LBB138_73:
	s_delay_alu instid0(VALU_DEP_1) | instskip(NEXT) | instid1(VALU_DEP_1)
	v_dual_mov_b32 v24, 0 :: v_dual_add_nc_u32 v23, v22, v10
	v_lshlrev_b64_e32 v[23:24], 1, v[23:24]
	s_wait_kmcnt 0x0
	s_delay_alu instid0(VALU_DEP_1) | instskip(SKIP_1) | instid1(VALU_DEP_2)
	v_add_co_u32 v23, s3, s8, v23
	s_wait_alu 0xf1ff
	v_add_co_ci_u32_e64 v24, null, s9, v24, s3
	global_store_b16 v[23:24], v26, off
	s_wait_alu 0xfffe
	s_or_b32 exec_lo, exec_lo, s4
	s_and_saveexec_b32 s4, s1
	s_cbranch_execz .LBB138_41
.LBB138_74:
	v_dual_mov_b32 v24, 0 :: v_dual_add_nc_u32 v23, v22, v11
	s_delay_alu instid0(VALU_DEP_1) | instskip(SKIP_1) | instid1(VALU_DEP_1)
	v_lshlrev_b64_e32 v[23:24], 1, v[23:24]
	s_wait_kmcnt 0x0
	v_add_co_u32 v23, s3, s8, v23
	s_wait_alu 0xf1ff
	s_delay_alu instid0(VALU_DEP_2)
	v_add_co_ci_u32_e64 v24, null, s9, v24, s3
	global_store_b16 v[23:24], v20, off
	s_wait_alu 0xfffe
	s_or_b32 exec_lo, exec_lo, s4
	s_and_saveexec_b32 s4, s2
	s_cbranch_execnz .LBB138_42
	s_branch .LBB138_43
.LBB138_75:
	s_delay_alu instid0(VALU_DEP_1) | instskip(NEXT) | instid1(VALU_DEP_1)
	v_dual_mov_b32 v21, 0 :: v_dual_add_nc_u32 v20, v19, v9
	v_lshlrev_b64_e32 v[20:21], 1, v[20:21]
	s_wait_kmcnt 0x0
	s_delay_alu instid0(VALU_DEP_1) | instskip(SKIP_1) | instid1(VALU_DEP_2)
	v_add_co_u32 v20, s3, s8, v20
	s_wait_alu 0xf1ff
	v_add_co_ci_u32_e64 v21, null, s9, v21, s3
	global_store_b16 v[20:21], v14, off
	s_wait_alu 0xfffe
	s_or_b32 exec_lo, exec_lo, s4
	s_and_saveexec_b32 s4, s0
	s_cbranch_execz .LBB138_46
.LBB138_76:
	s_delay_alu instid0(VALU_DEP_1) | instskip(NEXT) | instid1(VALU_DEP_1)
	v_dual_mov_b32 v21, 0 :: v_dual_add_nc_u32 v20, v19, v10
	v_lshlrev_b64_e32 v[20:21], 1, v[20:21]
	s_wait_kmcnt 0x0
	s_delay_alu instid0(VALU_DEP_1) | instskip(SKIP_1) | instid1(VALU_DEP_2)
	v_add_co_u32 v20, s3, s8, v20
	s_wait_alu 0xf1ff
	v_add_co_ci_u32_e64 v21, null, s9, v21, s3
	global_store_b16 v[20:21], v18, off
	s_wait_alu 0xfffe
	s_or_b32 exec_lo, exec_lo, s4
	s_and_saveexec_b32 s4, s1
	s_cbranch_execz .LBB138_47
.LBB138_77:
	v_dual_mov_b32 v21, 0 :: v_dual_add_nc_u32 v20, v19, v11
	s_delay_alu instid0(VALU_DEP_1) | instskip(SKIP_1) | instid1(VALU_DEP_1)
	v_lshlrev_b64_e32 v[20:21], 1, v[20:21]
	s_wait_kmcnt 0x0
	v_add_co_u32 v20, s3, s8, v20
	s_wait_alu 0xf1ff
	s_delay_alu instid0(VALU_DEP_2)
	v_add_co_ci_u32_e64 v21, null, s9, v21, s3
	global_store_b16 v[20:21], v17, off
	s_wait_alu 0xfffe
	s_or_b32 exec_lo, exec_lo, s4
	s_and_saveexec_b32 s4, s2
	s_cbranch_execnz .LBB138_48
	s_branch .LBB138_49
.LBB138_78:
	s_delay_alu instid0(VALU_DEP_1) | instskip(NEXT) | instid1(VALU_DEP_1)
	v_dual_mov_b32 v18, 0 :: v_dual_add_nc_u32 v17, v16, v9
	v_lshlrev_b64_e32 v[17:18], 1, v[17:18]
	s_wait_kmcnt 0x0
	s_delay_alu instid0(VALU_DEP_1) | instskip(SKIP_1) | instid1(VALU_DEP_2)
	v_add_co_u32 v17, s3, s8, v17
	s_wait_alu 0xf1ff
	v_add_co_ci_u32_e64 v18, null, s9, v18, s3
	global_store_d16_hi_b16 v[17:18], v14, off
	s_wait_alu 0xfffe
	s_or_b32 exec_lo, exec_lo, s4
	s_and_saveexec_b32 s4, s0
	s_cbranch_execz .LBB138_52
.LBB138_79:
	s_delay_alu instid0(VALU_DEP_1) | instskip(NEXT) | instid1(VALU_DEP_1)
	v_dual_mov_b32 v18, 0 :: v_dual_add_nc_u32 v17, v16, v10
	v_lshlrev_b64_e32 v[17:18], 1, v[17:18]
	s_wait_kmcnt 0x0
	s_delay_alu instid0(VALU_DEP_1) | instskip(SKIP_1) | instid1(VALU_DEP_2)
	v_add_co_u32 v17, s3, s8, v17
	s_wait_alu 0xf1ff
	v_add_co_ci_u32_e64 v18, null, s9, v18, s3
	global_store_b16 v[17:18], v15, off
	s_wait_alu 0xfffe
	s_or_b32 exec_lo, exec_lo, s4
	s_and_saveexec_b32 s4, s1
	s_cbranch_execz .LBB138_53
.LBB138_80:
	v_dual_mov_b32 v15, 0 :: v_dual_add_nc_u32 v14, v16, v11
	s_delay_alu instid0(VALU_DEP_1) | instskip(SKIP_1) | instid1(VALU_DEP_1)
	v_lshlrev_b64_e32 v[14:15], 1, v[14:15]
	s_wait_kmcnt 0x0
	v_add_co_u32 v14, s3, s8, v14
	s_wait_alu 0xf1ff
	s_delay_alu instid0(VALU_DEP_2)
	v_add_co_ci_u32_e64 v15, null, s9, v15, s3
	global_store_b16 v[14:15], v13, off
	s_wait_alu 0xfffe
	s_or_b32 exec_lo, exec_lo, s4
	s_and_saveexec_b32 s4, s2
	s_cbranch_execnz .LBB138_54
	s_branch .LBB138_55
.LBB138_81:
	s_delay_alu instid0(VALU_DEP_1) | instskip(NEXT) | instid1(VALU_DEP_1)
	v_dual_mov_b32 v14, 0 :: v_dual_add_nc_u32 v13, v8, v9
	v_lshlrev_b64_e32 v[13:14], 1, v[13:14]
	s_wait_kmcnt 0x0
	s_delay_alu instid0(VALU_DEP_1) | instskip(SKIP_1) | instid1(VALU_DEP_2)
	v_add_co_u32 v13, s3, s8, v13
	s_wait_alu 0xf1ff
	v_add_co_ci_u32_e64 v14, null, s9, v14, s3
	global_store_b16 v[13:14], v2, off
	s_wait_alu 0xfffe
	s_or_b32 exec_lo, exec_lo, s4
	s_and_saveexec_b32 s4, s0
	s_cbranch_execz .LBB138_58
.LBB138_82:
	s_delay_alu instid0(VALU_DEP_1) | instskip(NEXT) | instid1(VALU_DEP_1)
	v_dual_mov_b32 v14, 0 :: v_dual_add_nc_u32 v13, v8, v10
	v_lshlrev_b64_e32 v[13:14], 1, v[13:14]
	s_wait_kmcnt 0x0
	s_delay_alu instid0(VALU_DEP_1) | instskip(SKIP_1) | instid1(VALU_DEP_2)
	v_add_co_u32 v13, s3, s8, v13
	s_wait_alu 0xf1ff
	v_add_co_ci_u32_e64 v14, null, s9, v14, s3
	global_store_b16 v[13:14], v7, off
	s_wait_alu 0xfffe
	s_or_b32 exec_lo, exec_lo, s4
	s_and_saveexec_b32 s4, s1
	s_cbranch_execz .LBB138_59
.LBB138_83:
	v_dual_mov_b32 v14, 0 :: v_dual_add_nc_u32 v13, v8, v11
	s_delay_alu instid0(VALU_DEP_1) | instskip(SKIP_1) | instid1(VALU_DEP_1)
	v_lshlrev_b64_e32 v[13:14], 1, v[13:14]
	s_wait_kmcnt 0x0
	v_add_co_u32 v13, s3, s8, v13
	s_wait_alu 0xf1ff
	s_delay_alu instid0(VALU_DEP_2)
	v_add_co_ci_u32_e64 v14, null, s9, v14, s3
	global_store_b16 v[13:14], v6, off
	s_wait_alu 0xfffe
	s_or_b32 exec_lo, exec_lo, s4
	s_and_saveexec_b32 s4, s2
	s_cbranch_execnz .LBB138_60
	s_branch .LBB138_61
.LBB138_84:
	s_delay_alu instid0(VALU_DEP_1) | instskip(NEXT) | instid1(VALU_DEP_1)
	v_dual_mov_b32 v6, 0 :: v_dual_add_nc_u32 v5, v4, v9
	v_lshlrev_b64_e32 v[5:6], 1, v[5:6]
	s_wait_kmcnt 0x0
	s_delay_alu instid0(VALU_DEP_1) | instskip(SKIP_1) | instid1(VALU_DEP_2)
	v_add_co_u32 v5, vcc_lo, s8, v5
	s_wait_alu 0xfffd
	v_add_co_ci_u32_e64 v6, null, s9, v6, vcc_lo
	global_store_d16_hi_b16 v[5:6], v2, off
	s_wait_alu 0xfffe
	s_or_b32 exec_lo, exec_lo, s3
	s_and_saveexec_b32 s3, s0
	s_cbranch_execz .LBB138_64
.LBB138_85:
	s_delay_alu instid0(VALU_DEP_1) | instskip(NEXT) | instid1(VALU_DEP_1)
	v_dual_mov_b32 v6, 0 :: v_dual_add_nc_u32 v5, v4, v10
	v_lshlrev_b64_e32 v[5:6], 1, v[5:6]
	s_wait_kmcnt 0x0
	s_delay_alu instid0(VALU_DEP_1) | instskip(SKIP_1) | instid1(VALU_DEP_2)
	v_add_co_u32 v5, vcc_lo, s8, v5
	s_wait_alu 0xfffd
	v_add_co_ci_u32_e64 v6, null, s9, v6, vcc_lo
	global_store_b16 v[5:6], v3, off
	s_wait_alu 0xfffe
	s_or_b32 exec_lo, exec_lo, s3
	s_and_saveexec_b32 s0, s1
	s_cbranch_execz .LBB138_65
.LBB138_86:
	v_dual_mov_b32 v3, 0 :: v_dual_add_nc_u32 v2, v4, v11
	s_delay_alu instid0(VALU_DEP_1) | instskip(SKIP_1) | instid1(VALU_DEP_1)
	v_lshlrev_b64_e32 v[2:3], 1, v[2:3]
	s_wait_kmcnt 0x0
	v_add_co_u32 v2, vcc_lo, s8, v2
	s_wait_alu 0xfffd
	s_delay_alu instid0(VALU_DEP_2) | instskip(SKIP_3) | instid1(SALU_CYCLE_1)
	v_add_co_ci_u32_e64 v3, null, s9, v3, vcc_lo
	global_store_b16 v[2:3], v1, off
	s_wait_alu 0xfffe
	s_or_b32 exec_lo, exec_lo, s0
	s_and_b32 exec_lo, exec_lo, s2
	s_cbranch_execz .LBB138_15
.LBB138_87:
	v_dual_mov_b32 v2, 0 :: v_dual_add_nc_u32 v1, v4, v12
	s_delay_alu instid0(VALU_DEP_1) | instskip(SKIP_1) | instid1(VALU_DEP_1)
	v_lshlrev_b64_e32 v[1:2], 1, v[1:2]
	s_wait_kmcnt 0x0
	v_add_co_u32 v1, vcc_lo, s8, v1
	s_wait_alu 0xfffd
	s_delay_alu instid0(VALU_DEP_2)
	v_add_co_ci_u32_e64 v2, null, s9, v2, vcc_lo
	global_store_b16 v[1:2], v0, off
	s_nop 0
	s_sendmsg sendmsg(MSG_DEALLOC_VGPRS)
	s_endpgm
	.section	.rodata,"a",@progbits
	.p2align	6, 0x0
	.amdhsa_kernel _ZL12mul_mat_q4_0IN3c104HalfELb1EEvPKvS3_PT_iiiii
		.amdhsa_group_segment_fixed_size 30336
		.amdhsa_private_segment_fixed_size 192
		.amdhsa_kernarg_size 44
		.amdhsa_user_sgpr_count 2
		.amdhsa_user_sgpr_dispatch_ptr 0
		.amdhsa_user_sgpr_queue_ptr 0
		.amdhsa_user_sgpr_kernarg_segment_ptr 1
		.amdhsa_user_sgpr_dispatch_id 0
		.amdhsa_user_sgpr_private_segment_size 0
		.amdhsa_wavefront_size32 1
		.amdhsa_uses_dynamic_stack 0
		.amdhsa_enable_private_segment 1
		.amdhsa_system_sgpr_workgroup_id_x 1
		.amdhsa_system_sgpr_workgroup_id_y 1
		.amdhsa_system_sgpr_workgroup_id_z 0
		.amdhsa_system_sgpr_workgroup_info 0
		.amdhsa_system_vgpr_workitem_id 1
		.amdhsa_next_free_vgpr 256
		.amdhsa_next_free_sgpr 18
		.amdhsa_reserve_vcc 1
		.amdhsa_float_round_mode_32 0
		.amdhsa_float_round_mode_16_64 0
		.amdhsa_float_denorm_mode_32 3
		.amdhsa_float_denorm_mode_16_64 3
		.amdhsa_fp16_overflow 0
		.amdhsa_workgroup_processor_mode 1
		.amdhsa_memory_ordered 1
		.amdhsa_forward_progress 1
		.amdhsa_inst_pref_size 255
		.amdhsa_round_robin_scheduling 0
		.amdhsa_exception_fp_ieee_invalid_op 0
		.amdhsa_exception_fp_denorm_src 0
		.amdhsa_exception_fp_ieee_div_zero 0
		.amdhsa_exception_fp_ieee_overflow 0
		.amdhsa_exception_fp_ieee_underflow 0
		.amdhsa_exception_fp_ieee_inexact 0
		.amdhsa_exception_int_div_zero 0
	.end_amdhsa_kernel
	.section	.text._ZL12mul_mat_q4_0IN3c104HalfELb1EEvPKvS3_PT_iiiii,"axG",@progbits,_ZL12mul_mat_q4_0IN3c104HalfELb1EEvPKvS3_PT_iiiii,comdat
.Lfunc_end138:
	.size	_ZL12mul_mat_q4_0IN3c104HalfELb1EEvPKvS3_PT_iiiii, .Lfunc_end138-_ZL12mul_mat_q4_0IN3c104HalfELb1EEvPKvS3_PT_iiiii
                                        ; -- End function
	.set _ZL12mul_mat_q4_0IN3c104HalfELb1EEvPKvS3_PT_iiiii.num_vgpr, 256
	.set _ZL12mul_mat_q4_0IN3c104HalfELb1EEvPKvS3_PT_iiiii.num_agpr, 0
	.set _ZL12mul_mat_q4_0IN3c104HalfELb1EEvPKvS3_PT_iiiii.numbered_sgpr, 18
	.set _ZL12mul_mat_q4_0IN3c104HalfELb1EEvPKvS3_PT_iiiii.num_named_barrier, 0
	.set _ZL12mul_mat_q4_0IN3c104HalfELb1EEvPKvS3_PT_iiiii.private_seg_size, 192
	.set _ZL12mul_mat_q4_0IN3c104HalfELb1EEvPKvS3_PT_iiiii.uses_vcc, 1
	.set _ZL12mul_mat_q4_0IN3c104HalfELb1EEvPKvS3_PT_iiiii.uses_flat_scratch, 1
	.set _ZL12mul_mat_q4_0IN3c104HalfELb1EEvPKvS3_PT_iiiii.has_dyn_sized_stack, 0
	.set _ZL12mul_mat_q4_0IN3c104HalfELb1EEvPKvS3_PT_iiiii.has_recursion, 0
	.set _ZL12mul_mat_q4_0IN3c104HalfELb1EEvPKvS3_PT_iiiii.has_indirect_call, 0
	.section	.AMDGPU.csdata,"",@progbits
; Kernel info:
; codeLenInByte = 36092
; TotalNumSgprs: 20
; NumVgprs: 256
; ScratchSize: 192
; MemoryBound: 0
; FloatMode: 240
; IeeeMode: 1
; LDSByteSize: 30336 bytes/workgroup (compile time only)
; SGPRBlocks: 0
; VGPRBlocks: 31
; NumSGPRsForWavesPerEU: 20
; NumVGPRsForWavesPerEU: 256
; Occupancy: 5
; WaveLimiterHint : 0
; COMPUTE_PGM_RSRC2:SCRATCH_EN: 1
; COMPUTE_PGM_RSRC2:USER_SGPR: 2
; COMPUTE_PGM_RSRC2:TRAP_HANDLER: 0
; COMPUTE_PGM_RSRC2:TGID_X_EN: 1
; COMPUTE_PGM_RSRC2:TGID_Y_EN: 1
; COMPUTE_PGM_RSRC2:TGID_Z_EN: 0
; COMPUTE_PGM_RSRC2:TIDIG_COMP_CNT: 1
	.section	.text._ZL12mul_mat_q4_1IN3c104HalfELb0EEvPKvS3_PT_iiiii,"axG",@progbits,_ZL12mul_mat_q4_1IN3c104HalfELb0EEvPKvS3_PT_iiiii,comdat
	.globl	_ZL12mul_mat_q4_1IN3c104HalfELb0EEvPKvS3_PT_iiiii ; -- Begin function _ZL12mul_mat_q4_1IN3c104HalfELb0EEvPKvS3_PT_iiiii
	.p2align	8
	.type	_ZL12mul_mat_q4_1IN3c104HalfELb0EEvPKvS3_PT_iiiii,@function
_ZL12mul_mat_q4_1IN3c104HalfELb0EEvPKvS3_PT_iiiii: ; @_ZL12mul_mat_q4_1IN3c104HalfELb0EEvPKvS3_PT_iiiii
; %bb.0:
	s_clause 0x1
	s_load_b32 s2, s[0:1], 0x18
	s_load_b96 s[4:6], s[0:1], 0x20
	v_bfe_u32 v38, v0, 10, 10
	v_and_b32_e32 v1, 0x3ff, v0
	s_lshl_b32 s7, ttmp7, 6
	scratch_store_b32 off, v1, off offset:24 ; 4-byte Folded Spill
	s_wait_kmcnt 0x0
	s_cmp_gt_i32 s2, 31
	s_cbranch_scc1 .LBB139_2
; %bb.1:
	v_bfe_u32 v6, v0, 10, 10
	v_and_b32_e32 v34, 0x3ff, v0
	s_mov_b32 s3, 0
	s_delay_alu instid0(VALU_DEP_2)
	v_add_nc_u32_e32 v35, s7, v6
	s_branch .LBB139_3
.LBB139_2:
	s_mov_b32 s3, -1
                                        ; implicit-def: $vgpr6
                                        ; implicit-def: $vgpr34
                                        ; implicit-def: $vgpr35
.LBB139_3:
	s_load_b64 s[8:9], s[0:1], 0x10
	v_dual_mov_b32 v1, 0 :: v_dual_mov_b32 v10, 0
	v_dual_mov_b32 v5, 0 :: v_dual_mov_b32 v2, 0
	;; [unrolled: 1-line block ×15, first 2 shown]
	v_mov_b32_e32 v13, 0
	v_mov_b32_e32 v9, 0
	s_and_not1_b32 vcc_lo, exec_lo, s3
	s_lshl_b32 s14, ttmp9, 7
	s_cbranch_vccnz .LBB139_15
; %bb.4:
	v_dual_mov_b32 v161, 0 :: v_dual_add_nc_u32 v10, s7, v38
	s_add_co_i32 s10, s4, -1
	v_bfe_u32 v26, v0, 3, 7
	v_cvt_f64_i32_e32 v[1:2], s10
	s_delay_alu instid0(VALU_DEP_3) | instskip(SKIP_3) | instid1(VALU_DEP_3)
	v_cvt_f64_u32_e32 v[3:4], v10
	v_dual_mov_b32 v126, 0 :: v_dual_add_nc_u32 v5, 8, v10
	v_dual_mov_b32 v120, 0 :: v_dual_add_nc_u32 v7, 16, v10
	;; [unrolled: 1-line block ×3, first 2 shown]
	v_cvt_f64_u32_e32 v[5:6], v5
	v_dual_mov_b32 v110, 0 :: v_dual_add_nc_u32 v11, 32, v10
	v_dual_mov_b32 v102, 0 :: v_dual_add_nc_u32 v13, 40, v10
	;; [unrolled: 1-line block ×4, first 2 shown]
	v_cvt_f64_u32_e32 v[7:8], v7
	s_clause 0x1
	scratch_store_b32 off, v10, off offset:280
	scratch_store_b32 off, v26, off offset:132
	v_cvt_f64_u32_e32 v[9:10], v9
	v_cvt_f64_u32_e32 v[11:12], v11
	;; [unrolled: 1-line block ×5, first 2 shown]
	v_bfe_u32 v41, v0, 2, 8
	v_dual_mov_b32 v116, 0 :: v_dual_and_b32 v19, 3, v0
	s_ashr_i32 s3, s2, 31
	v_dual_mov_b32 v134, 0 :: v_dual_and_b32 v39, 0x3ff, v0
	s_lshr_b32 s3, s3, 27
	v_dual_mov_b32 v137, 0 :: v_dual_and_b32 v42, 7, v0
	v_dual_mov_b32 v148, 0 :: v_dual_lshlrev_b32 v27, 2, v19
	s_add_co_i32 s11, s2, s3
	v_dual_mov_b32 v105, 0 :: v_dual_lshlrev_b32 v20, 2, v39
	v_min_num_f64_e32 v[3:4], v[3:4], v[1:2]
	s_wait_alu 0xfffe
	s_ashr_i32 s15, s11, 5
	s_ashr_i32 s12, s5, 31
	v_dual_mov_b32 v143, 0 :: v_dual_and_b32 v46, 12, v20
	s_lshr_b32 s12, s12, 27
	v_mad_u32_u24 v47, 0x84, v38, v20
	v_min_num_f64_e32 v[5:6], v[5:6], v[1:2]
	v_dual_mov_b32 v147, 0 :: v_dual_and_b32 v20, 28, v20
	v_dual_mov_b32 v135, 0 :: v_dual_mov_b32 v132, 0
	s_add_co_i32 s5, s5, s12
	v_dual_mov_b32 v130, 0 :: v_dual_add_nc_u32 v25, 32, v39
	s_ashr_i32 s5, s5, 5
	v_min_num_f64_e32 v[7:8], v[7:8], v[1:2]
	v_dual_mov_b32 v122, 0 :: v_dual_and_b32 v21, 31, v0
	v_min_num_f64_e32 v[9:10], v[9:10], v[1:2]
	v_min_num_f64_e32 v[11:12], v[11:12], v[1:2]
	;; [unrolled: 1-line block ×5, first 2 shown]
	v_lshl_add_u32 v17, v38, 2, v26
	v_lshl_add_u32 v26, v38, 3, v41
	v_lshlrev_b32_e32 v18, 2, v42
	s_load_b128 s[0:3], s[0:1], 0x0
	v_dual_mov_b32 v138, 0 :: v_dual_add_nc_u32 v23, 0x60, v39
	v_add_nc_u32_e32 v37, 32, v17
	v_mul_lo_u32 v53, s15, v17
	v_and_b32_e32 v35, 0x7fc, v17
	v_lshlrev_b32_e32 v36, 5, v17
	v_dual_mov_b32 v145, 0 :: v_dual_add_nc_u32 v24, 64, v39
	v_mul_lo_u32 v40, s15, v38
	s_lshl_b32 s16, s15, 3
	v_cvt_i32_f64_e32 v3, v[3:4]
	v_dual_mov_b32 v128, 0 :: v_dual_mov_b32 v107, 0
	v_mov_b32_e32 v124, 0
	v_dual_mov_b32 v111, 0 :: v_dual_lshlrev_b32 v22, 7, v38
	v_add_nc_u32_e32 v43, s16, v40
	v_cvt_i32_f64_e32 v4, v[5:6]
	v_dual_mov_b32 v141, 0 :: v_dual_mov_b32 v118, 0
	v_lshl_or_b32 v21, v21, 2, 0x4200
	s_delay_alu instid0(VALU_DEP_4)
	v_add_nc_u32_e32 v44, s16, v43
	v_dual_mov_b32 v139, 0 :: v_dual_add_nc_u32 v28, 0x400, v22
	v_dual_mov_b32 v136, 0 :: v_dual_add_nc_u32 v29, 0x800, v22
	v_mov_b32_e32 v146, 0
	v_cvt_i32_f64_e32 v5, v[7:8]
	v_add_nc_u32_e32 v45, s16, v44
	v_cvt_i32_f64_e32 v6, v[9:10]
	v_cvt_i32_f64_e32 v7, v[11:12]
	v_and_b32_e32 v11, 63, v26
	v_cvt_i32_f64_e32 v8, v[13:14]
	v_cvt_i32_f64_e32 v10, v[1:2]
	v_add_nc_u32_e32 v1, 64, v17
	v_add_nc_u32_e32 v2, 0x60, v17
	v_cvt_i32_f64_e32 v9, v[15:16]
	v_and_b32_e32 v13, 0xffc, v37
	v_add3_u32 v12, v35, v18, 0x6200
	v_and_b32_e32 v15, 0xffc, v1
	v_lshlrev_b32_e32 v16, 5, v1
	v_and_b32_e32 v1, 0xffc, v2
	v_lshlrev_b32_e32 v17, 5, v2
	v_or_b32_e32 v2, s7, v11
	v_lshl_or_b32 v11, v11, 4, v27
	v_add3_u32 v13, v13, v18, 0x6200
	v_add3_u32 v15, v15, v18, 0x6200
	;; [unrolled: 1-line block ×3, first 2 shown]
	v_min_i32_e32 v1, s10, v2
	v_add_nc_u32_e32 v2, 0x7280, v11
	v_add_nc_u32_e32 v48, s16, v45
	;; [unrolled: 1-line block ×3, first 2 shown]
	v_dual_mov_b32 v144, 0 :: v_dual_add_nc_u32 v31, 0x1000, v22
	scratch_store_b32 off, v2, off offset:28 ; 4-byte Folded Spill
	v_mad_co_u64_u32 v[1:2], null, v1, s5, v[19:20]
	v_add_nc_u32_e32 v49, s16, v48
	v_add_nc_u32_e32 v32, 0x1400, v22
	s_and_not1_b32 s11, s11, 31
	v_dual_mov_b32 v142, 0 :: v_dual_add_nc_u32 v33, 0x1800, v22
	s_delay_alu instid0(VALU_DEP_3)
	v_add_nc_u32_e32 v50, s16, v49
	scratch_store_b64 off, v[1:2], off offset:208 ; 8-byte Folded Spill
	v_mul_lo_u32 v2, s5, v3
	v_and_b32_e32 v3, 0x1fc, v23
	s_wait_alu 0xfffe
	v_add_nc_u32_e32 v58, s11, v53
	v_add_nc_u32_e32 v51, s16, v50
	;; [unrolled: 1-line block ×3, first 2 shown]
	v_lshlrev_b32_e32 v14, 5, v37
	s_mul_i32 s12, s15, s14
	v_add_nc_u32_e32 v60, s11, v58
	scratch_store_b32 off, v2, off offset:32 ; 4-byte Folded Spill
	v_mul_lo_u32 v2, s5, v4
	v_and_b32_e32 v4, 0x1fc, v24
	v_add_nc_u32_e32 v52, s16, v51
	s_ashr_i32 s13, s12, 31
	v_add_nc_u32_e32 v1, s11, v60
	s_mul_u64 s[12:13], s[12:13], 20
	s_mov_b32 s11, 0
	v_add_nc_u32_e32 v54, s16, v52
	scratch_store_b32 off, v2, off offset:36 ; 4-byte Folded Spill
	v_mul_lo_u32 v2, s5, v5
	v_and_b32_e32 v5, 0x1fc, v25
	s_wait_kmcnt 0x0
	s_add_nc_u64 s[0:1], s[0:1], s[12:13]
	v_add_nc_u32_e32 v55, s16, v54
	s_wait_alu 0xfffe
	s_mov_b32 s10, s11
	scratch_store_b32 off, v2, off offset:40 ; 4-byte Folded Spill
	v_mul_lo_u32 v2, s5, v6
	v_and_b32_e32 v6, 0xfc, v0
	v_lshrrev_b32_e32 v0, 3, v25
	v_add_nc_u32_e32 v56, s16, v55
	s_clause 0x1
	scratch_store_b32 off, v0, off offset:256
	scratch_store_b32 off, v2, off offset:44
	v_mul_lo_u32 v2, s5, v7
	v_add_nc_u32_e32 v57, s16, v56
	s_delay_alu instid0(VALU_DEP_1) | instskip(SKIP_3) | instid1(VALU_DEP_1)
	v_add_nc_u32_e32 v59, s16, v57
	scratch_store_b32 off, v2, off offset:48 ; 4-byte Folded Spill
	v_mul_lo_u32 v2, s5, v8
	v_add_nc_u32_e32 v61, s16, v59
	v_add_nc_u32_e32 v62, s16, v61
	scratch_store_b32 off, v2, off offset:52 ; 4-byte Folded Spill
	v_mul_lo_u32 v2, s5, v9
	scratch_store_b32 off, v2, off offset:56 ; 4-byte Folded Spill
	v_mul_lo_u32 v2, s5, v10
	scratch_store_b32 off, v2, off offset:60 ; 4-byte Folded Spill
	v_lshlrev_b32_e32 v2, 5, v39
	v_add_nc_u32_e32 v39, v18, v17
	s_delay_alu instid0(VALU_DEP_2)
	v_add_nc_u32_e32 v7, v2, v3
	v_add_nc_u32_e32 v4, v2, v4
	;; [unrolled: 1-line block ×4, first 2 shown]
	v_add_co_u32 v2, s5, s2, v20
	s_wait_alu 0xf1ff
	v_add_co_ci_u32_e64 v3, null, s3, 0, s5
	v_add_nc_u32_e32 v0, 0x6e00, v7
	s_add_co_i32 s5, s15, 3
	scratch_store_b64 off, v[2:3], off offset:64 ; 8-byte Folded Spill
	v_add_nc_u32_e32 v2, v13, v14
	scratch_store_b32 off, v0, off offset:224 ; 4-byte Folded Spill
	v_add_nc_u32_e32 v0, 0x6a00, v4
	v_add_nc_u32_e32 v3, v15, v16
	scratch_store_b32 off, v0, off offset:228 ; 4-byte Folded Spill
	v_add_nc_u32_e32 v0, 0x6600, v5
	scratch_store_b32 off, v0, off offset:232 ; 4-byte Folded Spill
	v_add_nc_u32_e32 v0, 0x6200, v6
	s_clause 0x1
	scratch_store_b32 off, v0, off offset:236
	scratch_store_b32 off, v38, off offset:276
	v_lshl_add_u32 v0, v38, 4, 0x7280
	scratch_store_b32 off, v0, off offset:72 ; 4-byte Folded Spill
	v_add_nc_u32_e32 v0, 0x4200, v22
	scratch_store_b32 off, v0, off offset:76 ; 4-byte Folded Spill
	v_add_nc_u32_e32 v0, 0x6e10, v7
	;; [unrolled: 2-line block ×3, first 2 shown]
	v_add_nc_u32_e32 v4, v21, v22
	s_clause 0x1
	scratch_store_b32 off, v0, off offset:264
	scratch_store_b32 off, v4, off offset:80
	v_add_nc_u32_e32 v0, 0x6610, v5
	v_add_nc_u32_e32 v4, v21, v28
	s_clause 0x1
	scratch_store_b32 off, v0, off offset:268
	scratch_store_b32 off, v4, off offset:84
	v_add_nc_u32_e32 v0, 0x6210, v6
	;; [unrolled: 5-line block ×3, first 2 shown]
	v_add_nc_u32_e32 v0, v12, v36
	scratch_store_b32 off, v4, off offset:92 ; 4-byte Folded Spill
	v_add_nc_u32_e32 v4, v21, v31
	scratch_store_b32 off, v4, off offset:96 ; 4-byte Folded Spill
	;; [unrolled: 2-line block ×4, first 2 shown]
	v_add_nc_u32_e32 v4, v21, v34
	s_clause 0x1c
	scratch_store_b32 off, v4, off offset:108
	scratch_store_b32 off, v40, off offset:116
	;; [unrolled: 1-line block ×29, first 2 shown]
	s_branch .LBB139_7
.LBB139_5:                              ;   in Loop: Header=BB139_7 Depth=1
	s_clause 0x1b
	scratch_load_b32 v40, off, off offset:116
	scratch_load_b32 v41, off, off offset:120
	;; [unrolled: 1-line block ×28, first 2 shown]
.LBB139_6:                              ;   in Loop: Header=BB139_7 Depth=1
	s_add_co_i32 s10, s10, 8
	s_add_co_i32 s5, s5, -8
	s_wait_alu 0xfffe
	s_cmp_ge_i32 s10, s15
	s_cbranch_scc1 .LBB139_14
.LBB139_7:                              ; =>This Loop Header: Depth=1
                                        ;     Child Loop BB139_9 Depth 2
                                        ;     Child Loop BB139_12 Depth 2
	s_wait_alu 0xfffe
	s_mul_u64 s[12:13], s[10:11], 20
	s_cmp_gt_u32 s5, 3
	s_wait_alu 0xfffe
	s_add_nc_u64 s[12:13], s[0:1], s[12:13]
	s_wait_loadcnt 0x14
	v_add_nc_u32_e32 v36, 0x35a0, v47
	s_wait_alu 0xfffe
	v_mad_co_u64_u32 v[4:5], null, v41, 20, s[12:13]
	v_add_nc_u32_e32 v37, 0x39c0, v47
	v_add_nc_u32_e32 v38, 0x3de0, v47
	s_delay_alu instid0(VALU_DEP_3) | instskip(SKIP_3) | instid1(VALU_DEP_4)
	v_mad_co_u64_u32 v[6:7], null, v40, 20, v[4:5]
	v_mad_co_u64_u32 v[8:9], null, v43, 20, v[4:5]
	;; [unrolled: 1-line block ×4, first 2 shown]
	v_add_co_u32 v6, vcc_lo, v6, v46
	s_wait_loadcnt 0x13
	v_mad_co_u64_u32 v[14:15], null, v48, 20, v[4:5]
	s_wait_alu 0xfffd
	v_add_co_ci_u32_e64 v7, null, 0, v7, vcc_lo
	v_add_co_u32 v8, vcc_lo, v8, v46
	s_wait_loadcnt 0x12
	v_mad_co_u64_u32 v[16:17], null, v49, 20, v[4:5]
	s_wait_alu 0xfffd
	v_add_co_ci_u32_e64 v9, null, 0, v9, vcc_lo
	v_add_co_u32 v10, vcc_lo, v10, v46
	s_wait_loadcnt 0x11
	v_mad_co_u64_u32 v[18:19], null, v50, 20, v[4:5]
	s_wait_alu 0xfffd
	v_add_co_ci_u32_e64 v11, null, 0, v11, vcc_lo
	v_add_co_u32 v12, vcc_lo, v12, v46
	s_wait_loadcnt 0x10
	v_mad_co_u64_u32 v[20:21], null, v51, 20, v[4:5]
	s_wait_alu 0xfffd
	v_add_co_ci_u32_e64 v13, null, 0, v13, vcc_lo
	v_add_co_u32 v14, vcc_lo, v14, v46
	s_wait_alu 0xfffd
	v_add_co_ci_u32_e64 v15, null, 0, v15, vcc_lo
	v_add_co_u32 v16, vcc_lo, v16, v46
	s_wait_alu 0xfffd
	v_add_co_ci_u32_e64 v17, null, 0, v17, vcc_lo
	v_add_co_u32 v18, vcc_lo, v18, v46
	s_wait_alu 0xfffd
	v_add_co_ci_u32_e64 v19, null, 0, v19, vcc_lo
	v_add_co_u32 v20, vcc_lo, v20, v46
	s_wait_loadcnt 0xf
	v_mad_co_u64_u32 v[22:23], null, v52, 20, v[4:5]
	s_wait_alu 0xfffd
	v_add_co_ci_u32_e64 v21, null, 0, v21, vcc_lo
	s_clause 0x7
	global_load_b32 v28, v[6:7], off offset:4
	global_load_b32 v29, v[8:9], off offset:4
	;; [unrolled: 1-line block ×8, first 2 shown]
	s_wait_loadcnt 0x15
	v_mad_co_u64_u32 v[6:7], null, v54, 20, v[4:5]
	s_wait_loadcnt 0x14
	v_mad_co_u64_u32 v[10:11], null, v55, 20, v[4:5]
	s_wait_loadcnt 0x13
	v_mad_co_u64_u32 v[12:13], null, v56, 20, v[4:5]
	v_add_co_u32 v8, vcc_lo, v22, v46
	s_wait_loadcnt 0x12
	v_mad_co_u64_u32 v[14:15], null, v57, 20, v[4:5]
	s_wait_alu 0xfffd
	v_add_co_ci_u32_e64 v9, null, 0, v23, vcc_lo
	v_add_co_u32 v6, vcc_lo, v6, v46
	s_wait_loadcnt 0x10
	v_mad_co_u64_u32 v[16:17], null, v59, 20, v[4:5]
	s_wait_alu 0xfffd
	v_add_co_ci_u32_e64 v7, null, 0, v7, vcc_lo
	;; [unrolled: 5-line block ×4, first 2 shown]
	v_add_co_u32 v14, vcc_lo, v14, v46
	v_mad_co_u64_u32 v[20:21], null, v42, 20, s[12:13]
	s_wait_alu 0xfffd
	v_add_co_ci_u32_e64 v15, null, 0, v15, vcc_lo
	v_add_co_u32 v16, vcc_lo, v16, v46
	s_wait_alu 0xfffd
	v_add_co_ci_u32_e64 v17, null, 0, v17, vcc_lo
	v_add_co_u32 v18, vcc_lo, v18, v46
	;; [unrolled: 3-line block ×3, first 2 shown]
	s_wait_alu 0xfffd
	v_add_co_ci_u32_e64 v5, null, 0, v5, vcc_lo
	v_mad_co_u64_u32 v[22:23], null, v53, 20, v[20:21]
	v_mad_co_u64_u32 v[24:25], null, v58, 20, v[20:21]
	v_mad_co_u64_u32 v[26:27], null, v60, 20, v[20:21]
	v_mad_co_u64_u32 v[20:21], null, v1, 20, v[20:21]
	s_clause 0xb
	global_load_b32 v8, v[8:9], off offset:4
	global_load_b32 v6, v[6:7], off offset:4
	;; [unrolled: 1-line block ×8, first 2 shown]
	global_load_b32 v5, v[22:23], off
	global_load_b32 v13, v[24:25], off
	;; [unrolled: 1-line block ×4, first 2 shown]
	v_add_nc_u32_e32 v16, 0x420, v47
	v_add_nc_u32_e32 v17, 0x840, v47
	;; [unrolled: 1-line block ×12, first 2 shown]
	s_wait_loadcnt 0x13
	ds_store_b32 v47, v28
	s_wait_loadcnt 0x12
	ds_store_b32 v16, v29
	;; [unrolled: 2-line block ×20, first 2 shown]
	s_cbranch_scc0 .LBB139_6
; %bb.8:                                ;   in Loop: Header=BB139_7 Depth=1
	scratch_load_b32 v0, off, off offset:132 ; 4-byte Folded Reload
	s_mov_b32 s12, -4
	s_wait_loadcnt 0x0
	v_add_nc_u32_e32 v12, s10, v0
	scratch_load_b64 v[0:1], off, off offset:208 ; 8-byte Folded Reload
	s_wait_loadcnt 0x0
	scratch_load_b64 v[1:2], off, off offset:64 ; 8-byte Folded Reload
	v_add_nc_u32_e32 v3, s10, v0
	scratch_load_b32 v0, off, off offset:32 ; 4-byte Folded Reload
	scratch_store_b32 off, v3, off offset:112 ; 4-byte Folded Spill
	v_mad_co_u64_u32 v[20:21], null, v3, 36, s[2:3]
	s_wait_loadcnt 0x0
	v_add_nc_u32_e32 v4, v12, v0
	scratch_load_b32 v0, off, off offset:36 ; 4-byte Folded Reload
	v_mad_co_i64_i32 v[4:5], null, v4, 36, v[1:2]
	s_wait_loadcnt 0x0
	v_add_nc_u32_e32 v6, v12, v0
	scratch_load_b32 v0, off, off offset:40 ; 4-byte Folded Reload
	v_mad_co_i64_i32 v[6:7], null, v6, 36, v[1:2]
	;; [unrolled: 4-line block ×4, first 2 shown]
	s_wait_loadcnt 0x0
	v_add_nc_u32_e32 v13, v12, v0
	scratch_load_b32 v0, off, off offset:48 ; 4-byte Folded Reload
	s_wait_loadcnt 0x0
	v_add_nc_u32_e32 v14, v12, v0
	scratch_load_b32 v0, off, off offset:52 ; 4-byte Folded Reload
	v_mad_co_i64_i32 v[14:15], null, v14, 36, v[1:2]
	s_wait_loadcnt 0x0
	v_add_nc_u32_e32 v16, v12, v0
	scratch_load_b32 v0, off, off offset:56 ; 4-byte Folded Reload
	v_mad_co_i64_i32 v[16:17], null, v16, 36, v[1:2]
	s_wait_loadcnt 0x0
	v_add_nc_u32_e32 v18, v12, v0
	v_mad_co_i64_i32 v[12:13], null, v13, 36, v[1:2]
	s_delay_alu instid0(VALU_DEP_2)
	v_mad_co_i64_i32 v[18:19], null, v18, 36, v[1:2]
	s_clause 0x8
	global_load_b32 v12, v[12:13], off offset:4
	global_load_b32 v4, v[4:5], off offset:4
	;; [unrolled: 1-line block ×8, first 2 shown]
	global_load_b32 v11, v[20:21], off
	s_clause 0x2
	scratch_load_b32 v150, off, off offset:76
	scratch_load_b32 v151, off, off offset:72
	scratch_load_b32 v0, off, off offset:24
	s_wait_loadcnt 0x0
	v_mul_u32_u24_e32 v156, 0x84, v0
	s_clause 0x4
	scratch_load_b32 v152, off, off offset:236
	scratch_load_b32 v153, off, off offset:232
	;; [unrolled: 1-line block ×5, first 2 shown]
	s_wait_loadcnt 0x0
	ds_store_b32 v0, v12
	scratch_load_b32 v0, off, off offset:80 ; 4-byte Folded Reload
	s_wait_loadcnt 0x0
	ds_store_b32 v0, v4
	scratch_load_b32 v0, off, off offset:84 ; 4-byte Folded Reload
	;; [unrolled: 3-line block ×8, first 2 shown]
	s_wait_loadcnt 0x0
	ds_store_b32 v0, v11
	s_wait_storecnt_dscnt 0x0
	s_barrier_signal -1
	s_barrier_wait -1
	global_inv scope:SCOPE_SE
.LBB139_9:                              ;   Parent Loop BB139_7 Depth=1
                                        ; =>  This Inner Loop Header: Depth=2
	ds_load_b32 v13, v152
	ds_load_b32 v12, v153
	;; [unrolled: 1-line block ×4, first 2 shown]
	ds_load_2addr_b32 v[4:5], v151 offset1:32
	ds_load_2addr_b32 v[10:11], v150 offset0:5 offset1:6
	ds_load_2addr_b32 v[16:17], v156 offset1:1
	ds_load_2addr_b32 v[6:7], v156 offset0:2 offset1:3
	ds_load_2addr_b32 v[31:32], v150 offset0:1 offset1:2
	v_add_nc_u32_e32 v240, 0x400, v150
	v_add_nc_u32_e32 v241, 0x1000, v150
	;; [unrolled: 1-line block ×9, first 2 shown]
	s_wait_alu 0xfffe
	s_add_co_i32 s12, s12, 4
	s_wait_alu 0xfffe
	s_cmp_lt_u32 s12, 12
	s_wait_dscnt 0x4
	v_pk_mul_f16 v165, v4, v13
	v_pk_mul_f16 v164, v4, v12
	v_pk_mul_f16 v188, v4, v9
	v_pk_mul_f16 v186, v4, v8
	v_pk_mul_f16 v0, v13, v5
	v_pk_mul_f16 v187, v12, v5
	v_pk_mul_f16 v184, v9, v5
	v_pk_mul_f16 v182, v8, v5
	ds_load_2addr_b32 v[4:5], v151 offset0:64 offset1:96
	scratch_store_b32 off, v0, off          ; 4-byte Folded Spill
	s_wait_dscnt 0x3
	v_bfe_u32 v227, v16, 20, 4
	v_bfe_u32 v189, v16, 16, 4
	s_wait_dscnt 0x1
	v_bfe_i32 v224, v31, 16, 8
	v_bfe_u32 v221, v17, 16, 4
	v_bfe_i32 v215, v10, 16, 8
	v_bfe_u32 v211, v17, 20, 4
	v_lshrrev_b32_e32 v229, 28, v16
	v_bfe_u32 v190, v16, 24, 4
	v_bfe_u32 v226, v17, 24, 4
	v_lshrrev_b32_e32 v217, 28, v17
	v_mul_i32_i24_e32 v14, v215, v211
	v_ashrrev_i32_e32 v225, 24, v31
	v_ashrrev_i32_e32 v216, 24, v10
	v_bfe_u32 v235, v16, 4, 4
	v_and_b32_e32 v191, 15, v16
	v_bfe_i32 v228, v31, 0, 8
	v_and_b32_e32 v223, 15, v17
	v_mul_i32_i24_e32 v15, v216, v217
	s_wait_dscnt 0x0
	v_pk_mul_f16 v0, v13, v4
	v_pk_mul_f16 v185, v12, v4
	;; [unrolled: 1-line block ×5, first 2 shown]
	scratch_store_b32 off, v0, off offset:4 ; 4-byte Folded Spill
	v_pk_mul_f16 v0, v13, v5
	v_pk_mul_f16 v178, v9, v5
	;; [unrolled: 1-line block ×3, first 2 shown]
	ds_load_2addr_b32 v[4:5], v151 offset0:128 offset1:160
	v_bfe_i32 v222, v10, 0, 8
	scratch_store_b32 off, v0, off offset:8 ; 4-byte Folded Spill
	v_bfe_u32 v218, v17, 4, 4
	v_bfe_u32 v206, v6, 24, 4
	v_lshrrev_b32_e32 v195, 28, v6
	v_ashrrev_i32_e32 v204, 24, v32
	v_ashrrev_i32_e32 v193, 24, v11
	v_mul_i32_i24_e32 v21, v222, v218
	v_bfe_i32 v205, v32, 16, 8
	v_bfe_u32 v202, v6, 16, 4
	v_bfe_i32 v194, v11, 16, 8
	v_bfe_u32 v192, v6, 20, 4
	v_bfe_i32 v212, v32, 0, 8
	v_and_b32_e32 v203, 15, v6
	v_bfe_i32 v201, v11, 0, 8
	v_bfe_u32 v196, v6, 4, 4
	v_bfe_i32 v31, v31, 8, 8
	v_bfe_u32 v233, v7, 16, 4
	v_bfe_u32 v238, v7, 24, 4
	s_wait_dscnt 0x0
	v_pk_mul_f16 v0, v13, v4
	v_pk_mul_f16 v179, v12, v4
	;; [unrolled: 1-line block ×5, first 2 shown]
	scratch_store_b32 off, v0, off offset:12 ; 4-byte Folded Spill
	v_pk_mul_f16 v0, v13, v5
	v_pk_mul_f16 v170, v9, v5
	v_pk_mul_f16 v169, v8, v5
	ds_load_2addr_b32 v[4:5], v151 offset0:192 offset1:224
	v_and_b32_e32 v234, 15, v7
	scratch_store_b32 off, v0, off offset:16 ; 4-byte Folded Spill
	v_add_nc_u32_e32 v151, 4, v151
	s_wait_dscnt 0x0
	v_pk_mul_f16 v174, v9, v4
	v_pk_mul_f16 v167, v9, v5
	;; [unrolled: 1-line block ×4, first 2 shown]
	ds_load_2addr_b32 v[8:9], v150 offset0:4 offset1:7
	v_pk_mul_f16 v163, v13, v4
	v_pk_mul_f16 v0, v13, v5
	;; [unrolled: 1-line block ×4, first 2 shown]
	ds_load_2addr_b32 v[12:13], v150 offset1:3
	v_mul_i32_i24_e32 v5, v224, v221
	scratch_store_b32 off, v0, off offset:20 ; 4-byte Folded Spill
	s_wait_dscnt 0x1
	v_bfe_i32 v230, v8, 16, 8
	v_ashrrev_i32_e32 v231, 24, v8
	v_bfe_i32 v39, v8, 0, 8
	v_lshrrev_b16 v8, 8, v8
	v_bfe_i32 v232, v9, 0, 8
	s_wait_dscnt 0x0
	v_bfe_i32 v18, v12, 16, 8
	v_mul_i32_i24_e32 v4, v227, v230
	v_ashrrev_i32_e32 v19, 24, v12
	v_bfe_i32 v20, v12, 0, 8
	v_bfe_i32 v8, v8, 0, 8
	;; [unrolled: 1-line block ×3, first 2 shown]
	v_mad_i32_i24 v4, v189, v18, v4
	v_ashrrev_i32_e32 v237, 24, v13
	v_bfe_i32 v239, v13, 0, 8
	s_delay_alu instid0(VALU_DEP_3) | instskip(SKIP_2) | instid1(VALU_DEP_2)
	v_add3_u32 v4, v4, v5, v14
	v_mul_i32_i24_e32 v5, v229, v231
	v_mul_i32_i24_e32 v14, v225, v226
	v_mad_i32_i24 v5, v190, v19, v5
	s_delay_alu instid0(VALU_DEP_1) | instskip(SKIP_2) | instid1(VALU_DEP_2)
	v_add3_u32 v5, v5, v14, v15
	v_mul_i32_i24_e32 v14, v235, v39
	v_mul_i32_i24_e32 v15, v228, v223
	v_mad_i32_i24 v14, v191, v20, v14
	s_delay_alu instid0(VALU_DEP_1) | instskip(SKIP_2) | instid1(VALU_DEP_1)
	v_add3_u32 v14, v14, v15, v21
	v_mul_i32_i24_e32 v15, v204, v206
	v_mul_i32_i24_e32 v21, v193, v195
	v_add3_u32 v40, v5, v15, v21
	v_mul_i32_i24_e32 v5, v205, v202
	v_mul_i32_i24_e32 v15, v194, v192
	s_delay_alu instid0(VALU_DEP_1) | instskip(SKIP_2) | instid1(VALU_DEP_1)
	v_add3_u32 v42, v4, v5, v15
	v_mul_i32_i24_e32 v4, v212, v203
	v_mul_i32_i24_e32 v5, v201, v196
	v_add3_u32 v41, v14, v4, v5
	v_lshrrev_b16 v4, 8, v12
	v_add_nc_u32_e32 v5, 0x1088, v156
	v_add_nc_u32_e32 v14, 0x2100, v156
	s_delay_alu instid0(VALU_DEP_3)
	v_bfe_i32 v12, v4, 0, 8
	v_add_nc_u32_e32 v4, 0x1080, v156
	ds_load_2addr_b32 v[35:36], v4 offset1:1
	ds_load_2addr_b32 v[4:5], v5 offset1:1
	;; [unrolled: 1-line block ×3, first 2 shown]
	s_wait_dscnt 0x2
	v_and_b32_e32 v208, 15, v35
	v_bfe_u32 v207, v35, 8, 4
	v_bfe_u32 v197, v35, 16, 4
	;; [unrolled: 1-line block ×3, first 2 shown]
	s_wait_dscnt 0x0
	v_and_b32_e32 v209, 15, v33
	v_mul_i32_i24_e32 v14, v20, v208
	v_bfe_u32 v210, v33, 8, 4
	v_mul_i32_i24_e32 v15, v18, v197
	v_mul_i32_i24_e32 v21, v19, v198
	v_bfe_u32 v199, v33, 16, 4
	v_mad_i32_i24 v14, v12, v207, v14
	v_bfe_u32 v200, v33, 24, 4
	v_bfe_u32 v48, v35, 12, 4
	;; [unrolled: 1-line block ×4, first 2 shown]
	v_add3_u32 v43, v14, v15, v21
	v_mul_i32_i24_e32 v14, v20, v209
	v_mul_i32_i24_e32 v15, v18, v199
	v_mul_i32_i24_e32 v21, v19, v200
	v_lshrrev_b32_e32 v250, 28, v35
	v_bfe_u32 v51, v33, 12, 4
	v_mad_i32_i24 v14, v12, v210, v14
	v_bfe_u32 v52, v33, 4, 4
	v_bfe_u32 v253, v33, 20, 4
	v_lshrrev_b32_e32 v254, 28, v33
	v_add_nc_u32_e32 v33, 0x800, v150
	v_add3_u32 v46, v14, v15, v21
	v_add_nc_u32_e32 v14, 0x3180, v156
	v_add_nc_u32_e32 v15, 0x3188, v156
	;; [unrolled: 1-line block ×3, first 2 shown]
	ds_load_2addr_b32 v[44:45], v14 offset1:1
	ds_load_2addr_b32 v[14:15], v15 offset1:1
	;; [unrolled: 1-line block ×3, first 2 shown]
	v_add_nc_u32_e32 v35, 0xc00, v150
	ds_load_2addr_b32 v[24:25], v241 offset0:4 offset1:7
	ds_load_2addr_b32 v[26:27], v242 offset0:4 offset1:7
	;; [unrolled: 1-line block ×3, first 2 shown]
	v_bfe_u32 v71, v36, 8, 4
	v_bfe_u32 v72, v36, 24, 4
	;; [unrolled: 1-line block ×4, first 2 shown]
	s_wait_dscnt 0x5
	v_and_b32_e32 v219, 15, v44
	v_bfe_u32 v213, v44, 16, 4
	v_bfe_u32 v214, v44, 24, 4
	;; [unrolled: 1-line block ×4, first 2 shown]
	v_mul_i32_i24_e32 v20, v20, v219
	v_mul_i32_i24_e32 v18, v18, v213
	;; [unrolled: 1-line block ×3, first 2 shown]
	v_bfe_u32 v55, v44, 4, 4
	v_bfe_u32 v255, v44, 20, 4
	v_mad_i32_i24 v20, v12, v220, v20
	v_lshrrev_b32_e32 v0, 28, v44
	s_wait_dscnt 0x2
	v_bfe_i32 v66, v24, 8, 8
	v_bfe_i32 v85, v24, 0, 8
	;; [unrolled: 1-line block ×3, first 2 shown]
	v_add3_u32 v47, v20, v18, v19
	ds_load_2addr_b32 v[18:19], v240 offset0:4 offset1:7
	v_ashrrev_i32_e32 v89, 24, v24
	s_wait_dscnt 0x2
	v_bfe_i32 v93, v26, 8, 8
	v_bfe_i32 v94, v26, 0, 8
	;; [unrolled: 1-line block ×3, first 2 shown]
	v_ashrrev_i32_e32 v119, 24, v26
	s_wait_dscnt 0x1
	v_bfe_i32 v127, v29, 8, 8
	v_bfe_i32 v129, v29, 0, 8
	;; [unrolled: 1-line block ×3, first 2 shown]
	v_ashrrev_i32_e32 v133, 24, v29
	ds_load_2addr_b32 v[28:29], v244 offset0:4 offset1:7
	v_mul_i32_i24_e32 v24, v236, v233
	v_bfe_i32 v73, v37, 8, 8
	v_ashrrev_i32_e32 v74, 24, v37
	v_bfe_u32 v79, v45, 8, 4
	v_bfe_u32 v80, v45, 24, 4
	s_wait_dscnt 0x1
	v_bfe_i32 v245, v18, 8, 8
	v_bfe_i32 v246, v18, 0, 8
	;; [unrolled: 1-line block ×3, first 2 shown]
	v_ashrrev_i32_e32 v252, 24, v18
	s_delay_alu instid0(VALU_DEP_4) | instskip(NEXT) | instid1(VALU_DEP_3)
	v_mul_i32_i24_e32 v20, v245, v48
	v_mul_i32_i24_e32 v18, v251, v249
	s_delay_alu instid0(VALU_DEP_3) | instskip(NEXT) | instid1(VALU_DEP_3)
	v_mul_i32_i24_e32 v21, v252, v250
	v_mad_i32_i24 v20, v246, v49, v20
	s_wait_dscnt 0x0
	v_bfe_i32 v87, v28, 8, 8
	v_bfe_i32 v112, v28, 0, 8
	;; [unrolled: 1-line block ×3, first 2 shown]
	v_ashrrev_i32_e32 v115, 24, v28
	v_add3_u32 v50, v20, v18, v21
	v_mul_i32_i24_e32 v18, v245, v51
	v_mul_i32_i24_e32 v20, v251, v253
	;; [unrolled: 1-line block ×4, first 2 shown]
	s_delay_alu instid0(VALU_DEP_4) | instskip(NEXT) | instid1(VALU_DEP_1)
	v_mad_i32_i24 v18, v246, v52, v18
	v_add3_u32 v53, v18, v20, v21
	v_mul_i32_i24_e32 v18, v245, v54
	v_mul_i32_i24_e32 v20, v251, v255
	;; [unrolled: 1-line block ×3, first 2 shown]
	s_delay_alu instid0(VALU_DEP_3) | instskip(NEXT) | instid1(VALU_DEP_1)
	v_mad_i32_i24 v18, v246, v55, v18
	v_add3_u32 v44, v18, v20, v21
	ds_load_2addr_b32 v[20:21], v33 offset0:4 offset1:7
	s_wait_dscnt 0x0
	v_bfe_i32 v104, v20, 8, 8
	v_bfe_i32 v106, v20, 0, 8
	;; [unrolled: 1-line block ×3, first 2 shown]
	v_ashrrev_i32_e32 v109, 24, v20
	s_delay_alu instid0(VALU_DEP_4) | instskip(NEXT) | instid1(VALU_DEP_3)
	v_mul_i32_i24_e32 v18, v104, v48
	v_mul_i32_i24_e32 v20, v108, v249
	s_delay_alu instid0(VALU_DEP_3) | instskip(NEXT) | instid1(VALU_DEP_3)
	v_mul_i32_i24_e32 v22, v109, v250
	v_mad_i32_i24 v18, v106, v49, v18
	s_delay_alu instid0(VALU_DEP_1) | instskip(SKIP_3) | instid1(VALU_DEP_3)
	v_add3_u32 v56, v18, v20, v22
	v_mul_i32_i24_e32 v18, v104, v51
	v_mul_i32_i24_e32 v20, v108, v253
	;; [unrolled: 1-line block ×3, first 2 shown]
	v_mad_i32_i24 v18, v106, v52, v18
	s_delay_alu instid0(VALU_DEP_1) | instskip(SKIP_3) | instid1(VALU_DEP_3)
	v_add3_u32 v57, v18, v20, v22
	v_mul_i32_i24_e32 v18, v104, v54
	v_mul_i32_i24_e32 v20, v108, v255
	;; [unrolled: 1-line block ×3, first 2 shown]
	v_mad_i32_i24 v18, v106, v55, v18
	s_delay_alu instid0(VALU_DEP_1)
	v_add3_u32 v58, v18, v20, v22
	ds_load_2addr_b32 v[22:23], v35 offset0:4 offset1:7
	s_wait_dscnt 0x0
	v_bfe_i32 v60, v22, 8, 8
	v_bfe_i32 v101, v22, 0, 8
	v_bfe_i32 v1, v22, 16, 8
	v_ashrrev_i32_e32 v96, 24, v22
	s_delay_alu instid0(VALU_DEP_4) | instskip(NEXT) | instid1(VALU_DEP_3)
	v_mul_i32_i24_e32 v18, v60, v48
	v_mul_i32_i24_e32 v20, v1, v249
	s_delay_alu instid0(VALU_DEP_3) | instskip(NEXT) | instid1(VALU_DEP_3)
	v_mul_i32_i24_e32 v22, v96, v250
	v_mad_i32_i24 v18, v101, v49, v18
	s_delay_alu instid0(VALU_DEP_1) | instskip(SKIP_3) | instid1(VALU_DEP_3)
	v_add3_u32 v97, v18, v20, v22
	v_mul_i32_i24_e32 v18, v60, v51
	v_mul_i32_i24_e32 v20, v1, v253
	;; [unrolled: 1-line block ×3, first 2 shown]
	v_mad_i32_i24 v18, v101, v52, v18
	s_delay_alu instid0(VALU_DEP_1) | instskip(SKIP_4) | instid1(VALU_DEP_4)
	v_add3_u32 v99, v18, v20, v22
	v_mul_i32_i24_e32 v18, v60, v54
	v_mul_i32_i24_e32 v20, v1, v255
	v_mul_i32_i24_e32 v22, v96, v0
	v_mul_i32_i24_e32 v1, v227, v1
	v_mad_i32_i24 v18, v101, v55, v18
	s_delay_alu instid0(VALU_DEP_1) | instskip(SKIP_3) | instid1(VALU_DEP_3)
	v_add3_u32 v100, v18, v20, v22
	v_mul_i32_i24_e32 v18, v66, v48
	v_mul_i32_i24_e32 v20, v88, v249
	v_mul_i32_i24_e32 v22, v89, v250
	v_mad_i32_i24 v18, v85, v49, v18
	s_delay_alu instid0(VALU_DEP_1) | instskip(SKIP_3) | instid1(VALU_DEP_3)
	v_add3_u32 v90, v18, v20, v22
	v_mul_i32_i24_e32 v18, v66, v51
	v_mul_i32_i24_e32 v20, v88, v253
	v_mul_i32_i24_e32 v22, v89, v254
	;; [unrolled: 6-line block ×11, first 2 shown]
	v_mad_i32_i24 v18, v112, v52, v18
	s_delay_alu instid0(VALU_DEP_1) | instskip(SKIP_4) | instid1(VALU_DEP_4)
	v_add3_u32 v61, v18, v20, v22
	v_mul_i32_i24_e32 v18, v87, v54
	v_mul_i32_i24_e32 v20, v113, v255
	;; [unrolled: 1-line block ×4, first 2 shown]
	v_mad_i32_i24 v18, v112, v55, v18
	s_delay_alu instid0(VALU_DEP_1) | instskip(SKIP_4) | instid1(VALU_DEP_4)
	v_add3_u32 v63, v18, v20, v22
	v_and_b32_e32 v18, 0xf0f0f0f, v16
	v_lshrrev_b32_e32 v16, 4, v16
	v_and_b32_e32 v20, 0xf0f0f0f, v17
	v_lshrrev_b32_e32 v17, 4, v17
	v_lshrrev_b16 v18, 8, v18
	s_delay_alu instid0(VALU_DEP_4) | instskip(NEXT) | instid1(VALU_DEP_4)
	v_lshrrev_b16 v16, 8, v16
	v_lshrrev_b16 v20, 8, v20
	s_delay_alu instid0(VALU_DEP_4) | instskip(NEXT) | instid1(VALU_DEP_4)
	v_lshrrev_b16 v17, 8, v17
	v_and_b32_e32 v18, 0xffff, v18
	s_delay_alu instid0(VALU_DEP_4) | instskip(NEXT) | instid1(VALU_DEP_4)
	v_and_b32_e32 v16, 15, v16
	v_and_b32_e32 v64, 0xffff, v20
	s_delay_alu instid0(VALU_DEP_4) | instskip(NEXT) | instid1(VALU_DEP_4)
	v_and_b32_e32 v17, 15, v17
	v_mul_i32_i24_e32 v12, v18, v12
	s_delay_alu instid0(VALU_DEP_4) | instskip(NEXT) | instid1(VALU_DEP_4)
	v_and_b32_e32 v16, 0xffff, v16
	v_mul_i32_i24_e32 v20, v31, v64
	s_delay_alu instid0(VALU_DEP_2)
	v_mul_i32_i24_e32 v22, v16, v8
	v_mul_i32_i24_e32 v60, v16, v60
	;; [unrolled: 1-line block ×5, first 2 shown]
	v_add3_u32 v12, v12, v22, v20
	v_bfe_i32 v22, v9, 16, 8
	v_bfe_u32 v20, v7, 20, 4
	v_mul_i32_i24_e32 v127, v16, v127
	v_mad_i32_i24 v60, v235, v101, v60
	v_mad_i32_i24 v66, v235, v85, v66
	;; [unrolled: 1-line block ×3, first 2 shown]
	v_mul_i32_i24_e32 v26, v22, v20
	v_mad_i32_i24 v104, v235, v106, v104
	v_mad_i32_i24 v93, v235, v129, v127
	v_bfe_u32 v127, v34, 16, 4
	s_delay_alu instid0(VALU_DEP_4) | instskip(SKIP_2) | instid1(VALU_DEP_1)
	v_add3_u32 v247, v42, v24, v26
	v_lshrrev_b32_e32 v26, 28, v7
	v_ashrrev_i32_e32 v24, 24, v9
	v_mul_i32_i24_e32 v42, v24, v26
	s_delay_alu instid0(VALU_DEP_1) | instskip(SKIP_2) | instid1(VALU_DEP_2)
	v_add3_u32 v65, v40, v28, v42
	v_bfe_u32 v28, v7, 4, 4
	v_mul_i32_i24_e32 v40, v239, v234
	v_mul_i32_i24_e32 v42, v232, v28
	s_delay_alu instid0(VALU_DEP_1) | instskip(SKIP_2) | instid1(VALU_DEP_1)
	v_add3_u32 v248, v41, v40, v42
	v_mul_i32_i24_e32 v40, v39, v49
	v_mul_i32_i24_e32 v41, v8, v48
	v_add3_u32 v67, v43, v41, v40
	v_mul_i32_i24_e32 v40, v39, v52
	v_mul_i32_i24_e32 v41, v8, v51
	;; [unrolled: 1-line block ×4, first 2 shown]
	v_add_nc_u32_e32 v43, 0x1404, v150
	v_add_nc_u32_e32 v54, 0x1c04, v150
	v_add3_u32 v68, v46, v41, v40
	v_mul_i32_i24_e32 v40, v74, v72
	v_add3_u32 v8, v47, v8, v39
	v_mul_i32_i24_e32 v39, v73, v71
	v_add_nc_u32_e32 v41, 0xc04, v150
	s_delay_alu instid0(VALU_DEP_2) | instskip(SKIP_2) | instid1(VALU_DEP_1)
	v_add3_u32 v75, v50, v40, v39
	v_mul_i32_i24_e32 v39, v73, v76
	v_mul_i32_i24_e32 v40, v74, v77
	v_add3_u32 v78, v53, v40, v39
	v_mul_i32_i24_e32 v39, v73, v79
	v_mul_i32_i24_e32 v40, v74, v80
	s_delay_alu instid0(VALU_DEP_1)
	v_add3_u32 v81, v44, v40, v39
	v_add_nc_u32_e32 v39, 0x804, v150
	v_add_nc_u32_e32 v40, 0x814, v150
	ds_load_2addr_b32 v[48:49], v39 offset1:1
	ds_load_2addr_b32 v[39:40], v40 offset1:1
	;; [unrolled: 1-line block ×3, first 2 shown]
	s_wait_dscnt 0x2
	v_bfe_i32 v82, v48, 8, 8
	v_ashrrev_i32_e32 v83, 24, v48
	s_wait_dscnt 0x0
	v_bfe_i32 v2, v46, 8, 8
	v_ashrrev_i32_e32 v3, 24, v46
	v_mul_i32_i24_e32 v41, v82, v71
	v_mul_i32_i24_e32 v42, v83, v72
	s_delay_alu instid0(VALU_DEP_1) | instskip(SKIP_2) | instid1(VALU_DEP_1)
	v_add3_u32 v84, v56, v42, v41
	v_mul_i32_i24_e32 v41, v82, v76
	v_mul_i32_i24_e32 v42, v83, v77
	v_add3_u32 v149, v57, v42, v41
	v_mul_i32_i24_e32 v41, v82, v79
	v_mul_i32_i24_e32 v42, v83, v80
	s_delay_alu instid0(VALU_DEP_1) | instskip(SKIP_2) | instid1(VALU_DEP_1)
	v_add3_u32 v58, v58, v42, v41
	v_mul_i32_i24_e32 v41, v2, v71
	v_mul_i32_i24_e32 v42, v3, v72
	v_add3_u32 v97, v97, v42, v41
	v_mul_i32_i24_e32 v41, v2, v76
	v_mul_i32_i24_e32 v42, v3, v77
	s_delay_alu instid0(VALU_DEP_1) | instskip(SKIP_4) | instid1(VALU_DEP_3)
	v_add3_u32 v99, v99, v42, v41
	v_mul_i32_i24_e32 v41, v2, v79
	v_mul_i32_i24_e32 v42, v3, v80
	;; [unrolled: 1-line block ×4, first 2 shown]
	v_add3_u32 v100, v100, v42, v41
	v_add_nc_u32_e32 v41, 0x1004, v150
	v_add_nc_u32_e32 v42, 0x1014, v150
	ds_load_2addr_b32 v[52:53], v41 offset1:1
	ds_load_2addr_b32 v[41:42], v42 offset1:1
	;; [unrolled: 1-line block ×3, first 2 shown]
	s_wait_dscnt 0x2
	v_bfe_i32 v69, v52, 8, 8
	v_ashrrev_i32_e32 v70, 24, v52
	s_wait_dscnt 0x0
	v_bfe_i32 v62, v50, 8, 8
	v_ashrrev_i32_e32 v157, 24, v50
	v_mul_i32_i24_e32 v43, v69, v71
	v_mul_i32_i24_e32 v44, v70, v72
	s_delay_alu instid0(VALU_DEP_1) | instskip(SKIP_2) | instid1(VALU_DEP_1)
	v_add3_u32 v90, v90, v44, v43
	v_mul_i32_i24_e32 v43, v69, v76
	v_mul_i32_i24_e32 v44, v70, v77
	v_add3_u32 v91, v91, v44, v43
	v_mul_i32_i24_e32 v43, v69, v79
	v_mul_i32_i24_e32 v44, v70, v80
	s_delay_alu instid0(VALU_DEP_1) | instskip(SKIP_2) | instid1(VALU_DEP_1)
	v_add3_u32 v92, v92, v44, v43
	v_mul_i32_i24_e32 v43, v62, v71
	v_mul_i32_i24_e32 v44, v157, v72
	v_add3_u32 v121, v121, v44, v43
	;; [unrolled: 7-line block ×3, first 2 shown]
	v_add_nc_u32_e32 v43, 0x1804, v150
	v_add_nc_u32_e32 v44, 0x1814, v150
	ds_load_2addr_b32 v[56:57], v43 offset1:1
	ds_load_2addr_b32 v[43:44], v44 offset1:1
	;; [unrolled: 1-line block ×3, first 2 shown]
	s_wait_dscnt 0x2
	v_bfe_i32 v158, v56, 8, 8
	v_ashrrev_i32_e32 v159, 24, v56
	s_wait_dscnt 0x0
	v_bfe_i32 v94, v54, 8, 8
	v_ashrrev_i32_e32 v101, 24, v54
	v_mul_i32_i24_e32 v160, v158, v71
	v_mul_i32_i24_e32 v162, v159, v72
	s_delay_alu instid0(VALU_DEP_4) | instskip(NEXT) | instid1(VALU_DEP_2)
	v_mul_i32_i24_e32 v106, v94, v71
	v_add3_u32 v103, v103, v162, v160
	v_mul_i32_i24_e32 v160, v158, v76
	v_mul_i32_i24_e32 v162, v159, v77
	s_delay_alu instid0(VALU_DEP_1) | instskip(SKIP_2) | instid1(VALU_DEP_1)
	v_add3_u32 v59, v59, v162, v160
	v_mul_i32_i24_e32 v160, v158, v79
	v_mul_i32_i24_e32 v162, v159, v80
	v_add3_u32 v86, v86, v162, v160
	v_mul_i32_i24_e32 v160, v16, v245
	v_mul_i32_i24_e32 v16, v16, v87
	v_bfe_i32 v245, v32, 8, 8
	v_and_b32_e32 v32, 0xf0f0f0f, v6
	v_lshrrev_b32_e32 v6, 4, v6
	v_mad_i32_i24 v87, v235, v246, v160
	v_mad_i32_i24 v16, v235, v112, v16
	v_mul_i32_i24_e32 v112, v101, v72
	v_lshrrev_b16 v32, 8, v32
	v_and_b32_e32 v246, 0xffff, v17
	v_bfe_u32 v160, v45, 16, 4
	v_lshrrev_b16 v6, 8, v6
	v_add3_u32 v106, v117, v112, v106
	v_mul_i32_i24_e32 v112, v94, v76
	v_mul_i32_i24_e32 v117, v101, v77
	v_and_b32_e32 v235, 0xffff, v32
	v_mul_i32_i24_e32 v32, v231, v254
	v_and_b32_e32 v6, 15, v6
	s_delay_alu instid0(VALU_DEP_4) | instskip(SKIP_2) | instid1(VALU_DEP_1)
	v_add3_u32 v61, v61, v117, v112
	v_mul_i32_i24_e32 v112, v94, v79
	v_mul_i32_i24_e32 v117, v101, v80
	v_add3_u32 v63, v63, v117, v112
	v_bfe_i32 v112, v10, 8, 8
	v_mul_i32_i24_e32 v10, v245, v235
	v_bfe_i32 v117, v37, 16, 8
	s_delay_alu instid0(VALU_DEP_3) | instskip(NEXT) | instid1(VALU_DEP_2)
	v_mul_i32_i24_e32 v17, v112, v246
	v_mul_i32_i24_e32 v129, v117, v127
	;; [unrolled: 1-line block ×3, first 2 shown]
	s_delay_alu instid0(VALU_DEP_3) | instskip(SKIP_2) | instid1(VALU_DEP_1)
	v_add3_u32 v10, v12, v17, v10
	v_mul_i32_i24_e32 v12, v230, v249
	v_mul_i32_i24_e32 v17, v231, v250
	v_add3_u32 v12, v67, v12, v17
	v_mul_i32_i24_e32 v17, v230, v253
	v_and_b32_e32 v67, 15, v36
	s_delay_alu instid0(VALU_DEP_2) | instskip(SKIP_2) | instid1(VALU_DEP_2)
	v_add3_u32 v17, v68, v17, v32
	v_mul_i32_i24_e32 v32, v230, v255
	v_bfe_u32 v68, v36, 16, 4
	v_add3_u32 v0, v8, v32, v0
	v_mul_i32_i24_e32 v8, v227, v251
	v_mul_i32_i24_e32 v32, v229, v252
	s_delay_alu instid0(VALU_DEP_1) | instskip(SKIP_2) | instid1(VALU_DEP_2)
	v_add3_u32 v32, v87, v8, v32
	v_bfe_i32 v87, v37, 0, 8
	v_mul_i32_i24_e32 v37, v117, v68
	v_mul_i32_i24_e32 v8, v87, v67
	s_delay_alu instid0(VALU_DEP_1) | instskip(SKIP_1) | instid1(VALU_DEP_1)
	v_add3_u32 v37, v75, v8, v37
	v_and_b32_e32 v75, 15, v34
	v_mul_i32_i24_e32 v8, v87, v75
	s_delay_alu instid0(VALU_DEP_1) | instskip(SKIP_1) | instid1(VALU_DEP_1)
	v_add3_u32 v78, v78, v8, v129
	v_and_b32_e32 v129, 15, v45
	v_mul_i32_i24_e32 v8, v87, v129
	s_delay_alu instid0(VALU_DEP_1) | instskip(SKIP_4) | instid1(VALU_DEP_3)
	v_add3_u32 v81, v81, v8, v162
	v_mul_i32_i24_e32 v8, v227, v108
	v_mul_i32_i24_e32 v108, v229, v109
	v_bfe_i32 v109, v48, 16, 8
	v_bfe_u32 v162, v45, 4, 4
	v_add3_u32 v104, v104, v8, v108
	v_bfe_i32 v108, v48, 0, 8
	s_delay_alu instid0(VALU_DEP_4) | instskip(NEXT) | instid1(VALU_DEP_2)
	v_mul_i32_i24_e32 v48, v109, v68
	v_mul_i32_i24_e32 v8, v108, v67
	s_delay_alu instid0(VALU_DEP_1) | instskip(SKIP_2) | instid1(VALU_DEP_1)
	v_add3_u32 v84, v84, v8, v48
	v_mul_i32_i24_e32 v8, v108, v75
	v_mul_i32_i24_e32 v48, v109, v127
	v_add3_u32 v149, v149, v8, v48
	v_mul_i32_i24_e32 v8, v108, v129
	v_mul_i32_i24_e32 v48, v109, v160
	s_delay_alu instid0(VALU_DEP_1) | instskip(SKIP_2) | instid1(VALU_DEP_2)
	v_add3_u32 v58, v58, v8, v48
	v_mul_i32_i24_e32 v8, v229, v96
	v_bfe_i32 v96, v46, 16, 8
	v_add3_u32 v1, v60, v1, v8
	v_bfe_i32 v60, v46, 0, 8
	s_delay_alu instid0(VALU_DEP_3) | instskip(SKIP_1) | instid1(VALU_DEP_4)
	v_mul_i32_i24_e32 v46, v96, v68
	v_mul_i32_i24_e32 v48, v96, v127
	v_add3_u32 v1, v1, v3, v2
	s_delay_alu instid0(VALU_DEP_4) | instskip(SKIP_1) | instid1(VALU_DEP_2)
	v_mul_i32_i24_e32 v8, v60, v67
	v_add_nc_u32_e32 v2, 0xc14, v150
	v_add3_u32 v46, v97, v8, v46
	v_mul_i32_i24_e32 v8, v60, v75
	s_delay_alu instid0(VALU_DEP_1) | instskip(SKIP_2) | instid1(VALU_DEP_1)
	v_add3_u32 v97, v99, v8, v48
	v_mul_i32_i24_e32 v8, v60, v129
	v_mul_i32_i24_e32 v48, v96, v160
	v_add3_u32 v99, v100, v8, v48
	v_mul_i32_i24_e32 v8, v227, v88
	v_mul_i32_i24_e32 v48, v229, v89
	v_bfe_i32 v88, v52, 0, 8
	v_bfe_i32 v89, v52, 16, 8
	;; [unrolled: 1-line block ×3, first 2 shown]
	v_and_b32_e32 v52, 0xffff, v6
	v_add3_u32 v66, v66, v8, v48
	v_mul_i32_i24_e32 v8, v88, v67
	v_mul_i32_i24_e32 v48, v89, v68
	s_delay_alu instid0(VALU_DEP_1) | instskip(SKIP_2) | instid1(VALU_DEP_1)
	v_add3_u32 v90, v90, v8, v48
	v_mul_i32_i24_e32 v8, v88, v75
	v_mul_i32_i24_e32 v48, v89, v127
	v_add3_u32 v91, v91, v8, v48
	v_mul_i32_i24_e32 v8, v88, v129
	v_mul_i32_i24_e32 v48, v89, v160
	s_delay_alu instid0(VALU_DEP_1) | instskip(SKIP_4) | instid1(VALU_DEP_3)
	v_add3_u32 v92, v92, v8, v48
	v_mul_i32_i24_e32 v8, v227, v95
	v_mul_i32_i24_e32 v48, v229, v119
	v_bfe_i32 v95, v50, 0, 8
	v_bfe_i32 v50, v13, 8, 8
	v_add3_u32 v85, v85, v8, v48
	s_delay_alu instid0(VALU_DEP_3) | instskip(SKIP_1) | instid1(VALU_DEP_1)
	v_mul_i32_i24_e32 v8, v95, v67
	v_mul_i32_i24_e32 v48, v100, v68
	v_add3_u32 v119, v121, v8, v48
	v_mul_i32_i24_e32 v8, v95, v75
	v_mul_i32_i24_e32 v48, v100, v127
	s_delay_alu instid0(VALU_DEP_1) | instskip(SKIP_2) | instid1(VALU_DEP_1)
	v_add3_u32 v121, v123, v8, v48
	v_mul_i32_i24_e32 v8, v95, v129
	v_mul_i32_i24_e32 v48, v100, v160
	v_add3_u32 v123, v125, v8, v48
	v_mul_i32_i24_e32 v8, v227, v131
	v_mul_i32_i24_e32 v48, v229, v133
	v_bfe_i32 v125, v56, 0, 8
	v_bfe_i32 v56, v56, 16, 8
	v_bfe_u32 v131, v34, 4, 4
	v_lshrrev_b32_e32 v133, 28, v34
	v_add3_u32 v93, v93, v8, v48
	v_mul_i32_i24_e32 v8, v125, v67
	v_mul_i32_i24_e32 v48, v56, v68
	s_delay_alu instid0(VALU_DEP_1) | instskip(SKIP_2) | instid1(VALU_DEP_1)
	v_add3_u32 v103, v103, v8, v48
	v_mul_i32_i24_e32 v8, v125, v75
	v_mul_i32_i24_e32 v48, v56, v127
	v_add3_u32 v59, v59, v8, v48
	v_mul_i32_i24_e32 v8, v125, v129
	v_mul_i32_i24_e32 v48, v56, v160
	;; [unrolled: 1-line block ×3, first 2 shown]
	s_delay_alu instid0(VALU_DEP_2)
	v_add3_u32 v86, v86, v8, v48
	v_mul_i32_i24_e32 v8, v227, v113
	v_mul_i32_i24_e32 v48, v229, v115
	v_bfe_i32 v115, v54, 0, 8
	v_bfe_i32 v54, v54, 16, 8
	v_lshrrev_b32_e32 v227, 28, v45
	s_delay_alu instid0(VALU_DEP_4) | instskip(NEXT) | instid1(VALU_DEP_4)
	v_add3_u32 v113, v16, v8, v48
	v_mul_i32_i24_e32 v8, v115, v67
	s_delay_alu instid0(VALU_DEP_4) | instskip(NEXT) | instid1(VALU_DEP_1)
	v_mul_i32_i24_e32 v16, v54, v68
	v_add3_u32 v106, v106, v8, v16
	v_mul_i32_i24_e32 v8, v115, v75
	v_mul_i32_i24_e32 v16, v54, v127
	s_delay_alu instid0(VALU_DEP_1) | instskip(SKIP_3) | instid1(VALU_DEP_2)
	v_add3_u32 v61, v61, v8, v16
	v_mul_i32_i24_e32 v8, v115, v129
	v_mul_i32_i24_e32 v16, v54, v160
	;; [unrolled: 1-line block ×3, first 2 shown]
	v_add3_u32 v63, v63, v8, v16
	v_bfe_i32 v8, v11, 8, 8
	v_and_b32_e32 v11, 0xf0f0f0f, v7
	v_lshrrev_b32_e32 v7, 4, v7
	s_delay_alu instid0(VALU_DEP_2) | instskip(NEXT) | instid1(VALU_DEP_2)
	v_lshrrev_b16 v11, 8, v11
	v_lshrrev_b16 v7, 8, v7
	s_delay_alu instid0(VALU_DEP_2) | instskip(SKIP_1) | instid1(VALU_DEP_3)
	v_and_b32_e32 v48, 0xffff, v11
	v_mul_i32_i24_e32 v11, v8, v52
	v_and_b32_e32 v7, 15, v7
	s_delay_alu instid0(VALU_DEP_3) | instskip(NEXT) | instid1(VALU_DEP_1)
	v_mul_i32_i24_e32 v6, v50, v48
	v_add3_u32 v6, v10, v11, v6
	v_mul_i32_i24_e32 v10, v228, v67
	v_mul_i32_i24_e32 v11, v31, v71
	s_delay_alu instid0(VALU_DEP_1) | instskip(SKIP_3) | instid1(VALU_DEP_2)
	v_add3_u32 v67, v12, v11, v10
	v_mul_i32_i24_e32 v10, v228, v75
	v_mul_i32_i24_e32 v11, v31, v76
	v_lshrrev_b32_e32 v75, 28, v36
	v_add3_u32 v71, v17, v11, v10
	v_mul_i32_i24_e32 v10, v228, v129
	v_mul_i32_i24_e32 v11, v31, v79
	s_delay_alu instid0(VALU_DEP_1) | instskip(SKIP_3) | instid1(VALU_DEP_2)
	v_add3_u32 v0, v0, v11, v10
	v_mul_i32_i24_e32 v10, v74, v226
	v_mul_i32_i24_e32 v11, v73, v64
	v_bfe_u32 v74, v36, 4, 4
	v_add3_u32 v73, v32, v10, v11
	v_add_nc_u32_e32 v10, 0x414, v150
	ds_load_2addr_b32 v[10:11], v10 offset1:1
	s_wait_dscnt 0x0
	v_bfe_i32 v76, v10, 0, 8
	v_ashrrev_i32_e32 v79, 24, v10
	s_delay_alu instid0(VALU_DEP_2) | instskip(NEXT) | instid1(VALU_DEP_2)
	v_mul_i32_i24_e32 v12, v76, v74
	v_mul_i32_i24_e32 v13, v79, v75
	s_delay_alu instid0(VALU_DEP_1) | instskip(SKIP_2) | instid1(VALU_DEP_1)
	v_add3_u32 v129, v37, v13, v12
	v_mul_i32_i24_e32 v12, v76, v131
	v_mul_i32_i24_e32 v13, v79, v133
	v_add3_u32 v78, v78, v13, v12
	v_mul_i32_i24_e32 v12, v76, v162
	v_mul_i32_i24_e32 v13, v79, v227
	s_delay_alu instid0(VALU_DEP_1) | instskip(SKIP_3) | instid1(VALU_DEP_2)
	v_add3_u32 v81, v81, v13, v12
	v_mul_i32_i24_e32 v12, v83, v226
	v_mul_i32_i24_e32 v13, v82, v64
	v_bfe_i32 v83, v39, 0, 8
	v_add3_u32 v82, v104, v12, v13
	v_ashrrev_i32_e32 v104, 24, v39
	s_delay_alu instid0(VALU_DEP_3) | instskip(NEXT) | instid1(VALU_DEP_2)
	v_mul_i32_i24_e32 v12, v83, v74
	v_mul_i32_i24_e32 v13, v104, v75
	s_delay_alu instid0(VALU_DEP_1) | instskip(SKIP_2) | instid1(VALU_DEP_1)
	v_add3_u32 v84, v84, v13, v12
	v_mul_i32_i24_e32 v12, v83, v131
	v_mul_i32_i24_e32 v13, v104, v133
	v_add3_u32 v149, v149, v13, v12
	v_mul_i32_i24_e32 v12, v83, v162
	v_mul_i32_i24_e32 v13, v104, v227
	;; [unrolled: 1-line block ×4, first 2 shown]
	s_delay_alu instid0(VALU_DEP_3) | instskip(SKIP_4) | instid1(VALU_DEP_2)
	v_add3_u32 v58, v58, v13, v12
	ds_load_2addr_b32 v[12:13], v2 offset1:1
	s_wait_dscnt 0x0
	v_bfe_i32 v2, v12, 0, 8
	v_ashrrev_i32_e32 v3, 24, v12
	v_mul_i32_i24_e32 v16, v2, v74
	s_delay_alu instid0(VALU_DEP_2) | instskip(NEXT) | instid1(VALU_DEP_1)
	v_mul_i32_i24_e32 v17, v3, v75
	v_add3_u32 v228, v46, v17, v16
	v_mul_i32_i24_e32 v16, v2, v131
	v_mul_i32_i24_e32 v17, v3, v133
	s_delay_alu instid0(VALU_DEP_1) | instskip(SKIP_4) | instid1(VALU_DEP_3)
	v_add3_u32 v97, v97, v17, v16
	v_mul_i32_i24_e32 v16, v2, v162
	v_mul_i32_i24_e32 v17, v3, v227
	;; [unrolled: 1-line block ×4, first 2 shown]
	v_add3_u32 v99, v99, v17, v16
	v_mul_i32_i24_e32 v16, v70, v226
	v_mul_i32_i24_e32 v17, v69, v64
	v_bfe_i32 v69, v41, 0, 8
	v_ashrrev_i32_e32 v70, 24, v41
	s_delay_alu instid0(VALU_DEP_3) | instskip(NEXT) | instid1(VALU_DEP_3)
	v_add3_u32 v66, v66, v16, v17
	v_mul_i32_i24_e32 v16, v69, v74
	s_delay_alu instid0(VALU_DEP_3) | instskip(NEXT) | instid1(VALU_DEP_1)
	v_mul_i32_i24_e32 v17, v70, v75
	v_add3_u32 v90, v90, v17, v16
	v_mul_i32_i24_e32 v16, v69, v131
	v_mul_i32_i24_e32 v17, v70, v133
	s_delay_alu instid0(VALU_DEP_1) | instskip(SKIP_4) | instid1(VALU_DEP_3)
	v_add3_u32 v91, v91, v17, v16
	v_mul_i32_i24_e32 v16, v69, v162
	v_mul_i32_i24_e32 v17, v70, v227
	;; [unrolled: 1-line block ×4, first 2 shown]
	v_add3_u32 v92, v92, v17, v16
	v_mul_i32_i24_e32 v16, v157, v226
	v_mul_i32_i24_e32 v17, v62, v64
	s_delay_alu instid0(VALU_DEP_1)
	v_add3_u32 v62, v85, v16, v17
	v_add_nc_u32_e32 v16, 0x1414, v150
	ds_load_2addr_b32 v[16:17], v16 offset1:1
	s_wait_dscnt 0x0
	v_bfe_i32 v85, v16, 0, 8
	v_ashrrev_i32_e32 v157, 24, v16
	s_delay_alu instid0(VALU_DEP_2) | instskip(NEXT) | instid1(VALU_DEP_2)
	v_mul_i32_i24_e32 v31, v85, v74
	v_mul_i32_i24_e32 v32, v157, v75
	s_delay_alu instid0(VALU_DEP_1) | instskip(SKIP_2) | instid1(VALU_DEP_1)
	v_add3_u32 v119, v119, v32, v31
	v_mul_i32_i24_e32 v31, v85, v131
	v_mul_i32_i24_e32 v32, v157, v133
	v_add3_u32 v121, v121, v32, v31
	v_mul_i32_i24_e32 v31, v85, v162
	v_mul_i32_i24_e32 v32, v157, v227
	;; [unrolled: 1-line block ×3, first 2 shown]
	s_delay_alu instid0(VALU_DEP_2) | instskip(SKIP_4) | instid1(VALU_DEP_3)
	v_add3_u32 v123, v123, v32, v31
	v_mul_i32_i24_e32 v31, v159, v226
	v_mul_i32_i24_e32 v32, v158, v64
	v_bfe_i32 v158, v43, 0, 8
	v_ashrrev_i32_e32 v159, 24, v43
	v_add3_u32 v93, v93, v31, v32
	s_delay_alu instid0(VALU_DEP_3) | instskip(NEXT) | instid1(VALU_DEP_3)
	v_mul_i32_i24_e32 v31, v158, v74
	v_mul_i32_i24_e32 v32, v159, v75
	s_delay_alu instid0(VALU_DEP_1) | instskip(SKIP_2) | instid1(VALU_DEP_1)
	v_add3_u32 v103, v103, v32, v31
	v_mul_i32_i24_e32 v31, v158, v131
	v_mul_i32_i24_e32 v32, v159, v133
	v_add3_u32 v59, v59, v32, v31
	v_mul_i32_i24_e32 v31, v158, v162
	v_mul_i32_i24_e32 v32, v159, v227
	s_delay_alu instid0(VALU_DEP_1) | instskip(SKIP_2) | instid1(VALU_DEP_1)
	v_add3_u32 v86, v86, v32, v31
	v_mul_i32_i24_e32 v31, v101, v226
	v_mul_i32_i24_e32 v32, v94, v64
	v_add3_u32 v64, v113, v31, v32
	v_add_nc_u32_e32 v31, 0x1c14, v150
	v_add_nc_u32_e32 v150, 32, v150
	ds_load_2addr_b32 v[31:32], v31 offset1:1
	s_wait_dscnt 0x0
	v_bfe_i32 v94, v31, 0, 8
	v_ashrrev_i32_e32 v101, 24, v31
	s_delay_alu instid0(VALU_DEP_2) | instskip(NEXT) | instid1(VALU_DEP_2)
	v_mul_i32_i24_e32 v37, v94, v74
	v_mul_i32_i24_e32 v46, v101, v75
	;; [unrolled: 1-line block ×3, first 2 shown]
	s_delay_alu instid0(VALU_DEP_2) | instskip(SKIP_2) | instid1(VALU_DEP_1)
	v_add3_u32 v106, v106, v46, v37
	v_mul_i32_i24_e32 v37, v94, v131
	v_mul_i32_i24_e32 v46, v101, v133
	v_add3_u32 v61, v61, v46, v37
	v_mul_i32_i24_e32 v37, v94, v162
	v_mul_i32_i24_e32 v46, v101, v227
	;; [unrolled: 1-line block ×4, first 2 shown]
	s_delay_alu instid0(VALU_DEP_3) | instskip(SKIP_3) | instid1(VALU_DEP_2)
	v_add3_u32 v63, v63, v46, v37
	v_bfe_i32 v46, v9, 8, 8
	v_and_b32_e32 v37, 0xffff, v7
	v_mul_i32_i24_e32 v9, v225, v72
	v_mul_i32_i24_e32 v7, v46, v37
	s_delay_alu instid0(VALU_DEP_1) | instskip(SKIP_4) | instid1(VALU_DEP_4)
	v_add3_u32 v6, v6, v7, v65
	v_mul_i32_i24_e32 v7, v224, v68
	v_mul_i32_i24_e32 v65, v225, v77
	v_bfe_i32 v68, v10, 8, 8
	v_bfe_i32 v10, v10, 16, 8
	v_add3_u32 v7, v67, v7, v9
	v_mul_i32_i24_e32 v9, v224, v127
	v_mul_i32_i24_e32 v67, v225, v80
	s_delay_alu instid0(VALU_DEP_2) | instskip(SKIP_1) | instid1(VALU_DEP_1)
	v_add3_u32 v9, v71, v9, v65
	v_mul_i32_i24_e32 v65, v224, v160
	v_add3_u32 v0, v0, v65, v67
	v_mul_i32_i24_e32 v65, v87, v223
	v_mul_i32_i24_e32 v67, v117, v221
	s_delay_alu instid0(VALU_DEP_1) | instskip(SKIP_2) | instid1(VALU_DEP_2)
	v_add3_u32 v65, v73, v65, v67
	v_bfe_u32 v67, v36, 20, 4
	v_bfe_u32 v36, v36, 12, 4
	v_mul_i32_i24_e32 v72, v10, v67
	s_delay_alu instid0(VALU_DEP_2) | instskip(NEXT) | instid1(VALU_DEP_1)
	v_mul_i32_i24_e32 v71, v68, v36
	v_add3_u32 v71, v129, v71, v72
	v_bfe_u32 v72, v34, 12, 4
	v_bfe_u32 v34, v34, 20, 4
	s_delay_alu instid0(VALU_DEP_2) | instskip(NEXT) | instid1(VALU_DEP_2)
	v_mul_i32_i24_e32 v73, v68, v72
	v_mul_i32_i24_e32 v77, v10, v34
	s_delay_alu instid0(VALU_DEP_1) | instskip(SKIP_2) | instid1(VALU_DEP_2)
	v_add3_u32 v73, v78, v73, v77
	v_bfe_u32 v77, v45, 12, 4
	v_bfe_u32 v45, v45, 20, 4
	v_mul_i32_i24_e32 v78, v68, v77
	s_delay_alu instid0(VALU_DEP_2) | instskip(SKIP_1) | instid1(VALU_DEP_2)
	v_mul_i32_i24_e32 v80, v10, v45
	v_mul_i32_i24_e32 v10, v10, v211
	v_add3_u32 v78, v81, v78, v80
	v_mul_i32_i24_e32 v80, v108, v223
	v_mul_i32_i24_e32 v81, v109, v221
	s_delay_alu instid0(VALU_DEP_1) | instskip(SKIP_2) | instid1(VALU_DEP_3)
	v_add3_u32 v80, v82, v80, v81
	v_bfe_i32 v81, v39, 8, 8
	v_bfe_i32 v82, v39, 16, 8
	v_add3_u32 v80, v80, v104, v83
	s_delay_alu instid0(VALU_DEP_3) | instskip(NEXT) | instid1(VALU_DEP_3)
	v_mul_i32_i24_e32 v39, v81, v36
	v_mul_i32_i24_e32 v87, v82, v67
	;; [unrolled: 1-line block ×3, first 2 shown]
	v_bfe_i32 v83, v49, 8, 8
	v_ashrrev_i32_e32 v104, 24, v49
	s_delay_alu instid0(VALU_DEP_4) | instskip(SKIP_3) | instid1(VALU_DEP_2)
	v_add3_u32 v84, v84, v39, v87
	v_mul_i32_i24_e32 v39, v81, v72
	v_mul_i32_i24_e32 v87, v82, v34
	;; [unrolled: 1-line block ×3, first 2 shown]
	v_add3_u32 v87, v149, v39, v87
	v_mul_i32_i24_e32 v39, v81, v77
	v_mul_i32_i24_e32 v81, v81, v246
	s_delay_alu instid0(VALU_DEP_2) | instskip(SKIP_2) | instid1(VALU_DEP_4)
	v_add3_u32 v58, v58, v39, v108
	v_mul_i32_i24_e32 v39, v60, v223
	v_mul_i32_i24_e32 v60, v96, v221
	v_add3_u32 v80, v80, v81, v82
	v_bfe_i32 v81, v49, 0, 8
	v_bfe_i32 v49, v49, 16, 8
	s_delay_alu instid0(VALU_DEP_4) | instskip(SKIP_2) | instid1(VALU_DEP_3)
	v_add3_u32 v1, v1, v39, v60
	v_bfe_i32 v60, v12, 8, 8
	v_bfe_i32 v12, v12, 16, 8
	v_add3_u32 v1, v1, v3, v2
	s_delay_alu instid0(VALU_DEP_3) | instskip(NEXT) | instid1(VALU_DEP_3)
	v_mul_i32_i24_e32 v39, v60, v36
	v_mul_i32_i24_e32 v96, v12, v67
	;; [unrolled: 1-line block ×3, first 2 shown]
	v_bfe_i32 v2, v47, 8, 8
	v_ashrrev_i32_e32 v3, 24, v47
	s_delay_alu instid0(VALU_DEP_4) | instskip(SKIP_1) | instid1(VALU_DEP_1)
	v_add3_u32 v96, v228, v39, v96
	v_mul_i32_i24_e32 v39, v60, v72
	v_add3_u32 v97, v97, v39, v108
	v_mul_i32_i24_e32 v39, v60, v77
	v_mul_i32_i24_e32 v108, v12, v45
	;; [unrolled: 1-line block ×4, first 2 shown]
	s_delay_alu instid0(VALU_DEP_3) | instskip(SKIP_2) | instid1(VALU_DEP_4)
	v_add3_u32 v99, v99, v39, v108
	v_mul_i32_i24_e32 v39, v88, v223
	v_mul_i32_i24_e32 v88, v89, v221
	v_add3_u32 v1, v1, v60, v12
	v_bfe_i32 v12, v47, 0, 8
	v_bfe_i32 v47, v47, 16, 8
	s_delay_alu instid0(VALU_DEP_4) | instskip(SKIP_2) | instid1(VALU_DEP_3)
	v_add3_u32 v66, v66, v39, v88
	v_bfe_i32 v88, v41, 8, 8
	v_bfe_i32 v41, v41, 16, 8
	v_add3_u32 v66, v66, v70, v69
	s_delay_alu instid0(VALU_DEP_3) | instskip(NEXT) | instid1(VALU_DEP_3)
	v_mul_i32_i24_e32 v39, v88, v36
	v_mul_i32_i24_e32 v89, v41, v67
	v_bfe_i32 v69, v53, 8, 8
	v_ashrrev_i32_e32 v70, 24, v53
	s_delay_alu instid0(VALU_DEP_3) | instskip(SKIP_2) | instid1(VALU_DEP_1)
	v_add3_u32 v89, v90, v39, v89
	v_mul_i32_i24_e32 v39, v88, v72
	v_mul_i32_i24_e32 v90, v41, v34
	v_add3_u32 v90, v91, v39, v90
	v_mul_i32_i24_e32 v39, v88, v77
	v_mul_i32_i24_e32 v91, v41, v45
	v_mul_i32_i24_e32 v41, v41, v211
	v_mul_i32_i24_e32 v88, v88, v246
	s_delay_alu instid0(VALU_DEP_3) | instskip(SKIP_2) | instid1(VALU_DEP_4)
	v_add3_u32 v91, v92, v39, v91
	v_mul_i32_i24_e32 v39, v95, v223
	v_mul_i32_i24_e32 v92, v100, v221
	v_add3_u32 v41, v66, v88, v41
	v_bfe_i32 v66, v53, 0, 8
	v_bfe_i32 v53, v53, 16, 8
	s_delay_alu instid0(VALU_DEP_4) | instskip(SKIP_2) | instid1(VALU_DEP_2)
	v_add3_u32 v62, v62, v39, v92
	v_bfe_i32 v92, v16, 8, 8
	v_bfe_i32 v16, v16, 16, 8
	v_mul_i32_i24_e32 v39, v92, v36
	s_delay_alu instid0(VALU_DEP_2) | instskip(SKIP_3) | instid1(VALU_DEP_4)
	v_mul_i32_i24_e32 v95, v16, v67
	v_mul_i32_i24_e32 v100, v16, v34
	;; [unrolled: 1-line block ×4, first 2 shown]
	v_add3_u32 v95, v119, v39, v95
	v_mul_i32_i24_e32 v39, v92, v72
	s_delay_alu instid0(VALU_DEP_1) | instskip(SKIP_1) | instid1(VALU_DEP_1)
	v_add3_u32 v100, v121, v39, v100
	v_mul_i32_i24_e32 v39, v92, v77
	v_add3_u32 v108, v123, v39, v108
	v_mul_i32_i24_e32 v39, v125, v223
	s_delay_alu instid0(VALU_DEP_1) | instskip(SKIP_2) | instid1(VALU_DEP_2)
	v_add3_u32 v56, v93, v39, v56
	v_bfe_i32 v93, v43, 8, 8
	v_bfe_i32 v43, v43, 16, 8
	v_mul_i32_i24_e32 v39, v93, v36
	s_delay_alu instid0(VALU_DEP_2) | instskip(NEXT) | instid1(VALU_DEP_1)
	v_mul_i32_i24_e32 v109, v43, v67
	v_add3_u32 v103, v103, v39, v109
	v_mul_i32_i24_e32 v39, v93, v72
	v_mul_i32_i24_e32 v109, v43, v34
	s_delay_alu instid0(VALU_DEP_1) | instskip(SKIP_4) | instid1(VALU_DEP_3)
	v_add3_u32 v59, v59, v39, v109
	v_mul_i32_i24_e32 v39, v93, v77
	v_mul_i32_i24_e32 v109, v43, v45
	;; [unrolled: 1-line block ×4, first 2 shown]
	v_add3_u32 v86, v86, v39, v109
	v_mul_i32_i24_e32 v39, v115, v223
	s_delay_alu instid0(VALU_DEP_1) | instskip(SKIP_2) | instid1(VALU_DEP_3)
	v_add3_u32 v54, v64, v39, v54
	v_bfe_i32 v64, v31, 8, 8
	v_bfe_i32 v31, v31, 16, 8
	v_add3_u32 v54, v54, v101, v94
	s_delay_alu instid0(VALU_DEP_3) | instskip(NEXT) | instid1(VALU_DEP_3)
	v_mul_i32_i24_e32 v39, v64, v36
	v_mul_i32_i24_e32 v109, v31, v67
	;; [unrolled: 1-line block ×4, first 2 shown]
	v_bfe_i32 v94, v55, 8, 8
	v_ashrrev_i32_e32 v101, 24, v55
	v_add3_u32 v106, v106, v39, v109
	v_mul_i32_i24_e32 v39, v64, v72
	v_mul_i32_i24_e32 v109, v31, v34
	;; [unrolled: 1-line block ×3, first 2 shown]
	s_delay_alu instid0(VALU_DEP_2) | instskip(SKIP_4) | instid1(VALU_DEP_3)
	v_add3_u32 v61, v61, v39, v109
	v_mul_i32_i24_e32 v39, v64, v77
	v_mul_i32_i24_e32 v109, v31, v45
	v_mul_i32_i24_e32 v31, v31, v211
	v_mul_i32_i24_e32 v64, v64, v246
	v_add3_u32 v63, v63, v39, v109
	v_add3_u32 v39, v248, v247, v6
	v_mul_i32_i24_e32 v6, v222, v74
	v_bfe_u32 v74, v4, 24, 4
	v_add3_u32 v31, v54, v64, v31
	v_bfe_i32 v54, v55, 0, 8
	v_bfe_i32 v55, v55, 16, 8
	v_add3_u32 v36, v7, v6, v36
	v_mul_i32_i24_e32 v6, v222, v131
	v_mul_i32_i24_e32 v7, v112, v72
	v_bfe_u32 v72, v4, 8, 4
	s_delay_alu instid0(VALU_DEP_4) | instskip(SKIP_1) | instid1(VALU_DEP_4)
	v_add3_u32 v36, v36, v67, v75
	v_mul_i32_i24_e32 v67, v216, v133
	v_add3_u32 v9, v9, v6, v7
	v_mul_i32_i24_e32 v6, v222, v162
	v_mul_i32_i24_e32 v7, v112, v77
	v_ashrrev_i32_e32 v77, 24, v38
	s_delay_alu instid0(VALU_DEP_4) | instskip(SKIP_1) | instid1(VALU_DEP_4)
	v_add3_u32 v9, v9, v34, v67
	v_mul_i32_i24_e32 v34, v215, v45
	v_add3_u32 v0, v0, v6, v7
	v_mul_i32_i24_e32 v6, v76, v218
	v_mul_i32_i24_e32 v7, v79, v217
	v_bfe_i32 v76, v38, 8, 8
	v_mul_i32_i24_e32 v45, v216, v227
	s_delay_alu instid0(VALU_DEP_3) | instskip(NEXT) | instid1(VALU_DEP_3)
	v_add3_u32 v65, v65, v7, v6
	v_mul_i32_i24_e32 v6, v76, v72
	v_mul_i32_i24_e32 v7, v77, v74
	s_delay_alu instid0(VALU_DEP_4) | instskip(SKIP_2) | instid1(VALU_DEP_4)
	v_add3_u32 v0, v0, v34, v45
	v_mul_i32_i24_e32 v34, v68, v246
	v_and_b32_e32 v45, 15, v4
	v_add3_u32 v71, v71, v7, v6
	v_add_nc_u32_e32 v6, 0x2108, v156
	s_delay_alu instid0(VALU_DEP_4)
	v_add3_u32 v10, v65, v34, v10
	v_bfe_i32 v34, v38, 0, 8
	v_bfe_i32 v38, v38, 16, 8
	v_bfe_u32 v65, v4, 16, 4
	ds_load_2addr_b32 v[6:7], v6 offset1:1
	v_mul_i32_i24_e32 v82, v81, v45
	v_mul_i32_i24_e32 v67, v34, v45
	;; [unrolled: 1-line block ×6, first 2 shown]
	v_add_nc_u32_e32 v156, 16, v156
	s_delay_alu instid0(VALU_DEP_4)
	v_add3_u32 v67, v71, v67, v68
	s_wait_dscnt 0x0
	v_bfe_u32 v79, v6, 8, 4
	v_bfe_u32 v109, v6, 24, 4
	v_and_b32_e32 v68, 15, v6
	v_bfe_u32 v71, v6, 16, 4
	s_delay_alu instid0(VALU_DEP_4) | instskip(NEXT) | instid1(VALU_DEP_4)
	v_mul_i32_i24_e32 v112, v76, v79
	v_mul_i32_i24_e32 v113, v77, v109
	s_delay_alu instid0(VALU_DEP_4) | instskip(NEXT) | instid1(VALU_DEP_2)
	v_mul_i32_i24_e32 v75, v34, v68
	v_add3_u32 v73, v73, v113, v112
	v_bfe_u32 v112, v14, 8, 4
	v_bfe_u32 v113, v14, 24, 4
	s_delay_alu instid0(VALU_DEP_2) | instskip(NEXT) | instid1(VALU_DEP_2)
	v_mul_i32_i24_e32 v115, v76, v112
	v_mul_i32_i24_e32 v117, v77, v113
	s_delay_alu instid0(VALU_DEP_1) | instskip(SKIP_2) | instid1(VALU_DEP_1)
	v_add3_u32 v78, v78, v117, v115
	v_mul_i32_i24_e32 v115, v83, v72
	v_mul_i32_i24_e32 v117, v104, v74
	v_add3_u32 v84, v84, v117, v115
	v_mul_i32_i24_e32 v115, v83, v79
	v_mul_i32_i24_e32 v117, v104, v109
	s_delay_alu instid0(VALU_DEP_1) | instskip(SKIP_3) | instid1(VALU_DEP_2)
	v_add3_u32 v87, v87, v117, v115
	v_mul_i32_i24_e32 v115, v83, v112
	v_mul_i32_i24_e32 v117, v104, v113
	;; [unrolled: 1-line block ×3, first 2 shown]
	v_add3_u32 v58, v58, v117, v115
	v_mul_i32_i24_e32 v115, v2, v72
	v_mul_i32_i24_e32 v117, v3, v74
	s_delay_alu instid0(VALU_DEP_1) | instskip(SKIP_2) | instid1(VALU_DEP_1)
	v_add3_u32 v96, v96, v117, v115
	v_mul_i32_i24_e32 v115, v2, v79
	v_mul_i32_i24_e32 v117, v3, v109
	v_add3_u32 v97, v97, v117, v115
	v_mul_i32_i24_e32 v115, v2, v112
	v_mul_i32_i24_e32 v117, v3, v113
	;; [unrolled: 1-line block ×4, first 2 shown]
	s_delay_alu instid0(VALU_DEP_3) | instskip(SKIP_2) | instid1(VALU_DEP_4)
	v_add3_u32 v99, v99, v117, v115
	v_mul_i32_i24_e32 v115, v69, v72
	v_mul_i32_i24_e32 v117, v70, v74
	v_add3_u32 v1, v1, v3, v2
	v_bfe_i32 v2, v13, 0, 8
	v_ashrrev_i32_e32 v3, 24, v13
	s_delay_alu instid0(VALU_DEP_4) | instskip(SKIP_2) | instid1(VALU_DEP_1)
	v_add3_u32 v89, v89, v117, v115
	v_mul_i32_i24_e32 v115, v69, v79
	v_mul_i32_i24_e32 v117, v70, v109
	v_add3_u32 v90, v90, v117, v115
	v_mul_i32_i24_e32 v115, v69, v112
	v_mul_i32_i24_e32 v117, v70, v113
	;; [unrolled: 1-line block ×4, first 2 shown]
	s_delay_alu instid0(VALU_DEP_3) | instskip(SKIP_1) | instid1(VALU_DEP_3)
	v_add3_u32 v91, v91, v117, v115
	v_mul_i32_i24_e32 v115, v157, v217
	v_add3_u32 v41, v41, v70, v69
	v_bfe_i32 v69, v42, 0, 8
	v_ashrrev_i32_e32 v70, 24, v42
	s_delay_alu instid0(VALU_DEP_4) | instskip(SKIP_2) | instid1(VALU_DEP_2)
	v_add3_u32 v62, v62, v115, v85
	v_bfe_i32 v85, v51, 8, 8
	v_ashrrev_i32_e32 v115, 24, v51
	v_mul_i32_i24_e32 v117, v85, v72
	s_delay_alu instid0(VALU_DEP_2) | instskip(NEXT) | instid1(VALU_DEP_1)
	v_mul_i32_i24_e32 v119, v115, v74
	v_add3_u32 v95, v95, v119, v117
	v_mul_i32_i24_e32 v117, v85, v79
	v_mul_i32_i24_e32 v119, v115, v109
	s_delay_alu instid0(VALU_DEP_1) | instskip(SKIP_3) | instid1(VALU_DEP_2)
	v_add3_u32 v100, v100, v119, v117
	v_mul_i32_i24_e32 v117, v85, v112
	v_mul_i32_i24_e32 v119, v115, v113
	;; [unrolled: 1-line block ×3, first 2 shown]
	v_add3_u32 v108, v108, v119, v117
	v_mul_i32_i24_e32 v117, v158, v218
	v_mul_i32_i24_e32 v119, v159, v217
	s_delay_alu instid0(VALU_DEP_1) | instskip(SKIP_2) | instid1(VALU_DEP_3)
	v_add3_u32 v56, v56, v119, v117
	v_bfe_i32 v117, v57, 8, 8
	v_ashrrev_i32_e32 v119, 24, v57
	v_add3_u32 v43, v56, v93, v43
	s_delay_alu instid0(VALU_DEP_3) | instskip(NEXT) | instid1(VALU_DEP_3)
	v_mul_i32_i24_e32 v121, v117, v72
	v_mul_i32_i24_e32 v123, v119, v74
	v_bfe_i32 v56, v57, 0, 8
	v_bfe_i32 v57, v57, 16, 8
	s_delay_alu instid0(VALU_DEP_3) | instskip(SKIP_3) | instid1(VALU_DEP_2)
	v_add3_u32 v103, v103, v123, v121
	v_mul_i32_i24_e32 v121, v117, v79
	v_mul_i32_i24_e32 v123, v119, v109
	;; [unrolled: 1-line block ×3, first 2 shown]
	v_add3_u32 v59, v59, v123, v121
	v_mul_i32_i24_e32 v121, v117, v112
	v_mul_i32_i24_e32 v123, v119, v113
	s_delay_alu instid0(VALU_DEP_1) | instskip(SKIP_4) | instid1(VALU_DEP_3)
	v_add3_u32 v86, v86, v123, v121
	v_mul_i32_i24_e32 v121, v94, v72
	v_mul_i32_i24_e32 v123, v101, v74
	;; [unrolled: 1-line block ×4, first 2 shown]
	v_add3_u32 v106, v106, v123, v121
	v_mul_i32_i24_e32 v121, v94, v79
	v_mul_i32_i24_e32 v123, v101, v109
	s_delay_alu instid0(VALU_DEP_1) | instskip(SKIP_4) | instid1(VALU_DEP_3)
	v_add3_u32 v61, v61, v123, v121
	v_mul_i32_i24_e32 v121, v94, v112
	v_mul_i32_i24_e32 v123, v101, v113
	;; [unrolled: 1-line block ×4, first 2 shown]
	v_add3_u32 v63, v63, v123, v121
	v_mul_i32_i24_e32 v121, v38, v71
	s_delay_alu instid0(VALU_DEP_3) | instskip(SKIP_2) | instid1(VALU_DEP_4)
	v_add3_u32 v31, v31, v101, v94
	v_bfe_i32 v94, v32, 0, 8
	v_ashrrev_i32_e32 v101, 24, v32
	v_add3_u32 v73, v73, v75, v121
	v_and_b32_e32 v75, 15, v14
	v_bfe_u32 v121, v14, 16, 4
	s_delay_alu instid0(VALU_DEP_2) | instskip(NEXT) | instid1(VALU_DEP_2)
	v_mul_i32_i24_e32 v123, v34, v75
	v_mul_i32_i24_e32 v125, v38, v121
	v_mul_i32_i24_e32 v34, v34, v203
	v_mul_i32_i24_e32 v38, v38, v202
	s_delay_alu instid0(VALU_DEP_3) | instskip(SKIP_1) | instid1(VALU_DEP_1)
	v_add3_u32 v78, v78, v123, v125
	v_mul_i32_i24_e32 v123, v49, v65
	v_add3_u32 v82, v84, v82, v123
	v_mul_i32_i24_e32 v84, v81, v68
	v_mul_i32_i24_e32 v123, v49, v71
	s_delay_alu instid0(VALU_DEP_1) | instskip(SKIP_3) | instid1(VALU_DEP_2)
	v_add3_u32 v84, v87, v84, v123
	v_mul_i32_i24_e32 v87, v81, v75
	v_mul_i32_i24_e32 v123, v49, v121
	v_mul_i32_i24_e32 v49, v49, v202
	v_add3_u32 v58, v58, v87, v123
	v_mul_i32_i24_e32 v87, v47, v65
	s_delay_alu instid0(VALU_DEP_1) | instskip(SKIP_2) | instid1(VALU_DEP_1)
	v_add3_u32 v60, v96, v60, v87
	v_mul_i32_i24_e32 v87, v12, v68
	v_mul_i32_i24_e32 v96, v47, v71
	v_add3_u32 v87, v97, v87, v96
	v_mul_i32_i24_e32 v96, v12, v75
	v_mul_i32_i24_e32 v97, v47, v121
	;; [unrolled: 1-line block ×4, first 2 shown]
	s_delay_alu instid0(VALU_DEP_3) | instskip(SKIP_2) | instid1(VALU_DEP_4)
	v_add3_u32 v96, v99, v96, v97
	v_mul_i32_i24_e32 v97, v53, v65
	v_mul_i32_i24_e32 v99, v57, v71
	v_add3_u32 v1, v1, v12, v47
	v_bfe_i32 v47, v13, 8, 8
	s_delay_alu instid0(VALU_DEP_4) | instskip(SKIP_2) | instid1(VALU_DEP_1)
	v_add3_u32 v88, v89, v88, v97
	v_mul_i32_i24_e32 v89, v66, v68
	v_mul_i32_i24_e32 v97, v53, v71
	v_add3_u32 v89, v90, v89, v97
	v_mul_i32_i24_e32 v90, v66, v75
	v_mul_i32_i24_e32 v97, v53, v121
	s_delay_alu instid0(VALU_DEP_1) | instskip(SKIP_1) | instid1(VALU_DEP_1)
	v_add3_u32 v90, v91, v90, v97
	v_mul_i32_i24_e32 v91, v92, v246
	v_add3_u32 v16, v62, v91, v16
	v_bfe_i32 v62, v51, 0, 8
	v_bfe_i32 v51, v51, 16, 8
	s_delay_alu instid0(VALU_DEP_2) | instskip(NEXT) | instid1(VALU_DEP_2)
	v_mul_i32_i24_e32 v91, v62, v45
	v_mul_i32_i24_e32 v92, v51, v65
	v_mul_i32_i24_e32 v97, v51, v121
	v_mul_i32_i24_e32 v45, v212, v45
	s_delay_alu instid0(VALU_DEP_3) | instskip(SKIP_2) | instid1(VALU_DEP_4)
	v_add3_u32 v91, v95, v91, v92
	v_mul_i32_i24_e32 v92, v62, v68
	v_mul_i32_i24_e32 v95, v51, v71
	v_add3_u32 v36, v36, v72, v45
	v_mul_i32_i24_e32 v45, v212, v68
	v_bfe_i32 v72, v11, 0, 8
	s_delay_alu instid0(VALU_DEP_4) | instskip(SKIP_1) | instid1(VALU_DEP_1)
	v_add3_u32 v92, v100, v92, v95
	v_mul_i32_i24_e32 v95, v62, v75
	v_add3_u32 v95, v108, v95, v97
	v_mul_i32_i24_e32 v97, v57, v65
	s_delay_alu instid0(VALU_DEP_1) | instskip(SKIP_1) | instid1(VALU_DEP_1)
	v_add3_u32 v93, v103, v93, v97
	v_mul_i32_i24_e32 v97, v56, v68
	v_add3_u32 v59, v59, v97, v99
	v_mul_i32_i24_e32 v97, v56, v75
	v_mul_i32_i24_e32 v99, v57, v121
	s_delay_alu instid0(VALU_DEP_1) | instskip(SKIP_3) | instid1(VALU_DEP_3)
	v_add3_u32 v86, v86, v97, v99
	v_mul_i32_i24_e32 v97, v55, v65
	v_mul_i32_i24_e32 v99, v55, v71
	;; [unrolled: 1-line block ×3, first 2 shown]
	v_add3_u32 v64, v106, v64, v97
	v_mul_i32_i24_e32 v97, v54, v68
	v_mul_i32_i24_e32 v68, v245, v79
	s_delay_alu instid0(VALU_DEP_4)
	v_add3_u32 v36, v36, v65, v74
	v_mul_i32_i24_e32 v65, v205, v71
	v_mul_i32_i24_e32 v71, v204, v109
	v_add3_u32 v61, v61, v97, v99
	v_add3_u32 v9, v9, v68, v45
	v_mul_i32_i24_e32 v45, v212, v75
	v_mul_i32_i24_e32 v68, v245, v112
	;; [unrolled: 1-line block ×3, first 2 shown]
	v_ashrrev_i32_e32 v75, 24, v11
	v_mul_i32_i24_e32 v99, v55, v121
	v_add3_u32 v9, v9, v65, v71
	v_add3_u32 v0, v0, v68, v45
	v_mul_i32_i24_e32 v45, v77, v206
	v_mul_i32_i24_e32 v68, v76, v235
	v_add3_u32 v63, v63, v97, v99
	v_mul_i32_i24_e32 v65, v205, v121
	v_mul_i32_i24_e32 v71, v204, v113
	v_bfe_u32 v109, v15, 8, 4
	v_add3_u32 v10, v10, v45, v68
	v_bfe_u32 v45, v4, 4, 4
	v_lshrrev_b32_e32 v68, 28, v4
	v_add3_u32 v0, v0, v65, v71
	v_bfe_i32 v65, v11, 16, 8
	v_add3_u32 v10, v10, v34, v38
	v_mul_i32_i24_e32 v76, v72, v45
	v_mul_i32_i24_e32 v77, v75, v68
	v_bfe_i32 v38, v11, 8, 8
	v_bfe_u32 v11, v4, 12, 4
	v_bfe_u32 v4, v4, 20, 4
	;; [unrolled: 1-line block ×3, first 2 shown]
	v_add3_u32 v67, v67, v77, v76
	v_bfe_u32 v76, v6, 4, 4
	v_lshrrev_b32_e32 v77, 28, v6
	v_mul_i32_i24_e32 v34, v38, v11
	v_mul_i32_i24_e32 v71, v65, v4
	;; [unrolled: 1-line block ×5, first 2 shown]
	s_delay_alu instid0(VALU_DEP_4) | instskip(SKIP_2) | instid1(VALU_DEP_4)
	v_add3_u32 v34, v67, v34, v71
	v_bfe_u32 v67, v6, 12, 4
	v_bfe_u32 v6, v6, 20, 4
	v_add3_u32 v73, v73, v97, v79
	v_bfe_u32 v79, v14, 4, 4
	v_lshrrev_b32_e32 v97, 28, v14
	v_mul_i32_i24_e32 v71, v38, v67
	v_mul_i32_i24_e32 v74, v65, v6
	s_delay_alu instid0(VALU_DEP_4) | instskip(NEXT) | instid1(VALU_DEP_4)
	v_mul_i32_i24_e32 v99, v72, v79
	v_mul_i32_i24_e32 v100, v75, v97
	s_delay_alu instid0(VALU_DEP_3) | instskip(SKIP_2) | instid1(VALU_DEP_4)
	v_add3_u32 v71, v73, v71, v74
	v_bfe_u32 v73, v14, 12, 4
	v_bfe_u32 v14, v14, 20, 4
	v_add3_u32 v78, v78, v100, v99
	v_mul_i32_i24_e32 v99, v104, v206
	s_delay_alu instid0(VALU_DEP_4) | instskip(SKIP_1) | instid1(VALU_DEP_3)
	v_mul_i32_i24_e32 v74, v38, v73
	v_mul_i32_i24_e32 v38, v38, v52
	v_add3_u32 v80, v80, v99, v83
	v_bfe_i32 v83, v40, 0, 8
	v_ashrrev_i32_e32 v99, 24, v40
	s_delay_alu instid0(VALU_DEP_2) | instskip(NEXT) | instid1(VALU_DEP_2)
	v_mul_i32_i24_e32 v100, v83, v45
	v_mul_i32_i24_e32 v103, v99, v68
	s_delay_alu instid0(VALU_DEP_1) | instskip(SKIP_2) | instid1(VALU_DEP_1)
	v_add3_u32 v82, v82, v103, v100
	v_mul_i32_i24_e32 v100, v83, v76
	v_mul_i32_i24_e32 v103, v99, v77
	v_add3_u32 v84, v84, v103, v100
	v_mul_i32_i24_e32 v100, v83, v79
	v_mul_i32_i24_e32 v103, v99, v97
	s_delay_alu instid0(VALU_DEP_1) | instskip(SKIP_2) | instid1(VALU_DEP_1)
	v_add3_u32 v58, v58, v103, v100
	v_mul_i32_i24_e32 v100, v2, v45
	v_mul_i32_i24_e32 v103, v3, v68
	v_add3_u32 v60, v60, v103, v100
	v_mul_i32_i24_e32 v100, v2, v76
	v_mul_i32_i24_e32 v103, v3, v77
	s_delay_alu instid0(VALU_DEP_1) | instskip(SKIP_4) | instid1(VALU_DEP_3)
	v_add3_u32 v87, v87, v103, v100
	v_mul_i32_i24_e32 v100, v2, v79
	v_mul_i32_i24_e32 v103, v3, v97
	;; [unrolled: 1-line block ×4, first 2 shown]
	v_add3_u32 v96, v96, v103, v100
	v_mul_i32_i24_e32 v100, v69, v45
	v_mul_i32_i24_e32 v103, v70, v68
	s_delay_alu instid0(VALU_DEP_4) | instskip(NEXT) | instid1(VALU_DEP_2)
	v_add3_u32 v1, v1, v3, v2
	v_add3_u32 v88, v88, v103, v100
	v_mul_i32_i24_e32 v100, v69, v76
	v_mul_i32_i24_e32 v103, v70, v77
	s_delay_alu instid0(VALU_DEP_1) | instskip(SKIP_2) | instid1(VALU_DEP_1)
	v_add3_u32 v89, v89, v103, v100
	v_mul_i32_i24_e32 v100, v69, v79
	v_mul_i32_i24_e32 v103, v70, v97
	v_add3_u32 v90, v90, v103, v100
	v_mul_i32_i24_e32 v100, v115, v206
	s_delay_alu instid0(VALU_DEP_1) | instskip(SKIP_2) | instid1(VALU_DEP_2)
	v_add3_u32 v16, v16, v100, v85
	v_bfe_i32 v85, v17, 0, 8
	v_ashrrev_i32_e32 v100, 24, v17
	v_mul_i32_i24_e32 v103, v85, v45
	s_delay_alu instid0(VALU_DEP_2) | instskip(NEXT) | instid1(VALU_DEP_1)
	v_mul_i32_i24_e32 v104, v100, v68
	v_add3_u32 v91, v91, v104, v103
	v_mul_i32_i24_e32 v103, v85, v76
	v_mul_i32_i24_e32 v104, v100, v77
	s_delay_alu instid0(VALU_DEP_1) | instskip(SKIP_2) | instid1(VALU_DEP_1)
	v_add3_u32 v92, v92, v104, v103
	v_mul_i32_i24_e32 v103, v85, v79
	v_mul_i32_i24_e32 v104, v100, v97
	v_add3_u32 v95, v95, v104, v103
	v_mul_i32_i24_e32 v103, v119, v206
	v_mul_i32_i24_e32 v104, v117, v235
	s_delay_alu instid0(VALU_DEP_1) | instskip(SKIP_2) | instid1(VALU_DEP_2)
	v_add3_u32 v43, v43, v103, v104
	v_bfe_i32 v103, v44, 0, 8
	v_ashrrev_i32_e32 v104, 24, v44
	v_mul_i32_i24_e32 v106, v103, v45
	s_delay_alu instid0(VALU_DEP_2) | instskip(NEXT) | instid1(VALU_DEP_1)
	v_mul_i32_i24_e32 v108, v104, v68
	v_add3_u32 v93, v93, v108, v106
	v_mul_i32_i24_e32 v106, v103, v76
	v_mul_i32_i24_e32 v108, v104, v77
	s_delay_alu instid0(VALU_DEP_1) | instskip(SKIP_2) | instid1(VALU_DEP_1)
	v_add3_u32 v59, v59, v108, v106
	v_mul_i32_i24_e32 v106, v103, v79
	v_mul_i32_i24_e32 v108, v104, v97
	v_add3_u32 v86, v86, v108, v106
	v_mul_i32_i24_e32 v106, v94, v45
	v_mul_i32_i24_e32 v108, v101, v68
	;; [unrolled: 1-line block ×3, first 2 shown]
	s_delay_alu instid0(VALU_DEP_2) | instskip(SKIP_2) | instid1(VALU_DEP_1)
	v_add3_u32 v64, v64, v108, v106
	v_mul_i32_i24_e32 v106, v94, v76
	v_mul_i32_i24_e32 v108, v101, v77
	v_add3_u32 v61, v61, v108, v106
	v_mul_i32_i24_e32 v106, v94, v79
	v_mul_i32_i24_e32 v108, v101, v97
	s_delay_alu instid0(VALU_DEP_1) | instskip(SKIP_2) | instid1(VALU_DEP_2)
	v_add3_u32 v63, v63, v108, v106
	v_mul_i32_i24_e32 v106, v65, v14
	v_bfe_u32 v108, v7, 24, 4
	v_add3_u32 v74, v78, v74, v106
	v_mul_i32_i24_e32 v78, v81, v203
	v_bfe_u32 v106, v7, 8, 4
	s_delay_alu instid0(VALU_DEP_2) | instskip(SKIP_2) | instid1(VALU_DEP_2)
	v_add3_u32 v49, v80, v78, v49
	v_bfe_i32 v78, v40, 8, 8
	v_bfe_i32 v40, v40, 16, 8
	v_mul_i32_i24_e32 v80, v78, v11
	s_delay_alu instid0(VALU_DEP_2) | instskip(NEXT) | instid1(VALU_DEP_1)
	v_mul_i32_i24_e32 v81, v40, v4
	v_add3_u32 v80, v82, v80, v81
	v_mul_i32_i24_e32 v81, v78, v67
	v_mul_i32_i24_e32 v82, v40, v6
	s_delay_alu instid0(VALU_DEP_1) | instskip(SKIP_4) | instid1(VALU_DEP_3)
	v_add3_u32 v81, v84, v81, v82
	v_mul_i32_i24_e32 v82, v78, v73
	v_mul_i32_i24_e32 v84, v40, v14
	v_mul_i32_i24_e32 v40, v40, v192
	v_mul_i32_i24_e32 v78, v78, v52
	v_add3_u32 v58, v58, v82, v84
	v_bfe_i32 v82, v13, 16, 8
	s_delay_alu instid0(VALU_DEP_1) | instskip(NEXT) | instid1(VALU_DEP_1)
	v_mul_i32_i24_e32 v13, v82, v4
	v_add3_u32 v60, v60, v12, v13
	v_mul_i32_i24_e32 v12, v47, v67
	v_mul_i32_i24_e32 v13, v82, v6
	s_delay_alu instid0(VALU_DEP_1) | instskip(SKIP_3) | instid1(VALU_DEP_2)
	v_add3_u32 v84, v87, v12, v13
	v_mul_i32_i24_e32 v12, v47, v73
	v_mul_i32_i24_e32 v13, v82, v14
	v_mul_i32_i24_e32 v47, v47, v52
	v_add3_u32 v87, v96, v12, v13
	v_mul_i32_i24_e32 v12, v66, v203
	v_mul_i32_i24_e32 v13, v53, v202
	v_bfe_i32 v53, v42, 8, 8
	v_bfe_i32 v42, v42, 16, 8
	s_delay_alu instid0(VALU_DEP_3) | instskip(NEXT) | instid1(VALU_DEP_3)
	v_add3_u32 v41, v41, v12, v13
	v_mul_i32_i24_e32 v12, v53, v11
	s_delay_alu instid0(VALU_DEP_3) | instskip(NEXT) | instid1(VALU_DEP_1)
	v_mul_i32_i24_e32 v13, v42, v4
	v_add3_u32 v66, v88, v12, v13
	v_mul_i32_i24_e32 v12, v53, v67
	v_mul_i32_i24_e32 v13, v42, v6
	s_delay_alu instid0(VALU_DEP_1) | instskip(SKIP_4) | instid1(VALU_DEP_3)
	v_add3_u32 v88, v89, v12, v13
	v_mul_i32_i24_e32 v12, v53, v73
	v_mul_i32_i24_e32 v13, v42, v14
	;; [unrolled: 1-line block ×4, first 2 shown]
	v_add3_u32 v89, v90, v12, v13
	v_mul_i32_i24_e32 v12, v62, v203
	v_mul_i32_i24_e32 v13, v51, v202
	v_bfe_i32 v62, v17, 8, 8
	v_bfe_i32 v90, v17, 16, 8
	s_delay_alu instid0(VALU_DEP_3) | instskip(NEXT) | instid1(VALU_DEP_3)
	v_add3_u32 v51, v16, v12, v13
	v_mul_i32_i24_e32 v12, v62, v11
	s_delay_alu instid0(VALU_DEP_3) | instskip(NEXT) | instid1(VALU_DEP_1)
	v_mul_i32_i24_e32 v13, v90, v4
	v_add3_u32 v91, v91, v12, v13
	v_mul_i32_i24_e32 v12, v62, v67
	v_mul_i32_i24_e32 v13, v90, v6
	s_delay_alu instid0(VALU_DEP_1) | instskip(SKIP_3) | instid1(VALU_DEP_2)
	v_add3_u32 v92, v92, v12, v13
	v_mul_i32_i24_e32 v12, v62, v73
	v_mul_i32_i24_e32 v13, v90, v14
	v_mul_i32_i24_e32 v62, v62, v52
	v_add3_u32 v95, v95, v12, v13
	v_mul_i32_i24_e32 v12, v56, v203
	v_mul_i32_i24_e32 v13, v57, v202
	v_bfe_i32 v56, v44, 8, 8
	v_bfe_i32 v44, v44, 16, 8
	s_delay_alu instid0(VALU_DEP_3) | instskip(NEXT) | instid1(VALU_DEP_3)
	v_add3_u32 v43, v43, v12, v13
	v_mul_i32_i24_e32 v12, v56, v11
	s_delay_alu instid0(VALU_DEP_3) | instskip(NEXT) | instid1(VALU_DEP_1)
	v_mul_i32_i24_e32 v13, v44, v4
	v_add3_u32 v57, v93, v12, v13
	v_mul_i32_i24_e32 v12, v56, v67
	v_mul_i32_i24_e32 v13, v44, v6
	v_bfe_i32 v93, v32, 16, 8
	s_delay_alu instid0(VALU_DEP_2) | instskip(SKIP_4) | instid1(VALU_DEP_3)
	v_add3_u32 v59, v59, v12, v13
	v_mul_i32_i24_e32 v12, v56, v73
	v_mul_i32_i24_e32 v13, v44, v14
	;; [unrolled: 1-line block ×4, first 2 shown]
	v_add3_u32 v86, v86, v12, v13
	v_mul_i32_i24_e32 v12, v54, v203
	v_mul_i32_i24_e32 v13, v55, v202
	v_bfe_i32 v55, v32, 8, 8
	s_delay_alu instid0(VALU_DEP_2) | instskip(NEXT) | instid1(VALU_DEP_2)
	v_add3_u32 v54, v31, v12, v13
	v_mul_i32_i24_e32 v12, v55, v11
	v_mul_i32_i24_e32 v13, v93, v4
	;; [unrolled: 1-line block ×5, first 2 shown]
	s_delay_alu instid0(VALU_DEP_4) | instskip(SKIP_3) | instid1(VALU_DEP_2)
	v_add3_u32 v64, v64, v12, v13
	v_mul_i32_i24_e32 v12, v55, v67
	v_mul_i32_i24_e32 v13, v93, v6
	;; [unrolled: 1-line block ×3, first 2 shown]
	v_add3_u32 v61, v61, v12, v13
	v_mul_i32_i24_e32 v12, v55, v73
	v_mul_i32_i24_e32 v13, v93, v14
	;; [unrolled: 1-line block ×3, first 2 shown]
	s_delay_alu instid0(VALU_DEP_2) | instskip(SKIP_1) | instid1(VALU_DEP_1)
	v_add3_u32 v63, v63, v12, v13
	v_mul_i32_i24_e32 v12, v201, v45
	v_add3_u32 v45, v36, v12, v11
	v_mul_i32_i24_e32 v11, v201, v76
	v_mul_i32_i24_e32 v12, v8, v67
	;; [unrolled: 1-line block ×3, first 2 shown]
	v_bfe_u32 v73, v5, 8, 4
	v_add3_u32 v4, v45, v4, v68
	v_mul_i32_i24_e32 v45, v193, v77
	v_add3_u32 v67, v9, v11, v12
	v_mul_i32_i24_e32 v9, v201, v79
	s_delay_alu instid0(VALU_DEP_2) | instskip(NEXT) | instid1(VALU_DEP_2)
	v_add3_u32 v6, v67, v6, v45
	v_add3_u32 v0, v0, v9, v8
	v_mul_i32_i24_e32 v8, v72, v196
	v_mul_i32_i24_e32 v9, v75, v195
	v_bfe_u32 v75, v5, 24, 4
	v_mul_i32_i24_e32 v45, v193, v97
	s_delay_alu instid0(VALU_DEP_3) | instskip(SKIP_4) | instid1(VALU_DEP_2)
	v_add3_u32 v72, v10, v9, v8
	ds_load_2addr_b32 v[8:9], v240 offset1:3
	v_add3_u32 v0, v0, v14, v45
	v_mul_i32_i24_e32 v14, v65, v192
	v_bfe_u32 v45, v5, 16, 4
	v_add3_u32 v14, v72, v38, v14
	v_and_b32_e32 v38, 15, v5
	v_bfe_u32 v72, v7, 16, 4
	s_wait_dscnt 0x0
	v_bfe_i32 v76, v9, 8, 8
	v_ashrrev_i32_e32 v79, 24, v9
	v_bfe_i32 v65, v9, 0, 8
	v_bfe_i32 v9, v9, 16, 8
	s_delay_alu instid0(VALU_DEP_4) | instskip(NEXT) | instid1(VALU_DEP_4)
	v_mul_i32_i24_e32 v10, v76, v73
	v_mul_i32_i24_e32 v11, v79, v75
	s_delay_alu instid0(VALU_DEP_4) | instskip(NEXT) | instid1(VALU_DEP_4)
	v_mul_i32_i24_e32 v67, v65, v38
	v_mul_i32_i24_e32 v68, v9, v45
	s_delay_alu instid0(VALU_DEP_3) | instskip(SKIP_2) | instid1(VALU_DEP_3)
	v_add3_u32 v96, v34, v11, v10
	v_mul_i32_i24_e32 v10, v76, v106
	v_mul_i32_i24_e32 v11, v79, v108
	v_add3_u32 v67, v96, v67, v68
	v_and_b32_e32 v68, 15, v7
	s_delay_alu instid0(VALU_DEP_3) | instskip(SKIP_4) | instid1(VALU_DEP_3)
	v_add3_u32 v71, v71, v11, v10
	v_mul_i32_i24_e32 v10, v76, v109
	v_mul_i32_i24_e32 v11, v79, v112
	;; [unrolled: 1-line block ×4, first 2 shown]
	v_add3_u32 v74, v74, v11, v10
	v_mul_i32_i24_e32 v10, v83, v196
	v_mul_i32_i24_e32 v11, v99, v195
	s_delay_alu instid0(VALU_DEP_4) | instskip(SKIP_2) | instid1(VALU_DEP_4)
	v_add3_u32 v71, v71, v77, v96
	v_and_b32_e32 v77, 15, v15
	v_bfe_u32 v96, v15, 16, 4
	v_add3_u32 v49, v49, v11, v10
	ds_load_2addr_b32 v[10:11], v33 offset1:3
	v_mul_i32_i24_e32 v97, v65, v77
	v_add3_u32 v40, v49, v78, v40
	s_wait_dscnt 0x0
	v_bfe_i32 v83, v11, 8, 8
	v_ashrrev_i32_e32 v99, 24, v11
	v_bfe_i32 v49, v11, 0, 8
	v_bfe_i32 v11, v11, 16, 8
	s_delay_alu instid0(VALU_DEP_4) | instskip(NEXT) | instid1(VALU_DEP_4)
	v_mul_i32_i24_e32 v12, v83, v73
	v_mul_i32_i24_e32 v13, v99, v75
	s_delay_alu instid0(VALU_DEP_4) | instskip(NEXT) | instid1(VALU_DEP_2)
	v_mul_i32_i24_e32 v78, v49, v38
	v_add3_u32 v80, v80, v13, v12
	v_mul_i32_i24_e32 v12, v83, v106
	v_mul_i32_i24_e32 v13, v99, v108
	s_delay_alu instid0(VALU_DEP_1) | instskip(SKIP_3) | instid1(VALU_DEP_2)
	v_add3_u32 v81, v81, v13, v12
	v_mul_i32_i24_e32 v12, v83, v109
	v_mul_i32_i24_e32 v13, v99, v112
	;; [unrolled: 1-line block ×3, first 2 shown]
	v_add3_u32 v58, v58, v13, v12
	ds_load_2addr_b32 v[12:13], v35 offset1:3
	s_wait_dscnt 0x0
	v_bfe_i32 v2, v13, 8, 8
	v_ashrrev_i32_e32 v3, 24, v13
	s_delay_alu instid0(VALU_DEP_2) | instskip(NEXT) | instid1(VALU_DEP_2)
	v_mul_i32_i24_e32 v16, v2, v73
	v_mul_i32_i24_e32 v17, v3, v75
	s_delay_alu instid0(VALU_DEP_1) | instskip(SKIP_2) | instid1(VALU_DEP_1)
	v_add3_u32 v60, v60, v17, v16
	v_mul_i32_i24_e32 v16, v2, v106
	v_mul_i32_i24_e32 v17, v3, v108
	v_add3_u32 v84, v84, v17, v16
	v_mul_i32_i24_e32 v16, v2, v109
	v_mul_i32_i24_e32 v17, v3, v112
	;; [unrolled: 1-line block ×4, first 2 shown]
	s_delay_alu instid0(VALU_DEP_3) | instskip(SKIP_2) | instid1(VALU_DEP_1)
	v_add3_u32 v87, v87, v17, v16
	v_mul_i32_i24_e32 v16, v69, v196
	v_mul_i32_i24_e32 v17, v70, v195
	v_add3_u32 v41, v41, v17, v16
	ds_load_2addr_b32 v[16:17], v241 offset1:3
	v_add3_u32 v41, v41, v53, v42
	s_wait_dscnt 0x0
	v_bfe_i32 v69, v17, 8, 8
	v_ashrrev_i32_e32 v70, 24, v17
	v_bfe_i32 v42, v17, 0, 8
	v_bfe_i32 v17, v17, 16, 8
	s_delay_alu instid0(VALU_DEP_4) | instskip(NEXT) | instid1(VALU_DEP_4)
	v_mul_i32_i24_e32 v31, v69, v73
	v_mul_i32_i24_e32 v32, v70, v75
	s_delay_alu instid0(VALU_DEP_4) | instskip(NEXT) | instid1(VALU_DEP_2)
	v_mul_i32_i24_e32 v53, v42, v38
	v_add3_u32 v66, v66, v32, v31
	v_mul_i32_i24_e32 v31, v69, v106
	v_mul_i32_i24_e32 v32, v70, v108
	s_delay_alu instid0(VALU_DEP_1) | instskip(SKIP_4) | instid1(VALU_DEP_3)
	v_add3_u32 v88, v88, v32, v31
	v_mul_i32_i24_e32 v31, v69, v109
	v_mul_i32_i24_e32 v32, v70, v112
	;; [unrolled: 1-line block ×4, first 2 shown]
	v_add3_u32 v89, v89, v32, v31
	v_mul_i32_i24_e32 v31, v85, v196
	v_mul_i32_i24_e32 v32, v100, v195
	s_delay_alu instid0(VALU_DEP_4) | instskip(SKIP_2) | instid1(VALU_DEP_4)
	v_add3_u32 v41, v41, v70, v69
	v_bfe_i32 v69, v25, 0, 8
	v_ashrrev_i32_e32 v70, 24, v25
	v_add3_u32 v51, v51, v32, v31
	ds_load_2addr_b32 v[31:32], v242 offset1:3
	s_wait_dscnt 0x0
	v_bfe_i32 v85, v32, 8, 8
	v_ashrrev_i32_e32 v100, 24, v32
	s_delay_alu instid0(VALU_DEP_2) | instskip(NEXT) | instid1(VALU_DEP_2)
	v_mul_i32_i24_e32 v33, v85, v73
	v_mul_i32_i24_e32 v34, v100, v75
	s_delay_alu instid0(VALU_DEP_1) | instskip(SKIP_2) | instid1(VALU_DEP_1)
	v_add3_u32 v91, v91, v34, v33
	v_mul_i32_i24_e32 v33, v85, v106
	v_mul_i32_i24_e32 v34, v100, v108
	v_add3_u32 v92, v92, v34, v33
	v_mul_i32_i24_e32 v33, v85, v109
	v_mul_i32_i24_e32 v34, v100, v112
	;; [unrolled: 1-line block ×3, first 2 shown]
	s_delay_alu instid0(VALU_DEP_2) | instskip(SKIP_2) | instid1(VALU_DEP_1)
	v_add3_u32 v95, v95, v34, v33
	v_mul_i32_i24_e32 v33, v103, v196
	v_mul_i32_i24_e32 v34, v104, v195
	v_add3_u32 v43, v43, v34, v33
	ds_load_2addr_b32 v[33:34], v243 offset1:3
	v_add3_u32 v43, v43, v56, v44
	s_wait_dscnt 0x0
	v_bfe_i32 v103, v34, 8, 8
	v_ashrrev_i32_e32 v104, 24, v34
	v_bfe_i32 v44, v34, 0, 8
	v_bfe_i32 v34, v34, 16, 8
	s_delay_alu instid0(VALU_DEP_4) | instskip(NEXT) | instid1(VALU_DEP_4)
	v_mul_i32_i24_e32 v35, v103, v73
	v_mul_i32_i24_e32 v36, v104, v75
	s_delay_alu instid0(VALU_DEP_4) | instskip(NEXT) | instid1(VALU_DEP_2)
	v_mul_i32_i24_e32 v56, v44, v38
	v_add3_u32 v57, v57, v36, v35
	v_mul_i32_i24_e32 v35, v103, v106
	v_mul_i32_i24_e32 v36, v104, v108
	s_delay_alu instid0(VALU_DEP_1) | instskip(SKIP_2) | instid1(VALU_DEP_1)
	v_add3_u32 v59, v59, v36, v35
	v_mul_i32_i24_e32 v35, v103, v109
	v_mul_i32_i24_e32 v36, v104, v112
	v_add3_u32 v86, v86, v36, v35
	v_mul_i32_i24_e32 v35, v94, v196
	v_mul_i32_i24_e32 v36, v101, v195
	s_delay_alu instid0(VALU_DEP_1) | instskip(SKIP_4) | instid1(VALU_DEP_2)
	v_add3_u32 v54, v54, v36, v35
	ds_load_2addr_b32 v[35:36], v244 offset1:3
	s_wait_dscnt 0x0
	v_bfe_i32 v94, v36, 8, 8
	v_ashrrev_i32_e32 v101, 24, v36
	v_mul_i32_i24_e32 v113, v94, v73
	s_delay_alu instid0(VALU_DEP_2) | instskip(SKIP_1) | instid1(VALU_DEP_2)
	v_mul_i32_i24_e32 v115, v101, v75
	v_mul_i32_i24_e32 v75, v237, v75
	v_add3_u32 v64, v64, v115, v113
	v_mul_i32_i24_e32 v113, v94, v106
	v_mul_i32_i24_e32 v115, v101, v108
	s_delay_alu instid0(VALU_DEP_1) | instskip(SKIP_2) | instid1(VALU_DEP_1)
	v_add3_u32 v61, v61, v115, v113
	v_mul_i32_i24_e32 v113, v94, v109
	v_mul_i32_i24_e32 v115, v101, v112
	v_add3_u32 v63, v63, v115, v113
	v_mul_i32_i24_e32 v113, v9, v96
	v_mul_i32_i24_e32 v9, v9, v233
	s_delay_alu instid0(VALU_DEP_2) | instskip(SKIP_1) | instid1(VALU_DEP_1)
	v_add3_u32 v74, v74, v97, v113
	v_mul_i32_i24_e32 v97, v11, v45
	v_add3_u32 v78, v80, v78, v97
	v_mul_i32_i24_e32 v80, v49, v68
	v_mul_i32_i24_e32 v97, v11, v72
	s_delay_alu instid0(VALU_DEP_1) | instskip(SKIP_4) | instid1(VALU_DEP_3)
	v_add3_u32 v80, v81, v80, v97
	v_mul_i32_i24_e32 v81, v49, v77
	v_mul_i32_i24_e32 v97, v11, v96
	;; [unrolled: 1-line block ×4, first 2 shown]
	v_add3_u32 v58, v58, v81, v97
	v_mul_i32_i24_e32 v81, v82, v192
	s_delay_alu instid0(VALU_DEP_1) | instskip(SKIP_2) | instid1(VALU_DEP_3)
	v_add3_u32 v1, v1, v47, v81
	v_bfe_i32 v47, v13, 0, 8
	v_bfe_i32 v13, v13, 16, 8
	v_add3_u32 v1, v1, v3, v2
	s_delay_alu instid0(VALU_DEP_3) | instskip(NEXT) | instid1(VALU_DEP_3)
	v_mul_i32_i24_e32 v81, v47, v38
	v_mul_i32_i24_e32 v82, v13, v45
	v_bfe_i32 v2, v23, 0, 8
	v_ashrrev_i32_e32 v3, 24, v23
	s_delay_alu instid0(VALU_DEP_3) | instskip(SKIP_2) | instid1(VALU_DEP_1)
	v_add3_u32 v60, v60, v81, v82
	v_mul_i32_i24_e32 v81, v47, v68
	v_mul_i32_i24_e32 v82, v13, v72
	v_add3_u32 v81, v84, v81, v82
	v_mul_i32_i24_e32 v82, v47, v77
	v_mul_i32_i24_e32 v84, v13, v96
	;; [unrolled: 1-line block ×4, first 2 shown]
	s_delay_alu instid0(VALU_DEP_3) | instskip(SKIP_2) | instid1(VALU_DEP_4)
	v_add3_u32 v82, v87, v82, v84
	v_mul_i32_i24_e32 v84, v17, v45
	v_mul_i32_i24_e32 v87, v17, v96
	v_add3_u32 v1, v1, v47, v13
	v_bfe_i32 v13, v23, 8, 8
	v_bfe_i32 v23, v23, 16, 8
	v_add3_u32 v53, v66, v53, v84
	v_mul_i32_i24_e32 v66, v42, v68
	v_mul_i32_i24_e32 v84, v17, v72
	;; [unrolled: 1-line block ×3, first 2 shown]
	s_delay_alu instid0(VALU_DEP_2) | instskip(SKIP_2) | instid1(VALU_DEP_2)
	v_add3_u32 v66, v88, v66, v84
	v_mul_i32_i24_e32 v84, v42, v77
	v_mul_i32_i24_e32 v42, v42, v234
	v_add3_u32 v84, v89, v84, v87
	v_mul_i32_i24_e32 v87, v90, v192
	s_delay_alu instid0(VALU_DEP_3) | instskip(SKIP_2) | instid1(VALU_DEP_4)
	v_add3_u32 v17, v41, v42, v17
	v_bfe_i32 v41, v25, 8, 8
	v_bfe_i32 v25, v25, 16, 8
	v_add3_u32 v51, v51, v62, v87
	v_bfe_i32 v62, v32, 0, 8
	v_bfe_i32 v32, v32, 16, 8
	s_delay_alu instid0(VALU_DEP_2) | instskip(NEXT) | instid1(VALU_DEP_2)
	v_mul_i32_i24_e32 v87, v62, v38
	v_mul_i32_i24_e32 v88, v32, v45
	;; [unrolled: 1-line block ×5, first 2 shown]
	s_delay_alu instid0(VALU_DEP_4) | instskip(SKIP_1) | instid1(VALU_DEP_1)
	v_add3_u32 v87, v91, v87, v88
	v_mul_i32_i24_e32 v88, v62, v68
	v_add3_u32 v88, v92, v88, v89
	v_mul_i32_i24_e32 v89, v62, v77
	v_mul_i32_i24_e32 v62, v62, v234
	s_delay_alu instid0(VALU_DEP_2) | instskip(SKIP_1) | instid1(VALU_DEP_1)
	v_add3_u32 v89, v95, v89, v90
	v_mul_i32_i24_e32 v90, v34, v45
	v_add3_u32 v56, v57, v56, v90
	v_mul_i32_i24_e32 v57, v44, v68
	v_mul_i32_i24_e32 v90, v34, v72
	s_delay_alu instid0(VALU_DEP_1) | instskip(SKIP_4) | instid1(VALU_DEP_3)
	v_add3_u32 v57, v59, v57, v90
	v_mul_i32_i24_e32 v59, v44, v77
	v_mul_i32_i24_e32 v90, v34, v96
	;; [unrolled: 1-line block ×4, first 2 shown]
	v_add3_u32 v59, v86, v59, v90
	v_mul_i32_i24_e32 v86, v93, v192
	s_delay_alu instid0(VALU_DEP_1) | instskip(SKIP_2) | instid1(VALU_DEP_2)
	v_add3_u32 v52, v54, v52, v86
	v_bfe_i32 v54, v36, 0, 8
	v_bfe_i32 v36, v36, 16, 8
	v_mul_i32_i24_e32 v55, v54, v38
	s_delay_alu instid0(VALU_DEP_2) | instskip(SKIP_2) | instid1(VALU_DEP_3)
	v_mul_i32_i24_e32 v86, v36, v45
	v_mul_i32_i24_e32 v38, v239, v38
	;; [unrolled: 1-line block ×3, first 2 shown]
	v_add3_u32 v55, v64, v55, v86
	v_mul_i32_i24_e32 v64, v54, v68
	v_mul_i32_i24_e32 v86, v36, v72
	s_delay_alu instid0(VALU_DEP_1) | instskip(SKIP_4) | instid1(VALU_DEP_3)
	v_add3_u32 v61, v61, v64, v86
	v_mul_i32_i24_e32 v64, v54, v77
	v_mul_i32_i24_e32 v86, v36, v96
	;; [unrolled: 1-line block ×4, first 2 shown]
	v_add3_u32 v63, v63, v64, v86
	v_mul_i32_i24_e32 v64, v50, v73
	s_delay_alu instid0(VALU_DEP_1)
	v_add3_u32 v4, v4, v64, v38
	v_mul_i32_i24_e32 v38, v239, v68
	v_mul_i32_i24_e32 v64, v50, v106
	;; [unrolled: 1-line block ×3, first 2 shown]
	v_ashrrev_i32_e32 v68, 24, v19
	v_add3_u32 v4, v4, v45, v75
	v_mul_i32_i24_e32 v45, v236, v72
	v_add3_u32 v6, v6, v64, v38
	v_mul_i32_i24_e32 v38, v239, v77
	v_bfe_i32 v64, v19, 0, 8
	v_mul_i32_i24_e32 v72, v237, v108
	s_delay_alu instid0(VALU_DEP_3) | instskip(SKIP_2) | instid1(VALU_DEP_4)
	v_add3_u32 v0, v0, v50, v38
	v_mul_i32_i24_e32 v38, v79, v238
	v_mul_i32_i24_e32 v50, v76, v48
	v_add3_u32 v6, v6, v45, v72
	v_mul_i32_i24_e32 v45, v236, v96
	v_mul_i32_i24_e32 v72, v237, v112
	s_delay_alu instid0(VALU_DEP_4) | instskip(SKIP_2) | instid1(VALU_DEP_4)
	v_add3_u32 v14, v14, v38, v50
	v_bfe_u32 v38, v5, 4, 4
	v_lshrrev_b32_e32 v50, 28, v5
	v_add3_u32 v0, v0, v45, v72
	v_mul_i32_i24_e32 v45, v65, v234
	s_delay_alu instid0(VALU_DEP_4) | instskip(NEXT) | instid1(VALU_DEP_4)
	v_mul_i32_i24_e32 v73, v64, v38
	v_mul_i32_i24_e32 v76, v68, v50
	s_delay_alu instid0(VALU_DEP_3) | instskip(SKIP_2) | instid1(VALU_DEP_4)
	v_add3_u32 v9, v14, v45, v9
	v_bfe_u32 v14, v5, 20, 4
	v_bfe_u32 v5, v5, 12, 4
	v_add3_u32 v67, v67, v76, v73
	v_bfe_u32 v73, v7, 4, 4
	v_lshrrev_b32_e32 v76, 28, v7
	v_bfe_i32 v45, v19, 8, 8
	v_bfe_i32 v19, v19, 16, 8
	v_mul_i32_i24_e32 v47, v13, v5
	v_mul_i32_i24_e32 v77, v64, v73
	;; [unrolled: 1-line block ×6, first 2 shown]
	s_delay_alu instid0(VALU_DEP_4)
	v_add3_u32 v71, v71, v79, v77
	v_bfe_u32 v77, v15, 4, 4
	v_lshrrev_b32_e32 v79, 28, v15
	v_add3_u32 v65, v67, v65, v72
	v_bfe_u32 v67, v7, 12, 4
	v_bfe_u32 v7, v7, 20, 4
	v_mul_i32_i24_e32 v86, v64, v77
	v_mul_i32_i24_e32 v90, v68, v79
	s_delay_alu instid0(VALU_DEP_4) | instskip(NEXT) | instid1(VALU_DEP_4)
	v_mul_i32_i24_e32 v72, v45, v67
	v_mul_i32_i24_e32 v75, v19, v7
	s_delay_alu instid0(VALU_DEP_3) | instskip(SKIP_1) | instid1(VALU_DEP_3)
	v_add3_u32 v74, v74, v90, v86
	v_mul_i32_i24_e32 v86, v99, v238
	v_add3_u32 v71, v71, v72, v75
	v_bfe_u32 v72, v15, 12, 4
	v_bfe_u32 v15, v15, 20, 4
	s_delay_alu instid0(VALU_DEP_4) | instskip(SKIP_3) | instid1(VALU_DEP_4)
	v_add3_u32 v40, v40, v86, v83
	v_bfe_i32 v83, v21, 0, 8
	v_ashrrev_i32_e32 v86, 24, v21
	v_mul_i32_i24_e32 v75, v45, v72
	v_add3_u32 v11, v40, v49, v11
	s_delay_alu instid0(VALU_DEP_4) | instskip(NEXT) | instid1(VALU_DEP_4)
	v_mul_i32_i24_e32 v90, v83, v38
	v_mul_i32_i24_e32 v91, v86, v50
	v_bfe_i32 v40, v21, 8, 8
	v_bfe_i32 v21, v21, 16, 8
	s_delay_alu instid0(VALU_DEP_3) | instskip(SKIP_3) | instid1(VALU_DEP_2)
	v_add3_u32 v78, v78, v91, v90
	v_mul_i32_i24_e32 v90, v83, v73
	v_mul_i32_i24_e32 v91, v86, v76
	;; [unrolled: 1-line block ×3, first 2 shown]
	v_add3_u32 v80, v80, v91, v90
	v_mul_i32_i24_e32 v90, v83, v77
	v_mul_i32_i24_e32 v91, v86, v79
	s_delay_alu instid0(VALU_DEP_1) | instskip(SKIP_2) | instid1(VALU_DEP_1)
	v_add3_u32 v58, v58, v91, v90
	v_mul_i32_i24_e32 v90, v2, v38
	v_mul_i32_i24_e32 v91, v3, v50
	v_add3_u32 v60, v60, v91, v90
	v_mul_i32_i24_e32 v90, v2, v73
	v_mul_i32_i24_e32 v91, v3, v76
	s_delay_alu instid0(VALU_DEP_1) | instskip(SKIP_4) | instid1(VALU_DEP_3)
	v_add3_u32 v81, v81, v91, v90
	v_mul_i32_i24_e32 v90, v2, v77
	v_mul_i32_i24_e32 v91, v3, v79
	;; [unrolled: 1-line block ×4, first 2 shown]
	v_add3_u32 v82, v82, v91, v90
	v_mul_i32_i24_e32 v90, v69, v38
	v_mul_i32_i24_e32 v91, v70, v50
	s_delay_alu instid0(VALU_DEP_4) | instskip(SKIP_2) | instid1(VALU_DEP_4)
	v_add3_u32 v1, v1, v3, v2
	v_bfe_i32 v2, v12, 0, 8
	v_bfe_i32 v3, v12, 8, 8
	v_add3_u32 v53, v53, v91, v90
	v_mul_i32_i24_e32 v90, v69, v73
	v_mul_i32_i24_e32 v91, v70, v76
	s_delay_alu instid0(VALU_DEP_1) | instskip(SKIP_4) | instid1(VALU_DEP_3)
	v_add3_u32 v66, v66, v91, v90
	v_mul_i32_i24_e32 v90, v69, v77
	v_mul_i32_i24_e32 v91, v70, v79
	;; [unrolled: 1-line block ×4, first 2 shown]
	v_add3_u32 v84, v84, v91, v90
	v_mul_i32_i24_e32 v90, v100, v238
	s_delay_alu instid0(VALU_DEP_3) | instskip(SKIP_2) | instid1(VALU_DEP_4)
	v_add3_u32 v17, v17, v70, v69
	v_bfe_i32 v69, v16, 0, 8
	v_bfe_i32 v70, v16, 8, 8
	v_add3_u32 v51, v51, v90, v85
	v_bfe_i32 v85, v27, 0, 8
	v_ashrrev_i32_e32 v90, 24, v27
	s_delay_alu instid0(VALU_DEP_3) | instskip(NEXT) | instid1(VALU_DEP_3)
	v_add3_u32 v32, v51, v62, v32
	v_mul_i32_i24_e32 v91, v85, v38
	s_delay_alu instid0(VALU_DEP_3) | instskip(SKIP_2) | instid1(VALU_DEP_3)
	v_mul_i32_i24_e32 v92, v90, v50
	v_bfe_i32 v51, v27, 8, 8
	v_bfe_i32 v27, v27, 16, 8
	v_add3_u32 v87, v87, v92, v91
	v_mul_i32_i24_e32 v91, v85, v73
	v_mul_i32_i24_e32 v92, v90, v76
	;; [unrolled: 1-line block ×3, first 2 shown]
	s_delay_alu instid0(VALU_DEP_2) | instskip(SKIP_2) | instid1(VALU_DEP_1)
	v_add3_u32 v88, v88, v92, v91
	v_mul_i32_i24_e32 v91, v85, v77
	v_mul_i32_i24_e32 v92, v90, v79
	v_add3_u32 v89, v89, v92, v91
	v_mul_i32_i24_e32 v91, v104, v238
	v_mul_i32_i24_e32 v92, v103, v48
	v_mul_i32_i24_e32 v48, v94, v48
	s_delay_alu instid0(VALU_DEP_2) | instskip(SKIP_2) | instid1(VALU_DEP_3)
	v_add3_u32 v43, v43, v91, v92
	v_bfe_i32 v91, v30, 0, 8
	v_ashrrev_i32_e32 v92, 24, v30
	v_add3_u32 v34, v43, v44, v34
	s_delay_alu instid0(VALU_DEP_3) | instskip(NEXT) | instid1(VALU_DEP_3)
	v_mul_i32_i24_e32 v93, v91, v38
	v_mul_i32_i24_e32 v95, v92, v50
	v_bfe_i32 v43, v30, 8, 8
	v_bfe_i32 v30, v30, 16, 8
	s_delay_alu instid0(VALU_DEP_3) | instskip(SKIP_3) | instid1(VALU_DEP_2)
	v_add3_u32 v56, v56, v95, v93
	v_mul_i32_i24_e32 v93, v91, v73
	v_mul_i32_i24_e32 v95, v92, v76
	;; [unrolled: 1-line block ×3, first 2 shown]
	v_add3_u32 v57, v57, v95, v93
	v_mul_i32_i24_e32 v93, v91, v77
	v_mul_i32_i24_e32 v95, v92, v79
	s_delay_alu instid0(VALU_DEP_1) | instskip(SKIP_1) | instid1(VALU_DEP_1)
	v_add3_u32 v59, v59, v95, v93
	v_mul_i32_i24_e32 v93, v101, v238
	v_add3_u32 v48, v52, v93, v48
	v_bfe_i32 v52, v29, 0, 8
	v_ashrrev_i32_e32 v93, 24, v29
	s_delay_alu instid0(VALU_DEP_3) | instskip(NEXT) | instid1(VALU_DEP_3)
	v_add3_u32 v36, v48, v54, v36
	v_mul_i32_i24_e32 v94, v52, v38
	s_delay_alu instid0(VALU_DEP_3)
	v_mul_i32_i24_e32 v95, v93, v50
	v_bfe_i32 v48, v29, 8, 8
	v_bfe_i32 v29, v29, 16, 8
	v_mul_i32_i24_e32 v38, v232, v38
	v_mul_i32_i24_e32 v50, v24, v50
	v_add3_u32 v55, v55, v95, v94
	v_mul_i32_i24_e32 v94, v52, v73
	v_mul_i32_i24_e32 v95, v93, v76
	;; [unrolled: 1-line block ×4, first 2 shown]
	s_delay_alu instid0(VALU_DEP_3) | instskip(SKIP_2) | instid1(VALU_DEP_4)
	v_add3_u32 v61, v61, v95, v94
	v_mul_i32_i24_e32 v94, v52, v77
	v_mul_i32_i24_e32 v95, v93, v79
	v_add3_u32 v4, v4, v38, v5
	v_mul_i32_i24_e32 v5, v232, v73
	v_mul_i32_i24_e32 v38, v46, v67
	s_delay_alu instid0(VALU_DEP_4) | instskip(SKIP_1) | instid1(VALU_DEP_3)
	v_add3_u32 v63, v63, v95, v94
	v_mul_i32_i24_e32 v94, v19, v15
	v_add3_u32 v5, v6, v5, v38
	v_mul_i32_i24_e32 v6, v232, v77
	v_mul_i32_i24_e32 v38, v46, v72
	s_delay_alu instid0(VALU_DEP_4) | instskip(SKIP_2) | instid1(VALU_DEP_4)
	v_add3_u32 v74, v74, v75, v94
	v_mul_i32_i24_e32 v75, v21, v14
	v_mul_i32_i24_e32 v77, v92, v26
	v_add3_u32 v0, v0, v6, v38
	v_mul_i32_i24_e32 v6, v64, v28
	s_delay_alu instid0(VALU_DEP_4) | instskip(SKIP_3) | instid1(VALU_DEP_2)
	v_add3_u32 v49, v78, v49, v75
	v_mul_i32_i24_e32 v75, v40, v67
	v_mul_i32_i24_e32 v78, v21, v7
	;; [unrolled: 1-line block ×3, first 2 shown]
	v_add3_u32 v75, v80, v75, v78
	v_mul_i32_i24_e32 v78, v40, v72
	v_mul_i32_i24_e32 v80, v21, v15
	s_delay_alu instid0(VALU_DEP_4)
	v_add3_u32 v6, v9, v38, v6
	v_bfe_i32 v9, v8, 0, 8
	v_bfe_i32 v38, v8, 8, 8
	v_mul_i32_i24_e32 v21, v21, v20
	v_add3_u32 v58, v58, v78, v80
	v_mul_i32_i24_e32 v78, v23, v14
	v_mul_i32_i24_e32 v80, v23, v15
	;; [unrolled: 1-line block ×4, first 2 shown]
	s_delay_alu instid0(VALU_DEP_4) | instskip(SKIP_3) | instid1(VALU_DEP_2)
	v_add3_u32 v47, v60, v47, v78
	v_mul_i32_i24_e32 v60, v13, v67
	v_mul_i32_i24_e32 v78, v23, v7
	;; [unrolled: 1-line block ×3, first 2 shown]
	v_add3_u32 v60, v81, v60, v78
	v_mul_i32_i24_e32 v78, v13, v72
	v_mul_i32_i24_e32 v81, v27, v7
	;; [unrolled: 1-line block ×3, first 2 shown]
	s_delay_alu instid0(VALU_DEP_3) | instskip(SKIP_2) | instid1(VALU_DEP_4)
	v_add3_u32 v78, v82, v78, v80
	v_mul_i32_i24_e32 v80, v25, v14
	v_mul_i32_i24_e32 v82, v27, v15
	v_add3_u32 v1, v1, v13, v23
	v_bfe_i32 v13, v12, 16, 8
	v_ashrrev_i32_e32 v12, 24, v12
	v_add3_u32 v42, v53, v42, v80
	v_mul_i32_i24_e32 v53, v41, v67
	v_mul_i32_i24_e32 v80, v25, v7
	;; [unrolled: 1-line block ×3, first 2 shown]
	s_delay_alu instid0(VALU_DEP_2) | instskip(SKIP_4) | instid1(VALU_DEP_3)
	v_add3_u32 v53, v66, v53, v80
	v_mul_i32_i24_e32 v66, v41, v72
	v_mul_i32_i24_e32 v80, v25, v15
	;; [unrolled: 1-line block ×4, first 2 shown]
	v_add3_u32 v66, v84, v66, v80
	v_mul_i32_i24_e32 v80, v27, v14
	s_delay_alu instid0(VALU_DEP_3)
	v_add3_u32 v17, v17, v41, v25
	v_bfe_i32 v25, v16, 16, 8
	v_ashrrev_i32_e32 v16, 24, v16
	v_mul_i32_i24_e32 v27, v27, v20
	v_add3_u32 v62, v87, v62, v80
	v_mul_i32_i24_e32 v80, v51, v67
	v_mul_i32_i24_e32 v41, v25, v197
	s_delay_alu instid0(VALU_DEP_2) | instskip(SKIP_1) | instid1(VALU_DEP_1)
	v_add3_u32 v80, v88, v80, v81
	v_mul_i32_i24_e32 v81, v51, v72
	v_add3_u32 v81, v89, v81, v82
	v_mul_i32_i24_e32 v82, v30, v14
	s_delay_alu instid0(VALU_DEP_1) | instskip(SKIP_2) | instid1(VALU_DEP_1)
	v_add3_u32 v44, v56, v44, v82
	v_mul_i32_i24_e32 v56, v43, v67
	v_mul_i32_i24_e32 v82, v30, v7
	v_add3_u32 v56, v57, v56, v82
	v_mul_i32_i24_e32 v57, v43, v72
	v_mul_i32_i24_e32 v82, v30, v15
	;; [unrolled: 1-line block ×4, first 2 shown]
	s_delay_alu instid0(VALU_DEP_3) | instskip(SKIP_2) | instid1(VALU_DEP_2)
	v_add3_u32 v57, v59, v57, v82
	v_mul_i32_i24_e32 v59, v29, v14
	v_mul_i32_i24_e32 v14, v22, v14
	v_add3_u32 v54, v55, v54, v59
	v_mul_i32_i24_e32 v59, v29, v7
	s_delay_alu instid0(VALU_DEP_3) | instskip(SKIP_3) | instid1(VALU_DEP_4)
	v_add3_u32 v4, v4, v14, v50
	v_mul_i32_i24_e32 v7, v22, v7
	v_mul_i32_i24_e32 v14, v24, v76
	;; [unrolled: 1-line block ×3, first 2 shown]
	v_cvt_f32_i32_e32 v4, v4
	s_delay_alu instid0(VALU_DEP_3) | instskip(SKIP_2) | instid1(VALU_DEP_4)
	v_add3_u32 v5, v5, v7, v14
	v_mul_i32_i24_e32 v7, v22, v15
	v_mul_i32_i24_e32 v14, v24, v79
	v_fma_mix_f32 v4, v164, v4, v164 op_sel:[0,0,1] op_sel_hi:[1,0,1]
	v_add3_u32 v55, v61, v55, v59
	v_cvt_f32_i32_e32 v5, v5
	v_mul_i32_i24_e32 v59, v48, v72
	v_mul_i32_i24_e32 v61, v29, v15
	v_add_f32_e32 v140, v140, v4
	scratch_load_b32 v4, off, off th:TH_LOAD_LU ; 4-byte Folded Reload
	v_fma_mix_f32 v5, v188, v5, v188 op_sel:[0,0,1] op_sel_hi:[1,0,1]
	v_add3_u32 v0, v0, v7, v14
	v_mul_i32_i24_e32 v7, v19, v20
	v_mul_i32_i24_e32 v14, v45, v37
	v_add3_u32 v59, v63, v59, v61
	v_add_f32_e32 v145, v145, v5
	scratch_load_b32 v5, off, off offset:4 th:TH_LOAD_LU ; 4-byte Folded Reload
	v_mul_i32_i24_e32 v61, v38, v207
	v_add3_u32 v6, v6, v14, v7
	v_bfe_i32 v7, v8, 16, 8
	v_ashrrev_i32_e32 v8, 24, v8
	v_mul_i32_i24_e32 v63, v38, v210
	v_add3_u32 v46, v65, v46, v61
	v_mul_i32_i24_e32 v61, v9, v209
	v_mul_i32_i24_e32 v14, v7, v197
	;; [unrolled: 1-line block ×5, first 2 shown]
	v_add3_u32 v61, v71, v61, v63
	v_mul_i32_i24_e32 v63, v9, v219
	v_add3_u32 v14, v46, v14, v15
	v_mul_i32_i24_e32 v15, v7, v199
	v_mul_i32_i24_e32 v22, v8, v214
	;; [unrolled: 1-line block ×3, first 2 shown]
	v_add3_u32 v63, v74, v63, v64
	v_mul_i32_i24_e32 v64, v83, v28
	v_add3_u32 v15, v61, v15, v19
	v_mul_i32_i24_e32 v19, v7, v213
	v_mul_i32_i24_e32 v38, v18, v38
	;; [unrolled: 1-line block ×3, first 2 shown]
	v_add3_u32 v11, v11, v65, v64
	v_bfe_i32 v64, v10, 0, 8
	v_bfe_i32 v65, v10, 8, 8
	v_add3_u32 v19, v63, v19, v22
	v_mul_i32_i24_e32 v22, v40, v37
	v_add3_u32 v6, v6, v9, v38
	v_mul_i32_i24_e32 v9, v191, v64
	v_mul_i32_i24_e32 v38, v18, v65
	;; [unrolled: 1-line block ×3, first 2 shown]
	v_add3_u32 v11, v11, v22, v21
	v_bfe_i32 v21, v10, 16, 8
	v_ashrrev_i32_e32 v10, 24, v10
	v_cvt_f32_i32_e32 v0, v0
	v_add3_u32 v6, v6, v7, v8
	v_add3_u32 v9, v11, v9, v38
	v_mul_i32_i24_e32 v7, v189, v21
	v_mul_i32_i24_e32 v8, v190, v10
	v_fma_mix_f32 v0, v186, v0, v186 op_sel:[0,0,1] op_sel_hi:[1,0,1]
	v_mul_i32_i24_e32 v67, v64, v208
	v_mul_i32_i24_e32 v68, v65, v207
	;; [unrolled: 1-line block ×3, first 2 shown]
	v_add3_u32 v7, v9, v7, v8
	v_add_f32_e32 v148, v148, v0
	v_cvt_f32_i32_e32 v0, v6
	v_add3_u32 v49, v49, v67, v68
	v_mul_i32_i24_e32 v67, v64, v209
	v_mul_i32_i24_e32 v68, v65, v210
	;; [unrolled: 1-line block ×6, first 2 shown]
	v_add3_u32 v67, v75, v67, v68
	v_mul_i32_i24_e32 v68, v64, v219
	v_add3_u32 v22, v49, v22, v24
	v_mul_i32_i24_e32 v24, v21, v199
	v_mul_i32_i24_e32 v46, v12, v200
	v_mul_i32_i24_e32 v8, v189, v13
	v_add3_u32 v58, v58, v68, v71
	v_mul_i32_i24_e32 v68, v2, v208
	v_mul_i32_i24_e32 v71, v3, v207
	v_add3_u32 v24, v67, v24, v40
	v_mul_i32_i24_e32 v40, v21, v213
	v_mul_i32_i24_e32 v9, v190, v12
	v_mul_i32_i24_e32 v72, v70, v207
	v_add3_u32 v47, v47, v68, v71
	v_mul_i32_i24_e32 v68, v2, v209
	;; [unrolled: 7-line block ×3, first 2 shown]
	v_add3_u32 v23, v47, v23, v45
	v_mul_i32_i24_e32 v45, v13, v199
	v_mul_i32_i24_e32 v71, v3, v220
	v_mul_i32_i24_e32 v3, v18, v3
	v_mul_i32_i24_e32 v47, v12, v214
	v_mul_i32_i24_e32 v29, v48, v37
	v_add3_u32 v45, v60, v45, v46
	v_mul_i32_i24_e32 v46, v13, v213
	v_cvt_f32_i32_e32 v13, v22
	v_add3_u32 v68, v78, v68, v71
	v_mul_i32_i24_e32 v71, v69, v208
	v_cvt_f32_i32_e32 v12, v19
	s_delay_alu instid0(VALU_DEP_4) | instskip(NEXT) | instid1(VALU_DEP_4)
	v_fma_mix_f32 v13, v185, v13, v185 op_sel:[0,0,1] op_sel_hi:[1,0,1]
	v_add3_u32 v46, v68, v46, v47
	s_delay_alu instid0(VALU_DEP_4)
	v_add3_u32 v42, v42, v71, v72
	v_mul_i32_i24_e32 v47, v16, v198
	v_mul_i32_i24_e32 v72, v70, v210
	v_add_f32_e32 v134, v134, v13
	v_mul_i32_i24_e32 v2, v191, v2
	v_fma_mix_f32 v12, v182, v12, v182 op_sel:[0,0,1] op_sel_hi:[1,0,1]
	v_add3_u32 v41, v42, v41, v47
	v_mul_i32_i24_e32 v47, v16, v200
	v_mul_i32_i24_e32 v42, v25, v199
	v_add3_u32 v1, v1, v2, v3
	v_mul_i32_i24_e32 v2, v191, v69
	v_mul_i32_i24_e32 v3, v18, v70
	v_cvt_f32_i32_e32 v19, v41
	v_add_f32_e32 v147, v147, v12
	v_add3_u32 v1, v1, v8, v9
	v_mul_i32_i24_e32 v8, v189, v25
	v_add3_u32 v2, v17, v2, v3
	v_mul_i32_i24_e32 v9, v190, v16
	v_cvt_f32_i32_e32 v16, v23
	v_cvt_f32_i32_e32 v1, v1
	v_fma_mix_f32 v19, v179, v19, v179 op_sel:[0,0,1] op_sel_hi:[1,0,1]
	s_delay_alu instid0(VALU_DEP_4) | instskip(NEXT) | instid1(VALU_DEP_4)
	v_add3_u32 v2, v2, v8, v9
	v_fma_mix_f32 v16, v181, v16, v181 op_sel:[0,0,1] op_sel_hi:[1,0,1]
	s_delay_alu instid0(VALU_DEP_3) | instskip(NEXT) | instid1(VALU_DEP_3)
	v_add_f32_e32 v122, v122, v19
	v_cvt_f32_i32_e32 v2, v2
	s_delay_alu instid0(VALU_DEP_3) | instskip(SKIP_1) | instid1(VALU_DEP_1)
	v_add_f32_e32 v128, v128, v16
	v_mul_i32_i24_e32 v71, v69, v209
	v_add3_u32 v53, v53, v71, v72
	v_mul_i32_i24_e32 v71, v69, v219
	v_mul_i32_i24_e32 v72, v70, v220
	s_delay_alu instid0(VALU_DEP_3) | instskip(SKIP_1) | instid1(VALU_DEP_3)
	v_add3_u32 v42, v53, v42, v47
	v_mul_i32_i24_e32 v47, v25, v213
	v_add3_u32 v66, v66, v71, v72
	v_mul_i32_i24_e32 v71, v85, v28
	v_mul_i32_i24_e32 v72, v90, v26
	;; [unrolled: 1-line block ×3, first 2 shown]
	s_delay_alu instid0(VALU_DEP_4) | instskip(SKIP_1) | instid1(VALU_DEP_4)
	v_add3_u32 v47, v66, v47, v49
	v_mul_i32_i24_e32 v49, v51, v37
	v_add3_u32 v32, v32, v72, v71
	v_bfe_i32 v71, v31, 0, 8
	v_bfe_i32 v72, v31, 8, 8
	v_cvt_f32_i32_e32 v21, v47
	s_delay_alu instid0(VALU_DEP_4) | instskip(NEXT) | instid1(VALU_DEP_4)
	v_add3_u32 v27, v32, v49, v27
	v_mul_i32_i24_e32 v73, v71, v208
	s_delay_alu instid0(VALU_DEP_4)
	v_mul_i32_i24_e32 v74, v72, v207
	v_mul_i32_i24_e32 v75, v72, v220
	v_bfe_i32 v32, v31, 16, 8
	v_ashrrev_i32_e32 v31, 24, v31
	v_mul_i32_i24_e32 v3, v191, v71
	v_add3_u32 v62, v62, v73, v74
	v_mul_i32_i24_e32 v73, v71, v209
	v_mul_i32_i24_e32 v74, v72, v210
	;; [unrolled: 1-line block ×6, first 2 shown]
	v_add3_u32 v73, v80, v73, v74
	v_mul_i32_i24_e32 v74, v71, v219
	v_add3_u32 v3, v27, v3, v11
	v_mul_i32_i24_e32 v50, v31, v198
	v_mul_i32_i24_e32 v51, v31, v200
	;; [unrolled: 1-line block ×3, first 2 shown]
	v_add3_u32 v74, v81, v74, v75
	v_mul_i32_i24_e32 v75, v91, v28
	v_mul_i32_i24_e32 v28, v52, v28
	v_bfe_i32 v52, v35, 8, 8
	v_add3_u32 v3, v3, v8, v9
	v_add3_u32 v49, v62, v49, v50
	;; [unrolled: 1-line block ×3, first 2 shown]
	v_bfe_i32 v75, v33, 0, 8
	v_bfe_i32 v77, v33, 8, 8
	v_add3_u32 v26, v36, v26, v28
	v_bfe_i32 v28, v35, 0, 8
	v_add3_u32 v30, v34, v43, v30
	v_bfe_i32 v34, v33, 16, 8
	v_ashrrev_i32_e32 v33, 24, v33
	v_mul_i32_i24_e32 v11, v191, v75
	v_mul_i32_i24_e32 v17, v18, v77
	v_add3_u32 v20, v26, v29, v20
	v_bfe_i32 v26, v35, 16, 8
	v_ashrrev_i32_e32 v29, 24, v35
	v_mul_i32_i24_e32 v18, v18, v52
	v_add3_u32 v11, v30, v11, v17
	v_mul_i32_i24_e32 v17, v191, v28
	v_mul_i32_i24_e32 v8, v189, v34
	;; [unrolled: 1-line block ×5, first 2 shown]
	v_add3_u32 v17, v20, v17, v18
	v_cvt_f32_i32_e32 v18, v46
	v_add3_u32 v8, v11, v8, v9
	v_mul_i32_i24_e32 v9, v189, v26
	v_mul_i32_i24_e32 v50, v32, v199
	;; [unrolled: 1-line block ×3, first 2 shown]
	v_fma_mix_f32 v18, v176, v18, v176 op_sel:[0,0,1] op_sel_hi:[1,0,1]
	v_mul_i32_i24_e32 v35, v26, v197
	v_add3_u32 v9, v17, v9, v10
	v_cvt_f32_i32_e32 v10, v39
	v_add3_u32 v50, v73, v50, v51
	v_add_f32_e32 v144, v144, v18
	v_mul_i32_i24_e32 v51, v32, v213
	v_mul_i32_i24_e32 v37, v29, v198
	v_fma_mix_f32 v10, v165, v10, v165 op_sel:[0,0,1] op_sel_hi:[1,0,1]
	v_mul_i32_i24_e32 v48, v29, v214
	v_cvt_f32_i32_e32 v3, v3
	v_add3_u32 v51, v74, v51, v53
	v_mul_i32_i24_e32 v53, v33, v198
	v_add_f32_e32 v161, v161, v10
	v_cvt_f32_i32_e32 v10, v14
	v_cvt_f32_i32_e32 v11, v15
	v_cvt_f32_i32_e32 v14, v24
	v_cvt_f32_i32_e32 v15, v40
	v_cvt_f32_i32_e32 v17, v45
	v_fma_mix_f32 v10, v187, v10, v187 op_sel:[0,0,1] op_sel_hi:[1,0,1]
	v_cvt_f32_i32_e32 v20, v42
	v_cvt_f32_i32_e32 v22, v49
	;; [unrolled: 1-line block ×4, first 2 shown]
	v_add_f32_e32 v137, v137, v10
	v_mul_i32_i24_e32 v78, v75, v208
	v_mul_i32_i24_e32 v36, v28, v208
	v_cvt_f32_i32_e32 v6, v9
	v_fma_mix_f32 v11, v184, v11, v184 op_sel:[0,0,1] op_sel_hi:[1,0,1]
	v_fma_mix_f32 v14, v183, v14, v183 op_sel:[0,0,1] op_sel_hi:[1,0,1]
	v_add3_u32 v44, v44, v78, v80
	v_mul_i32_i24_e32 v78, v75, v209
	v_mul_i32_i24_e32 v80, v77, v210
	v_fma_mix_f32 v15, v180, v15, v180 op_sel:[0,0,1] op_sel_hi:[1,0,1]
	v_fma_mix_f32 v17, v178, v17, v178 op_sel:[0,0,1] op_sel_hi:[1,0,1]
	v_add3_u32 v43, v44, v43, v53
	v_mul_i32_i24_e32 v44, v34, v199
	v_add3_u32 v56, v56, v78, v80
	v_mul_i32_i24_e32 v78, v75, v219
	v_mul_i32_i24_e32 v80, v77, v220
	;; [unrolled: 1-line block ×3, first 2 shown]
	v_cvt_f32_i32_e32 v25, v43
	v_fma_mix_f32 v20, v177, v20, v177 op_sel:[0,0,1] op_sel_hi:[1,0,1]
	v_fma_mix_f32 v21, v171, v21, v171 op_sel:[0,0,1] op_sel_hi:[1,0,1]
	v_add3_u32 v57, v57, v78, v80
	v_mul_i32_i24_e32 v78, v52, v207
	v_add3_u32 v44, v56, v44, v53
	v_mul_i32_i24_e32 v53, v34, v213
	v_mul_i32_i24_e32 v56, v33, v214
	v_fma_mix_f32 v22, v172, v22, v172 op_sel:[0,0,1] op_sel_hi:[1,0,1]
	v_add3_u32 v36, v54, v36, v78
	v_mul_i32_i24_e32 v54, v28, v209
	v_mul_i32_i24_e32 v78, v52, v210
	v_add3_u32 v53, v57, v53, v56
	v_fma_mix_f32 v23, v170, v23, v170 op_sel:[0,0,1] op_sel_hi:[1,0,1]
	v_add3_u32 v35, v36, v35, v37
	v_mul_i32_i24_e32 v36, v26, v199
	v_add3_u32 v54, v55, v54, v78
	v_mul_i32_i24_e32 v55, v28, v219
	v_mul_i32_i24_e32 v78, v52, v220
	;; [unrolled: 1-line block ×3, first 2 shown]
	v_cvt_f32_i32_e32 v27, v53
	v_cvt_f32_i32_e32 v28, v35
	v_fma_mix_f32 v24, v169, v24, v169 op_sel:[0,0,1] op_sel_hi:[1,0,1]
	v_add3_u32 v55, v59, v55, v78
	v_add3_u32 v36, v54, v36, v37
	v_mul_i32_i24_e32 v37, v26, v213
	v_cvt_f32_i32_e32 v26, v44
	v_fma_mix_f32 v25, v173, v25, v173 op_sel:[0,0,1] op_sel_hi:[1,0,1]
	v_fma_mix_f32 v27, v175, v27, v175 op_sel:[0,0,1] op_sel_hi:[1,0,1]
	v_cvt_f32_i32_e32 v29, v36
	v_add3_u32 v37, v55, v37, v48
	v_fma_mix_f32 v26, v174, v26, v174 op_sel:[0,0,1] op_sel_hi:[1,0,1]
	v_fma_mix_f32 v28, v166, v28, v166 op_sel:[0,0,1] op_sel_hi:[1,0,1]
	v_add_f32_e32 v143, v143, v11
	v_fma_mix_f32 v29, v167, v29, v167 op_sel:[0,0,1] op_sel_hi:[1,0,1]
	v_cvt_f32_i32_e32 v30, v37
	v_dual_add_f32 v141, v141, v14 :: v_dual_add_f32 v146, v146, v15
	v_dual_add_f32 v138, v138, v17 :: v_dual_add_f32 v135, v135, v20
	s_delay_alu instid0(VALU_DEP_3)
	v_fma_mix_f32 v30, v168, v30, v168 op_sel:[0,0,1] op_sel_hi:[1,0,1]
	v_add_f32_e32 v142, v142, v21
	v_add_f32_e32 v116, v116, v22
	v_dual_add_f32 v130, v130, v23 :: v_dual_add_f32 v139, v139, v24
	v_dual_add_f32 v111, v111, v25 :: v_dual_add_f32 v124, v124, v26
	;; [unrolled: 1-line block ×3, first 2 shown]
	v_add_f32_e32 v118, v118, v29
	v_add_f32_e32 v132, v132, v30
	s_wait_loadcnt 0x1
	v_fma_mix_f32 v0, v4, v0, v4 op_sel:[0,0,1] op_sel_hi:[1,0,1]
	v_cvt_f32_i32_e32 v4, v7
	scratch_load_b32 v7, off, off offset:20 th:TH_LOAD_LU ; 4-byte Folded Reload
	v_add_f32_e32 v126, v126, v0
	s_wait_loadcnt 0x1
	v_fma_mix_f32 v4, v5, v4, v5 op_sel:[0,0,1] op_sel_hi:[1,0,1]
	scratch_load_b32 v5, off, off offset:8 th:TH_LOAD_LU ; 4-byte Folded Reload
	v_add_f32_e32 v120, v120, v4
	s_wait_loadcnt 0x1
	v_fma_mix_f32 v6, v7, v6, v7 op_sel:[0,0,1] op_sel_hi:[1,0,1]
	s_delay_alu instid0(VALU_DEP_1)
	v_add_f32_e32 v98, v98, v6
	s_wait_loadcnt 0x0
	v_fma_mix_f32 v1, v5, v1, v5 op_sel:[0,0,1] op_sel_hi:[1,0,1]
	scratch_load_b32 v5, off, off offset:12 th:TH_LOAD_LU ; 4-byte Folded Reload
	v_add_f32_e32 v114, v114, v1
	s_wait_loadcnt 0x0
	v_fma_mix_f32 v2, v5, v2, v5 op_sel:[0,0,1] op_sel_hi:[1,0,1]
	scratch_load_b32 v5, off, off offset:16 th:TH_LOAD_LU ; 4-byte Folded Reload
	v_add_f32_e32 v110, v110, v2
	s_wait_loadcnt 0x0
	v_fma_mix_f32 v3, v5, v3, v5 op_sel:[0,0,1] op_sel_hi:[1,0,1]
	v_cvt_f32_i32_e32 v5, v8
	s_delay_alu instid0(VALU_DEP_2) | instskip(NEXT) | instid1(VALU_DEP_2)
	v_add_f32_e32 v105, v105, v3
	v_fma_mix_f32 v5, v163, v5, v163 op_sel:[0,0,1] op_sel_hi:[1,0,1]
	s_delay_alu instid0(VALU_DEP_1)
	v_add_f32_e32 v102, v102, v5
	s_cbranch_scc1 .LBB139_9
; %bb.10:                               ;   in Loop: Header=BB139_7 Depth=1
	s_and_b32 s12, s5, -4
	s_wait_storecnt 0x0
	s_wait_alu 0xfffe
	s_cmp_eq_u32 s12, 4
	s_barrier_signal -1
	s_barrier_wait -1
	global_inv scope:SCOPE_SE
	s_cbranch_scc1 .LBB139_5
; %bb.11:                               ;   in Loop: Header=BB139_7 Depth=1
	s_clause 0x5
	scratch_load_b32 v0, off, off offset:256
	scratch_load_b32 v1, off, off offset:32
	scratch_load_b32 v2, off, off offset:36
	scratch_load_b32 v3, off, off offset:40
	scratch_load_b32 v4, off, off offset:44
	scratch_load_b64 v[18:19], off, off offset:64
	s_mov_b32 s12, 12
	s_wait_loadcnt 0x5
	v_add_nc_u32_e32 v0, s10, v0
	s_wait_loadcnt 0x4
	s_delay_alu instid0(VALU_DEP_1)
	v_add_nc_u32_e32 v1, v0, v1
	s_wait_loadcnt 0x3
	v_add_nc_u32_e32 v2, v0, v2
	s_wait_loadcnt 0x1
	v_add_nc_u32_e32 v10, v0, v4
	v_add_nc_u32_e32 v3, v0, v3
	s_wait_loadcnt 0x0
	v_mad_co_i64_i32 v[4:5], null, v1, 36, v[18:19]
	scratch_load_b32 v1, off, off offset:48 ; 4-byte Folded Reload
	v_mad_co_i64_i32 v[6:7], null, v2, 36, v[18:19]
	scratch_load_b32 v2, off, off offset:60 ; 4-byte Folded Reload
	;; [unrolled: 2-line block ×3, first 2 shown]
	v_mad_co_i64_i32 v[10:11], null, v10, 36, v[18:19]
	s_wait_loadcnt 0x2
	v_add_nc_u32_e32 v1, v0, v1
	s_delay_alu instid0(VALU_DEP_1) | instskip(SKIP_3) | instid1(VALU_DEP_1)
	v_mad_co_i64_i32 v[12:13], null, v1, 36, v[18:19]
	scratch_load_b32 v1, off, off offset:52 ; 4-byte Folded Reload
	s_wait_loadcnt 0x2
	v_add_nc_u32_e32 v2, v0, v2
	v_mad_co_i64_i32 v[14:15], null, v2, 36, v[18:19]
	scratch_load_b32 v2, off, off offset:112 th:TH_LOAD_LU ; 4-byte Folded Reload
	s_wait_loadcnt 0x1
	v_add_nc_u32_e32 v1, v0, v1
	v_add_nc_u32_e32 v0, v0, v3
	s_delay_alu instid0(VALU_DEP_2) | instskip(NEXT) | instid1(VALU_DEP_2)
	v_mad_co_i64_i32 v[16:17], null, v1, 36, v[18:19]
	v_mad_co_i64_i32 v[18:19], null, v0, 36, v[18:19]
	s_wait_loadcnt 0x0
	v_add_nc_u32_e32 v2, 4, v2
	s_delay_alu instid0(VALU_DEP_1)
	v_mad_co_u64_u32 v[20:21], null, v2, 36, s[2:3]
	s_clause 0x8
	global_load_b32 v0, v[14:15], off offset:4
	global_load_b32 v1, v[4:5], off offset:4
	;; [unrolled: 1-line block ×8, first 2 shown]
	global_load_b32 v8, v[20:21], off
	s_clause 0x2
	scratch_load_b32 v53, off, off offset:72
	scratch_load_b32 v54, off, off offset:76
	scratch_load_b32 v9, off, off offset:24
	s_wait_loadcnt 0x0
	v_mad_u32_u24 v150, 0x84, v9, 64
	s_clause 0x4
	scratch_load_b32 v156, off, off offset:272
	scratch_load_b32 v56, off, off offset:268
	scratch_load_b32 v57, off, off offset:264
	scratch_load_b32 v149, off, off offset:260
	scratch_load_b32 v9, off, off offset:108
	s_wait_loadcnt 0x0
	ds_store_b32 v9, v0
	scratch_load_b32 v0, off, off offset:80 ; 4-byte Folded Reload
	s_wait_loadcnt 0x0
	ds_store_b32 v0, v1
	scratch_load_b32 v0, off, off offset:84 ; 4-byte Folded Reload
	;; [unrolled: 3-line block ×8, first 2 shown]
	s_wait_loadcnt 0x0
	ds_store_b32 v0, v8
	s_wait_dscnt 0x0
	s_barrier_signal -1
	s_barrier_wait -1
	global_inv scope:SCOPE_SE
.LBB139_12:                             ;   Parent Loop BB139_7 Depth=1
                                        ; =>  This Inner Loop Header: Depth=2
	ds_load_2addr_b32 v[4:5], v53 offset1:32
	ds_load_b32 v9, v156
	ds_load_b32 v8, v56
	;; [unrolled: 1-line block ×4, first 2 shown]
	ds_load_2addr_b32 v[21:22], v54 offset0:5 offset1:6
	ds_load_2addr_b32 v[25:26], v150 offset1:1
	ds_load_2addr_b32 v[17:18], v150 offset0:2 offset1:3
	ds_load_2addr_b32 v[19:20], v54 offset0:4 offset1:7
	ds_load_2addr_b32 v[23:24], v54 offset1:3
	ds_load_2addr_b32 v[27:28], v54 offset0:1 offset1:2
	v_add_nc_u32_e32 v237, 0x400, v54
	v_add_nc_u32_e32 v238, 0x800, v54
	;; [unrolled: 1-line block ×11, first 2 shown]
	s_wait_dscnt 0x9
	v_pk_mul_f16 v2, v4, v9
	s_wait_dscnt 0x8
	v_pk_mul_f16 v151, v4, v8
	;; [unrolled: 2-line block ×4, first 2 shown]
	v_pk_mul_f16 v0, v9, v5
	v_pk_mul_f16 v181, v8, v5
	;; [unrolled: 1-line block ×4, first 2 shown]
	ds_load_2addr_b32 v[4:5], v53 offset0:64 offset1:96
	scratch_store_b32 off, v0, off          ; 4-byte Folded Spill
	s_wait_dscnt 0x3
	v_bfe_i32 v233, v19, 16, 8
	v_bfe_u32 v229, v25, 20, 4
	v_bfe_u32 v183, v25, 16, 4
	s_wait_dscnt 0x1
	v_bfe_i32 v224, v27, 16, 8
	v_bfe_u32 v219, v26, 16, 4
	v_bfe_i32 v212, v21, 16, 8
	v_bfe_u32 v209, v26, 20, 4
	v_lshrrev_b32_e32 v231, 28, v25
	v_ashrrev_i32_e32 v234, 24, v19
	v_bfe_u32 v184, v25, 24, 4
	v_bfe_u32 v226, v26, 24, 4
	v_lshrrev_b32_e32 v216, 28, v26
	v_ashrrev_i32_e32 v225, 24, v27
	v_ashrrev_i32_e32 v213, 24, v21
	v_bfe_i32 v29, v19, 0, 8
	v_bfe_u32 v235, v25, 4, 4
	v_bfe_i32 v10, v23, 0, 8
	v_and_b32_e32 v185, 15, v25
	s_wait_dscnt 0x0
	v_pk_mul_f16 v0, v9, v4
	v_pk_mul_f16 v179, v8, v4
	;; [unrolled: 1-line block ×5, first 2 shown]
	scratch_store_b32 off, v0, off offset:4 ; 4-byte Folded Spill
	v_pk_mul_f16 v0, v9, v5
	v_pk_mul_f16 v172, v7, v5
	;; [unrolled: 1-line block ×3, first 2 shown]
	ds_load_2addr_b32 v[4:5], v53 offset0:128 offset1:160
	v_bfe_i32 v230, v27, 0, 8
	scratch_store_b32 off, v0, off offset:8 ; 4-byte Folded Spill
	v_and_b32_e32 v221, 15, v26
	v_bfe_i32 v220, v21, 0, 8
	v_bfe_u32 v217, v26, 4, 4
	v_bfe_u32 v206, v17, 24, 4
	v_lshrrev_b32_e32 v189, 28, v17
	v_ashrrev_i32_e32 v204, 24, v28
	v_ashrrev_i32_e32 v187, 24, v22
	v_mul_i32_i24_e32 v11, v220, v217
	v_bfe_i32 v205, v28, 16, 8
	v_bfe_u32 v200, v17, 16, 4
	v_bfe_i32 v188, v22, 16, 8
	v_bfe_u32 v186, v17, 20, 4
	v_bfe_i32 v210, v28, 0, 8
	v_and_b32_e32 v201, 15, v17
	v_bfe_i32 v199, v22, 0, 8
	v_bfe_u32 v194, v17, 4, 4
	v_lshrrev_b16 v19, 8, v19
	s_wait_dscnt 0x0
	v_pk_mul_f16 v0, v9, v4
	v_pk_mul_f16 v173, v8, v4
	v_pk_mul_f16 v171, v7, v4
	v_pk_mul_f16 v165, v6, v4
	v_pk_mul_f16 v166, v8, v5
	scratch_store_b32 off, v0, off offset:12 ; 4-byte Folded Spill
	v_pk_mul_f16 v0, v9, v5
	v_pk_mul_f16 v164, v7, v5
	;; [unrolled: 1-line block ×3, first 2 shown]
	ds_load_2addr_b32 v[4:5], v53 offset0:192 offset1:224
	v_bfe_i32 v19, v19, 0, 8
	scratch_store_b32 off, v0, off offset:16 ; 4-byte Folded Spill
	v_bfe_i32 v227, v24, 16, 8
	v_bfe_u32 v222, v18, 16, 4
	v_bfe_u32 v232, v18, 24, 4
	v_lshrrev_b32_e32 v214, 28, v18
	v_ashrrev_i32_e32 v228, 24, v24
	v_ashrrev_i32_e32 v211, 24, v20
	v_mul_i32_i24_e32 v119, v227, v222
	v_bfe_i32 v236, v24, 0, 8
	v_and_b32_e32 v223, 15, v18
	v_bfe_i32 v218, v20, 0, 8
	v_bfe_u32 v215, v18, 4, 4
	v_add_nc_u32_e32 v53, 4, v53
	s_wait_alu 0xfffe
	s_add_co_i32 s12, s12, 4
	s_wait_alu 0xfffe
	s_cmp_lt_u32 s12, 28
	s_wait_dscnt 0x0
	v_pk_mul_f16 v153, v9, v4
	v_pk_mul_f16 v167, v8, v4
	;; [unrolled: 1-line block ×5, first 2 shown]
	v_bfe_i32 v8, v23, 16, 8
	v_mul_i32_i24_e32 v4, v229, v233
	v_pk_mul_f16 v0, v9, v5
	v_pk_mul_f16 v58, v7, v5
	;; [unrolled: 1-line block ×3, first 2 shown]
	v_mul_i32_i24_e32 v5, v224, v219
	v_mad_i32_i24 v4, v183, v8, v4
	v_mul_i32_i24_e32 v6, v212, v209
	v_ashrrev_i32_e32 v9, 24, v23
	v_mul_i32_i24_e32 v7, v213, v216
	scratch_store_b32 off, v0, off offset:20 ; 4-byte Folded Spill
	v_add3_u32 v4, v4, v5, v6
	v_mul_i32_i24_e32 v5, v231, v234
	v_mul_i32_i24_e32 v6, v225, v226
	s_delay_alu instid0(VALU_DEP_2) | instskip(NEXT) | instid1(VALU_DEP_1)
	v_mad_i32_i24 v5, v184, v9, v5
	v_add3_u32 v5, v5, v6, v7
	v_mul_i32_i24_e32 v6, v235, v29
	v_mul_i32_i24_e32 v7, v230, v221
	s_delay_alu instid0(VALU_DEP_2) | instskip(NEXT) | instid1(VALU_DEP_1)
	v_mad_i32_i24 v6, v185, v10, v6
	v_add3_u32 v6, v6, v7, v11
	v_mul_i32_i24_e32 v7, v204, v206
	v_mul_i32_i24_e32 v11, v187, v189
	s_delay_alu instid0(VALU_DEP_1) | instskip(SKIP_2) | instid1(VALU_DEP_1)
	v_add3_u32 v30, v5, v7, v11
	v_mul_i32_i24_e32 v5, v205, v200
	v_mul_i32_i24_e32 v7, v188, v186
	v_add3_u32 v32, v4, v5, v7
	v_mul_i32_i24_e32 v4, v210, v201
	v_mul_i32_i24_e32 v5, v199, v194
	s_delay_alu instid0(VALU_DEP_1) | instskip(SKIP_3) | instid1(VALU_DEP_3)
	v_add3_u32 v31, v6, v4, v5
	v_lshrrev_b16 v4, 8, v23
	v_add_nc_u32_e32 v5, 0x1088, v150
	v_add_nc_u32_e32 v6, 0x2100, v150
	v_bfe_i32 v23, v4, 0, 8
	v_add_nc_u32_e32 v4, 0x1080, v150
	ds_load_2addr_b32 v[36:37], v4 offset1:1
	ds_load_2addr_b32 v[4:5], v5 offset1:1
	;; [unrolled: 1-line block ×3, first 2 shown]
	s_wait_dscnt 0x2
	v_and_b32_e32 v196, 15, v36
	v_bfe_u32 v195, v36, 8, 4
	v_bfe_u32 v190, v36, 16, 4
	;; [unrolled: 1-line block ×3, first 2 shown]
	s_wait_dscnt 0x0
	v_and_b32_e32 v197, 15, v34
	v_mul_i32_i24_e32 v6, v10, v196
	v_bfe_u32 v198, v34, 8, 4
	v_mul_i32_i24_e32 v7, v8, v190
	v_mul_i32_i24_e32 v11, v9, v191
	v_bfe_u32 v192, v34, 16, 4
	v_mad_i32_i24 v6, v23, v195, v6
	v_bfe_u32 v193, v34, 24, 4
	v_bfe_u32 v42, v36, 12, 4
	;; [unrolled: 1-line block ×4, first 2 shown]
	v_add3_u32 v33, v6, v7, v11
	v_mul_i32_i24_e32 v6, v10, v197
	v_mul_i32_i24_e32 v7, v8, v192
	;; [unrolled: 1-line block ×3, first 2 shown]
	v_lshrrev_b32_e32 v62, 28, v36
	v_bfe_u32 v47, v34, 12, 4
	v_mad_i32_i24 v6, v23, v198, v6
	v_bfe_u32 v48, v34, 4, 4
	v_bfe_u32 v65, v34, 20, 4
	v_lshrrev_b32_e32 v66, 28, v34
	v_bfe_u32 v125, v37, 8, 4
	v_add3_u32 v40, v6, v7, v11
	v_add_nc_u32_e32 v6, 0x3180, v150
	v_add_nc_u32_e32 v7, 0x3188, v150
	;; [unrolled: 1-line block ×3, first 2 shown]
	ds_load_2addr_b32 v[45:46], v6 offset1:1
	ds_load_2addr_b32 v[6:7], v7 offset1:1
	;; [unrolled: 1-line block ×3, first 2 shown]
	ds_load_2addr_b32 v[12:13], v237 offset0:4 offset1:7
	ds_load_2addr_b32 v[15:16], v238 offset0:4 offset1:7
	v_bfe_u32 v127, v37, 24, 4
	v_bfe_u32 v157, v35, 8, 4
	;; [unrolled: 1-line block ×3, first 2 shown]
	s_wait_dscnt 0x4
	v_and_b32_e32 v207, 15, v45
	v_bfe_u32 v202, v45, 16, 4
	v_bfe_u32 v203, v45, 24, 4
	;; [unrolled: 1-line block ×3, first 2 shown]
	s_wait_dscnt 0x1
	v_bfe_i32 v59, v12, 8, 8
	v_mul_i32_i24_e32 v10, v10, v207
	v_mul_i32_i24_e32 v8, v8, v202
	;; [unrolled: 1-line block ×3, first 2 shown]
	v_bfe_i32 v60, v12, 0, 8
	v_bfe_i32 v63, v12, 16, 8
	v_mad_i32_i24 v10, v23, v208, v10
	v_ashrrev_i32_e32 v64, 24, v12
	v_bfe_u32 v49, v45, 12, 4
	v_bfe_u32 v50, v45, 4, 4
	;; [unrolled: 1-line block ×3, first 2 shown]
	v_add3_u32 v41, v10, v8, v9
	v_mul_i32_i24_e32 v8, v59, v42
	v_mul_i32_i24_e32 v9, v63, v61
	;; [unrolled: 1-line block ×3, first 2 shown]
	v_lshrrev_b32_e32 v68, 28, v45
	s_wait_dscnt 0x0
	v_bfe_i32 v69, v15, 8, 8
	v_mad_i32_i24 v8, v60, v43, v8
	v_bfe_i32 v70, v15, 0, 8
	v_bfe_i32 v71, v15, 16, 8
	v_ashrrev_i32_e32 v72, 24, v15
	ds_load_2addr_b32 v[14:15], v239 offset0:4 offset1:7
	v_add3_u32 v44, v8, v9, v10
	v_mul_i32_i24_e32 v8, v59, v47
	v_mul_i32_i24_e32 v9, v63, v65
	;; [unrolled: 1-line block ×3, first 2 shown]
	ds_load_2addr_b32 v[11:12], v240 offset0:4 offset1:7
	v_bfe_i32 v129, v38, 8, 8
	v_mad_i32_i24 v8, v60, v48, v8
	v_ashrrev_i32_e32 v131, 24, v38
	v_bfe_u32 v160, v46, 8, 4
	v_bfe_u32 v248, v46, 24, 4
	s_delay_alu instid0(VALU_DEP_4) | instskip(SKIP_3) | instid1(VALU_DEP_3)
	v_add3_u32 v34, v8, v9, v10
	v_mul_i32_i24_e32 v8, v59, v49
	v_mul_i32_i24_e32 v9, v63, v67
	;; [unrolled: 1-line block ×3, first 2 shown]
	v_mad_i32_i24 v8, v60, v50, v8
	s_wait_dscnt 0x1
	v_bfe_i32 v74, v14, 8, 8
	v_bfe_i32 v75, v14, 0, 8
	;; [unrolled: 1-line block ×3, first 2 shown]
	v_add3_u32 v45, v8, v9, v10
	v_mul_i32_i24_e32 v8, v69, v42
	v_mul_i32_i24_e32 v9, v71, v61
	;; [unrolled: 1-line block ×3, first 2 shown]
	v_ashrrev_i32_e32 v77, 24, v14
	s_wait_dscnt 0x0
	v_bfe_i32 v81, v11, 8, 8
	v_mad_i32_i24 v8, v70, v43, v8
	v_bfe_i32 v82, v11, 0, 8
	v_bfe_i32 v83, v11, 16, 8
	v_ashrrev_i32_e32 v84, 24, v11
	s_delay_alu instid0(VALU_DEP_4) | instskip(SKIP_3) | instid1(VALU_DEP_3)
	v_add3_u32 v51, v8, v9, v10
	v_mul_i32_i24_e32 v8, v69, v47
	v_mul_i32_i24_e32 v9, v71, v65
	v_mul_i32_i24_e32 v10, v72, v66
	v_mad_i32_i24 v8, v70, v48, v8
	s_delay_alu instid0(VALU_DEP_1) | instskip(SKIP_3) | instid1(VALU_DEP_3)
	v_add3_u32 v52, v8, v9, v10
	v_mul_i32_i24_e32 v8, v69, v49
	v_mul_i32_i24_e32 v9, v71, v67
	v_mul_i32_i24_e32 v10, v72, v68
	v_mad_i32_i24 v8, v70, v50, v8
	s_delay_alu instid0(VALU_DEP_1) | instskip(SKIP_3) | instid1(VALU_DEP_3)
	;; [unrolled: 6-line block ×7, first 2 shown]
	v_add3_u32 v86, v8, v9, v10
	v_mul_i32_i24_e32 v8, v81, v49
	v_mul_i32_i24_e32 v9, v83, v67
	v_mul_i32_i24_e32 v10, v84, v68
	v_mad_i32_i24 v8, v82, v50, v8
	s_delay_alu instid0(VALU_DEP_1)
	v_add3_u32 v87, v8, v9, v10
	ds_load_2addr_b32 v[10:11], v241 offset0:4 offset1:7
	s_wait_dscnt 0x0
	v_bfe_i32 v88, v10, 8, 8
	v_bfe_i32 v89, v10, 0, 8
	v_bfe_i32 v90, v10, 16, 8
	v_ashrrev_i32_e32 v91, 24, v10
	s_delay_alu instid0(VALU_DEP_4) | instskip(NEXT) | instid1(VALU_DEP_3)
	v_mul_i32_i24_e32 v8, v88, v42
	v_mul_i32_i24_e32 v9, v90, v61
	s_delay_alu instid0(VALU_DEP_3) | instskip(NEXT) | instid1(VALU_DEP_3)
	v_mul_i32_i24_e32 v10, v91, v62
	v_mad_i32_i24 v8, v89, v43, v8
	s_delay_alu instid0(VALU_DEP_1) | instskip(SKIP_3) | instid1(VALU_DEP_3)
	v_add3_u32 v92, v8, v9, v10
	v_mul_i32_i24_e32 v8, v88, v47
	v_mul_i32_i24_e32 v9, v90, v65
	v_mul_i32_i24_e32 v10, v91, v66
	v_mad_i32_i24 v8, v89, v48, v8
	s_delay_alu instid0(VALU_DEP_1) | instskip(SKIP_3) | instid1(VALU_DEP_3)
	v_add3_u32 v93, v8, v9, v10
	v_mul_i32_i24_e32 v8, v88, v49
	v_mul_i32_i24_e32 v9, v90, v67
	v_mul_i32_i24_e32 v10, v91, v68
	v_mad_i32_i24 v8, v89, v50, v8
	s_delay_alu instid0(VALU_DEP_1)
	v_add3_u32 v94, v8, v9, v10
	ds_load_2addr_b32 v[9:10], v242 offset0:4 offset1:7
	s_wait_dscnt 0x0
	v_bfe_i32 v95, v9, 8, 8
	v_bfe_i32 v96, v9, 0, 8
	v_bfe_i32 v97, v9, 16, 8
	v_ashrrev_i32_e32 v99, 24, v9
	s_delay_alu instid0(VALU_DEP_4) | instskip(NEXT) | instid1(VALU_DEP_3)
	v_mul_i32_i24_e32 v8, v95, v42
	v_mul_i32_i24_e32 v9, v97, v61
	s_delay_alu instid0(VALU_DEP_3) | instskip(NEXT) | instid1(VALU_DEP_3)
	v_mul_i32_i24_e32 v14, v99, v62
	v_mad_i32_i24 v8, v96, v43, v8
	s_delay_alu instid0(VALU_DEP_1) | instskip(SKIP_3) | instid1(VALU_DEP_3)
	v_add3_u32 v100, v8, v9, v14
	v_mul_i32_i24_e32 v8, v95, v47
	v_mul_i32_i24_e32 v9, v97, v65
	v_mul_i32_i24_e32 v14, v99, v66
	v_mad_i32_i24 v8, v96, v48, v8
	s_delay_alu instid0(VALU_DEP_1) | instskip(SKIP_3) | instid1(VALU_DEP_3)
	v_add3_u32 v101, v8, v9, v14
	v_mul_i32_i24_e32 v8, v95, v49
	v_mul_i32_i24_e32 v9, v97, v67
	v_mul_i32_i24_e32 v14, v99, v68
	v_mad_i32_i24 v8, v96, v50, v8
	s_delay_alu instid0(VALU_DEP_1)
	v_add3_u32 v103, v8, v9, v14
	ds_load_2addr_b32 v[8:9], v243 offset0:4 offset1:7
	s_wait_dscnt 0x0
	v_bfe_i32 v104, v8, 8, 8
	v_bfe_i32 v106, v8, 0, 8
	v_bfe_i32 v108, v8, 16, 8
	v_ashrrev_i32_e32 v109, 24, v8
	s_delay_alu instid0(VALU_DEP_4) | instskip(NEXT) | instid1(VALU_DEP_3)
	v_mul_i32_i24_e32 v14, v104, v42
	v_mul_i32_i24_e32 v8, v108, v61
	s_delay_alu instid0(VALU_DEP_3) | instskip(NEXT) | instid1(VALU_DEP_3)
	v_mul_i32_i24_e32 v36, v109, v62
	v_mad_i32_i24 v14, v106, v43, v14
	s_delay_alu instid0(VALU_DEP_1) | instskip(SKIP_3) | instid1(VALU_DEP_3)
	v_add3_u32 v112, v14, v8, v36
	v_mul_i32_i24_e32 v8, v104, v47
	v_mul_i32_i24_e32 v14, v108, v65
	v_mul_i32_i24_e32 v36, v109, v66
	v_mad_i32_i24 v8, v106, v48, v8
	s_delay_alu instid0(VALU_DEP_1) | instskip(SKIP_3) | instid1(VALU_DEP_3)
	v_add3_u32 v113, v8, v14, v36
	v_mul_i32_i24_e32 v8, v104, v49
	v_mul_i32_i24_e32 v14, v108, v67
	;; [unrolled: 1-line block ×3, first 2 shown]
	v_mad_i32_i24 v8, v106, v50, v8
	s_delay_alu instid0(VALU_DEP_1) | instskip(SKIP_4) | instid1(VALU_DEP_4)
	v_add3_u32 v115, v8, v14, v36
	v_and_b32_e32 v8, 0xf0f0f0f, v25
	v_lshrrev_b32_e32 v14, 4, v25
	v_and_b32_e32 v25, 0xf0f0f0f, v26
	v_lshrrev_b32_e32 v26, 4, v26
	v_lshrrev_b16 v8, 8, v8
	s_delay_alu instid0(VALU_DEP_4) | instskip(NEXT) | instid1(VALU_DEP_4)
	v_lshrrev_b16 v14, 8, v14
	v_lshrrev_b16 v25, 8, v25
	s_delay_alu instid0(VALU_DEP_4) | instskip(NEXT) | instid1(VALU_DEP_4)
	v_lshrrev_b16 v26, 8, v26
	v_and_b32_e32 v8, 0xffff, v8
	s_delay_alu instid0(VALU_DEP_4) | instskip(NEXT) | instid1(VALU_DEP_4)
	v_and_b32_e32 v14, 15, v14
	v_and_b32_e32 v117, 0xffff, v25
	s_delay_alu instid0(VALU_DEP_4) | instskip(NEXT) | instid1(VALU_DEP_3)
	v_and_b32_e32 v26, 15, v26
	v_and_b32_e32 v25, 0xffff, v14
	v_mul_i32_i24_e32 v14, v8, v23
	v_bfe_i32 v23, v27, 8, 8
	s_delay_alu instid0(VALU_DEP_3) | instskip(SKIP_1) | instid1(VALU_DEP_3)
	v_mul_i32_i24_e32 v36, v25, v19
	v_mul_i32_i24_e32 v59, v25, v59
	;; [unrolled: 1-line block ×7, first 2 shown]
	v_add3_u32 v27, v14, v36, v27
	v_bfe_i32 v36, v20, 16, 8
	v_bfe_u32 v14, v18, 20, 4
	v_mad_i32_i24 v59, v235, v60, v59
	v_mad_i32_i24 v60, v235, v70, v69
	;; [unrolled: 1-line block ×3, first 2 shown]
	v_mul_i32_i24_e32 v95, v25, v95
	v_mul_i32_i24_e32 v121, v36, v14
	v_mad_i32_i24 v69, v235, v75, v74
	v_mad_i32_i24 v74, v235, v89, v88
	v_mul_i32_i24_e32 v25, v25, v104
	v_mad_i32_i24 v75, v235, v96, v95
	v_add3_u32 v246, v32, v119, v121
	v_mul_i32_i24_e32 v32, v228, v232
	v_mul_i32_i24_e32 v119, v211, v214
	v_mad_i32_i24 v25, v235, v106, v25
	v_bfe_u32 v104, v46, 16, 4
	s_delay_alu instid0(VALU_DEP_3) | instskip(SKIP_2) | instid1(VALU_DEP_1)
	v_add3_u32 v119, v30, v32, v119
	v_mul_i32_i24_e32 v30, v236, v223
	v_mul_i32_i24_e32 v32, v218, v215
	v_add3_u32 v247, v31, v30, v32
	v_mul_i32_i24_e32 v30, v29, v43
	v_mul_i32_i24_e32 v31, v19, v42
	s_delay_alu instid0(VALU_DEP_1)
	v_add3_u32 v121, v33, v31, v30
	v_mul_i32_i24_e32 v30, v29, v48
	v_mul_i32_i24_e32 v31, v19, v47
	;; [unrolled: 1-line block ×4, first 2 shown]
	v_add_nc_u32_e32 v33, 0x1404, v54
	v_add_nc_u32_e32 v49, 0x1c04, v54
	v_add3_u32 v123, v40, v31, v30
	v_mul_i32_i24_e32 v30, v131, v127
	v_add3_u32 v19, v41, v19, v29
	v_mul_i32_i24_e32 v29, v129, v125
	v_add_nc_u32_e32 v31, 0xc04, v54
	s_delay_alu instid0(VALU_DEP_2) | instskip(SKIP_2) | instid1(VALU_DEP_1)
	v_add3_u32 v133, v44, v30, v29
	v_mul_i32_i24_e32 v29, v129, v157
	v_mul_i32_i24_e32 v30, v131, v158
	v_add3_u32 v159, v34, v30, v29
	v_mul_i32_i24_e32 v29, v129, v160
	v_mul_i32_i24_e32 v30, v131, v248
	s_delay_alu instid0(VALU_DEP_1)
	v_add3_u32 v249, v45, v30, v29
	v_add_nc_u32_e32 v29, 0x804, v54
	v_add_nc_u32_e32 v30, 0x814, v54
	ds_load_2addr_b32 v[44:45], v29 offset1:1
	ds_load_2addr_b32 v[29:30], v30 offset1:1
	;; [unrolled: 1-line block ×3, first 2 shown]
	s_wait_dscnt 0x2
	v_bfe_i32 v250, v44, 8, 8
	v_ashrrev_i32_e32 v251, 24, v44
	s_wait_dscnt 0x0
	v_bfe_i32 v254, v40, 8, 8
	v_ashrrev_i32_e32 v255, 24, v40
	v_mul_i32_i24_e32 v31, v250, v125
	v_mul_i32_i24_e32 v32, v251, v127
	s_delay_alu instid0(VALU_DEP_1) | instskip(SKIP_2) | instid1(VALU_DEP_1)
	v_add3_u32 v252, v51, v32, v31
	v_mul_i32_i24_e32 v31, v250, v157
	v_mul_i32_i24_e32 v32, v251, v158
	v_add3_u32 v253, v52, v32, v31
	v_mul_i32_i24_e32 v31, v250, v160
	v_mul_i32_i24_e32 v32, v251, v248
	s_delay_alu instid0(VALU_DEP_1) | instskip(SKIP_2) | instid1(VALU_DEP_1)
	v_add3_u32 v73, v73, v32, v31
	v_mul_i32_i24_e32 v31, v254, v125
	v_mul_i32_i24_e32 v32, v255, v127
	v_add3_u32 v78, v78, v32, v31
	;; [unrolled: 7-line block ×3, first 2 shown]
	v_add_nc_u32_e32 v31, 0x1004, v54
	v_add_nc_u32_e32 v32, 0x1014, v54
	ds_load_2addr_b32 v[47:48], v31 offset1:1
	ds_load_2addr_b32 v[31:32], v32 offset1:1
	;; [unrolled: 1-line block ×3, first 2 shown]
	s_wait_dscnt 0x2
	v_bfe_i32 v0, v47, 8, 8
	v_ashrrev_i32_e32 v55, 24, v47
	s_wait_dscnt 0x0
	v_bfe_i32 v1, v42, 8, 8
	v_ashrrev_i32_e32 v152, 24, v42
	v_mul_i32_i24_e32 v33, v0, v125
	v_mul_i32_i24_e32 v34, v55, v127
	s_delay_alu instid0(VALU_DEP_1) | instskip(SKIP_2) | instid1(VALU_DEP_1)
	v_add3_u32 v85, v85, v34, v33
	v_mul_i32_i24_e32 v33, v0, v157
	v_mul_i32_i24_e32 v34, v55, v158
	v_add3_u32 v86, v86, v34, v33
	v_mul_i32_i24_e32 v33, v0, v160
	v_mul_i32_i24_e32 v34, v55, v248
	;; [unrolled: 1-line block ×3, first 2 shown]
	s_delay_alu instid0(VALU_DEP_2) | instskip(SKIP_2) | instid1(VALU_DEP_1)
	v_add3_u32 v87, v87, v34, v33
	v_mul_i32_i24_e32 v33, v1, v125
	v_mul_i32_i24_e32 v34, v152, v127
	v_add3_u32 v92, v92, v34, v33
	v_mul_i32_i24_e32 v33, v1, v157
	v_mul_i32_i24_e32 v34, v152, v158
	s_delay_alu instid0(VALU_DEP_1) | instskip(SKIP_3) | instid1(VALU_DEP_2)
	v_add3_u32 v93, v93, v34, v33
	v_mul_i32_i24_e32 v33, v1, v160
	v_mul_i32_i24_e32 v34, v152, v248
	;; [unrolled: 1-line block ×3, first 2 shown]
	v_add3_u32 v94, v94, v34, v33
	v_add_nc_u32_e32 v33, 0x1804, v54
	v_add_nc_u32_e32 v34, 0x1814, v54
	ds_load_2addr_b32 v[51:52], v33 offset1:1
	ds_load_2addr_b32 v[33:34], v34 offset1:1
	ds_load_2addr_b32 v[49:50], v49 offset1:1
	s_wait_dscnt 0x2
	v_bfe_i32 v154, v51, 8, 8
	v_ashrrev_i32_e32 v155, 24, v51
	s_wait_dscnt 0x0
	v_bfe_i32 v81, v49, 8, 8
	v_ashrrev_i32_e32 v82, 24, v49
	v_mul_i32_i24_e32 v244, v154, v125
	v_mul_i32_i24_e32 v245, v155, v127
	s_delay_alu instid0(VALU_DEP_4) | instskip(NEXT) | instid1(VALU_DEP_4)
	v_mul_i32_i24_e32 v88, v81, v125
	v_mul_i32_i24_e32 v89, v82, v127
	;; [unrolled: 1-line block ×4, first 2 shown]
	v_add3_u32 v100, v100, v245, v244
	v_mul_i32_i24_e32 v244, v154, v157
	v_mul_i32_i24_e32 v245, v155, v158
	v_add3_u32 v88, v112, v89, v88
	v_mul_i32_i24_e32 v89, v81, v157
	s_delay_alu instid0(VALU_DEP_3) | instskip(SKIP_2) | instid1(VALU_DEP_4)
	v_add3_u32 v101, v101, v245, v244
	v_mul_i32_i24_e32 v244, v154, v160
	v_mul_i32_i24_e32 v245, v155, v248
	v_add3_u32 v89, v113, v95, v89
	v_mul_i32_i24_e32 v95, v81, v160
	s_delay_alu instid0(VALU_DEP_3) | instskip(SKIP_2) | instid1(VALU_DEP_4)
	v_add3_u32 v103, v103, v245, v244
	v_bfe_i32 v244, v28, 8, 8
	v_and_b32_e32 v28, 0xf0f0f0f, v17
	v_add3_u32 v95, v115, v96, v95
	v_and_b32_e32 v245, 0xffff, v26
	v_bfe_i32 v96, v21, 8, 8
	v_lshrrev_b32_e32 v17, 4, v17
	v_lshrrev_b16 v28, 8, v28
	s_delay_alu instid0(VALU_DEP_3) | instskip(NEXT) | instid1(VALU_DEP_3)
	v_mul_i32_i24_e32 v26, v96, v245
	v_lshrrev_b16 v17, 8, v17
	s_delay_alu instid0(VALU_DEP_3) | instskip(SKIP_2) | instid1(VALU_DEP_4)
	v_and_b32_e32 v235, 0xffff, v28
	v_mul_i32_i24_e32 v28, v234, v66
	v_bfe_u32 v66, v35, 16, 4
	v_and_b32_e32 v17, 15, v17
	s_delay_alu instid0(VALU_DEP_4) | instskip(NEXT) | instid1(VALU_DEP_1)
	v_mul_i32_i24_e32 v21, v244, v235
	v_add3_u32 v21, v27, v26, v21
	v_mul_i32_i24_e32 v26, v233, v61
	v_mul_i32_i24_e32 v27, v234, v62
	;; [unrolled: 1-line block ×3, first 2 shown]
	v_bfe_u32 v62, v37, 16, 4
	v_and_b32_e32 v68, 15, v46
	s_delay_alu instid0(VALU_DEP_4) | instskip(SKIP_2) | instid1(VALU_DEP_2)
	v_add3_u32 v26, v121, v26, v27
	v_mul_i32_i24_e32 v27, v233, v65
	v_and_b32_e32 v65, 15, v35
	v_add3_u32 v27, v123, v27, v28
	v_mul_i32_i24_e32 v28, v233, v67
	s_delay_alu instid0(VALU_DEP_1) | instskip(SKIP_4) | instid1(VALU_DEP_3)
	v_add3_u32 v28, v19, v28, v61
	v_mul_i32_i24_e32 v19, v229, v63
	v_mul_i32_i24_e32 v61, v231, v64
	v_bfe_i32 v63, v38, 0, 8
	v_bfe_i32 v64, v38, 16, 8
	v_add3_u32 v59, v59, v19, v61
	v_and_b32_e32 v61, 15, v37
	s_delay_alu instid0(VALU_DEP_3) | instskip(SKIP_2) | instid1(VALU_DEP_4)
	v_mul_i32_i24_e32 v38, v64, v62
	v_mul_i32_i24_e32 v67, v64, v66
	;; [unrolled: 1-line block ×4, first 2 shown]
	s_delay_alu instid0(VALU_DEP_1) | instskip(SKIP_2) | instid1(VALU_DEP_2)
	v_add3_u32 v38, v133, v19, v38
	v_mul_i32_i24_e32 v19, v63, v65
	v_lshrrev_b32_e32 v133, 28, v46
	v_add3_u32 v67, v159, v19, v67
	v_mul_i32_i24_e32 v19, v63, v68
	v_ashrrev_i32_e32 v159, 24, v29
	s_delay_alu instid0(VALU_DEP_2) | instskip(SKIP_3) | instid1(VALU_DEP_2)
	v_add3_u32 v106, v249, v19, v106
	v_mul_i32_i24_e32 v19, v229, v71
	v_mul_i32_i24_e32 v71, v231, v72
	v_bfe_i32 v72, v44, 16, 8
	v_add3_u32 v60, v60, v19, v71
	v_bfe_i32 v71, v44, 0, 8
	s_delay_alu instid0(VALU_DEP_3) | instskip(NEXT) | instid1(VALU_DEP_2)
	v_mul_i32_i24_e32 v44, v72, v62
	v_mul_i32_i24_e32 v19, v71, v61
	s_delay_alu instid0(VALU_DEP_1) | instskip(SKIP_2) | instid1(VALU_DEP_1)
	v_add3_u32 v112, v252, v19, v44
	v_mul_i32_i24_e32 v19, v71, v65
	v_mul_i32_i24_e32 v44, v72, v66
	v_add3_u32 v113, v253, v19, v44
	v_mul_i32_i24_e32 v19, v71, v68
	v_mul_i32_i24_e32 v44, v72, v104
	v_mul_i32_i24_e32 v71, v71, v221
	v_mul_i32_i24_e32 v72, v72, v219
	s_delay_alu instid0(VALU_DEP_3) | instskip(SKIP_4) | instid1(VALU_DEP_3)
	v_add3_u32 v73, v73, v19, v44
	v_mul_i32_i24_e32 v19, v229, v76
	v_mul_i32_i24_e32 v44, v231, v77
	v_bfe_i32 v76, v40, 0, 8
	v_bfe_i32 v77, v40, 16, 8
	v_add3_u32 v69, v69, v19, v44
	s_delay_alu instid0(VALU_DEP_3) | instskip(NEXT) | instid1(VALU_DEP_3)
	v_mul_i32_i24_e32 v19, v76, v61
	v_mul_i32_i24_e32 v40, v77, v62
	;; [unrolled: 1-line block ×3, first 2 shown]
	s_delay_alu instid0(VALU_DEP_2) | instskip(SKIP_1) | instid1(VALU_DEP_1)
	v_add3_u32 v40, v78, v19, v40
	v_mul_i32_i24_e32 v19, v76, v65
	v_add3_u32 v78, v79, v19, v44
	v_mul_i32_i24_e32 v19, v76, v68
	v_mul_i32_i24_e32 v44, v77, v104
	;; [unrolled: 1-line block ×4, first 2 shown]
	s_delay_alu instid0(VALU_DEP_3)
	v_add3_u32 v79, v80, v19, v44
	v_mul_i32_i24_e32 v19, v229, v83
	v_mul_i32_i24_e32 v44, v231, v84
	v_bfe_i32 v80, v47, 0, 8
	v_bfe_i32 v83, v47, 16, 8
	v_and_b32_e32 v47, 0xffff, v17
	s_delay_alu instid0(VALU_DEP_4) | instskip(NEXT) | instid1(VALU_DEP_4)
	v_add3_u32 v70, v70, v19, v44
	v_mul_i32_i24_e32 v19, v80, v61
	s_delay_alu instid0(VALU_DEP_4) | instskip(NEXT) | instid1(VALU_DEP_1)
	v_mul_i32_i24_e32 v44, v83, v62
	v_add3_u32 v84, v85, v19, v44
	v_mul_i32_i24_e32 v19, v80, v65
	v_mul_i32_i24_e32 v44, v83, v66
	s_delay_alu instid0(VALU_DEP_1) | instskip(SKIP_4) | instid1(VALU_DEP_3)
	v_add3_u32 v85, v86, v19, v44
	v_mul_i32_i24_e32 v19, v80, v68
	v_mul_i32_i24_e32 v44, v83, v104
	;; [unrolled: 1-line block ×4, first 2 shown]
	v_add3_u32 v86, v87, v19, v44
	v_mul_i32_i24_e32 v19, v229, v90
	v_mul_i32_i24_e32 v44, v231, v91
	v_bfe_i32 v87, v42, 0, 8
	v_bfe_i32 v90, v42, 16, 8
	s_delay_alu instid0(VALU_DEP_3) | instskip(NEXT) | instid1(VALU_DEP_3)
	v_add3_u32 v74, v74, v19, v44
	v_mul_i32_i24_e32 v19, v87, v61
	s_delay_alu instid0(VALU_DEP_3) | instskip(SKIP_1) | instid1(VALU_DEP_2)
	v_mul_i32_i24_e32 v42, v90, v62
	v_bfe_i32 v44, v24, 8, 8
	v_add3_u32 v91, v92, v19, v42
	v_mul_i32_i24_e32 v19, v87, v65
	v_mul_i32_i24_e32 v42, v90, v66
	s_delay_alu instid0(VALU_DEP_1) | instskip(SKIP_2) | instid1(VALU_DEP_1)
	v_add3_u32 v92, v93, v19, v42
	v_mul_i32_i24_e32 v19, v87, v68
	v_mul_i32_i24_e32 v42, v90, v104
	v_add3_u32 v93, v94, v19, v42
	v_mul_i32_i24_e32 v19, v229, v97
	v_mul_i32_i24_e32 v42, v231, v99
	v_bfe_i32 v94, v51, 0, 8
	v_bfe_i32 v51, v51, 16, 8
	s_delay_alu instid0(VALU_DEP_3) | instskip(NEXT) | instid1(VALU_DEP_3)
	v_add3_u32 v75, v75, v19, v42
	v_mul_i32_i24_e32 v19, v94, v61
	s_delay_alu instid0(VALU_DEP_3) | instskip(NEXT) | instid1(VALU_DEP_1)
	v_mul_i32_i24_e32 v42, v51, v62
	v_add3_u32 v97, v100, v19, v42
	v_mul_i32_i24_e32 v19, v94, v65
	v_mul_i32_i24_e32 v42, v51, v66
	s_delay_alu instid0(VALU_DEP_1) | instskip(SKIP_3) | instid1(VALU_DEP_2)
	v_add3_u32 v99, v101, v19, v42
	v_mul_i32_i24_e32 v19, v94, v68
	v_mul_i32_i24_e32 v42, v51, v104
	;; [unrolled: 1-line block ×3, first 2 shown]
	v_add3_u32 v100, v103, v19, v42
	v_mul_i32_i24_e32 v19, v229, v108
	v_mul_i32_i24_e32 v42, v231, v109
	v_bfe_i32 v103, v49, 0, 8
	v_bfe_i32 v49, v49, 16, 8
	v_bfe_u32 v108, v37, 4, 4
	v_lshrrev_b32_e32 v109, 28, v37
	v_add3_u32 v101, v25, v19, v42
	v_mul_i32_i24_e32 v19, v103, v61
	v_mul_i32_i24_e32 v25, v49, v62
	s_delay_alu instid0(VALU_DEP_1) | instskip(SKIP_2) | instid1(VALU_DEP_1)
	v_add3_u32 v88, v88, v19, v25
	v_mul_i32_i24_e32 v19, v103, v65
	v_mul_i32_i24_e32 v25, v49, v66
	v_add3_u32 v89, v89, v19, v25
	v_mul_i32_i24_e32 v19, v103, v68
	v_mul_i32_i24_e32 v25, v49, v104
	;; [unrolled: 1-line block ×3, first 2 shown]
	s_delay_alu instid0(VALU_DEP_2) | instskip(SKIP_3) | instid1(VALU_DEP_2)
	v_add3_u32 v95, v95, v19, v25
	v_bfe_i32 v19, v22, 8, 8
	v_and_b32_e32 v22, 0xf0f0f0f, v18
	v_lshrrev_b32_e32 v18, 4, v18
	v_lshrrev_b16 v22, 8, v22
	s_delay_alu instid0(VALU_DEP_2) | instskip(NEXT) | instid1(VALU_DEP_2)
	v_lshrrev_b16 v18, 8, v18
	v_and_b32_e32 v42, 0xffff, v22
	v_mul_i32_i24_e32 v22, v19, v47
	s_delay_alu instid0(VALU_DEP_3) | instskip(NEXT) | instid1(VALU_DEP_3)
	v_and_b32_e32 v18, 15, v18
	v_mul_i32_i24_e32 v17, v44, v42
	s_delay_alu instid0(VALU_DEP_1) | instskip(SKIP_3) | instid1(VALU_DEP_2)
	v_add3_u32 v17, v21, v22, v17
	v_mul_i32_i24_e32 v21, v230, v61
	v_mul_i32_i24_e32 v22, v23, v125
	v_bfe_u32 v125, v35, 4, 4
	v_add3_u32 v61, v26, v22, v21
	v_mul_i32_i24_e32 v21, v230, v65
	v_mul_i32_i24_e32 v22, v23, v157
	v_bfe_i32 v157, v29, 0, 8
	s_delay_alu instid0(VALU_DEP_2) | instskip(SKIP_2) | instid1(VALU_DEP_1)
	v_add3_u32 v65, v27, v22, v21
	v_mul_i32_i24_e32 v21, v230, v68
	v_mul_i32_i24_e32 v22, v23, v160
	v_add3_u32 v68, v28, v22, v21
	v_mul_i32_i24_e32 v21, v131, v226
	v_mul_i32_i24_e32 v22, v129, v117
	v_lshrrev_b32_e32 v129, 28, v35
	v_bfe_u32 v131, v46, 4, 4
	s_delay_alu instid0(VALU_DEP_3)
	v_add3_u32 v59, v59, v21, v22
	v_add_nc_u32_e32 v21, 0x414, v54
	ds_load_2addr_b32 v[27:28], v21 offset1:1
	s_wait_dscnt 0x0
	v_bfe_i32 v115, v27, 0, 8
	v_ashrrev_i32_e32 v121, 24, v27
	s_delay_alu instid0(VALU_DEP_2) | instskip(NEXT) | instid1(VALU_DEP_2)
	v_mul_i32_i24_e32 v21, v115, v108
	v_mul_i32_i24_e32 v22, v121, v109
	s_delay_alu instid0(VALU_DEP_1) | instskip(SKIP_2) | instid1(VALU_DEP_1)
	v_add3_u32 v123, v38, v22, v21
	v_mul_i32_i24_e32 v21, v115, v125
	v_mul_i32_i24_e32 v22, v121, v129
	v_add3_u32 v67, v67, v22, v21
	v_mul_i32_i24_e32 v21, v115, v131
	v_mul_i32_i24_e32 v22, v121, v133
	s_delay_alu instid0(VALU_DEP_1) | instskip(SKIP_2) | instid1(VALU_DEP_1)
	v_add3_u32 v106, v106, v22, v21
	v_mul_i32_i24_e32 v21, v251, v226
	v_mul_i32_i24_e32 v22, v250, v117
	v_add3_u32 v60, v60, v21, v22
	v_mul_i32_i24_e32 v21, v157, v108
	v_mul_i32_i24_e32 v22, v159, v109
	s_delay_alu instid0(VALU_DEP_3) | instskip(SKIP_1) | instid1(VALU_DEP_3)
	v_add3_u32 v60, v60, v71, v72
	v_bfe_i32 v71, v29, 8, 8
	v_add3_u32 v112, v112, v22, v21
	v_mul_i32_i24_e32 v21, v157, v125
	v_mul_i32_i24_e32 v22, v159, v129
	v_bfe_i32 v29, v29, 16, 8
	s_delay_alu instid0(VALU_DEP_2) | instskip(SKIP_2) | instid1(VALU_DEP_1)
	v_add3_u32 v113, v113, v22, v21
	v_mul_i32_i24_e32 v21, v157, v131
	v_mul_i32_i24_e32 v22, v159, v133
	v_add3_u32 v73, v73, v22, v21
	v_mul_i32_i24_e32 v21, v255, v226
	v_mul_i32_i24_e32 v22, v254, v117
	s_delay_alu instid0(VALU_DEP_1) | instskip(SKIP_1) | instid1(VALU_DEP_2)
	v_add3_u32 v69, v69, v21, v22
	v_add_nc_u32_e32 v21, 0xc14, v54
	v_add3_u32 v69, v69, v76, v77
	ds_load_2addr_b32 v[25:26], v21 offset1:1
	s_wait_dscnt 0x0
	v_bfe_i32 v160, v25, 0, 8
	v_ashrrev_i32_e32 v229, 24, v25
	v_bfe_i32 v76, v25, 8, 8
	v_bfe_i32 v25, v25, 16, 8
	s_delay_alu instid0(VALU_DEP_4) | instskip(NEXT) | instid1(VALU_DEP_4)
	v_mul_i32_i24_e32 v21, v160, v108
	v_mul_i32_i24_e32 v22, v229, v109
	s_delay_alu instid0(VALU_DEP_1) | instskip(SKIP_2) | instid1(VALU_DEP_1)
	v_add3_u32 v230, v40, v22, v21
	v_mul_i32_i24_e32 v21, v160, v125
	v_mul_i32_i24_e32 v22, v229, v129
	v_add3_u32 v78, v78, v22, v21
	v_mul_i32_i24_e32 v21, v160, v131
	v_mul_i32_i24_e32 v22, v229, v133
	s_delay_alu instid0(VALU_DEP_1) | instskip(SKIP_2) | instid1(VALU_DEP_2)
	v_add3_u32 v79, v79, v22, v21
	v_mul_i32_i24_e32 v21, v55, v226
	v_bfe_i32 v55, v31, 0, 8
	v_add3_u32 v0, v70, v21, v0
	v_ashrrev_i32_e32 v70, 24, v31
	s_delay_alu instid0(VALU_DEP_3) | instskip(NEXT) | instid1(VALU_DEP_3)
	v_mul_i32_i24_e32 v21, v55, v108
	v_add3_u32 v0, v0, v80, v83
	s_delay_alu instid0(VALU_DEP_3) | instskip(SKIP_2) | instid1(VALU_DEP_3)
	v_mul_i32_i24_e32 v22, v70, v109
	v_bfe_i32 v80, v31, 8, 8
	v_bfe_i32 v31, v31, 16, 8
	v_add3_u32 v84, v84, v22, v21
	v_mul_i32_i24_e32 v21, v55, v125
	v_mul_i32_i24_e32 v22, v70, v129
	s_delay_alu instid0(VALU_DEP_1) | instskip(SKIP_4) | instid1(VALU_DEP_3)
	v_add3_u32 v85, v85, v22, v21
	v_mul_i32_i24_e32 v21, v55, v131
	v_mul_i32_i24_e32 v22, v70, v133
	;; [unrolled: 1-line block ×4, first 2 shown]
	v_add3_u32 v86, v86, v22, v21
	v_mul_i32_i24_e32 v21, v152, v226
	s_delay_alu instid0(VALU_DEP_3) | instskip(SKIP_2) | instid1(VALU_DEP_4)
	v_add3_u32 v0, v0, v70, v55
	v_bfe_i32 v55, v48, 8, 8
	v_ashrrev_i32_e32 v70, 24, v48
	v_add3_u32 v1, v74, v21, v1
	v_add_nc_u32_e32 v21, 0x1414, v54
	ds_load_2addr_b32 v[23:24], v21 offset1:1
	s_wait_dscnt 0x0
	v_bfe_i32 v74, v23, 0, 8
	v_ashrrev_i32_e32 v152, 24, v23
	s_delay_alu instid0(VALU_DEP_2) | instskip(NEXT) | instid1(VALU_DEP_2)
	v_mul_i32_i24_e32 v21, v74, v108
	v_mul_i32_i24_e32 v22, v152, v109
	s_delay_alu instid0(VALU_DEP_1) | instskip(SKIP_2) | instid1(VALU_DEP_1)
	v_add3_u32 v91, v91, v22, v21
	v_mul_i32_i24_e32 v21, v74, v125
	v_mul_i32_i24_e32 v22, v152, v129
	v_add3_u32 v92, v92, v22, v21
	v_mul_i32_i24_e32 v21, v74, v131
	v_mul_i32_i24_e32 v22, v152, v133
	;; [unrolled: 1-line block ×3, first 2 shown]
	s_delay_alu instid0(VALU_DEP_2) | instskip(SKIP_4) | instid1(VALU_DEP_3)
	v_add3_u32 v93, v93, v22, v21
	v_mul_i32_i24_e32 v21, v155, v226
	v_mul_i32_i24_e32 v22, v154, v117
	v_bfe_i32 v154, v33, 0, 8
	v_ashrrev_i32_e32 v155, 24, v33
	v_add3_u32 v75, v75, v21, v22
	s_delay_alu instid0(VALU_DEP_3) | instskip(NEXT) | instid1(VALU_DEP_3)
	v_mul_i32_i24_e32 v21, v154, v108
	v_mul_i32_i24_e32 v22, v155, v109
	s_delay_alu instid0(VALU_DEP_1) | instskip(SKIP_2) | instid1(VALU_DEP_1)
	v_add3_u32 v97, v97, v22, v21
	v_mul_i32_i24_e32 v21, v154, v125
	v_mul_i32_i24_e32 v22, v155, v129
	v_add3_u32 v99, v99, v22, v21
	v_mul_i32_i24_e32 v21, v154, v131
	v_mul_i32_i24_e32 v22, v155, v133
	s_delay_alu instid0(VALU_DEP_1) | instskip(SKIP_2) | instid1(VALU_DEP_1)
	v_add3_u32 v100, v100, v22, v21
	v_mul_i32_i24_e32 v21, v82, v226
	v_mul_i32_i24_e32 v22, v81, v117
	v_add3_u32 v81, v101, v21, v22
	v_add_nc_u32_e32 v21, 0x1c14, v54
	v_add_nc_u32_e32 v54, 32, v54
	ds_load_2addr_b32 v[21:22], v21 offset1:1
	s_wait_dscnt 0x0
	v_bfe_i32 v82, v21, 0, 8
	v_ashrrev_i32_e32 v101, 24, v21
	s_delay_alu instid0(VALU_DEP_2) | instskip(NEXT) | instid1(VALU_DEP_2)
	v_mul_i32_i24_e32 v38, v82, v108
	v_mul_i32_i24_e32 v40, v101, v109
	;; [unrolled: 1-line block ×3, first 2 shown]
	s_delay_alu instid0(VALU_DEP_2) | instskip(SKIP_2) | instid1(VALU_DEP_1)
	v_add3_u32 v88, v88, v40, v38
	v_mul_i32_i24_e32 v38, v82, v125
	v_mul_i32_i24_e32 v40, v101, v129
	v_add3_u32 v89, v89, v40, v38
	v_mul_i32_i24_e32 v38, v82, v131
	v_mul_i32_i24_e32 v40, v101, v133
	;; [unrolled: 1-line block ×4, first 2 shown]
	s_delay_alu instid0(VALU_DEP_3) | instskip(SKIP_3) | instid1(VALU_DEP_2)
	v_add3_u32 v95, v95, v40, v38
	v_bfe_i32 v40, v20, 8, 8
	v_and_b32_e32 v38, 0xffff, v18
	v_mul_i32_i24_e32 v20, v225, v127
	v_mul_i32_i24_e32 v18, v40, v38
	s_delay_alu instid0(VALU_DEP_1) | instskip(SKIP_2) | instid1(VALU_DEP_2)
	v_add3_u32 v17, v17, v18, v119
	v_mul_i32_i24_e32 v18, v224, v62
	v_mul_i32_i24_e32 v62, v225, v248
	v_add3_u32 v18, v61, v18, v20
	v_mul_i32_i24_e32 v20, v224, v66
	v_mul_i32_i24_e32 v61, v225, v158
	s_delay_alu instid0(VALU_DEP_1) | instskip(SKIP_1) | instid1(VALU_DEP_1)
	v_add3_u32 v20, v65, v20, v61
	v_mul_i32_i24_e32 v61, v224, v104
	v_add3_u32 v61, v68, v61, v62
	v_mul_i32_i24_e32 v62, v63, v221
	v_mul_i32_i24_e32 v63, v64, v219
	s_delay_alu instid0(VALU_DEP_1) | instskip(SKIP_4) | instid1(VALU_DEP_3)
	v_add3_u32 v59, v59, v62, v63
	v_bfe_u32 v62, v37, 20, 4
	v_bfe_u32 v37, v37, 12, 4
	v_bfe_i32 v63, v27, 8, 8
	v_bfe_i32 v27, v27, 16, 8
	v_mul_i32_i24_e32 v72, v71, v37
	s_delay_alu instid0(VALU_DEP_3) | instskip(NEXT) | instid1(VALU_DEP_3)
	v_mul_i32_i24_e32 v64, v63, v37
	v_mul_i32_i24_e32 v65, v27, v62
	;; [unrolled: 1-line block ×4, first 2 shown]
	s_delay_alu instid0(VALU_DEP_3) | instskip(SKIP_2) | instid1(VALU_DEP_2)
	v_add3_u32 v64, v123, v64, v65
	v_bfe_u32 v65, v35, 12, 4
	v_bfe_u32 v35, v35, 20, 4
	v_mul_i32_i24_e32 v66, v63, v65
	s_delay_alu instid0(VALU_DEP_2) | instskip(NEXT) | instid1(VALU_DEP_1)
	v_mul_i32_i24_e32 v68, v27, v35
	v_add3_u32 v66, v67, v66, v68
	v_bfe_u32 v67, v46, 12, 4
	v_bfe_u32 v46, v46, 20, 4
	s_delay_alu instid0(VALU_DEP_2) | instskip(NEXT) | instid1(VALU_DEP_2)
	v_mul_i32_i24_e32 v68, v63, v67
	v_mul_i32_i24_e32 v104, v27, v46
	;; [unrolled: 1-line block ×3, first 2 shown]
	s_delay_alu instid0(VALU_DEP_2) | instskip(SKIP_2) | instid1(VALU_DEP_2)
	v_add3_u32 v68, v106, v68, v104
	v_mul_i32_i24_e32 v104, v29, v62
	v_mul_i32_i24_e32 v106, v29, v35
	v_add3_u32 v72, v112, v72, v104
	v_mul_i32_i24_e32 v104, v71, v65
	v_mul_i32_i24_e32 v112, v29, v46
	;; [unrolled: 1-line block ×3, first 2 shown]
	s_delay_alu instid0(VALU_DEP_3) | instskip(SKIP_2) | instid1(VALU_DEP_2)
	v_add3_u32 v104, v113, v104, v106
	v_mul_i32_i24_e32 v106, v71, v67
	v_mul_i32_i24_e32 v71, v71, v245
	v_add3_u32 v73, v73, v106, v112
	v_mul_i32_i24_e32 v106, v25, v62
	v_mul_i32_i24_e32 v112, v25, v35
	s_delay_alu instid0(VALU_DEP_2) | instskip(SKIP_1) | instid1(VALU_DEP_1)
	v_add3_u32 v77, v230, v77, v106
	v_mul_i32_i24_e32 v106, v76, v65
	v_add3_u32 v78, v78, v106, v112
	v_mul_i32_i24_e32 v106, v76, v67
	v_mul_i32_i24_e32 v112, v25, v46
	;; [unrolled: 1-line block ×4, first 2 shown]
	s_delay_alu instid0(VALU_DEP_3) | instskip(SKIP_1) | instid1(VALU_DEP_1)
	v_add3_u32 v79, v79, v106, v112
	v_mul_i32_i24_e32 v106, v31, v62
	v_add3_u32 v83, v84, v83, v106
	v_mul_i32_i24_e32 v84, v80, v65
	v_mul_i32_i24_e32 v106, v31, v35
	s_delay_alu instid0(VALU_DEP_1) | instskip(SKIP_3) | instid1(VALU_DEP_2)
	v_add3_u32 v84, v85, v84, v106
	v_mul_i32_i24_e32 v85, v80, v67
	v_mul_i32_i24_e32 v106, v31, v46
	v_mul_i32_i24_e32 v31, v31, v209
	v_add3_u32 v85, v86, v85, v106
	v_mul_i32_i24_e32 v86, v87, v221
	v_mul_i32_i24_e32 v87, v90, v219
	s_delay_alu instid0(VALU_DEP_1) | instskip(SKIP_2) | instid1(VALU_DEP_2)
	v_add3_u32 v1, v1, v86, v87
	v_bfe_i32 v86, v23, 8, 8
	v_bfe_i32 v23, v23, 16, 8
	v_mul_i32_i24_e32 v87, v86, v37
	s_delay_alu instid0(VALU_DEP_2) | instskip(NEXT) | instid1(VALU_DEP_1)
	v_mul_i32_i24_e32 v90, v23, v62
	v_add3_u32 v87, v91, v87, v90
	v_mul_i32_i24_e32 v90, v86, v65
	v_mul_i32_i24_e32 v91, v23, v35
	s_delay_alu instid0(VALU_DEP_1) | instskip(SKIP_3) | instid1(VALU_DEP_2)
	v_add3_u32 v90, v92, v90, v91
	v_mul_i32_i24_e32 v91, v86, v67
	v_mul_i32_i24_e32 v92, v23, v46
	;; [unrolled: 1-line block ×3, first 2 shown]
	v_add3_u32 v91, v93, v91, v92
	v_mul_i32_i24_e32 v92, v94, v221
	s_delay_alu instid0(VALU_DEP_1) | instskip(SKIP_2) | instid1(VALU_DEP_2)
	v_add3_u32 v51, v75, v92, v51
	v_bfe_i32 v75, v33, 8, 8
	v_bfe_i32 v92, v33, 16, 8
	v_mul_i32_i24_e32 v33, v75, v37
	s_delay_alu instid0(VALU_DEP_2) | instskip(SKIP_1) | instid1(VALU_DEP_2)
	v_mul_i32_i24_e32 v93, v92, v62
	v_mul_i32_i24_e32 v94, v92, v35
	v_add3_u32 v93, v97, v33, v93
	v_mul_i32_i24_e32 v33, v75, v65
	v_mul_i32_i24_e32 v97, v92, v46
	s_delay_alu instid0(VALU_DEP_2) | instskip(SKIP_2) | instid1(VALU_DEP_2)
	v_add3_u32 v94, v99, v33, v94
	v_mul_i32_i24_e32 v33, v75, v67
	v_mul_i32_i24_e32 v75, v75, v245
	v_add3_u32 v97, v100, v33, v97
	v_mul_i32_i24_e32 v33, v103, v221
	s_delay_alu instid0(VALU_DEP_1) | instskip(SKIP_2) | instid1(VALU_DEP_3)
	v_add3_u32 v49, v81, v33, v49
	v_bfe_i32 v81, v21, 8, 8
	v_bfe_i32 v21, v21, 16, 8
	v_add3_u32 v49, v49, v101, v82
	s_delay_alu instid0(VALU_DEP_3) | instskip(NEXT) | instid1(VALU_DEP_3)
	v_mul_i32_i24_e32 v33, v81, v37
	v_mul_i32_i24_e32 v99, v21, v62
	;; [unrolled: 1-line block ×4, first 2 shown]
	v_bfe_i32 v82, v50, 8, 8
	v_ashrrev_i32_e32 v101, 24, v50
	v_add3_u32 v88, v88, v33, v99
	v_mul_i32_i24_e32 v33, v81, v65
	v_mul_i32_i24_e32 v99, v21, v35
	v_mul_i32_i24_e32 v35, v212, v35
	s_delay_alu instid0(VALU_DEP_2) | instskip(SKIP_4) | instid1(VALU_DEP_3)
	v_add3_u32 v89, v89, v33, v99
	v_mul_i32_i24_e32 v33, v81, v67
	v_mul_i32_i24_e32 v99, v21, v46
	v_mul_i32_i24_e32 v21, v21, v209
	v_mul_i32_i24_e32 v81, v81, v245
	v_add3_u32 v95, v95, v33, v99
	v_add3_u32 v33, v247, v246, v17
	v_mul_i32_i24_e32 v17, v220, v108
	v_ashrrev_i32_e32 v99, 24, v39
	v_add3_u32 v21, v49, v81, v21
	v_bfe_i32 v49, v50, 0, 8
	v_bfe_i32 v50, v50, 16, 8
	v_add3_u32 v37, v18, v17, v37
	v_mul_i32_i24_e32 v17, v220, v125
	v_mul_i32_i24_e32 v18, v96, v65
	v_bfe_u32 v65, v4, 8, 4
	s_delay_alu instid0(VALU_DEP_4) | instskip(SKIP_1) | instid1(VALU_DEP_4)
	v_add3_u32 v37, v37, v62, v109
	v_mul_i32_i24_e32 v62, v213, v129
	v_add3_u32 v20, v20, v17, v18
	v_mul_i32_i24_e32 v17, v220, v131
	v_mul_i32_i24_e32 v18, v96, v67
	v_bfe_u32 v67, v4, 24, 4
	v_bfe_i32 v96, v39, 8, 8
	v_add3_u32 v20, v20, v35, v62
	v_mul_i32_i24_e32 v35, v212, v46
	v_add3_u32 v61, v61, v17, v18
	v_mul_i32_i24_e32 v17, v115, v217
	v_mul_i32_i24_e32 v18, v121, v216
	;; [unrolled: 1-line block ×3, first 2 shown]
	s_delay_alu instid0(VALU_DEP_2) | instskip(SKIP_2) | instid1(VALU_DEP_4)
	v_add3_u32 v59, v59, v18, v17
	v_mul_i32_i24_e32 v17, v96, v65
	v_mul_i32_i24_e32 v18, v99, v67
	v_add3_u32 v35, v61, v35, v46
	v_mul_i32_i24_e32 v46, v63, v245
	v_bfe_u32 v61, v4, 16, 4
	s_delay_alu instid0(VALU_DEP_4) | instskip(SKIP_1) | instid1(VALU_DEP_4)
	v_add3_u32 v64, v64, v18, v17
	v_add_nc_u32_e32 v17, 0x2108, v150
	v_add3_u32 v27, v59, v46, v27
	v_bfe_i32 v46, v39, 0, 8
	v_bfe_i32 v39, v39, 16, 8
	v_and_b32_e32 v59, 15, v4
	ds_load_2addr_b32 v[17:18], v17 offset1:1
	v_add_nc_u32_e32 v150, 16, v150
	v_mul_i32_i24_e32 v63, v39, v61
	v_mul_i32_i24_e32 v62, v46, v59
	v_mul_i32_i24_e32 v81, v49, v59
	s_delay_alu instid0(VALU_DEP_2)
	v_add3_u32 v62, v64, v62, v63
	s_wait_dscnt 0x0
	v_bfe_u32 v100, v17, 8, 4
	v_bfe_u32 v103, v17, 24, 4
	v_and_b32_e32 v63, 15, v17
	v_bfe_u32 v64, v17, 16, 4
	s_delay_alu instid0(VALU_DEP_4) | instskip(NEXT) | instid1(VALU_DEP_4)
	v_mul_i32_i24_e32 v106, v96, v100
	v_mul_i32_i24_e32 v108, v99, v103
	s_delay_alu instid0(VALU_DEP_4) | instskip(NEXT) | instid1(VALU_DEP_2)
	v_mul_i32_i24_e32 v109, v46, v63
	v_add3_u32 v66, v66, v108, v106
	v_bfe_u32 v106, v6, 8, 4
	v_bfe_u32 v108, v6, 24, 4
	s_delay_alu instid0(VALU_DEP_2) | instskip(NEXT) | instid1(VALU_DEP_2)
	v_mul_i32_i24_e32 v112, v96, v106
	v_mul_i32_i24_e32 v113, v99, v108
	s_delay_alu instid0(VALU_DEP_1) | instskip(SKIP_2) | instid1(VALU_DEP_1)
	v_add3_u32 v68, v68, v113, v112
	v_mul_i32_i24_e32 v112, v157, v217
	v_mul_i32_i24_e32 v113, v159, v216
	v_add3_u32 v60, v60, v113, v112
	v_bfe_i32 v112, v45, 8, 8
	v_ashrrev_i32_e32 v113, 24, v45
	s_delay_alu instid0(VALU_DEP_3) | instskip(NEXT) | instid1(VALU_DEP_3)
	v_add3_u32 v29, v60, v71, v29
	v_mul_i32_i24_e32 v115, v112, v65
	s_delay_alu instid0(VALU_DEP_3) | instskip(SKIP_2) | instid1(VALU_DEP_3)
	v_mul_i32_i24_e32 v117, v113, v67
	v_bfe_i32 v60, v45, 0, 8
	v_bfe_i32 v45, v45, 16, 8
	v_add3_u32 v72, v72, v117, v115
	v_mul_i32_i24_e32 v115, v112, v100
	v_mul_i32_i24_e32 v117, v113, v103
	;; [unrolled: 1-line block ×3, first 2 shown]
	s_delay_alu instid0(VALU_DEP_2) | instskip(SKIP_2) | instid1(VALU_DEP_1)
	v_add3_u32 v104, v104, v117, v115
	v_mul_i32_i24_e32 v115, v112, v106
	v_mul_i32_i24_e32 v117, v113, v108
	v_add3_u32 v73, v73, v117, v115
	v_mul_i32_i24_e32 v115, v160, v217
	v_mul_i32_i24_e32 v117, v229, v216
	s_delay_alu instid0(VALU_DEP_1) | instskip(SKIP_2) | instid1(VALU_DEP_3)
	v_add3_u32 v69, v69, v117, v115
	v_bfe_i32 v115, v41, 8, 8
	v_ashrrev_i32_e32 v117, 24, v41
	v_add3_u32 v25, v69, v76, v25
	s_delay_alu instid0(VALU_DEP_3) | instskip(NEXT) | instid1(VALU_DEP_3)
	v_mul_i32_i24_e32 v119, v115, v65
	v_mul_i32_i24_e32 v121, v117, v67
	v_bfe_i32 v69, v41, 0, 8
	v_bfe_i32 v41, v41, 16, 8
	s_delay_alu instid0(VALU_DEP_3) | instskip(SKIP_3) | instid1(VALU_DEP_2)
	v_add3_u32 v77, v77, v121, v119
	v_mul_i32_i24_e32 v119, v115, v100
	v_mul_i32_i24_e32 v121, v117, v103
	;; [unrolled: 1-line block ×3, first 2 shown]
	v_add3_u32 v78, v78, v121, v119
	v_mul_i32_i24_e32 v119, v115, v106
	v_mul_i32_i24_e32 v121, v117, v108
	s_delay_alu instid0(VALU_DEP_1) | instskip(SKIP_2) | instid1(VALU_DEP_1)
	v_add3_u32 v79, v79, v121, v119
	v_mul_i32_i24_e32 v119, v55, v65
	v_mul_i32_i24_e32 v121, v70, v67
	v_add3_u32 v83, v83, v121, v119
	v_mul_i32_i24_e32 v119, v55, v100
	v_mul_i32_i24_e32 v121, v70, v103
	s_delay_alu instid0(VALU_DEP_1) | instskip(SKIP_4) | instid1(VALU_DEP_3)
	v_add3_u32 v84, v84, v121, v119
	v_mul_i32_i24_e32 v119, v55, v106
	v_mul_i32_i24_e32 v121, v70, v108
	v_mul_i32_i24_e32 v70, v70, v206
	v_mul_i32_i24_e32 v55, v55, v235
	v_add3_u32 v85, v85, v121, v119
	v_mul_i32_i24_e32 v119, v152, v216
	s_delay_alu instid0(VALU_DEP_1) | instskip(SKIP_2) | instid1(VALU_DEP_2)
	v_add3_u32 v1, v1, v119, v74
	v_bfe_i32 v74, v43, 8, 8
	v_ashrrev_i32_e32 v119, 24, v43
	v_mul_i32_i24_e32 v121, v74, v65
	s_delay_alu instid0(VALU_DEP_2) | instskip(NEXT) | instid1(VALU_DEP_1)
	v_mul_i32_i24_e32 v123, v119, v67
	v_add3_u32 v87, v87, v123, v121
	v_mul_i32_i24_e32 v121, v74, v100
	v_mul_i32_i24_e32 v123, v119, v103
	s_delay_alu instid0(VALU_DEP_1) | instskip(SKIP_3) | instid1(VALU_DEP_2)
	v_add3_u32 v90, v90, v123, v121
	v_mul_i32_i24_e32 v121, v74, v106
	v_mul_i32_i24_e32 v123, v119, v108
	;; [unrolled: 1-line block ×3, first 2 shown]
	v_add3_u32 v91, v91, v123, v121
	v_mul_i32_i24_e32 v121, v154, v217
	v_mul_i32_i24_e32 v123, v155, v216
	s_delay_alu instid0(VALU_DEP_1) | instskip(SKIP_2) | instid1(VALU_DEP_2)
	v_add3_u32 v51, v51, v123, v121
	v_bfe_i32 v121, v52, 8, 8
	v_ashrrev_i32_e32 v123, 24, v52
	v_mul_i32_i24_e32 v125, v121, v65
	s_delay_alu instid0(VALU_DEP_2) | instskip(NEXT) | instid1(VALU_DEP_1)
	v_mul_i32_i24_e32 v127, v123, v67
	v_add3_u32 v93, v93, v127, v125
	v_mul_i32_i24_e32 v125, v121, v100
	v_mul_i32_i24_e32 v127, v123, v103
	s_delay_alu instid0(VALU_DEP_1) | instskip(SKIP_2) | instid1(VALU_DEP_1)
	v_add3_u32 v94, v94, v127, v125
	v_mul_i32_i24_e32 v125, v121, v106
	v_mul_i32_i24_e32 v127, v123, v108
	v_add3_u32 v97, v97, v127, v125
	v_mul_i32_i24_e32 v125, v82, v65
	v_mul_i32_i24_e32 v127, v101, v67
	;; [unrolled: 1-line block ×4, first 2 shown]
	s_delay_alu instid0(VALU_DEP_3) | instskip(SKIP_2) | instid1(VALU_DEP_1)
	v_add3_u32 v88, v88, v127, v125
	v_mul_i32_i24_e32 v125, v82, v100
	v_mul_i32_i24_e32 v127, v101, v103
	v_add3_u32 v89, v89, v127, v125
	v_mul_i32_i24_e32 v125, v82, v106
	v_mul_i32_i24_e32 v127, v101, v108
	;; [unrolled: 1-line block ×4, first 2 shown]
	s_delay_alu instid0(VALU_DEP_3) | instskip(SKIP_1) | instid1(VALU_DEP_3)
	v_add3_u32 v95, v95, v127, v125
	v_mul_i32_i24_e32 v125, v39, v64
	v_add3_u32 v21, v21, v101, v82
	v_bfe_i32 v82, v22, 0, 8
	v_ashrrev_i32_e32 v101, 24, v22
	s_delay_alu instid0(VALU_DEP_4) | instskip(SKIP_2) | instid1(VALU_DEP_2)
	v_add3_u32 v66, v66, v109, v125
	v_and_b32_e32 v109, 15, v6
	v_bfe_u32 v125, v6, 16, 4
	v_mul_i32_i24_e32 v127, v46, v109
	s_delay_alu instid0(VALU_DEP_2) | instskip(SKIP_2) | instid1(VALU_DEP_3)
	v_mul_i32_i24_e32 v129, v39, v125
	v_mul_i32_i24_e32 v46, v46, v201
	;; [unrolled: 1-line block ×3, first 2 shown]
	v_add3_u32 v68, v68, v127, v129
	v_mul_i32_i24_e32 v127, v45, v61
	s_delay_alu instid0(VALU_DEP_1) | instskip(SKIP_2) | instid1(VALU_DEP_1)
	v_add3_u32 v71, v72, v71, v127
	v_mul_i32_i24_e32 v72, v60, v63
	v_mul_i32_i24_e32 v127, v45, v64
	v_add3_u32 v72, v104, v72, v127
	v_mul_i32_i24_e32 v104, v60, v109
	v_mul_i32_i24_e32 v127, v45, v125
	;; [unrolled: 1-line block ×4, first 2 shown]
	s_delay_alu instid0(VALU_DEP_3) | instskip(SKIP_1) | instid1(VALU_DEP_1)
	v_add3_u32 v73, v73, v104, v127
	v_mul_i32_i24_e32 v104, v41, v61
	v_add3_u32 v76, v77, v76, v104
	v_mul_i32_i24_e32 v77, v69, v63
	v_mul_i32_i24_e32 v104, v41, v64
	s_delay_alu instid0(VALU_DEP_1) | instskip(SKIP_4) | instid1(VALU_DEP_3)
	v_add3_u32 v77, v78, v77, v104
	v_mul_i32_i24_e32 v78, v69, v109
	v_mul_i32_i24_e32 v104, v41, v125
	;; [unrolled: 1-line block ×4, first 2 shown]
	v_add3_u32 v78, v79, v78, v104
	v_mul_i32_i24_e32 v79, v80, v245
	s_delay_alu instid0(VALU_DEP_1) | instskip(SKIP_2) | instid1(VALU_DEP_3)
	v_add3_u32 v0, v0, v79, v31
	v_bfe_i32 v31, v48, 0, 8
	v_bfe_i32 v48, v48, 16, 8
	v_add3_u32 v0, v0, v70, v55
	s_delay_alu instid0(VALU_DEP_3) | instskip(NEXT) | instid1(VALU_DEP_3)
	v_mul_i32_i24_e32 v79, v31, v59
	v_mul_i32_i24_e32 v80, v48, v61
	v_bfe_i32 v55, v32, 0, 8
	v_ashrrev_i32_e32 v70, 24, v32
	s_delay_alu instid0(VALU_DEP_3) | instskip(SKIP_2) | instid1(VALU_DEP_1)
	v_add3_u32 v79, v83, v79, v80
	v_mul_i32_i24_e32 v80, v31, v63
	v_mul_i32_i24_e32 v83, v48, v64
	v_add3_u32 v80, v84, v80, v83
	v_mul_i32_i24_e32 v83, v31, v109
	v_mul_i32_i24_e32 v84, v48, v125
	;; [unrolled: 1-line block ×4, first 2 shown]
	s_delay_alu instid0(VALU_DEP_3) | instskip(SKIP_1) | instid1(VALU_DEP_3)
	v_add3_u32 v83, v85, v83, v84
	v_mul_i32_i24_e32 v84, v86, v245
	v_add3_u32 v0, v0, v31, v48
	v_bfe_i32 v48, v32, 8, 8
	s_delay_alu instid0(VALU_DEP_3) | instskip(SKIP_2) | instid1(VALU_DEP_2)
	v_add3_u32 v1, v1, v84, v23
	v_bfe_i32 v23, v43, 0, 8
	v_bfe_i32 v43, v43, 16, 8
	v_mul_i32_i24_e32 v84, v23, v59
	s_delay_alu instid0(VALU_DEP_2) | instskip(SKIP_1) | instid1(VALU_DEP_2)
	v_mul_i32_i24_e32 v85, v43, v61
	v_mul_i32_i24_e32 v86, v43, v64
	v_add3_u32 v84, v87, v84, v85
	v_mul_i32_i24_e32 v85, v23, v63
	v_mul_i32_i24_e32 v87, v43, v125
	;; [unrolled: 1-line block ×3, first 2 shown]
	s_delay_alu instid0(VALU_DEP_3) | instskip(SKIP_2) | instid1(VALU_DEP_2)
	v_add3_u32 v85, v90, v85, v86
	v_mul_i32_i24_e32 v86, v23, v109
	v_mul_i32_i24_e32 v23, v23, v201
	v_add3_u32 v86, v91, v86, v87
	v_mul_i32_i24_e32 v87, v92, v209
	s_delay_alu instid0(VALU_DEP_1) | instskip(SKIP_2) | instid1(VALU_DEP_2)
	v_add3_u32 v51, v51, v75, v87
	v_bfe_i32 v75, v52, 0, 8
	v_bfe_i32 v52, v52, 16, 8
	v_mul_i32_i24_e32 v87, v75, v59
	s_delay_alu instid0(VALU_DEP_2) | instskip(SKIP_3) | instid1(VALU_DEP_4)
	v_mul_i32_i24_e32 v90, v52, v61
	v_mul_i32_i24_e32 v91, v52, v64
	v_mul_i32_i24_e32 v92, v52, v125
	v_mul_i32_i24_e32 v59, v210, v59
	v_add3_u32 v87, v93, v87, v90
	v_mul_i32_i24_e32 v90, v75, v63
	s_delay_alu instid0(VALU_DEP_3) | instskip(SKIP_2) | instid1(VALU_DEP_4)
	v_add3_u32 v37, v37, v65, v59
	v_mul_i32_i24_e32 v59, v210, v63
	v_bfe_i32 v65, v28, 0, 8
	v_add3_u32 v90, v94, v90, v91
	v_mul_i32_i24_e32 v91, v75, v109
	s_delay_alu instid0(VALU_DEP_1) | instskip(SKIP_2) | instid1(VALU_DEP_2)
	v_add3_u32 v91, v97, v91, v92
	v_mul_i32_i24_e32 v92, v50, v61
	v_mul_i32_i24_e32 v61, v205, v61
	v_add3_u32 v81, v88, v81, v92
	v_mul_i32_i24_e32 v88, v49, v63
	v_mul_i32_i24_e32 v63, v244, v100
	;; [unrolled: 1-line block ×3, first 2 shown]
	v_add3_u32 v37, v37, v61, v67
	v_mul_i32_i24_e32 v61, v205, v64
	v_mul_i32_i24_e32 v64, v204, v103
	v_add3_u32 v20, v20, v63, v59
	v_mul_i32_i24_e32 v59, v210, v109
	v_mul_i32_i24_e32 v63, v244, v106
	;; [unrolled: 3-line block ×3, first 2 shown]
	v_add3_u32 v20, v20, v61, v64
	v_add3_u32 v35, v35, v63, v59
	v_mul_i32_i24_e32 v59, v99, v206
	v_mul_i32_i24_e32 v63, v96, v235
	v_add3_u32 v89, v95, v89, v92
	v_ashrrev_i32_e32 v92, 24, v28
	v_mul_i32_i24_e32 v61, v205, v125
	v_mul_i32_i24_e32 v64, v204, v108
	v_add3_u32 v27, v27, v59, v63
	v_bfe_u32 v59, v4, 4, 4
	v_lshrrev_b32_e32 v63, 28, v4
	s_delay_alu instid0(VALU_DEP_4) | instskip(NEXT) | instid1(VALU_DEP_4)
	v_add3_u32 v35, v35, v61, v64
	v_add3_u32 v27, v27, v46, v39
	s_delay_alu instid0(VALU_DEP_4) | instskip(NEXT) | instid1(VALU_DEP_4)
	v_mul_i32_i24_e32 v93, v65, v59
	v_mul_i32_i24_e32 v94, v92, v63
	v_bfe_i32 v39, v28, 8, 8
	v_bfe_i32 v46, v28, 16, 8
	v_bfe_u32 v28, v4, 12, 4
	v_bfe_u32 v4, v4, 20, 4
	v_add3_u32 v62, v62, v94, v93
	v_bfe_u32 v93, v17, 4, 4
	v_lshrrev_b32_e32 v94, 28, v17
	v_mul_i32_i24_e32 v61, v39, v28
	v_mul_i32_i24_e32 v64, v46, v4
	;; [unrolled: 1-line block ×5, first 2 shown]
	s_delay_alu instid0(VALU_DEP_4) | instskip(SKIP_2) | instid1(VALU_DEP_4)
	v_add3_u32 v61, v62, v61, v64
	v_bfe_u32 v62, v17, 12, 4
	v_bfe_u32 v17, v17, 20, 4
	v_add3_u32 v66, v66, v96, v95
	v_bfe_u32 v95, v6, 4, 4
	v_lshrrev_b32_e32 v96, 28, v6
	v_mul_i32_i24_e32 v64, v39, v62
	v_mul_i32_i24_e32 v67, v46, v17
	s_delay_alu instid0(VALU_DEP_4) | instskip(NEXT) | instid1(VALU_DEP_4)
	v_mul_i32_i24_e32 v97, v65, v95
	v_mul_i32_i24_e32 v99, v92, v96
	s_delay_alu instid0(VALU_DEP_3) | instskip(SKIP_2) | instid1(VALU_DEP_4)
	v_add3_u32 v64, v66, v64, v67
	v_bfe_u32 v66, v6, 12, 4
	v_bfe_u32 v6, v6, 20, 4
	v_add3_u32 v68, v68, v99, v97
	v_mul_i32_i24_e32 v97, v113, v206
	v_mul_i32_i24_e32 v99, v112, v235
	;; [unrolled: 1-line block ×4, first 2 shown]
	s_delay_alu instid0(VALU_DEP_3) | instskip(SKIP_2) | instid1(VALU_DEP_4)
	v_add3_u32 v29, v29, v97, v99
	v_bfe_i32 v97, v30, 0, 8
	v_ashrrev_i32_e32 v99, 24, v30
	v_add3_u32 v67, v68, v67, v103
	s_delay_alu instid0(VALU_DEP_4) | instskip(NEXT) | instid1(VALU_DEP_4)
	v_add3_u32 v29, v29, v60, v45
	v_mul_i32_i24_e32 v100, v97, v59
	s_delay_alu instid0(VALU_DEP_4) | instskip(SKIP_2) | instid1(VALU_DEP_3)
	v_mul_i32_i24_e32 v104, v99, v63
	v_bfe_i32 v45, v30, 8, 8
	v_bfe_i32 v60, v30, 16, 8
	v_add3_u32 v71, v71, v104, v100
	v_mul_i32_i24_e32 v100, v97, v93
	v_mul_i32_i24_e32 v104, v99, v94
	v_mul_i32_i24_e32 v30, v45, v28
	v_mul_i32_i24_e32 v68, v60, v4
	s_delay_alu instid0(VALU_DEP_3) | instskip(SKIP_2) | instid1(VALU_DEP_4)
	v_add3_u32 v72, v72, v104, v100
	v_mul_i32_i24_e32 v100, v97, v95
	v_mul_i32_i24_e32 v104, v99, v96
	v_add3_u32 v30, v71, v30, v68
	v_mul_i32_i24_e32 v68, v45, v62
	v_mul_i32_i24_e32 v71, v60, v17
	s_delay_alu instid0(VALU_DEP_4) | instskip(SKIP_2) | instid1(VALU_DEP_4)
	v_add3_u32 v73, v73, v104, v100
	v_mul_i32_i24_e32 v100, v117, v206
	v_mul_i32_i24_e32 v104, v115, v235
	v_add3_u32 v68, v72, v68, v71
	v_mul_i32_i24_e32 v71, v45, v66
	v_mul_i32_i24_e32 v72, v60, v6
	;; [unrolled: 1-line block ×3, first 2 shown]
	v_add3_u32 v25, v25, v100, v104
	v_bfe_i32 v100, v26, 0, 8
	v_ashrrev_i32_e32 v104, 24, v26
	v_add3_u32 v71, v73, v71, v72
	v_mul_i32_i24_e32 v45, v45, v47
	v_add3_u32 v25, v25, v69, v41
	v_mul_i32_i24_e32 v106, v100, v59
	v_mul_i32_i24_e32 v109, v104, v63
	v_bfe_i32 v41, v26, 8, 8
	v_bfe_i32 v69, v26, 16, 8
	s_delay_alu instid0(VALU_DEP_3)
	v_add3_u32 v76, v76, v109, v106
	v_mul_i32_i24_e32 v106, v100, v93
	v_mul_i32_i24_e32 v109, v104, v94
	;; [unrolled: 1-line block ×5, first 2 shown]
	s_delay_alu instid0(VALU_DEP_4)
	v_add3_u32 v77, v77, v109, v106
	v_mul_i32_i24_e32 v106, v100, v95
	v_mul_i32_i24_e32 v109, v104, v96
	v_add3_u32 v26, v76, v26, v72
	v_mul_i32_i24_e32 v72, v41, v62
	v_mul_i32_i24_e32 v76, v69, v6
	v_mul_i32_i24_e32 v69, v69, v186
	v_add3_u32 v78, v78, v109, v106
	v_mul_i32_i24_e32 v106, v55, v59
	v_mul_i32_i24_e32 v109, v70, v63
	v_add3_u32 v72, v77, v72, v73
	v_mul_i32_i24_e32 v73, v41, v66
	v_mul_i32_i24_e32 v41, v41, v47
	s_delay_alu instid0(VALU_DEP_4) | instskip(SKIP_4) | instid1(VALU_DEP_3)
	v_add3_u32 v79, v79, v109, v106
	v_mul_i32_i24_e32 v106, v55, v93
	v_mul_i32_i24_e32 v109, v70, v94
	v_add3_u32 v73, v78, v73, v76
	v_bfe_i32 v76, v32, 16, 8
	v_add3_u32 v80, v80, v109, v106
	v_mul_i32_i24_e32 v106, v55, v95
	v_mul_i32_i24_e32 v109, v70, v96
	s_delay_alu instid0(VALU_DEP_4)
	v_mul_i32_i24_e32 v32, v76, v4
	v_mul_i32_i24_e32 v77, v76, v17
	;; [unrolled: 1-line block ×4, first 2 shown]
	v_add3_u32 v83, v83, v109, v106
	v_mul_i32_i24_e32 v106, v119, v206
	v_add3_u32 v31, v79, v31, v32
	v_mul_i32_i24_e32 v32, v48, v62
	s_delay_alu instid0(VALU_DEP_3) | instskip(SKIP_2) | instid1(VALU_DEP_4)
	v_add3_u32 v1, v1, v106, v74
	v_bfe_i32 v74, v24, 0, 8
	v_ashrrev_i32_e32 v106, 24, v24
	v_add3_u32 v32, v80, v32, v77
	v_mul_i32_i24_e32 v77, v48, v66
	v_add3_u32 v1, v1, v23, v43
	v_mul_i32_i24_e32 v109, v74, v59
	v_mul_i32_i24_e32 v112, v106, v63
	v_bfe_i32 v43, v24, 8, 8
	v_add3_u32 v77, v83, v77, v78
	v_bfe_i32 v78, v24, 16, 8
	v_mul_i32_i24_e32 v48, v48, v47
	v_add3_u32 v84, v84, v112, v109
	v_mul_i32_i24_e32 v109, v74, v93
	v_mul_i32_i24_e32 v112, v106, v94
	;; [unrolled: 1-line block ×4, first 2 shown]
	s_delay_alu instid0(VALU_DEP_3) | instskip(SKIP_2) | instid1(VALU_DEP_4)
	v_add3_u32 v85, v85, v112, v109
	v_mul_i32_i24_e32 v109, v74, v95
	v_mul_i32_i24_e32 v112, v106, v96
	v_add3_u32 v79, v84, v23, v24
	v_mul_i32_i24_e32 v23, v43, v62
	v_mul_i32_i24_e32 v24, v78, v17
	s_delay_alu instid0(VALU_DEP_4) | instskip(SKIP_2) | instid1(VALU_DEP_4)
	v_add3_u32 v86, v86, v112, v109
	v_mul_i32_i24_e32 v109, v123, v206
	v_mul_i32_i24_e32 v112, v121, v235
	v_add3_u32 v80, v85, v23, v24
	v_mul_i32_i24_e32 v23, v43, v66
	v_mul_i32_i24_e32 v24, v78, v6
	;; [unrolled: 1-line block ×3, first 2 shown]
	v_add3_u32 v51, v51, v109, v112
	v_bfe_i32 v109, v34, 0, 8
	v_ashrrev_i32_e32 v112, 24, v34
	v_add3_u32 v83, v86, v23, v24
	v_mul_i32_i24_e32 v23, v75, v201
	v_mul_i32_i24_e32 v24, v52, v200
	;; [unrolled: 1-line block ×4, first 2 shown]
	v_bfe_i32 v52, v34, 8, 8
	v_bfe_i32 v34, v34, 16, 8
	v_add3_u32 v51, v51, v23, v24
	v_bfe_i32 v86, v22, 16, 8
	v_add3_u32 v87, v87, v115, v113
	v_mul_i32_i24_e32 v113, v109, v93
	v_mul_i32_i24_e32 v115, v112, v94
	v_mul_i32_i24_e32 v23, v52, v28
	v_mul_i32_i24_e32 v24, v34, v4
	v_mul_i32_i24_e32 v43, v43, v47
	s_delay_alu instid0(VALU_DEP_4)
	v_add3_u32 v90, v90, v115, v113
	v_mul_i32_i24_e32 v113, v109, v95
	v_mul_i32_i24_e32 v115, v112, v96
	v_add3_u32 v75, v87, v23, v24
	v_mul_i32_i24_e32 v23, v52, v62
	v_mul_i32_i24_e32 v24, v34, v17
	s_delay_alu instid0(VALU_DEP_4) | instskip(SKIP_2) | instid1(VALU_DEP_4)
	v_add3_u32 v91, v91, v115, v113
	v_mul_i32_i24_e32 v113, v82, v59
	v_mul_i32_i24_e32 v115, v101, v63
	v_add3_u32 v84, v90, v23, v24
	v_mul_i32_i24_e32 v23, v52, v66
	v_mul_i32_i24_e32 v24, v34, v6
	;; [unrolled: 1-line block ×3, first 2 shown]
	v_add3_u32 v81, v81, v115, v113
	v_mul_i32_i24_e32 v113, v82, v93
	v_mul_i32_i24_e32 v115, v101, v94
	v_add3_u32 v85, v91, v23, v24
	v_mul_i32_i24_e32 v23, v49, v201
	v_mul_i32_i24_e32 v24, v50, v200
	v_bfe_i32 v50, v22, 8, 8
	v_mul_i32_i24_e32 v22, v86, v4
	v_add3_u32 v88, v88, v115, v113
	v_mul_i32_i24_e32 v113, v82, v95
	v_add3_u32 v49, v21, v23, v24
	v_mul_i32_i24_e32 v21, v50, v28
	v_mul_i32_i24_e32 v115, v101, v96
	v_bfe_u32 v91, v18, 8, 4
	v_mul_i32_i24_e32 v4, v188, v4
	v_mul_i32_i24_e32 v34, v34, v186
	v_add3_u32 v81, v81, v21, v22
	v_mul_i32_i24_e32 v21, v50, v62
	v_mul_i32_i24_e32 v22, v86, v17
	v_add3_u32 v89, v89, v115, v113
	v_mul_i32_i24_e32 v17, v188, v17
	v_mul_i32_i24_e32 v52, v52, v47
	s_delay_alu instid0(VALU_DEP_4) | instskip(SKIP_3) | instid1(VALU_DEP_2)
	v_add3_u32 v87, v88, v21, v22
	v_mul_i32_i24_e32 v21, v50, v66
	v_mul_i32_i24_e32 v22, v86, v6
	;; [unrolled: 1-line block ×3, first 2 shown]
	v_add3_u32 v88, v89, v21, v22
	v_mul_i32_i24_e32 v21, v199, v59
	v_mul_i32_i24_e32 v22, v19, v28
	s_delay_alu instid0(VALU_DEP_1)
	v_add3_u32 v37, v37, v21, v22
	v_mul_i32_i24_e32 v21, v199, v93
	v_mul_i32_i24_e32 v22, v19, v62
	;; [unrolled: 1-line block ×3, first 2 shown]
	v_bfe_u32 v66, v5, 24, 4
	v_bfe_u32 v93, v7, 8, 4
	v_add3_u32 v4, v37, v4, v63
	v_add3_u32 v59, v20, v21, v22
	v_mul_i32_i24_e32 v20, v199, v95
	v_bfe_u32 v95, v7, 24, 4
	v_mul_i32_i24_e32 v37, v187, v94
	s_delay_alu instid0(VALU_DEP_3)
	v_add3_u32 v35, v35, v20, v19
	v_mul_i32_i24_e32 v19, v65, v194
	v_mul_i32_i24_e32 v20, v92, v189
	v_bfe_u32 v65, v5, 8, 4
	v_bfe_u32 v92, v18, 24, 4
	v_add3_u32 v17, v59, v17, v37
	v_mul_i32_i24_e32 v37, v187, v96
	v_add3_u32 v62, v27, v20, v19
	ds_load_2addr_b32 v[19:20], v237 offset1:3
	v_add3_u32 v6, v35, v6, v37
	v_mul_i32_i24_e32 v35, v46, v186
	v_mul_i32_i24_e32 v37, v39, v47
	v_bfe_u32 v39, v5, 16, 4
	v_mul_i32_i24_e32 v47, v50, v47
	s_delay_alu instid0(VALU_DEP_3)
	v_add3_u32 v35, v62, v37, v35
	v_and_b32_e32 v37, 15, v5
	s_wait_dscnt 0x0
	v_bfe_i32 v89, v20, 8, 8
	v_ashrrev_i32_e32 v90, 24, v20
	v_bfe_i32 v46, v20, 0, 8
	v_bfe_i32 v20, v20, 16, 8
	s_delay_alu instid0(VALU_DEP_4) | instskip(NEXT) | instid1(VALU_DEP_4)
	v_mul_i32_i24_e32 v21, v89, v65
	v_mul_i32_i24_e32 v22, v90, v66
	s_delay_alu instid0(VALU_DEP_4) | instskip(NEXT) | instid1(VALU_DEP_4)
	v_mul_i32_i24_e32 v59, v46, v37
	v_mul_i32_i24_e32 v62, v20, v39
	s_delay_alu instid0(VALU_DEP_3) | instskip(SKIP_2) | instid1(VALU_DEP_3)
	v_add3_u32 v61, v61, v22, v21
	v_mul_i32_i24_e32 v21, v89, v91
	v_mul_i32_i24_e32 v22, v90, v92
	v_add3_u32 v59, v61, v59, v62
	v_and_b32_e32 v61, 15, v18
	s_delay_alu instid0(VALU_DEP_3) | instskip(SKIP_4) | instid1(VALU_DEP_3)
	v_add3_u32 v64, v64, v22, v21
	v_mul_i32_i24_e32 v21, v89, v93
	v_mul_i32_i24_e32 v22, v90, v95
	v_bfe_u32 v62, v18, 16, 4
	v_mul_i32_i24_e32 v63, v46, v61
	v_add3_u32 v67, v67, v22, v21
	v_mul_i32_i24_e32 v21, v97, v194
	v_mul_i32_i24_e32 v22, v99, v189
	;; [unrolled: 1-line block ×3, first 2 shown]
	s_delay_alu instid0(VALU_DEP_2)
	v_add3_u32 v97, v29, v22, v21
	ds_load_2addr_b32 v[21:22], v238 offset1:3
	v_add3_u32 v63, v64, v63, v94
	v_and_b32_e32 v64, 15, v7
	v_bfe_u32 v94, v7, 16, 4
	v_add3_u32 v45, v97, v45, v60
	s_delay_alu instid0(VALU_DEP_3)
	v_mul_i32_i24_e32 v96, v46, v64
	v_mul_i32_i24_e32 v46, v46, v223
	s_wait_dscnt 0x0
	v_bfe_i32 v99, v22, 8, 8
	v_ashrrev_i32_e32 v103, 24, v22
	v_bfe_i32 v60, v22, 0, 8
	v_bfe_i32 v22, v22, 16, 8
	s_delay_alu instid0(VALU_DEP_4) | instskip(NEXT) | instid1(VALU_DEP_4)
	v_mul_i32_i24_e32 v23, v99, v65
	v_mul_i32_i24_e32 v24, v103, v66
	s_delay_alu instid0(VALU_DEP_3) | instskip(NEXT) | instid1(VALU_DEP_2)
	v_mul_i32_i24_e32 v97, v22, v39
	v_add3_u32 v108, v30, v24, v23
	v_mul_i32_i24_e32 v23, v99, v91
	v_mul_i32_i24_e32 v24, v103, v92
	s_delay_alu instid0(VALU_DEP_1) | instskip(SKIP_2) | instid1(VALU_DEP_1)
	v_add3_u32 v68, v68, v24, v23
	v_mul_i32_i24_e32 v23, v99, v93
	v_mul_i32_i24_e32 v24, v103, v95
	v_add3_u32 v71, v71, v24, v23
	v_mul_i32_i24_e32 v23, v100, v194
	v_mul_i32_i24_e32 v24, v104, v189
	s_delay_alu instid0(VALU_DEP_1)
	v_add3_u32 v100, v25, v24, v23
	ds_load_2addr_b32 v[23:24], v239 offset1:3
	v_add3_u32 v41, v100, v41, v69
	s_wait_dscnt 0x0
	v_bfe_i32 v104, v24, 8, 8
	v_ashrrev_i32_e32 v113, 24, v24
	v_bfe_i32 v69, v24, 0, 8
	v_bfe_i32 v24, v24, 16, 8
	s_delay_alu instid0(VALU_DEP_4) | instskip(NEXT) | instid1(VALU_DEP_4)
	v_mul_i32_i24_e32 v25, v104, v65
	v_mul_i32_i24_e32 v27, v113, v66
	s_delay_alu instid0(VALU_DEP_3) | instskip(NEXT) | instid1(VALU_DEP_2)
	v_mul_i32_i24_e32 v100, v24, v39
	v_add3_u32 v115, v26, v27, v25
	v_mul_i32_i24_e32 v25, v104, v91
	v_mul_i32_i24_e32 v26, v113, v92
	s_delay_alu instid0(VALU_DEP_1) | instskip(SKIP_2) | instid1(VALU_DEP_1)
	v_add3_u32 v72, v72, v26, v25
	v_mul_i32_i24_e32 v25, v104, v93
	v_mul_i32_i24_e32 v26, v113, v95
	v_add3_u32 v73, v73, v26, v25
	v_mul_i32_i24_e32 v25, v55, v194
	v_mul_i32_i24_e32 v26, v70, v189
	s_delay_alu instid0(VALU_DEP_1)
	v_add3_u32 v0, v0, v26, v25
	ds_load_2addr_b32 v[25:26], v240 offset1:3
	v_add3_u32 v0, v0, v48, v76
	s_wait_dscnt 0x0
	v_bfe_i32 v55, v26, 8, 8
	v_ashrrev_i32_e32 v70, 24, v26
	v_bfe_i32 v48, v26, 0, 8
	v_bfe_i32 v26, v26, 16, 8
	s_delay_alu instid0(VALU_DEP_4) | instskip(NEXT) | instid1(VALU_DEP_4)
	v_mul_i32_i24_e32 v27, v55, v65
	v_mul_i32_i24_e32 v28, v70, v66
	s_delay_alu instid0(VALU_DEP_4) | instskip(NEXT) | instid1(VALU_DEP_2)
	v_mul_i32_i24_e32 v76, v48, v37
	v_add3_u32 v117, v31, v28, v27
	v_mul_i32_i24_e32 v27, v55, v91
	v_mul_i32_i24_e32 v28, v70, v92
	s_delay_alu instid0(VALU_DEP_1) | instskip(SKIP_4) | instid1(VALU_DEP_3)
	v_add3_u32 v119, v32, v28, v27
	v_mul_i32_i24_e32 v27, v55, v93
	v_mul_i32_i24_e32 v28, v70, v95
	;; [unrolled: 1-line block ×4, first 2 shown]
	v_add3_u32 v77, v77, v28, v27
	v_mul_i32_i24_e32 v27, v74, v194
	v_mul_i32_i24_e32 v28, v106, v189
	s_delay_alu instid0(VALU_DEP_4) | instskip(SKIP_2) | instid1(VALU_DEP_4)
	v_add3_u32 v0, v0, v70, v55
	v_bfe_i32 v55, v12, 0, 8
	v_ashrrev_i32_e32 v70, 24, v12
	v_add3_u32 v1, v1, v28, v27
	ds_load_2addr_b32 v[27:28], v241 offset1:3
	v_add3_u32 v1, v1, v43, v78
	s_wait_dscnt 0x0
	v_bfe_i32 v74, v28, 8, 8
	v_ashrrev_i32_e32 v106, 24, v28
	v_bfe_i32 v43, v28, 0, 8
	v_bfe_i32 v28, v28, 16, 8
	s_delay_alu instid0(VALU_DEP_4) | instskip(NEXT) | instid1(VALU_DEP_4)
	v_mul_i32_i24_e32 v29, v74, v65
	v_mul_i32_i24_e32 v30, v106, v66
	s_delay_alu instid0(VALU_DEP_4) | instskip(NEXT) | instid1(VALU_DEP_2)
	v_mul_i32_i24_e32 v78, v43, v37
	v_add3_u32 v79, v79, v30, v29
	v_mul_i32_i24_e32 v29, v74, v91
	v_mul_i32_i24_e32 v30, v106, v92
	s_delay_alu instid0(VALU_DEP_1) | instskip(SKIP_3) | instid1(VALU_DEP_2)
	v_add3_u32 v80, v80, v30, v29
	v_mul_i32_i24_e32 v29, v74, v93
	v_mul_i32_i24_e32 v30, v106, v95
	;; [unrolled: 1-line block ×3, first 2 shown]
	v_add3_u32 v83, v83, v30, v29
	v_mul_i32_i24_e32 v29, v109, v194
	v_mul_i32_i24_e32 v30, v112, v189
	s_delay_alu instid0(VALU_DEP_1)
	v_add3_u32 v51, v51, v30, v29
	ds_load_2addr_b32 v[29:30], v242 offset1:3
	v_add3_u32 v34, v51, v52, v34
	s_wait_dscnt 0x0
	v_bfe_i32 v109, v30, 8, 8
	v_ashrrev_i32_e32 v112, 24, v30
	v_bfe_i32 v51, v30, 0, 8
	v_bfe_i32 v30, v30, 16, 8
	s_delay_alu instid0(VALU_DEP_4) | instskip(NEXT) | instid1(VALU_DEP_4)
	v_mul_i32_i24_e32 v31, v109, v65
	v_mul_i32_i24_e32 v32, v112, v66
	s_delay_alu instid0(VALU_DEP_4) | instskip(NEXT) | instid1(VALU_DEP_2)
	v_mul_i32_i24_e32 v52, v51, v37
	v_add3_u32 v75, v75, v32, v31
	v_mul_i32_i24_e32 v31, v109, v91
	v_mul_i32_i24_e32 v32, v112, v92
	s_delay_alu instid0(VALU_DEP_1) | instskip(SKIP_2) | instid1(VALU_DEP_1)
	v_add3_u32 v84, v84, v32, v31
	v_mul_i32_i24_e32 v31, v109, v93
	v_mul_i32_i24_e32 v32, v112, v95
	v_add3_u32 v85, v85, v32, v31
	v_mul_i32_i24_e32 v31, v82, v194
	v_mul_i32_i24_e32 v32, v101, v189
	s_delay_alu instid0(VALU_DEP_1) | instskip(SKIP_4) | instid1(VALU_DEP_2)
	v_add3_u32 v49, v49, v32, v31
	ds_load_2addr_b32 v[31:32], v243 offset1:3
	s_wait_dscnt 0x0
	v_bfe_i32 v82, v32, 8, 8
	v_ashrrev_i32_e32 v101, 24, v32
	v_mul_i32_i24_e32 v121, v82, v65
	s_delay_alu instid0(VALU_DEP_2) | instskip(SKIP_2) | instid1(VALU_DEP_3)
	v_mul_i32_i24_e32 v123, v101, v66
	v_mul_i32_i24_e32 v65, v44, v65
	;; [unrolled: 1-line block ×3, first 2 shown]
	v_add3_u32 v81, v81, v123, v121
	v_mul_i32_i24_e32 v121, v82, v91
	v_mul_i32_i24_e32 v123, v101, v92
	s_delay_alu instid0(VALU_DEP_1) | instskip(SKIP_3) | instid1(VALU_DEP_2)
	v_add3_u32 v87, v87, v123, v121
	v_mul_i32_i24_e32 v121, v82, v93
	v_mul_i32_i24_e32 v123, v101, v95
	v_mul_i32_i24_e32 v101, v101, v232
	v_add3_u32 v88, v88, v123, v121
	v_mul_i32_i24_e32 v121, v20, v94
	v_mul_i32_i24_e32 v20, v20, v222
	s_delay_alu instid0(VALU_DEP_2) | instskip(SKIP_1) | instid1(VALU_DEP_1)
	v_add3_u32 v67, v67, v96, v121
	v_mul_i32_i24_e32 v96, v60, v37
	v_add3_u32 v96, v108, v96, v97
	v_mul_i32_i24_e32 v97, v60, v61
	v_mul_i32_i24_e32 v108, v22, v62
	s_delay_alu instid0(VALU_DEP_1) | instskip(SKIP_4) | instid1(VALU_DEP_3)
	v_add3_u32 v68, v68, v97, v108
	v_mul_i32_i24_e32 v97, v60, v64
	v_mul_i32_i24_e32 v108, v22, v94
	;; [unrolled: 1-line block ×4, first 2 shown]
	v_add3_u32 v71, v71, v97, v108
	v_mul_i32_i24_e32 v97, v69, v37
	v_mul_i32_i24_e32 v108, v24, v62
	s_delay_alu instid0(VALU_DEP_2) | instskip(SKIP_2) | instid1(VALU_DEP_2)
	v_add3_u32 v97, v115, v97, v100
	v_mul_i32_i24_e32 v100, v69, v61
	v_mul_i32_i24_e32 v115, v26, v94
	v_add3_u32 v72, v72, v100, v108
	v_mul_i32_i24_e32 v100, v69, v64
	v_mul_i32_i24_e32 v108, v24, v94
	;; [unrolled: 1-line block ×4, first 2 shown]
	s_delay_alu instid0(VALU_DEP_3) | instskip(SKIP_3) | instid1(VALU_DEP_3)
	v_add3_u32 v73, v73, v100, v108
	v_mul_i32_i24_e32 v100, v26, v39
	v_mul_i32_i24_e32 v108, v26, v62
	;; [unrolled: 1-line block ×3, first 2 shown]
	v_add3_u32 v76, v117, v76, v100
	v_mul_i32_i24_e32 v100, v48, v61
	s_delay_alu instid0(VALU_DEP_1) | instskip(SKIP_2) | instid1(VALU_DEP_2)
	v_add3_u32 v100, v119, v100, v108
	v_mul_i32_i24_e32 v108, v48, v64
	v_mul_i32_i24_e32 v48, v48, v223
	v_add3_u32 v77, v77, v108, v115
	v_mul_i32_i24_e32 v108, v28, v39
	s_delay_alu instid0(VALU_DEP_3) | instskip(SKIP_2) | instid1(VALU_DEP_4)
	v_add3_u32 v0, v0, v48, v26
	v_bfe_i32 v26, v12, 8, 8
	v_bfe_i32 v12, v12, 16, 8
	v_add3_u32 v78, v79, v78, v108
	v_mul_i32_i24_e32 v79, v43, v61
	v_mul_i32_i24_e32 v108, v28, v62
	s_delay_alu instid0(VALU_DEP_1) | instskip(SKIP_4) | instid1(VALU_DEP_3)
	v_add3_u32 v79, v80, v79, v108
	v_mul_i32_i24_e32 v80, v43, v64
	v_mul_i32_i24_e32 v108, v28, v94
	;; [unrolled: 1-line block ×4, first 2 shown]
	v_add3_u32 v80, v83, v80, v108
	v_mul_i32_i24_e32 v83, v30, v39
	s_delay_alu instid0(VALU_DEP_1) | instskip(SKIP_2) | instid1(VALU_DEP_1)
	v_add3_u32 v52, v75, v52, v83
	v_mul_i32_i24_e32 v75, v51, v61
	v_mul_i32_i24_e32 v83, v30, v62
	v_add3_u32 v75, v84, v75, v83
	v_mul_i32_i24_e32 v83, v51, v64
	v_mul_i32_i24_e32 v84, v30, v94
	;; [unrolled: 1-line block ×4, first 2 shown]
	s_delay_alu instid0(VALU_DEP_3) | instskip(SKIP_2) | instid1(VALU_DEP_2)
	v_add3_u32 v83, v85, v83, v84
	v_mul_i32_i24_e32 v84, v86, v186
	v_bfe_u32 v86, v18, 4, 4
	v_add3_u32 v47, v49, v47, v84
	v_bfe_i32 v49, v32, 0, 8
	v_bfe_i32 v32, v32, 16, 8
	s_delay_alu instid0(VALU_DEP_2) | instskip(NEXT) | instid1(VALU_DEP_2)
	v_mul_i32_i24_e32 v50, v49, v37
	v_mul_i32_i24_e32 v84, v32, v39
	;; [unrolled: 1-line block ×5, first 2 shown]
	s_delay_alu instid0(VALU_DEP_4)
	v_add3_u32 v50, v81, v50, v84
	v_mul_i32_i24_e32 v81, v49, v61
	v_add3_u32 v37, v4, v65, v37
	v_mul_i32_i24_e32 v4, v236, v61
	v_mul_i32_i24_e32 v61, v44, v91
	;; [unrolled: 1-line block ×3, first 2 shown]
	v_bfe_i32 v65, v13, 0, 8
	v_add3_u32 v37, v37, v39, v66
	v_mul_i32_i24_e32 v39, v227, v62
	v_add3_u32 v61, v17, v61, v4
	v_mul_i32_i24_e32 v4, v44, v93
	v_mul_i32_i24_e32 v17, v236, v64
	v_add3_u32 v81, v87, v81, v84
	v_mul_i32_i24_e32 v84, v49, v64
	v_bfe_u32 v64, v5, 4, 4
	v_mul_i32_i24_e32 v62, v228, v92
	v_add3_u32 v44, v6, v4, v17
	v_mul_i32_i24_e32 v4, v90, v232
	v_mul_i32_i24_e32 v6, v89, v42
	v_add3_u32 v84, v88, v84, v85
	v_ashrrev_i32_e32 v85, 24, v13
	v_add3_u32 v39, v61, v39, v62
	v_mul_i32_i24_e32 v61, v227, v94
	v_add3_u32 v35, v35, v4, v6
	v_lshrrev_b32_e32 v4, 28, v5
	v_mul_i32_i24_e32 v6, v65, v64
	v_mul_i32_i24_e32 v62, v228, v95
	v_mul_i32_i24_e32 v49, v49, v223
	v_add3_u32 v20, v35, v46, v20
	v_mul_i32_i24_e32 v17, v85, v4
	v_bfe_u32 v35, v5, 20, 4
	v_bfe_u32 v5, v5, 12, 4
	v_bfe_i32 v46, v13, 8, 8
	v_bfe_i32 v13, v13, 16, 8
	v_add3_u32 v59, v59, v17, v6
	v_lshrrev_b32_e32 v6, 28, v18
	v_mul_i32_i24_e32 v17, v65, v86
	v_add3_u32 v44, v44, v61, v62
	v_mul_i32_i24_e32 v61, v46, v5
	v_mul_i32_i24_e32 v62, v13, v35
	v_mul_i32_i24_e32 v87, v85, v6
	v_mul_i32_i24_e32 v48, v26, v5
	v_mul_i32_i24_e32 v32, v32, v222
	s_delay_alu instid0(VALU_DEP_4) | instskip(NEXT) | instid1(VALU_DEP_4)
	v_add3_u32 v59, v59, v61, v62
	v_add3_u32 v63, v63, v87, v17
	v_bfe_u32 v87, v7, 4, 4
	v_lshrrev_b32_e32 v17, 28, v7
	v_bfe_u32 v61, v18, 12, 4
	v_bfe_u32 v18, v18, 20, 4
	s_delay_alu instid0(VALU_DEP_4) | instskip(NEXT) | instid1(VALU_DEP_4)
	v_mul_i32_i24_e32 v88, v65, v87
	v_mul_i32_i24_e32 v89, v85, v17
	s_delay_alu instid0(VALU_DEP_4) | instskip(NEXT) | instid1(VALU_DEP_4)
	v_mul_i32_i24_e32 v62, v46, v61
	v_mul_i32_i24_e32 v66, v13, v18
	s_delay_alu instid0(VALU_DEP_3) | instskip(SKIP_2) | instid1(VALU_DEP_4)
	v_add3_u32 v67, v67, v89, v88
	v_mul_i32_i24_e32 v88, v103, v232
	v_mul_i32_i24_e32 v89, v99, v42
	v_add3_u32 v62, v63, v62, v66
	v_bfe_u32 v63, v7, 12, 4
	v_bfe_u32 v7, v7, 20, 4
	s_delay_alu instid0(VALU_DEP_4)
	v_add3_u32 v45, v45, v88, v89
	v_bfe_i32 v88, v16, 0, 8
	v_ashrrev_i32_e32 v89, 24, v16
	v_mul_i32_i24_e32 v66, v46, v63
	v_mul_i32_i24_e32 v92, v13, v7
	v_add3_u32 v22, v45, v60, v22
	v_mul_i32_i24_e32 v90, v88, v64
	v_mul_i32_i24_e32 v91, v89, v4
	;; [unrolled: 1-line block ×3, first 2 shown]
	v_bfe_i32 v45, v16, 8, 8
	v_bfe_i32 v16, v16, 16, 8
	v_add3_u32 v66, v67, v66, v92
	v_add3_u32 v90, v96, v91, v90
	v_mul_i32_i24_e32 v91, v88, v86
	v_mul_i32_i24_e32 v60, v45, v5
	;; [unrolled: 1-line block ×3, first 2 shown]
	s_delay_alu instid0(VALU_DEP_3) | instskip(SKIP_2) | instid1(VALU_DEP_4)
	v_add3_u32 v68, v68, v93, v91
	v_mul_i32_i24_e32 v91, v88, v87
	v_mul_i32_i24_e32 v93, v89, v17
	v_add3_u32 v60, v90, v60, v67
	v_mul_i32_i24_e32 v67, v45, v61
	v_mul_i32_i24_e32 v90, v16, v18
	s_delay_alu instid0(VALU_DEP_4) | instskip(SKIP_2) | instid1(VALU_DEP_4)
	v_add3_u32 v71, v71, v93, v91
	v_mul_i32_i24_e32 v91, v113, v232
	v_mul_i32_i24_e32 v93, v104, v42
	v_add3_u32 v67, v68, v67, v90
	v_mul_i32_i24_e32 v68, v45, v63
	v_mul_i32_i24_e32 v90, v16, v7
	;; [unrolled: 1-line block ×3, first 2 shown]
	v_add3_u32 v41, v41, v91, v93
	v_bfe_i32 v91, v15, 0, 8
	v_ashrrev_i32_e32 v93, 24, v15
	v_add3_u32 v68, v71, v68, v90
	s_delay_alu instid0(VALU_DEP_4) | instskip(NEXT) | instid1(VALU_DEP_4)
	v_add3_u32 v24, v41, v69, v24
	v_mul_i32_i24_e32 v96, v91, v64
	s_delay_alu instid0(VALU_DEP_4) | instskip(SKIP_2) | instid1(VALU_DEP_3)
	v_mul_i32_i24_e32 v99, v93, v4
	v_bfe_i32 v41, v15, 8, 8
	v_bfe_i32 v15, v15, 16, 8
	v_add3_u32 v96, v97, v99, v96
	v_mul_i32_i24_e32 v97, v91, v86
	v_mul_i32_i24_e32 v99, v93, v6
	v_mul_i32_i24_e32 v69, v41, v5
	v_mul_i32_i24_e32 v71, v15, v35
	v_mul_i32_i24_e32 v90, v15, v18
	s_delay_alu instid0(VALU_DEP_4) | instskip(SKIP_4) | instid1(VALU_DEP_3)
	v_add3_u32 v72, v72, v99, v97
	v_mul_i32_i24_e32 v97, v91, v87
	v_mul_i32_i24_e32 v99, v93, v17
	v_add3_u32 v69, v96, v69, v71
	v_mul_i32_i24_e32 v71, v41, v61
	v_add3_u32 v73, v73, v99, v97
	v_mul_i32_i24_e32 v97, v55, v64
	v_mul_i32_i24_e32 v99, v70, v4
	s_delay_alu instid0(VALU_DEP_4)
	v_add3_u32 v71, v72, v71, v90
	v_mul_i32_i24_e32 v72, v41, v63
	v_mul_i32_i24_e32 v90, v15, v7
	;; [unrolled: 1-line block ×3, first 2 shown]
	v_add3_u32 v76, v76, v99, v97
	v_mul_i32_i24_e32 v97, v55, v86
	v_mul_i32_i24_e32 v99, v70, v6
	v_add3_u32 v72, v73, v72, v90
	v_mul_i32_i24_e32 v73, v12, v35
	v_mul_i32_i24_e32 v90, v12, v7
	s_delay_alu instid0(VALU_DEP_4)
	v_add3_u32 v97, v100, v99, v97
	v_mul_i32_i24_e32 v99, v55, v87
	v_mul_i32_i24_e32 v100, v70, v17
	v_add3_u32 v48, v76, v48, v73
	v_mul_i32_i24_e32 v73, v26, v61
	v_mul_i32_i24_e32 v76, v12, v18
	;; [unrolled: 1-line block ×3, first 2 shown]
	v_add3_u32 v77, v77, v100, v99
	v_mul_i32_i24_e32 v99, v106, v232
	v_mul_i32_i24_e32 v70, v70, v214
	v_add3_u32 v73, v97, v73, v76
	v_mul_i32_i24_e32 v76, v26, v63
	v_mul_i32_i24_e32 v12, v12, v14
	v_add3_u32 v1, v1, v99, v74
	v_bfe_i32 v74, v11, 0, 8
	v_ashrrev_i32_e32 v99, 24, v11
	v_add3_u32 v76, v77, v76, v90
	v_add3_u32 v0, v0, v70, v55
	;; [unrolled: 1-line block ×3, first 2 shown]
	v_mul_i32_i24_e32 v100, v74, v64
	v_mul_i32_i24_e32 v103, v99, v4
	v_bfe_i32 v28, v11, 8, 8
	v_bfe_i32 v11, v11, 16, 8
	;; [unrolled: 1-line block ×4, first 2 shown]
	v_add3_u32 v78, v78, v103, v100
	v_mul_i32_i24_e32 v100, v74, v86
	v_mul_i32_i24_e32 v103, v99, v6
	;; [unrolled: 1-line block ×5, first 2 shown]
	s_delay_alu instid0(VALU_DEP_4)
	v_add3_u32 v79, v79, v103, v100
	v_mul_i32_i24_e32 v100, v74, v87
	v_mul_i32_i24_e32 v103, v99, v17
	v_add3_u32 v43, v78, v43, v77
	v_mul_i32_i24_e32 v77, v28, v61
	v_mul_i32_i24_e32 v78, v11, v18
	;; [unrolled: 1-line block ×3, first 2 shown]
	v_add3_u32 v80, v80, v103, v100
	v_mul_i32_i24_e32 v100, v112, v232
	v_mul_i32_i24_e32 v103, v109, v42
	v_add3_u32 v77, v79, v77, v78
	v_mul_i32_i24_e32 v78, v28, v63
	v_mul_i32_i24_e32 v79, v11, v7
	;; [unrolled: 1-line block ×3, first 2 shown]
	v_add3_u32 v34, v34, v100, v103
	v_bfe_i32 v100, v10, 0, 8
	v_ashrrev_i32_e32 v103, 24, v10
	v_add3_u32 v78, v80, v78, v79
	v_add3_u32 v42, v47, v101, v42
	;; [unrolled: 1-line block ×3, first 2 shown]
	v_mul_i32_i24_e32 v104, v100, v64
	v_mul_i32_i24_e32 v106, v103, v4
	v_bfe_i32 v34, v10, 8, 8
	v_bfe_i32 v10, v10, 16, 8
	;; [unrolled: 1-line block ×3, first 2 shown]
	v_ashrrev_i32_e32 v82, 24, v9
	v_add3_u32 v52, v52, v106, v104
	v_mul_i32_i24_e32 v104, v100, v86
	v_mul_i32_i24_e32 v106, v103, v6
	;; [unrolled: 1-line block ×5, first 2 shown]
	v_add3_u32 v32, v42, v49, v32
	v_add3_u32 v75, v75, v106, v104
	v_mul_i32_i24_e32 v104, v100, v87
	v_mul_i32_i24_e32 v106, v103, v17
	v_add3_u32 v51, v52, v51, v79
	v_mul_i32_i24_e32 v52, v34, v61
	v_mul_i32_i24_e32 v79, v10, v18
	v_bfe_i32 v42, v9, 8, 8
	v_add3_u32 v83, v83, v106, v104
	v_mul_i32_i24_e32 v104, v82, v4
	v_bfe_i32 v9, v9, 16, 8
	v_add3_u32 v52, v75, v52, v79
	v_mul_i32_i24_e32 v75, v34, v63
	v_mul_i32_i24_e32 v79, v10, v7
	v_add3_u32 v50, v50, v104, v101
	v_mul_i32_i24_e32 v49, v42, v5
	v_mul_i32_i24_e32 v64, v218, v64
	v_mul_i32_i24_e32 v5, v40, v5
	v_add3_u32 v75, v83, v75, v79
	v_mul_i32_i24_e32 v79, v9, v35
	;; [unrolled: 4-line block ×3, first 2 shown]
	v_add3_u32 v49, v50, v49, v79
	v_mul_i32_i24_e32 v50, v42, v61
	v_mul_i32_i24_e32 v61, v40, v61
	;; [unrolled: 1-line block ×3, first 2 shown]
	v_add3_u32 v81, v81, v104, v101
	v_mul_i32_i24_e32 v79, v9, v18
	v_mul_i32_i24_e32 v64, v89, v214
	v_add3_u32 v37, v39, v37, v61
	v_mul_i32_i24_e32 v39, v218, v87
	v_mul_i32_i24_e32 v101, v47, v87
	;; [unrolled: 3-line block ×4, first 2 shown]
	v_mul_i32_i24_e32 v80, v9, v7
	v_add3_u32 v84, v84, v104, v101
	v_mul_i32_i24_e32 v35, v36, v35
	v_mul_i32_i24_e32 v4, v211, v4
	v_add3_u32 v20, v20, v44, v40
	v_bfe_i32 v40, v19, 0, 8
	v_bfe_i32 v44, v19, 8, 8
	v_add3_u32 v79, v84, v79, v80
	v_add3_u32 v4, v5, v35, v4
	v_mul_i32_i24_e32 v5, v36, v18
	v_mul_i32_i24_e32 v61, v40, v196
	;; [unrolled: 1-line block ×4, first 2 shown]
	v_add3_u32 v0, v0, v26, v12
	v_mul_i32_i24_e32 v11, v11, v14
	v_mul_i32_i24_e32 v28, v28, v38
	v_add3_u32 v59, v59, v61, v63
	v_mul_i32_i24_e32 v61, v40, v197
	v_mul_i32_i24_e32 v63, v44, v198
	;; [unrolled: 3-line block ×3, first 2 shown]
	v_ashrrev_i32_e32 v17, 24, v19
	v_add3_u32 v61, v62, v61, v63
	v_mul_i32_i24_e32 v62, v40, v207
	v_mul_i32_i24_e32 v63, v44, v208
	v_add3_u32 v6, v39, v6, v7
	v_mul_i32_i24_e32 v7, v13, v14
	v_mul_i32_i24_e32 v13, v46, v38
	;; [unrolled: 1-line block ×3, first 2 shown]
	v_add3_u32 v62, v66, v62, v63
	v_mul_i32_i24_e32 v63, v88, v215
	v_mul_i32_i24_e32 v40, v185, v40
	v_add3_u32 v7, v20, v13, v7
	v_bfe_i32 v13, v19, 16, 8
	v_mul_i32_i24_e32 v19, v17, v191
	v_add3_u32 v22, v22, v64, v63
	v_bfe_i32 v63, v21, 0, 8
	v_bfe_i32 v64, v21, 8, 8
	v_mul_i32_i24_e32 v18, v13, v190
	v_mul_i32_i24_e32 v20, v17, v193
	;; [unrolled: 1-line block ×5, first 2 shown]
	v_add3_u32 v18, v59, v18, v19
	v_mul_i32_i24_e32 v19, v13, v192
	v_add3_u32 v7, v7, v40, v44
	v_mul_i32_i24_e32 v40, v185, v63
	;; [unrolled: 2-line block ×3, first 2 shown]
	v_mul_i32_i24_e32 v66, v64, v198
	v_add3_u32 v19, v61, v19, v20
	v_mul_i32_i24_e32 v20, v13, v202
	v_mul_i32_i24_e32 v44, v8, v64
	;; [unrolled: 1-line block ×3, first 2 shown]
	v_add3_u32 v65, v67, v65, v66
	v_mul_i32_i24_e32 v66, v63, v207
	v_mul_i32_i24_e32 v67, v64, v208
	v_add3_u32 v20, v62, v20, v35
	v_mul_i32_i24_e32 v35, v45, v38
	v_mul_i32_i24_e32 v82, v82, v214
	;; [unrolled: 1-line block ×3, first 2 shown]
	v_add3_u32 v66, v68, v66, v67
	v_mul_i32_i24_e32 v67, v91, v215
	v_mul_i32_i24_e32 v68, v93, v214
	v_add3_u32 v16, v22, v35, v16
	v_bfe_i32 v22, v21, 16, 8
	v_ashrrev_i32_e32 v21, 24, v21
	v_mul_i32_i24_e32 v34, v34, v38
	v_add3_u32 v24, v24, v68, v67
	v_bfe_i32 v67, v23, 0, 8
	v_bfe_i32 v68, v23, 8, 8
	v_mul_i32_i24_e32 v35, v22, v190
	v_mul_i32_i24_e32 v36, v21, v191
	;; [unrolled: 1-line block ×6, first 2 shown]
	v_add3_u32 v35, v60, v35, v36
	v_mul_i32_i24_e32 v36, v22, v192
	v_add3_u32 v16, v16, v40, v44
	v_add3_u32 v69, v69, v80, v81
	v_mul_i32_i24_e32 v80, v67, v197
	v_mul_i32_i24_e32 v81, v68, v198
	v_add3_u32 v36, v65, v36, v37
	v_mul_i32_i24_e32 v37, v22, v202
	v_mul_i32_i24_e32 v40, v185, v67
	;; [unrolled: 1-line block ×3, first 2 shown]
	v_add3_u32 v71, v71, v80, v81
	v_mul_i32_i24_e32 v80, v67, v207
	v_mul_i32_i24_e32 v81, v68, v208
	v_add3_u32 v37, v66, v37, v39
	v_mul_i32_i24_e32 v39, v41, v38
	v_add3_u32 v32, v32, v82, v47
	v_bfe_i32 v47, v31, 0, 8
	v_add3_u32 v72, v72, v80, v81
	v_mul_i32_i24_e32 v80, v55, v196
	v_mul_i32_i24_e32 v81, v70, v195
	v_add3_u32 v15, v24, v39, v15
	v_bfe_i32 v24, v23, 16, 8
	v_ashrrev_i32_e32 v23, 24, v23
	v_bfe_i32 v12, v25, 16, 8
	v_add3_u32 v48, v48, v80, v81
	v_mul_i32_i24_e32 v80, v55, v197
	v_mul_i32_i24_e32 v81, v70, v198
	;; [unrolled: 1-line block ×4, first 2 shown]
	v_add3_u32 v15, v15, v40, v44
	v_mul_i32_i24_e32 v40, v185, v55
	v_add3_u32 v73, v73, v80, v81
	v_mul_i32_i24_e32 v80, v55, v207
	v_mul_i32_i24_e32 v81, v70, v208
	;; [unrolled: 1-line block ×3, first 2 shown]
	v_add3_u32 v39, v69, v39, v41
	v_mul_i32_i24_e32 v41, v24, v192
	v_mul_i32_i24_e32 v45, v23, v193
	v_add3_u32 v76, v76, v80, v81
	v_mul_i32_i24_e32 v80, v99, v214
	v_add3_u32 v0, v0, v40, v44
	;; [unrolled: 2-line block ×4, first 2 shown]
	v_bfe_i32 v74, v27, 0, 8
	v_bfe_i32 v80, v27, 8, 8
	v_ashrrev_i32_e32 v25, 24, v25
	v_mul_i32_i24_e32 v9, v9, v14
	v_add3_u32 v1, v1, v28, v11
	v_mul_i32_i24_e32 v81, v74, v196
	v_mul_i32_i24_e32 v83, v80, v195
	;; [unrolled: 1-line block ×5, first 2 shown]
	v_add3_u32 v45, v72, v45, v46
	v_add3_u32 v43, v43, v81, v83
	v_mul_i32_i24_e32 v81, v74, v197
	v_mul_i32_i24_e32 v83, v80, v198
	v_add3_u32 v1, v1, v40, v44
	v_mul_i32_i24_e32 v26, v12, v190
	v_mul_i32_i24_e32 v46, v25, v191
	v_add3_u32 v9, v32, v14, v9
	v_add3_u32 v77, v77, v81, v83
	v_mul_i32_i24_e32 v81, v74, v207
	v_mul_i32_i24_e32 v83, v80, v208
	v_add3_u32 v26, v48, v26, v46
	v_mul_i32_i24_e32 v46, v12, v192
	v_mul_i32_i24_e32 v48, v25, v193
	;; [unrolled: 1-line block ×3, first 2 shown]
	v_add3_u32 v78, v78, v81, v83
	v_mul_i32_i24_e32 v81, v100, v215
	v_mul_i32_i24_e32 v83, v103, v214
	v_add3_u32 v46, v73, v46, v48
	v_mul_i32_i24_e32 v48, v12, v202
	v_bfe_i32 v11, v27, 16, 8
	v_ashrrev_i32_e32 v27, 24, v27
	v_add3_u32 v30, v30, v83, v81
	v_bfe_i32 v81, v29, 0, 8
	v_bfe_i32 v83, v29, 8, 8
	v_add3_u32 v48, v76, v48, v59
	v_mul_i32_i24_e32 v28, v11, v190
	v_add3_u32 v10, v30, v34, v10
	v_mul_i32_i24_e32 v84, v81, v196
	v_mul_i32_i24_e32 v85, v83, v195
	;; [unrolled: 1-line block ×6, first 2 shown]
	v_add3_u32 v51, v51, v84, v85
	v_mul_i32_i24_e32 v84, v81, v197
	v_mul_i32_i24_e32 v85, v83, v198
	v_add3_u32 v10, v10, v40, v44
	v_mul_i32_i24_e32 v40, v185, v47
	v_add3_u32 v28, v43, v28, v59
	;; [unrolled: 2-line block ×3, first 2 shown]
	v_mul_i32_i24_e32 v84, v81, v207
	v_mul_i32_i24_e32 v85, v83, v208
	;; [unrolled: 1-line block ×3, first 2 shown]
	v_bfe_i32 v30, v29, 16, 8
	v_ashrrev_i32_e32 v29, 24, v29
	v_bfe_i32 v14, v31, 16, 8
	v_add3_u32 v75, v75, v84, v85
	v_bfe_i32 v84, v31, 8, 8
	v_add3_u32 v43, v77, v43, v59
	v_mul_i32_i24_e32 v59, v11, v202
	v_mul_i32_i24_e32 v11, v183, v11
	v_ashrrev_i32_e32 v31, 24, v31
	v_mul_i32_i24_e32 v8, v8, v84
	v_mul_i32_i24_e32 v85, v84, v195
	;; [unrolled: 1-line block ×5, first 2 shown]
	v_add3_u32 v8, v9, v40, v8
	v_mul_i32_i24_e32 v9, v183, v13
	v_mul_i32_i24_e32 v13, v184, v17
	v_add3_u32 v59, v78, v59, v60
	v_mul_i32_i24_e32 v60, v29, v191
	v_mul_i32_i24_e32 v38, v31, v191
	v_cvt_f32_i32_e32 v17, v39
	v_add3_u32 v7, v7, v9, v13
	v_mul_i32_i24_e32 v9, v183, v22
	v_mul_i32_i24_e32 v13, v184, v21
	v_add3_u32 v34, v51, v34, v60
	v_mul_i32_i24_e32 v51, v30, v192
	v_mul_i32_i24_e32 v60, v29, v193
	v_fma_mix_f32 v17, v175, v17, v175 op_sel:[0,0,1] op_sel_hi:[1,0,1]
	v_add3_u32 v9, v16, v9, v13
	v_mul_i32_i24_e32 v13, v183, v24
	v_mul_i32_i24_e32 v16, v184, v23
	v_add3_u32 v51, v52, v51, v60
	v_mul_i32_i24_e32 v60, v29, v203
	v_add_f32_e32 v128, v128, v17
	v_mul_i32_i24_e32 v42, v31, v193
	v_add3_u32 v13, v15, v13, v16
	v_mul_i32_i24_e32 v15, v184, v25
	v_mul_i32_i24_e32 v52, v30, v202
	v_cvt_f32_i32_e32 v16, v37
	v_cvt_f32_i32_e32 v21, v46
	;; [unrolled: 1-line block ×3, first 2 shown]
	v_add3_u32 v0, v0, v12, v15
	v_mul_i32_i24_e32 v12, v184, v27
	v_add3_u32 v52, v75, v52, v60
	v_cvt_f32_i32_e32 v15, v36
	v_cvt_f32_i32_e32 v23, v28
	;; [unrolled: 1-line block ×3, first 2 shown]
	v_add3_u32 v1, v1, v11, v12
	v_mul_i32_i24_e32 v11, v183, v30
	v_mul_i32_i24_e32 v12, v184, v29
	v_cvt_f32_i32_e32 v24, v43
	v_cvt_f32_i32_e32 v25, v59
	;; [unrolled: 1-line block ×4, first 2 shown]
	v_add3_u32 v10, v10, v11, v12
	v_mul_i32_i24_e32 v11, v183, v14
	v_mul_i32_i24_e32 v12, v184, v31
	v_cvt_f32_i32_e32 v28, v52
	v_fma_mix_f32 v15, v177, v15, v177 op_sel:[0,0,1] op_sel_hi:[1,0,1]
	v_fma_mix_f32 v16, v174, v16, v174 op_sel:[0,0,1] op_sel_hi:[1,0,1]
	;; [unrolled: 1-line block ×3, first 2 shown]
	v_add3_u32 v8, v8, v11, v12
	v_cvt_f32_i32_e32 v11, v33
	v_cvt_f32_i32_e32 v12, v20
	;; [unrolled: 1-line block ×4, first 2 shown]
	v_fma_mix_f32 v22, v165, v22, v165 op_sel:[0,0,1] op_sel_hi:[1,0,1]
	v_fma_mix_f32 v2, v2, v11, v2 op_sel:[0,0,1] op_sel_hi:[1,0,1]
	v_cvt_f32_i32_e32 v11, v19
	v_cvt_f32_i32_e32 v19, v45
	v_fma_mix_f32 v12, v176, v12, v176 op_sel:[0,0,1] op_sel_hi:[1,0,1]
	v_fma_mix_f32 v20, v173, v20, v173 op_sel:[0,0,1] op_sel_hi:[1,0,1]
	v_add_f32_e32 v161, v161, v2
	v_mul_i32_i24_e32 v82, v47, v196
	v_cvt_f32_i32_e32 v2, v4
	v_cvt_f32_i32_e32 v4, v5
	;; [unrolled: 1-line block ×4, first 2 shown]
	v_add3_u32 v49, v49, v82, v85
	v_fma_mix_f32 v2, v151, v2, v151 op_sel:[0,0,1] op_sel_hi:[1,0,1]
	v_fma_mix_f32 v4, v182, v4, v182 op_sel:[0,0,1] op_sel_hi:[1,0,1]
	;; [unrolled: 1-line block ×3, first 2 shown]
	v_cvt_f32_i32_e32 v18, v41
	v_add3_u32 v32, v49, v32, v38
	s_delay_alu instid0(VALU_DEP_4)
	v_dual_add_f32 v140, v140, v2 :: v_dual_add_f32 v145, v145, v4
	scratch_load_b32 v4, off, off offset:4 th:TH_LOAD_LU ; 4-byte Folded Reload
	v_add_f32_e32 v148, v148, v5
	v_cvt_f32_i32_e32 v29, v32
	scratch_load_b32 v5, off, off offset:8 th:TH_LOAD_LU ; 4-byte Folded Reload
	v_cvt_f32_i32_e32 v2, v7
	scratch_load_b32 v7, off, off offset:20 th:TH_LOAD_LU ; 4-byte Folded Reload
	v_mul_i32_i24_e32 v82, v47, v197
	v_fma_mix_f32 v3, v3, v29, v3 op_sel:[0,0,1] op_sel_hi:[1,0,1]
	v_mul_i32_i24_e32 v85, v84, v198
	v_fma_mix_f32 v18, v172, v18, v172 op_sel:[0,0,1] op_sel_hi:[1,0,1]
	v_mul_i32_i24_e32 v38, v14, v192
	v_mul_i32_i24_e32 v49, v31, v203
	v_add_f32_e32 v107, v107, v3
	scratch_load_b32 v3, off, off th:TH_LOAD_LU ; 4-byte Folded Reload
	v_add3_u32 v50, v50, v82, v85
	v_mul_i32_i24_e32 v85, v84, v208
	v_add_f32_e32 v138, v138, v18
	v_mul_i32_i24_e32 v82, v47, v207
	v_fma_mix_f32 v6, v181, v6, v181 op_sel:[0,0,1] op_sel_hi:[1,0,1]
	v_add3_u32 v38, v50, v38, v42
	v_mul_i32_i24_e32 v42, v14, v202
	v_cvt_f32_i32_e32 v14, v35
	v_add3_u32 v79, v79, v82, v85
	v_add_f32_e32 v137, v137, v6
	v_cvt_f32_i32_e32 v29, v38
	v_cvt_f32_i32_e32 v6, v8
	v_fma_mix_f32 v11, v178, v11, v178 op_sel:[0,0,1] op_sel_hi:[1,0,1]
	v_add3_u32 v42, v79, v42, v49
	v_fma_mix_f32 v14, v179, v14, v179 op_sel:[0,0,1] op_sel_hi:[1,0,1]
	v_fma_mix_f32 v19, v170, v19, v170 op_sel:[0,0,1] op_sel_hi:[1,0,1]
	;; [unrolled: 1-line block ×4, first 2 shown]
	v_cvt_f32_i32_e32 v30, v42
	v_fma_mix_f32 v25, v163, v25, v163 op_sel:[0,0,1] op_sel_hi:[1,0,1]
	v_fma_mix_f32 v26, v167, v26, v167 op_sel:[0,0,1] op_sel_hi:[1,0,1]
	;; [unrolled: 1-line block ×6, first 2 shown]
	v_add_f32_e32 v143, v143, v11
	v_dual_add_f32 v147, v147, v12 :: v_dual_add_f32 v134, v134, v14
	v_dual_add_f32 v141, v141, v15 :: v_dual_add_f32 v146, v146, v16
	v_add_f32_e32 v144, v144, v19
	v_dual_add_f32 v122, v122, v20 :: v_dual_add_f32 v135, v135, v21
	v_add_f32_e32 v142, v142, v22
	v_add_f32_e32 v116, v116, v23
	v_dual_add_f32 v130, v130, v24 :: v_dual_add_f32 v139, v139, v25
	v_dual_add_f32 v111, v111, v26 :: v_dual_add_f32 v124, v124, v27
	v_add_f32_e32 v136, v136, v28
	v_add_f32_e32 v118, v118, v29
	;; [unrolled: 1-line block ×3, first 2 shown]
	s_wait_loadcnt 0x1
	v_fma_mix_f32 v6, v7, v6, v7 op_sel:[0,0,1] op_sel_hi:[1,0,1]
	s_delay_alu instid0(VALU_DEP_1) | instskip(SKIP_3) | instid1(VALU_DEP_2)
	v_add_f32_e32 v98, v98, v6
	s_wait_loadcnt 0x0
	v_fma_mix_f32 v2, v3, v2, v3 op_sel:[0,0,1] op_sel_hi:[1,0,1]
	v_cvt_f32_i32_e32 v3, v9
	v_add_f32_e32 v126, v126, v2
	s_delay_alu instid0(VALU_DEP_2) | instskip(SKIP_1) | instid1(VALU_DEP_2)
	v_fma_mix_f32 v3, v4, v3, v4 op_sel:[0,0,1] op_sel_hi:[1,0,1]
	v_cvt_f32_i32_e32 v4, v13
	v_add_f32_e32 v120, v120, v3
	s_delay_alu instid0(VALU_DEP_2)
	v_fma_mix_f32 v4, v5, v4, v5 op_sel:[0,0,1] op_sel_hi:[1,0,1]
	scratch_load_b32 v5, off, off offset:12 th:TH_LOAD_LU ; 4-byte Folded Reload
	v_add_f32_e32 v114, v114, v4
	s_wait_loadcnt 0x0
	v_fma_mix_f32 v0, v5, v0, v5 op_sel:[0,0,1] op_sel_hi:[1,0,1]
	scratch_load_b32 v5, off, off offset:16 th:TH_LOAD_LU ; 4-byte Folded Reload
	v_add_f32_e32 v110, v110, v0
	s_wait_loadcnt 0x0
	v_fma_mix_f32 v1, v5, v1, v5 op_sel:[0,0,1] op_sel_hi:[1,0,1]
	v_cvt_f32_i32_e32 v5, v10
	s_delay_alu instid0(VALU_DEP_2) | instskip(NEXT) | instid1(VALU_DEP_2)
	v_add_f32_e32 v105, v105, v1
	v_fma_mix_f32 v5, v153, v5, v153 op_sel:[0,0,1] op_sel_hi:[1,0,1]
	s_delay_alu instid0(VALU_DEP_1)
	v_add_f32_e32 v102, v102, v5
	s_cbranch_scc1 .LBB139_12
; %bb.13:                               ;   in Loop: Header=BB139_7 Depth=1
	s_wait_storecnt 0x0
	s_barrier_signal -1
	s_barrier_wait -1
	global_inv scope:SCOPE_SE
	s_branch .LBB139_5
.LBB139_14:
	s_clause 0x2
	scratch_load_b32 v6, off, off offset:276 th:TH_LOAD_LU
	scratch_load_b32 v34, off, off offset:24 th:TH_LOAD_LU
	scratch_load_b32 v35, off, off offset:280
	v_cvt_f16_f32_e64 v12, v161
	v_cvt_f16_f32_e64 v13, v140
	;; [unrolled: 1-line block ×4, first 2 shown]
	v_cvt_f16_f32_e32 v32, v126
	v_cvt_f16_f32_e64 v31, v137
	v_cvt_f16_f32_e64 v30, v143
	v_cvt_f16_f32_e64 v29, v147
	v_cvt_f16_f32_e32 v28, v120
	v_cvt_f16_f32_e64 v27, v134
	v_cvt_f16_f32_e64 v26, v141
	v_cvt_f16_f32_e64 v25, v146
	;; [unrolled: 4-line block ×3, first 2 shown]
	v_cvt_f16_f32_e32 v20, v110
	v_cvt_f16_f32_e32 v19, v122
	v_cvt_f16_f32_e64 v18, v135
	v_cvt_f16_f32_e64 v17, v142
	v_cvt_f16_f32_e32 v16, v105
	v_cvt_f16_f32_e32 v15, v116
	v_cvt_f16_f32_e64 v11, v130
	v_cvt_f16_f32_e64 v10, v139
	v_cvt_f16_f32_e32 v9, v102
	v_cvt_f16_f32_e32 v8, v111
	;; [unrolled: 1-line block ×3, first 2 shown]
	v_cvt_f16_f32_e64 v5, v136
	v_cvt_f16_f32_e32 v4, v98
	s_wait_loadcnt 0x4
	v_cvt_f16_f32_e32 v3, v107
	v_cvt_f16_f32_e32 v2, v118
	v_cvt_f16_f32_e64 v1, v132
.LBB139_15:
	s_mov_b32 s0, exec_lo
	s_wait_loadcnt 0x0
	v_cmpx_gt_u32_e64 s4, v35
	s_cbranch_execz .LBB139_66
; %bb.16:
	v_add_nc_u32_e32 v0, s14, v34
	v_mul_lo_u32 v34, v35, s6
	s_delay_alu instid0(VALU_DEP_2)
	v_cmp_gt_u32_e32 vcc_lo, s6, v0
	s_and_saveexec_b32 s1, vcc_lo
	s_cbranch_execz .LBB139_18
; %bb.17:
	s_delay_alu instid0(VALU_DEP_2) | instskip(NEXT) | instid1(VALU_DEP_1)
	v_dual_mov_b32 v36, 0 :: v_dual_add_nc_u32 v35, v0, v34
	v_lshlrev_b64_e32 v[35:36], 1, v[35:36]
	s_wait_kmcnt 0x0
	s_delay_alu instid0(VALU_DEP_1) | instskip(NEXT) | instid1(VALU_DEP_1)
	v_add_co_u32 v35, s0, s8, v35
	v_add_co_ci_u32_e64 v36, null, s9, v36, s0
	global_store_b16 v[35:36], v12, off
.LBB139_18:
	s_or_b32 exec_lo, exec_lo, s1
	v_add_nc_u32_e32 v12, 32, v0
	s_delay_alu instid0(VALU_DEP_1)
	v_cmp_gt_u32_e64 s0, s6, v12
	s_and_saveexec_b32 s2, s0
	s_cbranch_execz .LBB139_20
; %bb.19:
	v_dual_mov_b32 v36, 0 :: v_dual_add_nc_u32 v35, v12, v34
	s_delay_alu instid0(VALU_DEP_1) | instskip(SKIP_1) | instid1(VALU_DEP_1)
	v_lshlrev_b64_e32 v[35:36], 1, v[35:36]
	s_wait_kmcnt 0x0
	v_add_co_u32 v35, s1, s8, v35
	s_wait_alu 0xf1ff
	s_delay_alu instid0(VALU_DEP_2)
	v_add_co_ci_u32_e64 v36, null, s9, v36, s1
	global_store_b16 v[35:36], v13, off
.LBB139_20:
	s_wait_alu 0xfffe
	s_or_b32 exec_lo, exec_lo, s2
	v_add_nc_u32_e32 v13, 64, v0
	s_delay_alu instid0(VALU_DEP_1)
	v_cmp_gt_u32_e64 s1, s6, v13
	s_and_saveexec_b32 s3, s1
	s_cbranch_execz .LBB139_22
; %bb.21:
	v_dual_mov_b32 v36, 0 :: v_dual_add_nc_u32 v35, v13, v34
	s_delay_alu instid0(VALU_DEP_1) | instskip(SKIP_1) | instid1(VALU_DEP_1)
	v_lshlrev_b64_e32 v[35:36], 1, v[35:36]
	s_wait_kmcnt 0x0
	v_add_co_u32 v35, s2, s8, v35
	s_wait_alu 0xf1ff
	s_delay_alu instid0(VALU_DEP_2)
	v_add_co_ci_u32_e64 v36, null, s9, v36, s2
	global_store_b16 v[35:36], v14, off
.LBB139_22:
	s_wait_alu 0xfffe
	;; [unrolled: 18-line block ×3, first 2 shown]
	s_or_b32 exec_lo, exec_lo, s5
	v_add3_u32 v33, v6, s7, 8
	s_delay_alu instid0(VALU_DEP_1)
	v_cmp_gt_u32_e64 s3, s4, v33
	s_and_b32 exec_lo, exec_lo, s3
	s_cbranch_execz .LBB139_66
; %bb.25:
	v_mul_lo_u32 v33, v33, s6
	s_and_saveexec_b32 s5, vcc_lo
	s_cbranch_execnz .LBB139_67
; %bb.26:
	s_wait_alu 0xfffe
	s_or_b32 exec_lo, exec_lo, s5
	s_and_saveexec_b32 s5, s0
	s_cbranch_execnz .LBB139_68
.LBB139_27:
	s_wait_alu 0xfffe
	s_or_b32 exec_lo, exec_lo, s5
	s_and_saveexec_b32 s5, s1
	s_cbranch_execnz .LBB139_69
.LBB139_28:
	s_wait_alu 0xfffe
	s_or_b32 exec_lo, exec_lo, s5
	s_and_saveexec_b32 s5, s2
	s_cbranch_execz .LBB139_30
.LBB139_29:
	v_dual_mov_b32 v31, 0 :: v_dual_add_nc_u32 v30, v33, v14
	s_delay_alu instid0(VALU_DEP_1) | instskip(SKIP_1) | instid1(VALU_DEP_1)
	v_lshlrev_b64_e32 v[30:31], 1, v[30:31]
	s_wait_kmcnt 0x0
	v_add_co_u32 v30, s3, s8, v30
	s_wait_alu 0xf1ff
	s_delay_alu instid0(VALU_DEP_2)
	v_add_co_ci_u32_e64 v31, null, s9, v31, s3
	global_store_b16 v[30:31], v29, off
.LBB139_30:
	s_wait_alu 0xfffe
	s_or_b32 exec_lo, exec_lo, s5
	v_add3_u32 v29, v6, s7, 16
	s_delay_alu instid0(VALU_DEP_1)
	v_cmp_gt_u32_e64 s3, s4, v29
	s_and_b32 exec_lo, exec_lo, s3
	s_cbranch_execz .LBB139_66
; %bb.31:
	v_mul_lo_u32 v29, v29, s6
	s_and_saveexec_b32 s5, vcc_lo
	s_cbranch_execnz .LBB139_70
; %bb.32:
	s_wait_alu 0xfffe
	s_or_b32 exec_lo, exec_lo, s5
	s_and_saveexec_b32 s5, s0
	s_cbranch_execnz .LBB139_71
.LBB139_33:
	s_wait_alu 0xfffe
	s_or_b32 exec_lo, exec_lo, s5
	s_and_saveexec_b32 s5, s1
	s_cbranch_execnz .LBB139_72
.LBB139_34:
	s_wait_alu 0xfffe
	s_or_b32 exec_lo, exec_lo, s5
	s_and_saveexec_b32 s5, s2
	s_cbranch_execz .LBB139_36
.LBB139_35:
	v_dual_mov_b32 v27, 0 :: v_dual_add_nc_u32 v26, v29, v14
	s_delay_alu instid0(VALU_DEP_1) | instskip(SKIP_1) | instid1(VALU_DEP_1)
	v_lshlrev_b64_e32 v[26:27], 1, v[26:27]
	s_wait_kmcnt 0x0
	v_add_co_u32 v26, s3, s8, v26
	s_wait_alu 0xf1ff
	s_delay_alu instid0(VALU_DEP_2)
	v_add_co_ci_u32_e64 v27, null, s9, v27, s3
	global_store_b16 v[26:27], v25, off
.LBB139_36:
	s_wait_alu 0xfffe
	s_or_b32 exec_lo, exec_lo, s5
	v_add3_u32 v25, v6, s7, 24
	s_delay_alu instid0(VALU_DEP_1)
	v_cmp_gt_u32_e64 s3, s4, v25
	s_and_b32 exec_lo, exec_lo, s3
	s_cbranch_execz .LBB139_66
; %bb.37:
	v_mul_lo_u32 v25, v25, s6
	s_and_saveexec_b32 s5, vcc_lo
	s_cbranch_execnz .LBB139_73
; %bb.38:
	s_wait_alu 0xfffe
	s_or_b32 exec_lo, exec_lo, s5
	s_and_saveexec_b32 s5, s0
	s_cbranch_execnz .LBB139_74
.LBB139_39:
	s_wait_alu 0xfffe
	s_or_b32 exec_lo, exec_lo, s5
	s_and_saveexec_b32 s5, s1
	s_cbranch_execnz .LBB139_75
.LBB139_40:
	s_wait_alu 0xfffe
	s_or_b32 exec_lo, exec_lo, s5
	s_and_saveexec_b32 s5, s2
	s_cbranch_execz .LBB139_42
.LBB139_41:
	v_dual_mov_b32 v23, 0 :: v_dual_add_nc_u32 v22, v25, v14
	s_delay_alu instid0(VALU_DEP_1) | instskip(SKIP_1) | instid1(VALU_DEP_1)
	v_lshlrev_b64_e32 v[22:23], 1, v[22:23]
	s_wait_kmcnt 0x0
	v_add_co_u32 v22, s3, s8, v22
	s_wait_alu 0xf1ff
	s_delay_alu instid0(VALU_DEP_2)
	v_add_co_ci_u32_e64 v23, null, s9, v23, s3
	global_store_b16 v[22:23], v21, off
.LBB139_42:
	s_wait_alu 0xfffe
	s_or_b32 exec_lo, exec_lo, s5
	v_add3_u32 v21, v6, s7, 32
	s_delay_alu instid0(VALU_DEP_1)
	v_cmp_gt_u32_e64 s3, s4, v21
	s_and_b32 exec_lo, exec_lo, s3
	s_cbranch_execz .LBB139_66
; %bb.43:
	v_mul_lo_u32 v21, v21, s6
	s_and_saveexec_b32 s5, vcc_lo
	s_cbranch_execnz .LBB139_76
; %bb.44:
	s_wait_alu 0xfffe
	s_or_b32 exec_lo, exec_lo, s5
	s_and_saveexec_b32 s5, s0
	s_cbranch_execnz .LBB139_77
.LBB139_45:
	s_wait_alu 0xfffe
	s_or_b32 exec_lo, exec_lo, s5
	s_and_saveexec_b32 s5, s1
	s_cbranch_execnz .LBB139_78
.LBB139_46:
	s_wait_alu 0xfffe
	s_or_b32 exec_lo, exec_lo, s5
	s_and_saveexec_b32 s5, s2
	s_cbranch_execz .LBB139_48
.LBB139_47:
	v_dual_mov_b32 v19, 0 :: v_dual_add_nc_u32 v18, v21, v14
	s_delay_alu instid0(VALU_DEP_1) | instskip(SKIP_1) | instid1(VALU_DEP_1)
	v_lshlrev_b64_e32 v[18:19], 1, v[18:19]
	s_wait_kmcnt 0x0
	v_add_co_u32 v18, s3, s8, v18
	s_wait_alu 0xf1ff
	s_delay_alu instid0(VALU_DEP_2)
	v_add_co_ci_u32_e64 v19, null, s9, v19, s3
	global_store_b16 v[18:19], v17, off
.LBB139_48:
	s_wait_alu 0xfffe
	s_or_b32 exec_lo, exec_lo, s5
	v_add3_u32 v17, v6, s7, 40
	s_delay_alu instid0(VALU_DEP_1)
	v_cmp_gt_u32_e64 s3, s4, v17
	s_and_b32 exec_lo, exec_lo, s3
	s_cbranch_execz .LBB139_66
; %bb.49:
	v_mul_lo_u32 v17, v17, s6
	s_and_saveexec_b32 s5, vcc_lo
	s_cbranch_execnz .LBB139_79
; %bb.50:
	s_wait_alu 0xfffe
	s_or_b32 exec_lo, exec_lo, s5
	s_and_saveexec_b32 s5, s0
	s_cbranch_execnz .LBB139_80
.LBB139_51:
	s_wait_alu 0xfffe
	s_or_b32 exec_lo, exec_lo, s5
	s_and_saveexec_b32 s5, s1
	s_cbranch_execnz .LBB139_81
.LBB139_52:
	s_wait_alu 0xfffe
	s_or_b32 exec_lo, exec_lo, s5
	s_and_saveexec_b32 s5, s2
	s_cbranch_execz .LBB139_54
.LBB139_53:
	v_dual_mov_b32 v16, 0 :: v_dual_add_nc_u32 v15, v17, v14
	s_delay_alu instid0(VALU_DEP_1) | instskip(SKIP_1) | instid1(VALU_DEP_1)
	v_lshlrev_b64_e32 v[15:16], 1, v[15:16]
	s_wait_kmcnt 0x0
	v_add_co_u32 v15, s3, s8, v15
	s_wait_alu 0xf1ff
	s_delay_alu instid0(VALU_DEP_2)
	v_add_co_ci_u32_e64 v16, null, s9, v16, s3
	global_store_b16 v[15:16], v10, off
.LBB139_54:
	s_wait_alu 0xfffe
	s_or_b32 exec_lo, exec_lo, s5
	v_add3_u32 v10, v6, s7, 48
	s_delay_alu instid0(VALU_DEP_1)
	v_cmp_gt_u32_e64 s3, s4, v10
	s_and_b32 exec_lo, exec_lo, s3
	s_cbranch_execz .LBB139_66
; %bb.55:
	v_mul_lo_u32 v10, v10, s6
	s_and_saveexec_b32 s5, vcc_lo
	s_cbranch_execnz .LBB139_82
; %bb.56:
	s_wait_alu 0xfffe
	s_or_b32 exec_lo, exec_lo, s5
	s_and_saveexec_b32 s5, s0
	s_cbranch_execnz .LBB139_83
.LBB139_57:
	s_wait_alu 0xfffe
	s_or_b32 exec_lo, exec_lo, s5
	s_and_saveexec_b32 s5, s1
	s_cbranch_execnz .LBB139_84
.LBB139_58:
	s_wait_alu 0xfffe
	s_or_b32 exec_lo, exec_lo, s5
	s_and_saveexec_b32 s5, s2
	s_cbranch_execz .LBB139_60
.LBB139_59:
	v_dual_mov_b32 v8, 0 :: v_dual_add_nc_u32 v7, v10, v14
	s_delay_alu instid0(VALU_DEP_1) | instskip(SKIP_1) | instid1(VALU_DEP_1)
	v_lshlrev_b64_e32 v[7:8], 1, v[7:8]
	s_wait_kmcnt 0x0
	v_add_co_u32 v7, s3, s8, v7
	s_wait_alu 0xf1ff
	s_delay_alu instid0(VALU_DEP_2)
	v_add_co_ci_u32_e64 v8, null, s9, v8, s3
	global_store_b16 v[7:8], v5, off
.LBB139_60:
	s_wait_alu 0xfffe
	s_or_b32 exec_lo, exec_lo, s5
	v_add3_u32 v5, v6, s7, 56
	s_delay_alu instid0(VALU_DEP_1)
	v_cmp_gt_u32_e64 s3, s4, v5
	s_and_b32 exec_lo, exec_lo, s3
	s_cbranch_execz .LBB139_66
; %bb.61:
	v_mul_lo_u32 v5, v5, s6
	s_and_saveexec_b32 s3, vcc_lo
	s_cbranch_execnz .LBB139_85
; %bb.62:
	s_wait_alu 0xfffe
	s_or_b32 exec_lo, exec_lo, s3
	s_and_saveexec_b32 s3, s0
	s_cbranch_execnz .LBB139_86
.LBB139_63:
	s_wait_alu 0xfffe
	s_or_b32 exec_lo, exec_lo, s3
	s_and_saveexec_b32 s0, s1
	s_cbranch_execnz .LBB139_87
.LBB139_64:
	s_wait_alu 0xfffe
	s_or_b32 exec_lo, exec_lo, s0
	s_delay_alu instid0(SALU_CYCLE_1)
	s_and_b32 exec_lo, exec_lo, s2
	s_cbranch_execz .LBB139_66
.LBB139_65:
	v_dual_mov_b32 v3, 0 :: v_dual_add_nc_u32 v2, v5, v14
	s_delay_alu instid0(VALU_DEP_1) | instskip(SKIP_1) | instid1(VALU_DEP_1)
	v_lshlrev_b64_e32 v[2:3], 1, v[2:3]
	s_wait_kmcnt 0x0
	v_add_co_u32 v2, vcc_lo, s8, v2
	s_wait_alu 0xfffd
	s_delay_alu instid0(VALU_DEP_2)
	v_add_co_ci_u32_e64 v3, null, s9, v3, vcc_lo
	global_store_b16 v[2:3], v1, off
.LBB139_66:
	s_nop 0
	s_sendmsg sendmsg(MSG_DEALLOC_VGPRS)
	s_endpgm
.LBB139_67:
	s_delay_alu instid0(VALU_DEP_1) | instskip(NEXT) | instid1(VALU_DEP_1)
	v_dual_mov_b32 v35, 0 :: v_dual_add_nc_u32 v34, v33, v0
	v_lshlrev_b64_e32 v[34:35], 1, v[34:35]
	s_wait_kmcnt 0x0
	s_delay_alu instid0(VALU_DEP_1) | instskip(SKIP_1) | instid1(VALU_DEP_2)
	v_add_co_u32 v34, s3, s8, v34
	s_wait_alu 0xf1ff
	v_add_co_ci_u32_e64 v35, null, s9, v35, s3
	global_store_b16 v[34:35], v32, off
	s_wait_alu 0xfffe
	s_or_b32 exec_lo, exec_lo, s5
	s_and_saveexec_b32 s5, s0
	s_cbranch_execz .LBB139_27
.LBB139_68:
	s_delay_alu instid0(VALU_DEP_1) | instskip(NEXT) | instid1(VALU_DEP_1)
	v_dual_mov_b32 v35, 0 :: v_dual_add_nc_u32 v34, v33, v12
	v_lshlrev_b64_e32 v[34:35], 1, v[34:35]
	s_wait_kmcnt 0x0
	s_delay_alu instid0(VALU_DEP_1) | instskip(SKIP_1) | instid1(VALU_DEP_2)
	v_add_co_u32 v34, s3, s8, v34
	s_wait_alu 0xf1ff
	v_add_co_ci_u32_e64 v35, null, s9, v35, s3
	global_store_b16 v[34:35], v31, off
	s_wait_alu 0xfffe
	s_or_b32 exec_lo, exec_lo, s5
	s_and_saveexec_b32 s5, s1
	s_cbranch_execz .LBB139_28
.LBB139_69:
	v_dual_mov_b32 v32, 0 :: v_dual_add_nc_u32 v31, v33, v13
	s_delay_alu instid0(VALU_DEP_1) | instskip(SKIP_1) | instid1(VALU_DEP_1)
	v_lshlrev_b64_e32 v[31:32], 1, v[31:32]
	s_wait_kmcnt 0x0
	v_add_co_u32 v31, s3, s8, v31
	s_wait_alu 0xf1ff
	s_delay_alu instid0(VALU_DEP_2)
	v_add_co_ci_u32_e64 v32, null, s9, v32, s3
	global_store_b16 v[31:32], v30, off
	s_wait_alu 0xfffe
	s_or_b32 exec_lo, exec_lo, s5
	s_and_saveexec_b32 s5, s2
	s_cbranch_execnz .LBB139_29
	s_branch .LBB139_30
.LBB139_70:
	s_delay_alu instid0(VALU_DEP_1) | instskip(NEXT) | instid1(VALU_DEP_1)
	v_dual_mov_b32 v31, 0 :: v_dual_add_nc_u32 v30, v29, v0
	v_lshlrev_b64_e32 v[30:31], 1, v[30:31]
	s_wait_kmcnt 0x0
	s_delay_alu instid0(VALU_DEP_1) | instskip(SKIP_1) | instid1(VALU_DEP_2)
	v_add_co_u32 v30, s3, s8, v30
	s_wait_alu 0xf1ff
	v_add_co_ci_u32_e64 v31, null, s9, v31, s3
	global_store_b16 v[30:31], v28, off
	s_wait_alu 0xfffe
	s_or_b32 exec_lo, exec_lo, s5
	s_and_saveexec_b32 s5, s0
	s_cbranch_execz .LBB139_33
.LBB139_71:
	s_delay_alu instid0(VALU_DEP_1) | instskip(NEXT) | instid1(VALU_DEP_1)
	v_dual_mov_b32 v31, 0 :: v_dual_add_nc_u32 v30, v29, v12
	v_lshlrev_b64_e32 v[30:31], 1, v[30:31]
	s_wait_kmcnt 0x0
	s_delay_alu instid0(VALU_DEP_1) | instskip(SKIP_1) | instid1(VALU_DEP_2)
	v_add_co_u32 v30, s3, s8, v30
	s_wait_alu 0xf1ff
	v_add_co_ci_u32_e64 v31, null, s9, v31, s3
	global_store_b16 v[30:31], v27, off
	s_wait_alu 0xfffe
	s_or_b32 exec_lo, exec_lo, s5
	s_and_saveexec_b32 s5, s1
	s_cbranch_execz .LBB139_34
.LBB139_72:
	v_dual_mov_b32 v28, 0 :: v_dual_add_nc_u32 v27, v29, v13
	s_delay_alu instid0(VALU_DEP_1) | instskip(SKIP_1) | instid1(VALU_DEP_1)
	v_lshlrev_b64_e32 v[27:28], 1, v[27:28]
	s_wait_kmcnt 0x0
	v_add_co_u32 v27, s3, s8, v27
	s_wait_alu 0xf1ff
	s_delay_alu instid0(VALU_DEP_2)
	v_add_co_ci_u32_e64 v28, null, s9, v28, s3
	global_store_b16 v[27:28], v26, off
	s_wait_alu 0xfffe
	s_or_b32 exec_lo, exec_lo, s5
	s_and_saveexec_b32 s5, s2
	s_cbranch_execnz .LBB139_35
	s_branch .LBB139_36
.LBB139_73:
	s_delay_alu instid0(VALU_DEP_1) | instskip(NEXT) | instid1(VALU_DEP_1)
	v_dual_mov_b32 v27, 0 :: v_dual_add_nc_u32 v26, v25, v0
	v_lshlrev_b64_e32 v[26:27], 1, v[26:27]
	s_wait_kmcnt 0x0
	s_delay_alu instid0(VALU_DEP_1) | instskip(SKIP_1) | instid1(VALU_DEP_2)
	v_add_co_u32 v26, s3, s8, v26
	s_wait_alu 0xf1ff
	v_add_co_ci_u32_e64 v27, null, s9, v27, s3
	global_store_b16 v[26:27], v24, off
	s_wait_alu 0xfffe
	s_or_b32 exec_lo, exec_lo, s5
	s_and_saveexec_b32 s5, s0
	s_cbranch_execz .LBB139_39
.LBB139_74:
	s_delay_alu instid0(VALU_DEP_1) | instskip(NEXT) | instid1(VALU_DEP_1)
	v_dual_mov_b32 v27, 0 :: v_dual_add_nc_u32 v26, v25, v12
	v_lshlrev_b64_e32 v[26:27], 1, v[26:27]
	s_wait_kmcnt 0x0
	s_delay_alu instid0(VALU_DEP_1) | instskip(SKIP_1) | instid1(VALU_DEP_2)
	v_add_co_u32 v26, s3, s8, v26
	s_wait_alu 0xf1ff
	v_add_co_ci_u32_e64 v27, null, s9, v27, s3
	global_store_b16 v[26:27], v23, off
	s_wait_alu 0xfffe
	s_or_b32 exec_lo, exec_lo, s5
	s_and_saveexec_b32 s5, s1
	s_cbranch_execz .LBB139_40
.LBB139_75:
	v_dual_mov_b32 v24, 0 :: v_dual_add_nc_u32 v23, v25, v13
	s_delay_alu instid0(VALU_DEP_1) | instskip(SKIP_1) | instid1(VALU_DEP_1)
	v_lshlrev_b64_e32 v[23:24], 1, v[23:24]
	s_wait_kmcnt 0x0
	v_add_co_u32 v23, s3, s8, v23
	s_wait_alu 0xf1ff
	s_delay_alu instid0(VALU_DEP_2)
	v_add_co_ci_u32_e64 v24, null, s9, v24, s3
	global_store_b16 v[23:24], v22, off
	s_wait_alu 0xfffe
	s_or_b32 exec_lo, exec_lo, s5
	s_and_saveexec_b32 s5, s2
	s_cbranch_execnz .LBB139_41
	s_branch .LBB139_42
.LBB139_76:
	s_delay_alu instid0(VALU_DEP_1) | instskip(NEXT) | instid1(VALU_DEP_1)
	v_dual_mov_b32 v23, 0 :: v_dual_add_nc_u32 v22, v21, v0
	v_lshlrev_b64_e32 v[22:23], 1, v[22:23]
	s_wait_kmcnt 0x0
	s_delay_alu instid0(VALU_DEP_1) | instskip(SKIP_1) | instid1(VALU_DEP_2)
	v_add_co_u32 v22, s3, s8, v22
	s_wait_alu 0xf1ff
	v_add_co_ci_u32_e64 v23, null, s9, v23, s3
	global_store_b16 v[22:23], v20, off
	s_wait_alu 0xfffe
	s_or_b32 exec_lo, exec_lo, s5
	s_and_saveexec_b32 s5, s0
	s_cbranch_execz .LBB139_45
.LBB139_77:
	s_delay_alu instid0(VALU_DEP_1) | instskip(NEXT) | instid1(VALU_DEP_1)
	v_dual_mov_b32 v23, 0 :: v_dual_add_nc_u32 v22, v21, v12
	v_lshlrev_b64_e32 v[22:23], 1, v[22:23]
	s_wait_kmcnt 0x0
	s_delay_alu instid0(VALU_DEP_1) | instskip(SKIP_1) | instid1(VALU_DEP_2)
	v_add_co_u32 v22, s3, s8, v22
	s_wait_alu 0xf1ff
	v_add_co_ci_u32_e64 v23, null, s9, v23, s3
	global_store_b16 v[22:23], v19, off
	s_wait_alu 0xfffe
	s_or_b32 exec_lo, exec_lo, s5
	s_and_saveexec_b32 s5, s1
	s_cbranch_execz .LBB139_46
.LBB139_78:
	v_dual_mov_b32 v20, 0 :: v_dual_add_nc_u32 v19, v21, v13
	s_delay_alu instid0(VALU_DEP_1) | instskip(SKIP_1) | instid1(VALU_DEP_1)
	v_lshlrev_b64_e32 v[19:20], 1, v[19:20]
	s_wait_kmcnt 0x0
	v_add_co_u32 v19, s3, s8, v19
	s_wait_alu 0xf1ff
	s_delay_alu instid0(VALU_DEP_2)
	v_add_co_ci_u32_e64 v20, null, s9, v20, s3
	global_store_b16 v[19:20], v18, off
	s_wait_alu 0xfffe
	s_or_b32 exec_lo, exec_lo, s5
	s_and_saveexec_b32 s5, s2
	s_cbranch_execnz .LBB139_47
	s_branch .LBB139_48
.LBB139_79:
	s_delay_alu instid0(VALU_DEP_1) | instskip(NEXT) | instid1(VALU_DEP_1)
	v_dual_mov_b32 v19, 0 :: v_dual_add_nc_u32 v18, v17, v0
	v_lshlrev_b64_e32 v[18:19], 1, v[18:19]
	s_wait_kmcnt 0x0
	s_delay_alu instid0(VALU_DEP_1) | instskip(SKIP_1) | instid1(VALU_DEP_2)
	v_add_co_u32 v18, s3, s8, v18
	s_wait_alu 0xf1ff
	v_add_co_ci_u32_e64 v19, null, s9, v19, s3
	global_store_b16 v[18:19], v16, off
	s_wait_alu 0xfffe
	s_or_b32 exec_lo, exec_lo, s5
	s_and_saveexec_b32 s5, s0
	s_cbranch_execz .LBB139_51
.LBB139_80:
	s_delay_alu instid0(VALU_DEP_1) | instskip(NEXT) | instid1(VALU_DEP_1)
	v_dual_mov_b32 v19, 0 :: v_dual_add_nc_u32 v18, v17, v12
	v_lshlrev_b64_e32 v[18:19], 1, v[18:19]
	s_wait_kmcnt 0x0
	s_delay_alu instid0(VALU_DEP_1) | instskip(SKIP_1) | instid1(VALU_DEP_2)
	v_add_co_u32 v18, s3, s8, v18
	s_wait_alu 0xf1ff
	v_add_co_ci_u32_e64 v19, null, s9, v19, s3
	global_store_b16 v[18:19], v15, off
	s_wait_alu 0xfffe
	s_or_b32 exec_lo, exec_lo, s5
	s_and_saveexec_b32 s5, s1
	s_cbranch_execz .LBB139_52
.LBB139_81:
	v_dual_mov_b32 v16, 0 :: v_dual_add_nc_u32 v15, v17, v13
	s_delay_alu instid0(VALU_DEP_1) | instskip(SKIP_1) | instid1(VALU_DEP_1)
	v_lshlrev_b64_e32 v[15:16], 1, v[15:16]
	s_wait_kmcnt 0x0
	v_add_co_u32 v15, s3, s8, v15
	s_wait_alu 0xf1ff
	s_delay_alu instid0(VALU_DEP_2)
	v_add_co_ci_u32_e64 v16, null, s9, v16, s3
	global_store_b16 v[15:16], v11, off
	s_wait_alu 0xfffe
	s_or_b32 exec_lo, exec_lo, s5
	s_and_saveexec_b32 s5, s2
	s_cbranch_execnz .LBB139_53
	s_branch .LBB139_54
.LBB139_82:
	s_delay_alu instid0(VALU_DEP_1) | instskip(NEXT) | instid1(VALU_DEP_1)
	v_dual_mov_b32 v16, 0 :: v_dual_add_nc_u32 v15, v10, v0
	v_lshlrev_b64_e32 v[15:16], 1, v[15:16]
	s_wait_kmcnt 0x0
	s_delay_alu instid0(VALU_DEP_1) | instskip(SKIP_1) | instid1(VALU_DEP_2)
	v_add_co_u32 v15, s3, s8, v15
	s_wait_alu 0xf1ff
	v_add_co_ci_u32_e64 v16, null, s9, v16, s3
	global_store_b16 v[15:16], v9, off
	s_wait_alu 0xfffe
	s_or_b32 exec_lo, exec_lo, s5
	s_and_saveexec_b32 s5, s0
	s_cbranch_execz .LBB139_57
.LBB139_83:
	s_delay_alu instid0(VALU_DEP_1) | instskip(NEXT) | instid1(VALU_DEP_1)
	v_dual_mov_b32 v16, 0 :: v_dual_add_nc_u32 v15, v10, v12
	v_lshlrev_b64_e32 v[15:16], 1, v[15:16]
	s_wait_kmcnt 0x0
	s_delay_alu instid0(VALU_DEP_1) | instskip(SKIP_1) | instid1(VALU_DEP_2)
	v_add_co_u32 v15, s3, s8, v15
	s_wait_alu 0xf1ff
	v_add_co_ci_u32_e64 v16, null, s9, v16, s3
	global_store_b16 v[15:16], v8, off
	s_wait_alu 0xfffe
	s_or_b32 exec_lo, exec_lo, s5
	s_and_saveexec_b32 s5, s1
	s_cbranch_execz .LBB139_58
.LBB139_84:
	v_dual_mov_b32 v9, 0 :: v_dual_add_nc_u32 v8, v10, v13
	s_delay_alu instid0(VALU_DEP_1) | instskip(SKIP_1) | instid1(VALU_DEP_1)
	v_lshlrev_b64_e32 v[8:9], 1, v[8:9]
	s_wait_kmcnt 0x0
	v_add_co_u32 v8, s3, s8, v8
	s_wait_alu 0xf1ff
	s_delay_alu instid0(VALU_DEP_2)
	v_add_co_ci_u32_e64 v9, null, s9, v9, s3
	global_store_b16 v[8:9], v7, off
	s_wait_alu 0xfffe
	s_or_b32 exec_lo, exec_lo, s5
	s_and_saveexec_b32 s5, s2
	s_cbranch_execnz .LBB139_59
	s_branch .LBB139_60
.LBB139_85:
	s_delay_alu instid0(VALU_DEP_1) | instskip(NEXT) | instid1(VALU_DEP_1)
	v_dual_mov_b32 v7, 0 :: v_dual_add_nc_u32 v6, v5, v0
	v_lshlrev_b64_e32 v[6:7], 1, v[6:7]
	s_wait_kmcnt 0x0
	s_delay_alu instid0(VALU_DEP_1) | instskip(SKIP_1) | instid1(VALU_DEP_2)
	v_add_co_u32 v6, vcc_lo, s8, v6
	s_wait_alu 0xfffd
	v_add_co_ci_u32_e64 v7, null, s9, v7, vcc_lo
	global_store_b16 v[6:7], v4, off
	s_wait_alu 0xfffe
	s_or_b32 exec_lo, exec_lo, s3
	s_and_saveexec_b32 s3, s0
	s_cbranch_execz .LBB139_63
.LBB139_86:
	s_delay_alu instid0(VALU_DEP_1) | instskip(NEXT) | instid1(VALU_DEP_1)
	v_dual_mov_b32 v7, 0 :: v_dual_add_nc_u32 v6, v5, v12
	v_lshlrev_b64_e32 v[6:7], 1, v[6:7]
	s_wait_kmcnt 0x0
	s_delay_alu instid0(VALU_DEP_1) | instskip(SKIP_1) | instid1(VALU_DEP_2)
	v_add_co_u32 v6, vcc_lo, s8, v6
	s_wait_alu 0xfffd
	v_add_co_ci_u32_e64 v7, null, s9, v7, vcc_lo
	global_store_b16 v[6:7], v3, off
	s_wait_alu 0xfffe
	s_or_b32 exec_lo, exec_lo, s3
	s_and_saveexec_b32 s0, s1
	s_cbranch_execz .LBB139_64
.LBB139_87:
	v_dual_mov_b32 v4, 0 :: v_dual_add_nc_u32 v3, v5, v13
	s_delay_alu instid0(VALU_DEP_1) | instskip(SKIP_1) | instid1(VALU_DEP_1)
	v_lshlrev_b64_e32 v[3:4], 1, v[3:4]
	s_wait_kmcnt 0x0
	v_add_co_u32 v3, vcc_lo, s8, v3
	s_wait_alu 0xfffd
	s_delay_alu instid0(VALU_DEP_2) | instskip(SKIP_3) | instid1(SALU_CYCLE_1)
	v_add_co_ci_u32_e64 v4, null, s9, v4, vcc_lo
	global_store_b16 v[3:4], v2, off
	s_wait_alu 0xfffe
	s_or_b32 exec_lo, exec_lo, s0
	s_and_b32 exec_lo, exec_lo, s2
	s_cbranch_execnz .LBB139_65
	s_branch .LBB139_66
	.section	.rodata,"a",@progbits
	.p2align	6, 0x0
	.amdhsa_kernel _ZL12mul_mat_q4_1IN3c104HalfELb0EEvPKvS3_PT_iiiii
		.amdhsa_group_segment_fixed_size 30336
		.amdhsa_private_segment_fixed_size 288
		.amdhsa_kernarg_size 44
		.amdhsa_user_sgpr_count 2
		.amdhsa_user_sgpr_dispatch_ptr 0
		.amdhsa_user_sgpr_queue_ptr 0
		.amdhsa_user_sgpr_kernarg_segment_ptr 1
		.amdhsa_user_sgpr_dispatch_id 0
		.amdhsa_user_sgpr_private_segment_size 0
		.amdhsa_wavefront_size32 1
		.amdhsa_uses_dynamic_stack 0
		.amdhsa_enable_private_segment 1
		.amdhsa_system_sgpr_workgroup_id_x 1
		.amdhsa_system_sgpr_workgroup_id_y 1
		.amdhsa_system_sgpr_workgroup_id_z 0
		.amdhsa_system_sgpr_workgroup_info 0
		.amdhsa_system_vgpr_workitem_id 1
		.amdhsa_next_free_vgpr 256
		.amdhsa_next_free_sgpr 17
		.amdhsa_reserve_vcc 1
		.amdhsa_float_round_mode_32 0
		.amdhsa_float_round_mode_16_64 0
		.amdhsa_float_denorm_mode_32 3
		.amdhsa_float_denorm_mode_16_64 3
		.amdhsa_fp16_overflow 0
		.amdhsa_workgroup_processor_mode 1
		.amdhsa_memory_ordered 1
		.amdhsa_forward_progress 1
		.amdhsa_inst_pref_size 255
		.amdhsa_round_robin_scheduling 0
		.amdhsa_exception_fp_ieee_invalid_op 0
		.amdhsa_exception_fp_denorm_src 0
		.amdhsa_exception_fp_ieee_div_zero 0
		.amdhsa_exception_fp_ieee_overflow 0
		.amdhsa_exception_fp_ieee_underflow 0
		.amdhsa_exception_fp_ieee_inexact 0
		.amdhsa_exception_int_div_zero 0
	.end_amdhsa_kernel
	.section	.text._ZL12mul_mat_q4_1IN3c104HalfELb0EEvPKvS3_PT_iiiii,"axG",@progbits,_ZL12mul_mat_q4_1IN3c104HalfELb0EEvPKvS3_PT_iiiii,comdat
.Lfunc_end139:
	.size	_ZL12mul_mat_q4_1IN3c104HalfELb0EEvPKvS3_PT_iiiii, .Lfunc_end139-_ZL12mul_mat_q4_1IN3c104HalfELb0EEvPKvS3_PT_iiiii
                                        ; -- End function
	.set _ZL12mul_mat_q4_1IN3c104HalfELb0EEvPKvS3_PT_iiiii.num_vgpr, 256
	.set _ZL12mul_mat_q4_1IN3c104HalfELb0EEvPKvS3_PT_iiiii.num_agpr, 0
	.set _ZL12mul_mat_q4_1IN3c104HalfELb0EEvPKvS3_PT_iiiii.numbered_sgpr, 17
	.set _ZL12mul_mat_q4_1IN3c104HalfELb0EEvPKvS3_PT_iiiii.num_named_barrier, 0
	.set _ZL12mul_mat_q4_1IN3c104HalfELb0EEvPKvS3_PT_iiiii.private_seg_size, 288
	.set _ZL12mul_mat_q4_1IN3c104HalfELb0EEvPKvS3_PT_iiiii.uses_vcc, 1
	.set _ZL12mul_mat_q4_1IN3c104HalfELb0EEvPKvS3_PT_iiiii.uses_flat_scratch, 1
	.set _ZL12mul_mat_q4_1IN3c104HalfELb0EEvPKvS3_PT_iiiii.has_dyn_sized_stack, 0
	.set _ZL12mul_mat_q4_1IN3c104HalfELb0EEvPKvS3_PT_iiiii.has_recursion, 0
	.set _ZL12mul_mat_q4_1IN3c104HalfELb0EEvPKvS3_PT_iiiii.has_indirect_call, 0
	.section	.AMDGPU.csdata,"",@progbits
; Kernel info:
; codeLenInByte = 35844
; TotalNumSgprs: 19
; NumVgprs: 256
; ScratchSize: 288
; MemoryBound: 0
; FloatMode: 240
; IeeeMode: 1
; LDSByteSize: 30336 bytes/workgroup (compile time only)
; SGPRBlocks: 0
; VGPRBlocks: 31
; NumSGPRsForWavesPerEU: 19
; NumVGPRsForWavesPerEU: 256
; Occupancy: 5
; WaveLimiterHint : 0
; COMPUTE_PGM_RSRC2:SCRATCH_EN: 1
; COMPUTE_PGM_RSRC2:USER_SGPR: 2
; COMPUTE_PGM_RSRC2:TRAP_HANDLER: 0
; COMPUTE_PGM_RSRC2:TGID_X_EN: 1
; COMPUTE_PGM_RSRC2:TGID_Y_EN: 1
; COMPUTE_PGM_RSRC2:TGID_Z_EN: 0
; COMPUTE_PGM_RSRC2:TIDIG_COMP_CNT: 1
	.section	.text._ZL12mul_mat_q4_1IN3c104HalfELb1EEvPKvS3_PT_iiiii,"axG",@progbits,_ZL12mul_mat_q4_1IN3c104HalfELb1EEvPKvS3_PT_iiiii,comdat
	.globl	_ZL12mul_mat_q4_1IN3c104HalfELb1EEvPKvS3_PT_iiiii ; -- Begin function _ZL12mul_mat_q4_1IN3c104HalfELb1EEvPKvS3_PT_iiiii
	.p2align	8
	.type	_ZL12mul_mat_q4_1IN3c104HalfELb1EEvPKvS3_PT_iiiii,@function
_ZL12mul_mat_q4_1IN3c104HalfELb1EEvPKvS3_PT_iiiii: ; @_ZL12mul_mat_q4_1IN3c104HalfELb1EEvPKvS3_PT_iiiii
; %bb.0:
	s_clause 0x1
	s_load_b128 s[4:7], s[0:1], 0x18
	s_load_b32 s12, s[0:1], 0x28
	v_bfe_u32 v49, v0, 10, 10
	v_and_b32_e32 v1, 0x3ff, v0
	s_lshl_b32 s13, ttmp7, 6
	scratch_store_b32 off, v1, off offset:24 ; 4-byte Folded Spill
	s_wait_kmcnt 0x0
	s_cmp_gt_i32 s4, 31
	s_cbranch_scc1 .LBB140_2
; %bb.1:
	v_bfe_u32 v6, v0, 10, 10
	v_and_b32_e32 v34, 0x3ff, v0
	s_mov_b32 s2, 0
	s_delay_alu instid0(VALU_DEP_2)
	v_add_nc_u32_e32 v35, s13, v6
	s_branch .LBB140_3
.LBB140_2:
	s_mov_b32 s2, -1
                                        ; implicit-def: $vgpr6
                                        ; implicit-def: $vgpr34
                                        ; implicit-def: $vgpr35
.LBB140_3:
	s_load_b64 s[8:9], s[0:1], 0x10
	v_dual_mov_b32 v1, 0 :: v_dual_mov_b32 v10, 0
	v_dual_mov_b32 v5, 0 :: v_dual_mov_b32 v2, 0
	;; [unrolled: 1-line block ×15, first 2 shown]
	v_mov_b32_e32 v13, 0
	v_mov_b32_e32 v9, 0
	s_and_not1_b32 vcc_lo, exec_lo, s2
	s_lshl_b32 s14, ttmp9, 7
	s_cbranch_vccnz .LBB140_15
; %bb.4:
	v_dual_mov_b32 v176, 0 :: v_dual_add_nc_u32 v35, 8, v49
	v_dual_mov_b32 v141, 0 :: v_dual_and_b32 v2, 0x3ff, v0
	s_not_b32 s16, s14
	v_dual_mov_b32 v129, 0 :: v_dual_add_nc_u32 v36, 16, v49
	s_ashr_i32 s10, s4, 31
	v_dual_mov_b32 v152, 0 :: v_dual_add_nc_u32 v37, 24, v49
	s_add_co_i32 s5, s5, s16
	v_dual_mov_b32 v125, 0 :: v_dual_add_nc_u32 v38, 32, v49
	s_lshr_b32 s10, s10, 27
	v_dual_mov_b32 v126, 0 :: v_dual_add_nc_u32 v39, 40, v49
	v_dual_mov_b32 v135, 0 :: v_dual_lshlrev_b32 v18, 2, v2
	v_min_i32_e32 v1, s5, v49
	v_min_i32_e32 v3, s5, v35
	v_dual_mov_b32 v117, 0 :: v_dual_add_nc_u32 v40, 48, v49
	v_dual_mov_b32 v122, 0 :: v_dual_add_nc_u32 v41, 56, v49
	;; [unrolled: 1-line block ×3, first 2 shown]
	s_add_co_i32 s4, s4, s10
	v_min_i32_e32 v4, s5, v36
	v_min_i32_e32 v5, s5, v37
	s_wait_alu 0xfffe
	s_ashr_i32 s15, s4, 5
	v_min_i32_e32 v6, s5, v38
	v_min_i32_e32 v7, s5, v39
	s_ashr_i32 s11, s7, 31
	v_mul_lo_u32 v52, v1, s15
	v_mad_co_u64_u32 v[53:54], null, 0x84, v1, v[18:19]
	v_mad_co_u64_u32 v[55:56], null, 0x84, v3, v[18:19]
	v_min_i32_e32 v8, s5, v40
	v_min_i32_e32 v10, s5, v41
	;; [unrolled: 1-line block ×3, first 2 shown]
	v_dual_mov_b32 v158, 0 :: v_dual_add_nc_u32 v1, s13, v49
	v_mad_co_u64_u32 v[56:57], null, 0x84, v4, v[18:19]
	s_lshr_b32 s4, s11, 27
	v_mad_co_u64_u32 v[57:58], null, 0x84, v5, v[18:19]
	v_mad_co_u64_u32 v[58:59], null, 0x84, v6, v[18:19]
	s_wait_alu 0xfffe
	s_add_co_i32 s4, s7, s4
	v_mad_co_u64_u32 v[59:60], null, 0x84, v7, v[18:19]
	s_add_co_i32 s7, s6, -1
	v_mul_lo_u32 v54, v3, s15
	v_mul_lo_u32 v3, v4, s15
	;; [unrolled: 1-line block ×6, first 2 shown]
	v_mad_co_u64_u32 v[60:61], null, 0x84, v8, v[18:19]
	v_mul_lo_u32 v8, v10, s15
	v_mad_co_u64_u32 v[9:10], null, 0x84, v10, v[18:19]
	v_mad_co_u64_u32 v[62:63], null, 0x84, v11, v[18:19]
	v_cvt_f64_u32_e32 v[19:20], v1
	v_cvt_f64_i32_e32 v[16:17], s7
	v_dual_mov_b32 v113, 0 :: v_dual_add_nc_u32 v10, 8, v1
	v_dual_mov_b32 v155, 0 :: v_dual_add_nc_u32 v12, 16, v1
	;; [unrolled: 1-line block ×3, first 2 shown]
	s_delay_alu instid0(VALU_DEP_3) | instskip(SKIP_1) | instid1(VALU_DEP_4)
	v_cvt_f64_u32_e32 v[21:22], v10
	v_dual_mov_b32 v149, 0 :: v_dual_add_nc_u32 v10, 24, v1
	v_cvt_f64_u32_e32 v[23:24], v12
	v_dual_mov_b32 v137, 0 :: v_dual_add_nc_u32 v12, 40, v1
	s_delay_alu instid0(VALU_DEP_3) | instskip(SKIP_2) | instid1(VALU_DEP_4)
	v_cvt_f64_u32_e32 v[25:26], v10
	v_cvt_f64_u32_e32 v[27:28], v14
	v_dual_mov_b32 v131, 0 :: v_dual_add_nc_u32 v10, 48, v1
	v_cvt_f64_u32_e32 v[29:30], v12
	v_mul_lo_u32 v61, v11, s15
	v_dual_mov_b32 v156, 0 :: v_dual_add_nc_u32 v11, 0x48, v49
	v_dual_mov_b32 v153, 0 :: v_dual_add_nc_u32 v14, 56, v1
	;; [unrolled: 1-line block ×5, first 2 shown]
	v_cvt_f64_u32_e32 v[31:32], v10
	v_min_i32_e32 v11, s5, v11
	v_cvt_f64_u32_e32 v[33:34], v14
	v_min_i32_e32 v14, s5, v12
	v_min_i32_e32 v13, s5, v13
	;; [unrolled: 1-line block ×3, first 2 shown]
	v_bfe_u32 v43, v0, 3, 7
	scratch_store_b32 off, v1, off offset:404 ; 4-byte Folded Spill
	v_mul_lo_u32 v1, v11, s15
	v_mad_co_u64_u32 v[10:11], null, 0x84, v11, v[18:19]
	v_mad_co_u64_u32 v[63:64], null, 0x84, v14, v[18:19]
	v_mul_lo_u32 v11, v13, s15
	v_mad_co_u64_u32 v[12:13], null, 0x84, v13, v[18:19]
	v_mad_co_u64_u32 v[64:65], null, 0x84, v15, v[18:19]
	v_min_num_f64_e32 v[19:20], v[19:20], v[16:17]
	v_min_num_f64_e32 v[21:22], v[21:22], v[16:17]
	;; [unrolled: 1-line block ×3, first 2 shown]
	v_dual_mov_b32 v139, 0 :: v_dual_add_nc_u32 v42, 0x68, v49
	v_min_num_f64_e32 v[25:26], v[25:26], v[16:17]
	v_min_num_f64_e32 v[27:28], v[27:28], v[16:17]
	scratch_store_b32 off, v43, off offset:260 ; 4-byte Folded Spill
	v_min_num_f64_e32 v[29:30], v[29:30], v[16:17]
	v_lshl_add_u32 v43, v49, 2, v43
	v_min_i32_e32 v42, s5, v42
	v_dual_mov_b32 v133, 0 :: v_dual_add_nc_u32 v44, 0x70, v49
	v_mul_lo_u32 v13, v14, s15
	s_delay_alu instid0(VALU_DEP_4) | instskip(SKIP_3) | instid1(VALU_DEP_4)
	v_min_i32_e32 v45, s5, v43
	v_dual_mov_b32 v161, 0 :: v_dual_add_nc_u32 v46, 32, v43
	v_mul_lo_u32 v14, v15, s15
	v_mul_lo_u32 v65, v42, s15
	v_ashrrev_i32_e32 v15, 31, v45
	v_min_num_f64_e32 v[31:32], v[31:32], v[16:17]
	v_min_i32_e32 v46, s5, v46
	v_min_num_f64_e32 v[33:34], v[33:34], v[16:17]
	v_mov_b32_e32 v163, 0
	v_lshrrev_b32_e32 v15, 30, v15
	v_dual_mov_b32 v147, 0 :: v_dual_add_nc_u32 v48, 64, v43
	v_ashrrev_i32_e32 v47, 31, v46
	v_add_nc_u32_e32 v43, 0x60, v43
	v_bfe_u32 v50, v0, 2, 8
	v_dual_mov_b32 v159, 0 :: v_dual_mov_b32 v154, 0
	v_mov_b32_e32 v151, 0
	v_min_i32_e32 v48, s5, v48
	v_dual_mov_b32 v120, 0 :: v_dual_and_b32 v51, 12, v18
	s_wait_alu 0xfffe
	s_ashr_i32 s4, s4, 5
	v_mul_lo_u32 v71, v46, s15
	v_mad_co_u64_u32 v[66:67], null, 0x84, v42, v[18:19]
	v_min_i32_e32 v42, s5, v44
	v_add_nc_u32_e32 v44, 0x78, v49
	v_cvt_i32_f64_e32 v21, v[21:22]
	v_and_b32_e32 v67, 7, v0
	v_cvt_i32_f64_e32 v23, v[23:24]
	v_mad_co_u64_u32 v[68:69], null, 0x84, v42, v[18:19]
	v_min_i32_e32 v17, s5, v44
	v_add_nc_u32_e32 v44, v45, v15
	v_mul_lo_u32 v16, v42, s15
	v_cvt_i32_f64_e32 v24, v[25:26]
	v_cvt_i32_f64_e32 v26, v[27:28]
	v_mul_lo_u32 v15, v17, s15
	v_mad_co_u64_u32 v[69:70], null, 0x84, v17, v[18:19]
	v_lshrrev_b32_e32 v17, 30, v47
	v_cvt_i32_f64_e32 v19, v[19:20]
	v_min_i32_e32 v20, s5, v43
	v_dual_mov_b32 v157, 0 :: v_dual_and_b32 v42, -4, v44
	s_delay_alu instid0(VALU_DEP_4) | instskip(SKIP_1) | instid1(VALU_DEP_4)
	v_add_nc_u32_e32 v17, v46, v17
	v_lshlrev_b32_e32 v44, 2, v67
	v_ashrrev_i32_e32 v25, 31, v20
	v_cvt_i32_f64_e32 v27, v[29:30]
	v_lshl_add_u32 v30, v49, 3, v50
	v_and_b32_e32 v17, -4, v17
	v_cvt_i32_f64_e32 v29, v[31:32]
	v_ashrrev_i32_e32 v47, 31, v48
	v_and_b32_e32 v18, 28, v18
	v_and_b32_e32 v30, 63, v30
	v_add3_u32 v28, v17, v44, 0x6200
	v_lshrrev_b32_e32 v17, 30, v25
	v_cvt_i32_f64_e32 v25, v[33:34]
	v_lshrrev_b32_e32 v22, 30, v47
	v_or_b32_e32 v34, s13, v30
	v_lshlrev_b32_e32 v31, 5, v46
	v_add_nc_u32_e32 v32, v20, v17
	v_and_b32_e32 v17, 3, v0
	s_load_b128 s[0:3], s[0:1], 0x0
	v_min_i32_e32 v34, s7, v34
	v_add_nc_u32_e32 v22, v48, v22
	v_and_b32_e32 v32, -4, v32
	v_lshlrev_b32_e32 v43, 2, v17
	v_add3_u32 v42, v42, v44, 0x6200
	v_mad_co_u64_u32 v[46:47], null, v34, s4, v[17:18]
	v_and_b32_e32 v22, -4, v22
	s_delay_alu instid0(VALU_DEP_4)
	v_lshl_or_b32 v30, v30, 4, v43
	v_add3_u32 v32, v32, v44, 0x6200
	v_mul_lo_u32 v70, v45, s15
	v_lshlrev_b32_e32 v45, 5, v45
	v_add3_u32 v22, v22, v44, 0x6200
	v_add_nc_u32_e32 v17, 0x7280, v30
	scratch_store_b64 off, v[46:47], off offset:340 ; 8-byte Folded Spill
	v_add_nc_u32_e32 v30, 32, v2
	v_and_b32_e32 v44, 31, v0
	v_and_b32_e32 v0, 0xfc, v0
	scratch_store_b32 off, v17, off offset:28 ; 4-byte Folded Spill
	v_mul_lo_u32 v17, s4, v19
	v_mul_lo_u32 v19, s4, v21
	v_lshlrev_b32_e32 v21, 7, v35
	v_lshlrev_b32_e32 v35, 5, v2
	v_lshl_or_b32 v43, v44, 2, 0x4200
	v_lshlrev_b32_e32 v33, 5, v48
	v_mul_lo_u32 v73, v20, s15
	v_lshlrev_b32_e32 v20, 5, v20
	s_clause 0x1
	scratch_store_b32 off, v17, off offset:32
	scratch_store_b32 off, v19, off offset:36
	v_mul_lo_u32 v19, s4, v23
	v_lshlrev_b32_e32 v23, 7, v36
	v_and_b32_e32 v36, 0x1fc, v30
	v_add_nc_u32_e32 v0, v35, v0
	v_lshlrev_b32_e32 v17, 7, v49
	v_lshlrev_b32_e32 v34, 7, v41
	s_mul_i32 s10, s15, s14
	v_add_nc_u32_e32 v36, v35, v36
	scratch_store_b32 off, v19, off offset:40 ; 4-byte Folded Spill
	v_mul_lo_u32 v19, s4, v24
	v_lshlrev_b32_e32 v24, 7, v37
	v_mul_lo_u32 v72, v48, s15
	s_ashr_i32 s11, s10, 31
	v_add_nc_u32_e32 v74, v32, v20
	s_mul_u64 s[10:11], s[10:11], 20
	s_mov_b32 s5, 0
	s_wait_kmcnt 0x0
	s_add_nc_u64 s[0:1], s[0:1], s[10:11]
	scratch_store_b32 off, v19, off offset:44 ; 4-byte Folded Spill
	v_mul_lo_u32 v19, s4, v26
	v_lshlrev_b32_e32 v26, 7, v38
	s_add_co_i32 s7, s15, 3
	scratch_store_b32 off, v19, off offset:48 ; 4-byte Folded Spill
	v_mul_lo_u32 v19, s4, v27
	v_lshlrev_b32_e32 v27, 7, v39
	scratch_store_b32 off, v19, off offset:52 ; 4-byte Folded Spill
	v_mul_lo_u32 v19, s4, v29
	v_lshlrev_b32_e32 v29, 7, v40
	scratch_store_b32 off, v19, off offset:56 ; 4-byte Folded Spill
	v_mul_lo_u32 v19, s4, v25
	v_add_nc_u32_e32 v25, 64, v2
	v_add_co_u32 v18, s4, s2, v18
	s_delay_alu instid0(VALU_DEP_2) | instskip(SKIP_4) | instid1(VALU_DEP_3)
	v_and_b32_e32 v25, 0x1fc, v25
	scratch_store_b32 off, v19, off offset:60 ; 4-byte Folded Spill
	v_add_nc_u32_e32 v19, 0x60, v2
	v_lshrrev_b32_e32 v2, 3, v30
	v_add_nc_u32_e32 v25, v35, v25
	v_and_b32_e32 v19, 0x1fc, v19
	scratch_store_b32 off, v2, off offset:380 ; 4-byte Folded Spill
	v_add_nc_u32_e32 v30, v35, v19
	s_wait_alu 0xf1ff
	v_add_co_ci_u32_e64 v19, null, s3, 0, s4
	s_wait_alu 0xfffe
	s_mov_b32 s4, s5
	v_add_nc_u32_e32 v2, 0x6e00, v30
	scratch_store_b64 off, v[18:19], off offset:64 ; 8-byte Folded Spill
	v_add_nc_u32_e32 v18, v28, v31
	v_add_nc_u32_e32 v19, v22, v33
	scratch_store_b32 off, v2, off offset:348 ; 4-byte Folded Spill
	v_add_nc_u32_e32 v2, 0x6a00, v25
	scratch_store_b32 off, v2, off offset:352 ; 4-byte Folded Spill
	;; [unrolled: 2-line block ×3, first 2 shown]
	v_add_nc_u32_e32 v2, 0x6200, v0
	s_clause 0x1
	scratch_store_b32 off, v2, off offset:360
	scratch_store_b32 off, v49, off offset:400
	v_lshl_add_u32 v2, v49, 4, 0x7280
	v_add_nc_u32_e32 v0, 0x6210, v0
	scratch_store_b32 off, v0, off offset:396 ; 4-byte Folded Spill
	v_add_nc_u32_e32 v0, v43, v17
	scratch_store_b32 off, v2, off offset:72 ; 4-byte Folded Spill
	;; [unrolled: 2-line block ×13, first 2 shown]
	v_add_nc_u32_e32 v0, v43, v34
	s_clause 0x1f
	scratch_store_b32 off, v0, off offset:108
	scratch_store_b32 off, v50, off offset:116
	;; [unrolled: 1-line block ×4, first 2 shown]
	scratch_store_b64 off, v[53:54], off offset:128
	scratch_store_b32 off, v54, off offset:136
	scratch_store_b64 off, v[55:56], off offset:140
	scratch_store_b32 off, v3, off offset:148
	scratch_store_b64 off, v[56:57], off offset:152
	scratch_store_b32 off, v4, off offset:160
	scratch_store_b64 off, v[57:58], off offset:164
	scratch_store_b32 off, v5, off offset:172
	scratch_store_b64 off, v[58:59], off offset:176
	scratch_store_b32 off, v6, off offset:184
	scratch_store_b64 off, v[59:60], off offset:188
	scratch_store_b32 off, v7, off offset:196
	scratch_store_b64 off, v[60:61], off offset:200
	scratch_store_b32 off, v8, off offset:208
	scratch_store_b64 off, v[9:10], off offset:212
	scratch_store_b32 off, v61, off offset:220
	scratch_store_b64 off, v[62:63], off offset:224
	scratch_store_b32 off, v1, off offset:232
	scratch_store_b64 off, v[10:11], off offset:236
	scratch_store_b32 off, v11, off offset:244
	scratch_store_b64 off, v[12:13], off offset:248
	scratch_store_b32 off, v13, off offset:256
	scratch_store_b64 off, v[63:64], off offset:264
	scratch_store_b32 off, v14, off offset:272
	scratch_store_b64 off, v[64:65], off offset:276
	scratch_store_b32 off, v65, off offset:284
	scratch_store_b64 off, v[66:67], off offset:288
	scratch_store_b32 off, v16, off offset:296
	s_clause 0xb
	scratch_store_b32 off, v67, off offset:300
	scratch_store_b64 off, v[68:69], off offset:304
	scratch_store_b32 off, v15, off offset:312
	scratch_store_b64 off, v[69:70], off offset:316
	scratch_store_b32 off, v70, off offset:324
	scratch_store_b32 off, v71, off offset:328
	;; [unrolled: 1-line block ×8, first 2 shown]
	s_branch .LBB140_7
.LBB140_5:                              ;   in Loop: Header=BB140_7 Depth=1
	s_clause 0x19
	scratch_load_b32 v50, off, off offset:116
	scratch_load_b32 v51, off, off offset:120
	;; [unrolled: 1-line block ×3, first 2 shown]
	scratch_load_b64 v[53:54], off, off offset:128
	scratch_load_b64 v[55:56], off, off offset:140
	scratch_load_b32 v3, off, off offset:148
	scratch_load_b32 v4, off, off offset:160
	;; [unrolled: 1-line block ×6, first 2 shown]
	scratch_load_b64 v[62:63], off, off offset:224
	scratch_load_b32 v1, off, off offset:232
	scratch_load_b64 v[12:13], off, off offset:248
	scratch_load_b32 v14, off, off offset:272
	;; [unrolled: 2-line block ×4, first 2 shown]
	scratch_load_b32 v71, off, off offset:328
	scratch_load_b32 v72, off, off offset:332
	;; [unrolled: 1-line block ×7, first 2 shown]
	s_wait_loadcnt 0x16
	scratch_load_b32 v54, off, off offset:136 ; 4-byte Folded Reload
	s_wait_loadcnt 0x16
	scratch_load_b64 v[56:57], off, off offset:152 ; 8-byte Folded Reload
	s_wait_loadcnt 0x0
	scratch_load_b64 v[57:58], off, off offset:164 ; 8-byte Folded Reload
	;; [unrolled: 2-line block ×4, first 2 shown]
	s_wait_loadcnt 0x0
	s_clause 0x1
	scratch_load_b64 v[60:61], off, off offset:200
	scratch_load_b64 v[9:10], off, off offset:212
	s_wait_loadcnt 0x1
	scratch_load_b32 v61, off, off offset:220 ; 4-byte Folded Reload
	s_wait_loadcnt 0x1
	scratch_load_b64 v[10:11], off, off offset:236 ; 8-byte Folded Reload
	s_wait_loadcnt 0x0
	s_clause 0x2
	scratch_load_b32 v11, off, off offset:244
	scratch_load_b32 v13, off, off offset:256
	scratch_load_b64 v[63:64], off, off offset:264
	s_wait_loadcnt 0x0
	scratch_load_b64 v[64:65], off, off offset:276 ; 8-byte Folded Reload
	s_wait_loadcnt 0x0
	s_clause 0x2
	scratch_load_b32 v65, off, off offset:284
	scratch_load_b32 v67, off, off offset:300
	scratch_load_b64 v[69:70], off, off offset:316
	s_wait_loadcnt 0x0
	scratch_load_b32 v70, off, off offset:324 ; 4-byte Folded Reload
.LBB140_6:                              ;   in Loop: Header=BB140_7 Depth=1
	s_add_co_i32 s4, s4, 8
	s_add_co_i32 s7, s7, -8
	s_wait_alu 0xfffe
	s_cmp_ge_i32 s4, s15
	s_cbranch_scc1 .LBB140_14
.LBB140_7:                              ; =>This Loop Header: Depth=1
                                        ;     Child Loop BB140_9 Depth 2
                                        ;     Child Loop BB140_12 Depth 2
	s_wait_alu 0xfffe
	s_mul_u64 s[10:11], s[4:5], 20
	s_cmp_gt_u32 s7, 3
	s_wait_alu 0xfffe
	s_add_nc_u64 s[10:11], s[0:1], s[10:11]
	s_wait_alu 0xfffe
	v_mad_co_u64_u32 v[20:21], null, v50, 20, s[10:11]
	s_delay_alu instid0(VALU_DEP_1) | instskip(SKIP_3) | instid1(VALU_DEP_4)
	v_mad_co_i64_i32 v[22:23], null, v52, 20, v[20:21]
	v_mad_co_i64_i32 v[24:25], null, v54, 20, v[20:21]
	v_mad_co_i64_i32 v[26:27], null, v3, 20, v[20:21]
	v_mad_co_i64_i32 v[28:29], null, v4, 20, v[20:21]
	v_add_co_u32 v22, vcc_lo, v22, v51
	v_mad_co_i64_i32 v[30:31], null, v5, 20, v[20:21]
	s_wait_alu 0xfffd
	v_add_co_ci_u32_e64 v23, null, 0, v23, vcc_lo
	v_add_co_u32 v24, vcc_lo, v24, v51
	v_mad_co_i64_i32 v[32:33], null, v6, 20, v[20:21]
	s_wait_alu 0xfffd
	v_add_co_ci_u32_e64 v25, null, 0, v25, vcc_lo
	;; [unrolled: 4-line block ×4, first 2 shown]
	v_add_co_u32 v30, vcc_lo, v30, v51
	s_wait_alu 0xfffd
	v_add_co_ci_u32_e64 v31, null, 0, v31, vcc_lo
	v_add_co_u32 v32, vcc_lo, v32, v51
	s_wait_alu 0xfffd
	v_add_co_ci_u32_e64 v33, null, 0, v33, vcc_lo
	;; [unrolled: 3-line block ×3, first 2 shown]
	v_add_co_u32 v36, vcc_lo, v36, v51
	v_mad_co_i64_i32 v[38:39], null, v61, 20, v[20:21]
	s_wait_alu 0xfffd
	v_add_co_ci_u32_e64 v37, null, 0, v37, vcc_lo
	s_clause 0x7
	global_load_b32 v0, v[22:23], off offset:4
	global_load_b32 v17, v[24:25], off offset:4
	;; [unrolled: 1-line block ×8, first 2 shown]
	v_mad_co_i64_i32 v[22:23], null, v1, 20, v[20:21]
	v_mad_co_i64_i32 v[26:27], null, v11, 20, v[20:21]
	;; [unrolled: 1-line block ×3, first 2 shown]
	v_add_co_u32 v24, vcc_lo, v38, v51
	v_mad_co_i64_i32 v[30:31], null, v14, 20, v[20:21]
	s_wait_alu 0xfffd
	v_add_co_ci_u32_e64 v25, null, 0, v39, vcc_lo
	v_add_co_u32 v22, vcc_lo, v22, v51
	v_mad_co_i64_i32 v[32:33], null, v65, 20, v[20:21]
	s_wait_alu 0xfffd
	v_add_co_ci_u32_e64 v23, null, 0, v23, vcc_lo
	;; [unrolled: 4-line block ×4, first 2 shown]
	v_add_co_u32 v30, vcc_lo, v30, v51
	v_mad_co_u64_u32 v[36:37], null, v67, 20, s[10:11]
	s_wait_alu 0xfffd
	v_add_co_ci_u32_e64 v31, null, 0, v31, vcc_lo
	v_add_co_u32 v32, vcc_lo, v32, v51
	s_wait_alu 0xfffd
	v_add_co_ci_u32_e64 v33, null, 0, v33, vcc_lo
	v_add_co_u32 v34, vcc_lo, v34, v51
	;; [unrolled: 3-line block ×3, first 2 shown]
	s_wait_alu 0xfffd
	v_add_co_ci_u32_e64 v21, null, 0, v21, vcc_lo
	s_wait_loadcnt 0x8
	v_mad_co_i64_i32 v[38:39], null, v70, 20, v[36:37]
	v_mad_co_i64_i32 v[40:41], null, v71, 20, v[36:37]
	;; [unrolled: 1-line block ×4, first 2 shown]
	s_clause 0xb
	global_load_b32 v24, v[24:25], off offset:4
	global_load_b32 v22, v[22:23], off offset:4
	;; [unrolled: 1-line block ×8, first 2 shown]
	global_load_b32 v21, v[38:39], off
	global_load_b32 v29, v[40:41], off
	;; [unrolled: 1-line block ×4, first 2 shown]
	s_wait_loadcnt 0x13
	ds_store_b32 v53, v0
	s_wait_loadcnt 0x12
	ds_store_b32 v55, v17
	;; [unrolled: 2-line block ×20, first 2 shown]
	s_cbranch_scc0 .LBB140_6
; %bb.8:                                ;   in Loop: Header=BB140_7 Depth=1
	s_clause 0x1
	scratch_load_b32 v0, off, off offset:260
	scratch_load_b64 v[1:2], off, off offset:340
	s_wait_loadcnt 0x0
	scratch_load_b64 v[2:3], off, off offset:64 ; 8-byte Folded Reload
	s_mov_b32 s10, -4
	v_add_nc_u32_e32 v0, s4, v0
	v_add_nc_u32_e32 v4, s4, v1
	scratch_load_b32 v1, off, off offset:32 ; 4-byte Folded Reload
	scratch_store_b32 off, v4, off offset:112 ; 4-byte Folded Spill
	v_mad_co_u64_u32 v[36:37], null, v4, 36, s[2:3]
	s_wait_loadcnt 0x0
	v_add_nc_u32_e32 v17, v0, v1
	scratch_load_b32 v1, off, off offset:36 ; 4-byte Folded Reload
	v_mad_co_i64_i32 v[20:21], null, v17, 36, v[2:3]
	s_wait_loadcnt 0x0
	v_add_nc_u32_e32 v22, v0, v1
	scratch_load_b32 v1, off, off offset:40 ; 4-byte Folded Reload
	v_mad_co_i64_i32 v[22:23], null, v22, 36, v[2:3]
	;; [unrolled: 4-line block ×7, first 2 shown]
	s_wait_loadcnt 0x0
	v_add_nc_u32_e32 v0, v0, v1
	s_delay_alu instid0(VALU_DEP_1)
	v_mad_co_i64_i32 v[34:35], null, v0, 36, v[2:3]
	s_clause 0x8
	global_load_b32 v0, v[28:29], off offset:4
	global_load_b32 v17, v[20:21], off offset:4
	;; [unrolled: 1-line block ×8, first 2 shown]
	global_load_b32 v26, v[36:37], off
	s_clause 0x2
	scratch_load_b32 v165, off, off offset:76
	scratch_load_b32 v166, off, off offset:72
	;; [unrolled: 1-line block ×3, first 2 shown]
	s_wait_loadcnt 0x0
	v_mul_u32_u24_e32 v171, 0x84, v1
	s_clause 0x4
	scratch_load_b32 v167, off, off offset:360
	scratch_load_b32 v168, off, off offset:356
	;; [unrolled: 1-line block ×5, first 2 shown]
	s_wait_loadcnt 0x0
	ds_store_b32 v1, v0
	scratch_load_b32 v0, off, off offset:80 ; 4-byte Folded Reload
	s_wait_loadcnt 0x0
	ds_store_b32 v0, v17
	scratch_load_b32 v0, off, off offset:84 ; 4-byte Folded Reload
	;; [unrolled: 3-line block ×8, first 2 shown]
	s_wait_loadcnt 0x0
	ds_store_b32 v0, v26
	s_wait_storecnt_dscnt 0x0
	s_barrier_signal -1
	s_barrier_wait -1
	global_inv scope:SCOPE_SE
.LBB140_9:                              ;   Parent Loop BB140_7 Depth=1
                                        ; =>  This Inner Loop Header: Depth=2
	ds_load_b32 v29, v167
	ds_load_b32 v28, v168
	ds_load_b32 v25, v169
	ds_load_b32 v24, v170
	ds_load_2addr_b32 v[20:21], v166 offset1:32
	ds_load_2addr_b32 v[26:27], v165 offset0:5 offset1:6
	ds_load_2addr_b32 v[32:33], v171 offset1:1
	ds_load_2addr_b32 v[22:23], v171 offset0:2 offset1:3
	ds_load_2addr_b32 v[47:48], v165 offset0:1 offset1:2
	v_add_nc_u32_e32 v37, 0x404, v165
	v_add_nc_u32_e32 v121, 0x400, v165
	;; [unrolled: 1-line block ×10, first 2 shown]
	s_wait_alu 0xfffe
	s_add_co_i32 s10, s10, 4
	s_wait_alu 0xfffe
	s_cmp_lt_u32 s10, 12
	s_wait_dscnt 0x4
	v_pk_mul_f16 v180, v20, v29
	v_pk_mul_f16 v179, v20, v28
	;; [unrolled: 1-line block ×8, first 2 shown]
	ds_load_2addr_b32 v[20:21], v166 offset0:64 offset1:96
	scratch_store_b32 off, v0, off          ; 4-byte Folded Spill
	s_wait_dscnt 0x3
	v_bfe_u32 v242, v32, 20, 4
	v_bfe_u32 v204, v32, 16, 4
	s_wait_dscnt 0x1
	v_bfe_i32 v239, v47, 16, 8
	v_bfe_u32 v236, v33, 16, 4
	v_bfe_i32 v230, v26, 16, 8
	v_bfe_u32 v226, v33, 20, 4
	v_lshrrev_b32_e32 v244, 28, v32
	v_bfe_u32 v205, v32, 24, 4
	v_mul_i32_i24_e32 v17, v239, v236
	v_bfe_u32 v241, v33, 24, 4
	v_lshrrev_b32_e32 v232, 28, v33
	v_ashrrev_i32_e32 v240, 24, v47
	v_ashrrev_i32_e32 v231, 24, v26
	v_bfe_u32 v250, v32, 4, 4
	v_and_b32_e32 v206, 15, v32
	v_bfe_i32 v243, v47, 0, 8
	v_and_b32_e32 v238, 15, v33
	v_bfe_i32 v237, v26, 0, 8
	s_wait_dscnt 0x0
	v_pk_mul_f16 v0, v29, v20
	v_pk_mul_f16 v200, v28, v20
	;; [unrolled: 1-line block ×5, first 2 shown]
	scratch_store_b32 off, v0, off offset:4 ; 4-byte Folded Spill
	v_pk_mul_f16 v0, v29, v21
	v_pk_mul_f16 v193, v25, v21
	v_pk_mul_f16 v191, v24, v21
	ds_load_2addr_b32 v[20:21], v166 offset0:128 offset1:160
	v_bfe_u32 v233, v33, 4, 4
	scratch_store_b32 off, v0, off offset:8 ; 4-byte Folded Spill
	v_mul_i32_i24_e32 v30, v243, v238
	v_bfe_u32 v221, v22, 24, 4
	v_lshrrev_b32_e32 v210, 28, v22
	v_mul_i32_i24_e32 v31, v237, v233
	v_ashrrev_i32_e32 v219, 24, v48
	v_ashrrev_i32_e32 v208, 24, v27
	v_bfe_i32 v220, v48, 16, 8
	v_bfe_u32 v217, v22, 16, 4
	v_bfe_i32 v209, v27, 16, 8
	v_bfe_u32 v207, v22, 20, 4
	v_bfe_i32 v227, v48, 0, 8
	v_and_b32_e32 v218, 15, v22
	v_bfe_i32 v216, v27, 0, 8
	v_bfe_u32 v211, v22, 4, 4
	v_bfe_i32 v47, v47, 8, 8
	v_bfe_u32 v248, v23, 16, 4
	v_bfe_u32 v253, v23, 24, 4
	s_wait_dscnt 0x0
	v_pk_mul_f16 v0, v29, v20
	v_pk_mul_f16 v194, v28, v20
	;; [unrolled: 1-line block ×5, first 2 shown]
	scratch_store_b32 off, v0, off offset:12 ; 4-byte Folded Spill
	v_pk_mul_f16 v0, v29, v21
	v_pk_mul_f16 v185, v25, v21
	;; [unrolled: 1-line block ×3, first 2 shown]
	ds_load_2addr_b32 v[20:21], v166 offset0:192 offset1:224
	v_and_b32_e32 v249, 15, v23
	scratch_store_b32 off, v0, off offset:16 ; 4-byte Folded Spill
	v_add_nc_u32_e32 v166, 4, v166
	s_wait_dscnt 0x0
	v_pk_mul_f16 v189, v25, v20
	v_pk_mul_f16 v182, v25, v21
	;; [unrolled: 1-line block ×4, first 2 shown]
	ds_load_2addr_b32 v[24:25], v165 offset0:4 offset1:7
	v_pk_mul_f16 v178, v29, v20
	v_pk_mul_f16 v0, v29, v21
	v_pk_mul_f16 v188, v28, v20
	v_pk_mul_f16 v181, v28, v21
	ds_load_2addr_b32 v[28:29], v165 offset1:3
	v_mul_i32_i24_e32 v20, v230, v226
	scratch_store_b32 off, v0, off offset:20 ; 4-byte Folded Spill
	v_mul_i32_i24_e32 v21, v231, v232
	s_wait_dscnt 0x1
	v_bfe_i32 v245, v24, 16, 8
	v_ashrrev_i32_e32 v246, 24, v24
	v_bfe_i32 v247, v25, 0, 8
	s_wait_dscnt 0x0
	v_bfe_i32 v34, v28, 16, 8
	v_mul_i32_i24_e32 v0, v242, v245
	v_ashrrev_i32_e32 v35, 24, v28
	v_bfe_i32 v36, v28, 0, 8
	v_bfe_i32 v251, v29, 16, 8
	v_ashrrev_i32_e32 v252, 24, v29
	v_mad_i32_i24 v0, v204, v34, v0
	v_bfe_i32 v119, v29, 0, 8
	s_delay_alu instid0(VALU_DEP_2) | instskip(SKIP_2) | instid1(VALU_DEP_2)
	v_add3_u32 v17, v0, v17, v20
	v_mul_i32_i24_e32 v0, v244, v246
	v_mul_i32_i24_e32 v20, v240, v241
	v_mad_i32_i24 v0, v205, v35, v0
	s_delay_alu instid0(VALU_DEP_1) | instskip(SKIP_2) | instid1(VALU_DEP_2)
	v_add3_u32 v20, v0, v20, v21
	v_bfe_i32 v0, v24, 0, 8
	v_lshrrev_b16 v24, 8, v24
	v_mul_i32_i24_e32 v21, v250, v0
	s_delay_alu instid0(VALU_DEP_2) | instskip(NEXT) | instid1(VALU_DEP_2)
	v_bfe_i32 v24, v24, 0, 8
	v_mad_i32_i24 v21, v206, v36, v21
	s_delay_alu instid0(VALU_DEP_1) | instskip(SKIP_2) | instid1(VALU_DEP_1)
	v_add3_u32 v21, v21, v30, v31
	v_mul_i32_i24_e32 v30, v219, v221
	v_mul_i32_i24_e32 v31, v208, v210
	v_add3_u32 v55, v20, v30, v31
	v_mul_i32_i24_e32 v20, v220, v217
	v_mul_i32_i24_e32 v30, v209, v207
	s_delay_alu instid0(VALU_DEP_1) | instskip(SKIP_3) | instid1(VALU_DEP_2)
	v_add3_u32 v57, v17, v20, v30
	v_mul_i32_i24_e32 v17, v227, v218
	v_mul_i32_i24_e32 v20, v216, v211
	v_add_nc_u32_e32 v30, 0x2100, v171
	v_add3_u32 v56, v21, v17, v20
	v_lshrrev_b16 v17, 8, v28
	v_add_nc_u32_e32 v20, 0x1080, v171
	s_delay_alu instid0(VALU_DEP_2)
	v_bfe_i32 v28, v17, 0, 8
	v_add_nc_u32_e32 v17, 0x1088, v171
	ds_load_2addr_b32 v[51:52], v20 offset1:1
	ds_load_2addr_b32 v[20:21], v17 offset1:1
	;; [unrolled: 1-line block ×3, first 2 shown]
	s_wait_dscnt 0x2
	v_and_b32_e32 v223, 15, v51
	v_bfe_u32 v222, v51, 8, 4
	v_bfe_u32 v212, v51, 16, 4
	;; [unrolled: 1-line block ×3, first 2 shown]
	s_wait_dscnt 0x0
	v_and_b32_e32 v224, 15, v49
	v_mul_i32_i24_e32 v17, v36, v223
	v_bfe_u32 v225, v49, 8, 4
	v_mul_i32_i24_e32 v30, v34, v212
	v_mul_i32_i24_e32 v31, v35, v213
	v_bfe_u32 v214, v49, 16, 4
	v_mad_i32_i24 v17, v28, v222, v17
	v_bfe_u32 v215, v49, 24, 4
	v_bfe_u32 v63, v51, 12, 4
	;; [unrolled: 1-line block ×4, first 2 shown]
	v_add3_u32 v58, v17, v30, v31
	v_mul_i32_i24_e32 v17, v36, v224
	v_mul_i32_i24_e32 v30, v34, v214
	;; [unrolled: 1-line block ×3, first 2 shown]
	v_lshrrev_b32_e32 v114, 28, v51
	v_bfe_u32 v66, v49, 12, 4
	v_mad_i32_i24 v17, v28, v225, v17
	v_bfe_u32 v67, v49, 4, 4
	v_bfe_u32 v74, v49, 20, 4
	v_lshrrev_b32_e32 v102, 28, v49
	v_add_nc_u32_e32 v49, 0x800, v165
	v_add3_u32 v59, v17, v30, v31
	v_add_nc_u32_e32 v17, 0x3180, v171
	v_add_nc_u32_e32 v30, 0x3188, v171
	ds_load_2addr_b32 v[60:61], v17 offset1:1
	ds_load_2addr_b32 v[30:31], v30 offset1:1
	;; [unrolled: 1-line block ×3, first 2 shown]
	v_add_nc_u32_e32 v51, 0xc00, v165
	ds_load_2addr_b32 v[40:41], v254 offset0:4 offset1:7
	ds_load_2addr_b32 v[42:43], v255 offset0:4 offset1:7
	;; [unrolled: 1-line block ×3, first 2 shown]
	v_bfe_u32 v14, v52, 8, 4
	ds_load_2addr_b32 v[38:39], v51 offset0:4 offset1:7
	v_bfe_u32 v95, v52, 24, 4
	v_bfe_u32 v16, v50, 8, 4
	;; [unrolled: 1-line block ×3, first 2 shown]
	s_wait_dscnt 0x6
	v_and_b32_e32 v234, 15, v60
	v_bfe_u32 v228, v60, 16, 4
	v_bfe_u32 v229, v60, 24, 4
	;; [unrolled: 1-line block ×4, first 2 shown]
	v_mul_i32_i24_e32 v17, v36, v234
	v_mul_i32_i24_e32 v34, v34, v228
	;; [unrolled: 1-line block ×3, first 2 shown]
	v_bfe_u32 v70, v60, 4, 4
	v_bfe_u32 v103, v60, 20, 4
	v_mad_i32_i24 v17, v28, v235, v17
	v_lshrrev_b32_e32 v104, 28, v60
	s_wait_dscnt 0x0
	v_bfe_i32 v109, v38, 8, 8
	v_bfe_i32 v110, v38, 0, 8
	;; [unrolled: 1-line block ×3, first 2 shown]
	v_add3_u32 v62, v17, v34, v35
	ds_load_2addr_b32 v[34:35], v121 offset0:4 offset1:7
	v_ashrrev_i32_e32 v136, 24, v38
	v_bfe_i32 v144, v40, 8, 8
	v_bfe_i32 v146, v40, 0, 8
	v_bfe_i32 v148, v40, 16, 8
	v_ashrrev_i32_e32 v118, 24, v40
	v_bfe_i32 v81, v42, 8, 8
	v_bfe_i32 v2, v42, 0, 8
	v_bfe_i32 v82, v42, 16, 8
	;; [unrolled: 4-line block ×3, first 2 shown]
	v_ashrrev_i32_e32 v86, 24, v45
	ds_load_2addr_b32 v[44:45], v124 offset0:4 offset1:7
	v_bfe_i32 v38, v25, 16, 8
	v_lshrrev_b32_e32 v42, 28, v23
	v_bfe_i32 v15, v53, 8, 8
	v_ashrrev_i32_e32 v97, 24, v53
	v_bfe_u32 v100, v61, 8, 4
	s_wait_dscnt 0x1
	v_bfe_i32 v76, v34, 8, 8
	v_bfe_i32 v116, v34, 0, 8
	;; [unrolled: 1-line block ×3, first 2 shown]
	v_ashrrev_i32_e32 v92, 24, v34
	v_bfe_u32 v101, v61, 24, 4
	v_mul_i32_i24_e32 v17, v76, v63
	s_delay_alu instid0(VALU_DEP_4) | instskip(NEXT) | instid1(VALU_DEP_4)
	v_mul_i32_i24_e32 v34, v115, v112
	v_mul_i32_i24_e32 v36, v92, v114
	s_delay_alu instid0(VALU_DEP_3) | instskip(SKIP_2) | instid1(VALU_DEP_2)
	v_mad_i32_i24 v17, v116, v64, v17
	s_wait_dscnt 0x0
	v_bfe_i32 v88, v44, 8, 8
	v_add3_u32 v65, v17, v34, v36
	v_mul_i32_i24_e32 v17, v76, v66
	v_mul_i32_i24_e32 v34, v115, v74
	;; [unrolled: 1-line block ×3, first 2 shown]
	v_bfe_i32 v9, v44, 0, 8
	v_bfe_i32 v89, v44, 16, 8
	v_mad_i32_i24 v17, v116, v67, v17
	v_ashrrev_i32_e32 v10, 24, v44
	v_mul_i32_i24_e32 v44, v252, v253
	s_delay_alu instid0(VALU_DEP_3) | instskip(SKIP_3) | instid1(VALU_DEP_3)
	v_add3_u32 v68, v17, v34, v36
	v_mul_i32_i24_e32 v17, v76, v69
	v_mul_i32_i24_e32 v34, v115, v103
	;; [unrolled: 1-line block ×3, first 2 shown]
	v_mad_i32_i24 v17, v116, v70, v17
	s_delay_alu instid0(VALU_DEP_1)
	v_add3_u32 v60, v17, v34, v36
	ds_load_2addr_b32 v[36:37], v49 offset0:4 offset1:7
	s_wait_dscnt 0x0
	v_bfe_i32 v105, v36, 8, 8
	v_bfe_i32 v106, v36, 0, 8
	;; [unrolled: 1-line block ×3, first 2 shown]
	v_ashrrev_i32_e32 v108, 24, v36
	s_delay_alu instid0(VALU_DEP_4) | instskip(NEXT) | instid1(VALU_DEP_3)
	v_mul_i32_i24_e32 v17, v105, v63
	v_mul_i32_i24_e32 v34, v107, v112
	s_delay_alu instid0(VALU_DEP_3) | instskip(NEXT) | instid1(VALU_DEP_3)
	v_mul_i32_i24_e32 v36, v108, v114
	v_mad_i32_i24 v17, v106, v64, v17
	s_delay_alu instid0(VALU_DEP_1) | instskip(SKIP_3) | instid1(VALU_DEP_3)
	v_add3_u32 v71, v17, v34, v36
	v_mul_i32_i24_e32 v17, v105, v66
	v_mul_i32_i24_e32 v34, v107, v74
	v_mul_i32_i24_e32 v36, v108, v102
	v_mad_i32_i24 v17, v106, v67, v17
	s_delay_alu instid0(VALU_DEP_1) | instskip(SKIP_3) | instid1(VALU_DEP_3)
	v_add3_u32 v72, v17, v34, v36
	v_mul_i32_i24_e32 v17, v105, v69
	v_mul_i32_i24_e32 v34, v107, v103
	;; [unrolled: 6-line block ×10, first 2 shown]
	v_mul_i32_i24_e32 v36, v3, v102
	v_mad_i32_i24 v17, v2, v67, v17
	s_delay_alu instid0(VALU_DEP_1) | instskip(SKIP_4) | instid1(VALU_DEP_4)
	v_add3_u32 v4, v17, v34, v36
	v_mul_i32_i24_e32 v17, v81, v69
	v_mul_i32_i24_e32 v34, v82, v103
	;; [unrolled: 1-line block ×4, first 2 shown]
	v_mad_i32_i24 v17, v2, v70, v17
	s_delay_alu instid0(VALU_DEP_1) | instskip(SKIP_3) | instid1(VALU_DEP_3)
	v_add3_u32 v84, v17, v34, v36
	v_mul_i32_i24_e32 v17, v5, v63
	v_mul_i32_i24_e32 v34, v6, v112
	;; [unrolled: 1-line block ×3, first 2 shown]
	v_mad_i32_i24 v17, v85, v64, v17
	s_delay_alu instid0(VALU_DEP_1) | instskip(SKIP_3) | instid1(VALU_DEP_3)
	v_add3_u32 v7, v17, v34, v36
	v_mul_i32_i24_e32 v17, v5, v66
	v_mul_i32_i24_e32 v34, v6, v74
	v_mul_i32_i24_e32 v36, v86, v102
	v_mad_i32_i24 v17, v85, v67, v17
	s_delay_alu instid0(VALU_DEP_1) | instskip(SKIP_4) | instid1(VALU_DEP_4)
	v_add3_u32 v87, v17, v34, v36
	v_mul_i32_i24_e32 v17, v5, v69
	v_mul_i32_i24_e32 v34, v6, v103
	;; [unrolled: 1-line block ×4, first 2 shown]
	v_mad_i32_i24 v17, v85, v70, v17
	s_delay_alu instid0(VALU_DEP_1) | instskip(SKIP_3) | instid1(VALU_DEP_3)
	v_add3_u32 v8, v17, v34, v36
	v_mul_i32_i24_e32 v17, v88, v63
	v_mul_i32_i24_e32 v34, v89, v112
	;; [unrolled: 1-line block ×3, first 2 shown]
	v_mad_i32_i24 v17, v9, v64, v17
	s_delay_alu instid0(VALU_DEP_1) | instskip(SKIP_3) | instid1(VALU_DEP_3)
	v_add3_u32 v90, v17, v34, v36
	v_mul_i32_i24_e32 v17, v88, v66
	v_mul_i32_i24_e32 v34, v89, v74
	;; [unrolled: 1-line block ×3, first 2 shown]
	v_mad_i32_i24 v17, v9, v67, v17
	s_delay_alu instid0(VALU_DEP_1) | instskip(SKIP_4) | instid1(VALU_DEP_4)
	v_add3_u32 v11, v17, v34, v36
	v_mul_i32_i24_e32 v17, v88, v69
	v_mul_i32_i24_e32 v34, v89, v103
	;; [unrolled: 1-line block ×4, first 2 shown]
	v_mad_i32_i24 v17, v9, v70, v17
	s_delay_alu instid0(VALU_DEP_1) | instskip(SKIP_4) | instid1(VALU_DEP_4)
	v_add3_u32 v91, v17, v34, v36
	v_and_b32_e32 v17, 0xf0f0f0f, v32
	v_lshrrev_b32_e32 v32, 4, v32
	v_and_b32_e32 v34, 0xf0f0f0f, v33
	v_lshrrev_b32_e32 v33, 4, v33
	v_lshrrev_b16 v17, 8, v17
	s_delay_alu instid0(VALU_DEP_4) | instskip(NEXT) | instid1(VALU_DEP_4)
	v_lshrrev_b16 v32, 8, v32
	v_lshrrev_b16 v36, 8, v34
	s_delay_alu instid0(VALU_DEP_4) | instskip(NEXT) | instid1(VALU_DEP_4)
	v_lshrrev_b16 v33, 8, v33
	v_and_b32_e32 v34, 0xffff, v17
	s_delay_alu instid0(VALU_DEP_4) | instskip(NEXT) | instid1(VALU_DEP_4)
	v_and_b32_e32 v17, 15, v32
	v_and_b32_e32 v12, 0xffff, v36
	s_delay_alu instid0(VALU_DEP_4) | instskip(NEXT) | instid1(VALU_DEP_4)
	v_and_b32_e32 v33, 15, v33
	v_mul_i32_i24_e32 v28, v34, v28
	s_delay_alu instid0(VALU_DEP_4) | instskip(NEXT) | instid1(VALU_DEP_4)
	v_and_b32_e32 v32, 0xffff, v17
	v_mul_i32_i24_e32 v17, v47, v12
	s_delay_alu instid0(VALU_DEP_2)
	v_mul_i32_i24_e32 v36, v32, v24
	v_mul_i32_i24_e32 v81, v32, v81
	;; [unrolled: 1-line block ×5, first 2 shown]
	v_add3_u32 v28, v28, v36, v17
	v_bfe_u32 v36, v23, 20, 4
	v_mul_i32_i24_e32 v17, v251, v248
	v_mul_i32_i24_e32 v109, v32, v109
	;; [unrolled: 1-line block ×5, first 2 shown]
	v_mad_i32_i24 v2, v250, v2, v81
	v_mad_i32_i24 v5, v250, v85, v5
	;; [unrolled: 1-line block ×4, first 2 shown]
	v_add3_u32 v17, v57, v17, v40
	v_ashrrev_i32_e32 v40, 24, v25
	v_mad_i32_i24 v105, v250, v106, v105
	v_mad_i32_i24 v106, v250, v110, v109
	;; [unrolled: 1-line block ×3, first 2 shown]
	v_and_b32_e32 v116, 0xffff, v33
	v_mul_i32_i24_e32 v57, v40, v42
	s_delay_alu instid0(VALU_DEP_1) | instskip(SKIP_2) | instid1(VALU_DEP_2)
	v_add3_u32 v93, v55, v44, v57
	v_bfe_u32 v44, v23, 4, 4
	v_mul_i32_i24_e32 v55, v119, v249
	v_mul_i32_i24_e32 v57, v247, v44
	s_delay_alu instid0(VALU_DEP_1) | instskip(SKIP_3) | instid1(VALU_DEP_2)
	v_add3_u32 v111, v56, v55, v57
	v_mul_i32_i24_e32 v55, v0, v64
	v_mul_i32_i24_e32 v56, v24, v63
	v_add_nc_u32_e32 v57, 0xc04, v165
	v_add3_u32 v13, v58, v56, v55
	v_mul_i32_i24_e32 v55, v0, v67
	v_mul_i32_i24_e32 v56, v24, v66
	;; [unrolled: 1-line block ×4, first 2 shown]
	v_add_nc_u32_e32 v70, 0x1c04, v165
	s_delay_alu instid0(VALU_DEP_4) | instskip(SKIP_1) | instid1(VALU_DEP_4)
	v_add3_u32 v94, v59, v56, v55
	v_mul_i32_i24_e32 v55, v97, v95
	v_add3_u32 v0, v62, v24, v0
	v_mul_i32_i24_e32 v24, v15, v14
	v_mul_i32_i24_e32 v56, v97, v98
	v_add_nc_u32_e32 v59, 0x1404, v165
	s_delay_alu instid0(VALU_DEP_3) | instskip(SKIP_1) | instid1(VALU_DEP_1)
	v_add3_u32 v24, v65, v55, v24
	v_mul_i32_i24_e32 v55, v15, v16
	v_add3_u32 v99, v68, v56, v55
	v_mul_i32_i24_e32 v55, v15, v100
	v_mul_i32_i24_e32 v56, v97, v101
	;; [unrolled: 1-line block ×3, first 2 shown]
	s_delay_alu instid0(VALU_DEP_2)
	v_add3_u32 v127, v60, v56, v55
	v_add_nc_u32_e32 v55, 0x804, v165
	v_add_nc_u32_e32 v56, 0x814, v165
	ds_load_2addr_b32 v[64:65], v55 offset1:1
	ds_load_2addr_b32 v[55:56], v56 offset1:1
	;; [unrolled: 1-line block ×3, first 2 shown]
	s_wait_dscnt 0x2
	v_bfe_i32 v128, v64, 8, 8
	v_ashrrev_i32_e32 v130, 24, v64
	s_wait_dscnt 0x0
	v_bfe_i32 v164, v62, 8, 8
	v_ashrrev_i32_e32 v18, 24, v62
	v_mul_i32_i24_e32 v57, v128, v14
	v_mul_i32_i24_e32 v58, v130, v95
	s_delay_alu instid0(VALU_DEP_4) | instskip(NEXT) | instid1(VALU_DEP_2)
	v_mul_i32_i24_e32 v19, v164, v14
	v_add3_u32 v77, v71, v58, v57
	v_mul_i32_i24_e32 v57, v128, v16
	v_mul_i32_i24_e32 v58, v130, v98
	s_delay_alu instid0(VALU_DEP_1) | instskip(SKIP_2) | instid1(VALU_DEP_1)
	v_add3_u32 v132, v72, v58, v57
	v_mul_i32_i24_e32 v57, v128, v100
	v_mul_i32_i24_e32 v58, v130, v101
	v_add3_u32 v96, v73, v58, v57
	v_mul_i32_i24_e32 v57, v18, v95
	v_mul_i32_i24_e32 v58, v18, v98
	s_delay_alu instid0(VALU_DEP_2) | instskip(SKIP_1) | instid1(VALU_DEP_1)
	v_add3_u32 v19, v138, v57, v19
	v_mul_i32_i24_e32 v57, v164, v16
	v_add3_u32 v138, v140, v58, v57
	v_mul_i32_i24_e32 v57, v164, v100
	v_mul_i32_i24_e32 v58, v18, v101
	s_delay_alu instid0(VALU_DEP_1)
	v_add3_u32 v140, v142, v58, v57
	v_add_nc_u32_e32 v57, 0x1004, v165
	v_add_nc_u32_e32 v58, 0x1014, v165
	ds_load_2addr_b32 v[68:69], v57 offset1:1
	ds_load_2addr_b32 v[57:58], v58 offset1:1
	ds_load_2addr_b32 v[66:67], v59 offset1:1
	s_wait_dscnt 0x2
	v_bfe_i32 v142, v68, 8, 8
	v_ashrrev_i32_e32 v79, 24, v68
	s_wait_dscnt 0x0
	v_bfe_i32 v78, v66, 8, 8
	v_ashrrev_i32_e32 v172, 24, v66
	v_mul_i32_i24_e32 v59, v142, v14
	v_mul_i32_i24_e32 v60, v79, v95
	s_delay_alu instid0(VALU_DEP_1) | instskip(SKIP_2) | instid1(VALU_DEP_1)
	v_add3_u32 v75, v75, v60, v59
	v_mul_i32_i24_e32 v59, v142, v16
	v_mul_i32_i24_e32 v60, v79, v98
	v_add3_u32 v80, v80, v60, v59
	v_mul_i32_i24_e32 v59, v142, v100
	v_mul_i32_i24_e32 v60, v79, v101
	s_delay_alu instid0(VALU_DEP_1) | instskip(SKIP_2) | instid1(VALU_DEP_1)
	v_add3_u32 v1, v1, v60, v59
	v_mul_i32_i24_e32 v59, v78, v14
	v_mul_i32_i24_e32 v60, v172, v95
	v_add3_u32 v83, v83, v60, v59
	;; [unrolled: 7-line block ×3, first 2 shown]
	v_add_nc_u32_e32 v59, 0x1804, v165
	v_add_nc_u32_e32 v60, 0x1814, v165
	ds_load_2addr_b32 v[72:73], v59 offset1:1
	ds_load_2addr_b32 v[59:60], v60 offset1:1
	;; [unrolled: 1-line block ×3, first 2 shown]
	s_wait_dscnt 0x2
	v_bfe_i32 v173, v72, 8, 8
	v_ashrrev_i32_e32 v174, 24, v72
	s_wait_dscnt 0x0
	v_bfe_i32 v81, v70, 8, 8
	v_ashrrev_i32_e32 v85, 24, v70
	v_mul_i32_i24_e32 v175, v173, v14
	v_mul_i32_i24_e32 v177, v174, v95
	s_delay_alu instid0(VALU_DEP_4) | instskip(NEXT) | instid1(VALU_DEP_4)
	v_mul_i32_i24_e32 v32, v81, v14
	v_mul_i32_i24_e32 v76, v85, v95
	;; [unrolled: 1-line block ×3, first 2 shown]
	s_delay_alu instid0(VALU_DEP_4) | instskip(SKIP_1) | instid1(VALU_DEP_4)
	v_add3_u32 v7, v7, v177, v175
	v_mul_i32_i24_e32 v175, v173, v16
	v_add3_u32 v32, v90, v76, v32
	v_mul_i32_i24_e32 v76, v81, v16
	v_mul_i32_i24_e32 v90, v85, v98
	v_mul_i32_i24_e32 v177, v174, v98
	v_mul_i32_i24_e32 v16, v47, v16
	s_delay_alu instid0(VALU_DEP_3)
	v_add3_u32 v11, v11, v90, v76
	v_mul_i32_i24_e32 v76, v81, v100
	v_mul_i32_i24_e32 v90, v85, v101
	v_add3_u32 v87, v87, v177, v175
	v_mul_i32_i24_e32 v175, v173, v100
	v_mul_i32_i24_e32 v177, v174, v101
	s_delay_alu instid0(VALU_DEP_4)
	v_add3_u32 v90, v91, v90, v76
	v_bfe_i32 v76, v48, 8, 8
	v_and_b32_e32 v48, 0xf0f0f0f, v22
	v_bfe_i32 v91, v26, 8, 8
	v_add3_u32 v8, v8, v177, v175
	v_lshrrev_b32_e32 v22, 4, v22
	s_delay_alu instid0(VALU_DEP_4) | instskip(NEXT) | instid1(VALU_DEP_4)
	v_lshrrev_b16 v48, 8, v48
	v_mul_i32_i24_e32 v33, v91, v116
	s_delay_alu instid0(VALU_DEP_3) | instskip(NEXT) | instid1(VALU_DEP_3)
	v_lshrrev_b16 v22, 8, v22
	v_and_b32_e32 v250, 0xffff, v48
	v_mul_i32_i24_e32 v48, v246, v104
	v_bfe_u32 v104, v61, 16, 4
	s_delay_alu instid0(VALU_DEP_4) | instskip(NEXT) | instid1(VALU_DEP_4)
	v_and_b32_e32 v22, 15, v22
	v_mul_i32_i24_e32 v26, v76, v250
	s_delay_alu instid0(VALU_DEP_1) | instskip(SKIP_3) | instid1(VALU_DEP_2)
	v_add3_u32 v26, v28, v33, v26
	v_mul_i32_i24_e32 v28, v245, v112
	v_mul_i32_i24_e32 v33, v246, v114
	v_bfe_i32 v114, v62, 0, 8
	v_add3_u32 v13, v13, v28, v33
	v_mul_i32_i24_e32 v28, v245, v74
	v_mul_i32_i24_e32 v33, v246, v102
	v_bfe_u32 v74, v52, 16, 4
	v_bfe_u32 v102, v50, 16, 4
	s_delay_alu instid0(VALU_DEP_3) | instskip(SKIP_1) | instid1(VALU_DEP_1)
	v_add3_u32 v28, v94, v28, v33
	v_mul_i32_i24_e32 v33, v245, v103
	v_add3_u32 v0, v0, v33, v48
	v_mul_i32_i24_e32 v33, v242, v115
	v_mul_i32_i24_e32 v48, v244, v92
	v_bfe_i32 v92, v53, 16, 8
	v_bfe_i32 v115, v62, 16, 8
	s_delay_alu instid0(VALU_DEP_3)
	v_add3_u32 v33, v88, v33, v48
	v_and_b32_e32 v48, 15, v52
	v_bfe_i32 v88, v53, 0, 8
	v_mul_i32_i24_e32 v94, v92, v74
	v_mul_i32_i24_e32 v103, v92, v102
	;; [unrolled: 1-line block ×5, first 2 shown]
	s_delay_alu instid0(VALU_DEP_1) | instskip(SKIP_1) | instid1(VALU_DEP_1)
	v_add3_u32 v53, v24, v53, v94
	v_and_b32_e32 v94, 15, v50
	v_mul_i32_i24_e32 v24, v88, v94
	s_delay_alu instid0(VALU_DEP_1) | instskip(SKIP_1) | instid1(VALU_DEP_1)
	v_add3_u32 v99, v99, v24, v103
	v_and_b32_e32 v103, 15, v61
	v_mul_i32_i24_e32 v24, v88, v103
	s_delay_alu instid0(VALU_DEP_1) | instskip(SKIP_3) | instid1(VALU_DEP_2)
	v_add3_u32 v110, v127, v24, v110
	v_mul_i32_i24_e32 v24, v242, v107
	v_mul_i32_i24_e32 v107, v244, v108
	v_bfe_i32 v108, v64, 16, 8
	v_add3_u32 v105, v105, v24, v107
	v_bfe_i32 v107, v64, 0, 8
	s_delay_alu instid0(VALU_DEP_3) | instskip(NEXT) | instid1(VALU_DEP_2)
	v_mul_i32_i24_e32 v64, v108, v74
	v_mul_i32_i24_e32 v24, v107, v48
	s_delay_alu instid0(VALU_DEP_1) | instskip(SKIP_2) | instid1(VALU_DEP_1)
	v_add3_u32 v77, v77, v24, v64
	v_mul_i32_i24_e32 v24, v107, v94
	v_mul_i32_i24_e32 v64, v108, v102
	v_add3_u32 v112, v132, v24, v64
	v_mul_i32_i24_e32 v24, v107, v103
	v_mul_i32_i24_e32 v64, v108, v104
	s_delay_alu instid0(VALU_DEP_1) | instskip(SKIP_4) | instid1(VALU_DEP_3)
	v_add3_u32 v96, v96, v24, v64
	v_mul_i32_i24_e32 v24, v242, v134
	v_mul_i32_i24_e32 v64, v244, v136
	v_bfe_u32 v134, v50, 4, 4
	v_lshrrev_b32_e32 v136, 28, v50
	v_add3_u32 v106, v106, v24, v64
	v_mul_i32_i24_e32 v24, v114, v48
	v_bfe_i32 v64, v29, 8, 8
	s_delay_alu instid0(VALU_DEP_2) | instskip(SKIP_2) | instid1(VALU_DEP_1)
	v_add3_u32 v19, v19, v24, v62
	v_mul_i32_i24_e32 v24, v114, v94
	v_mul_i32_i24_e32 v62, v115, v102
	v_add3_u32 v127, v138, v24, v62
	v_mul_i32_i24_e32 v24, v114, v103
	v_mul_i32_i24_e32 v62, v115, v104
	v_bfe_u32 v138, v61, 4, 4
	s_delay_alu instid0(VALU_DEP_2)
	v_add3_u32 v132, v140, v24, v62
	v_mul_i32_i24_e32 v24, v242, v148
	v_mul_i32_i24_e32 v62, v244, v118
	v_bfe_i32 v118, v68, 0, 8
	v_bfe_i32 v68, v68, 16, 8
	v_lshrrev_b32_e32 v140, 28, v61
	v_bfe_i32 v148, v59, 0, 8
	v_add3_u32 v109, v109, v24, v62
	v_mul_i32_i24_e32 v24, v118, v48
	v_mul_i32_i24_e32 v62, v68, v74
	s_delay_alu instid0(VALU_DEP_1) | instskip(SKIP_2) | instid1(VALU_DEP_1)
	v_add3_u32 v75, v75, v24, v62
	v_mul_i32_i24_e32 v24, v118, v94
	v_mul_i32_i24_e32 v62, v68, v102
	v_add3_u32 v80, v80, v24, v62
	v_mul_i32_i24_e32 v24, v118, v103
	v_mul_i32_i24_e32 v62, v68, v104
	v_mul_i32_i24_e32 v68, v68, v236
	s_delay_alu instid0(VALU_DEP_2) | instskip(SKIP_2) | instid1(VALU_DEP_2)
	v_add3_u32 v1, v1, v24, v62
	v_mul_i32_i24_e32 v24, v242, v82
	v_bfe_i32 v82, v66, 16, 8
	v_add3_u32 v2, v2, v24, v3
	v_bfe_i32 v3, v66, 0, 8
	s_delay_alu instid0(VALU_DEP_3) | instskip(SKIP_1) | instid1(VALU_DEP_3)
	v_mul_i32_i24_e32 v62, v82, v74
	v_and_b32_e32 v66, 0xffff, v22
	v_mul_i32_i24_e32 v24, v3, v48
	s_delay_alu instid0(VALU_DEP_1) | instskip(SKIP_2) | instid1(VALU_DEP_1)
	v_add3_u32 v83, v83, v24, v62
	v_mul_i32_i24_e32 v24, v3, v94
	v_mul_i32_i24_e32 v62, v82, v102
	v_add3_u32 v4, v4, v24, v62
	v_mul_i32_i24_e32 v24, v3, v103
	v_mul_i32_i24_e32 v62, v82, v104
	;; [unrolled: 1-line block ×3, first 2 shown]
	s_delay_alu instid0(VALU_DEP_2) | instskip(SKIP_1) | instid1(VALU_DEP_1)
	v_add3_u32 v84, v84, v24, v62
	v_mul_i32_i24_e32 v24, v244, v86
	v_add3_u32 v5, v5, v6, v24
	v_bfe_i32 v6, v72, 0, 8
	v_bfe_i32 v72, v72, 16, 8
	s_delay_alu instid0(VALU_DEP_2) | instskip(NEXT) | instid1(VALU_DEP_2)
	v_mul_i32_i24_e32 v24, v6, v48
	v_mul_i32_i24_e32 v62, v72, v74
	s_delay_alu instid0(VALU_DEP_1) | instskip(SKIP_2) | instid1(VALU_DEP_1)
	v_add3_u32 v7, v7, v24, v62
	v_mul_i32_i24_e32 v24, v6, v94
	v_mul_i32_i24_e32 v62, v72, v102
	v_add3_u32 v86, v87, v24, v62
	v_mul_i32_i24_e32 v24, v6, v103
	v_mul_i32_i24_e32 v62, v72, v104
	;; [unrolled: 1-line block ×3, first 2 shown]
	s_delay_alu instid0(VALU_DEP_2) | instskip(SKIP_1) | instid1(VALU_DEP_1)
	v_add3_u32 v8, v8, v24, v62
	v_mul_i32_i24_e32 v24, v242, v89
	v_add3_u32 v9, v9, v24, v10
	v_bfe_i32 v10, v70, 0, 8
	v_bfe_i32 v70, v70, 16, 8
	s_delay_alu instid0(VALU_DEP_2) | instskip(NEXT) | instid1(VALU_DEP_2)
	v_mul_i32_i24_e32 v24, v10, v48
	v_mul_i32_i24_e32 v62, v70, v74
	s_delay_alu instid0(VALU_DEP_1) | instskip(SKIP_2) | instid1(VALU_DEP_1)
	v_add3_u32 v87, v32, v24, v62
	v_mul_i32_i24_e32 v24, v10, v94
	v_mul_i32_i24_e32 v32, v70, v102
	v_add3_u32 v11, v11, v24, v32
	v_mul_i32_i24_e32 v24, v10, v103
	v_mul_i32_i24_e32 v32, v70, v104
	;; [unrolled: 1-line block ×3, first 2 shown]
	s_delay_alu instid0(VALU_DEP_2) | instskip(SKIP_4) | instid1(VALU_DEP_3)
	v_add3_u32 v89, v90, v24, v32
	v_bfe_i32 v24, v27, 8, 8
	v_and_b32_e32 v27, 0xf0f0f0f, v23
	v_bfe_u32 v90, v52, 4, 4
	v_lshrrev_b32_e32 v23, 4, v23
	v_lshrrev_b16 v27, 8, v27
	s_delay_alu instid0(VALU_DEP_2) | instskip(NEXT) | instid1(VALU_DEP_2)
	v_lshrrev_b16 v23, 8, v23
	v_and_b32_e32 v62, 0xffff, v27
	v_mul_i32_i24_e32 v27, v24, v66
	s_delay_alu instid0(VALU_DEP_3) | instskip(NEXT) | instid1(VALU_DEP_3)
	v_and_b32_e32 v23, 15, v23
	v_mul_i32_i24_e32 v22, v64, v62
	s_delay_alu instid0(VALU_DEP_1) | instskip(SKIP_1) | instid1(VALU_DEP_1)
	v_add3_u32 v22, v26, v27, v22
	v_mul_i32_i24_e32 v26, v243, v48
	v_add3_u32 v13, v13, v14, v26
	v_mul_i32_i24_e32 v14, v243, v94
	v_mul_i32_i24_e32 v26, v47, v100
	v_lshrrev_b32_e32 v94, 28, v52
	s_delay_alu instid0(VALU_DEP_3) | instskip(SKIP_1) | instid1(VALU_DEP_1)
	v_add3_u32 v14, v28, v16, v14
	v_mul_i32_i24_e32 v16, v243, v103
	v_add3_u32 v16, v0, v26, v16
	v_mul_i32_i24_e32 v0, v97, v241
	s_delay_alu instid0(VALU_DEP_1)
	v_add3_u32 v15, v33, v0, v15
	v_add_nc_u32_e32 v0, 0x414, v165
	ds_load_2addr_b32 v[26:27], v0 offset1:1
	s_wait_dscnt 0x0
	v_bfe_i32 v97, v26, 0, 8
	v_ashrrev_i32_e32 v100, 24, v26
	s_delay_alu instid0(VALU_DEP_2) | instskip(NEXT) | instid1(VALU_DEP_2)
	v_mul_i32_i24_e32 v0, v97, v90
	v_mul_i32_i24_e32 v28, v100, v94
	s_delay_alu instid0(VALU_DEP_1) | instskip(SKIP_2) | instid1(VALU_DEP_1)
	v_add3_u32 v103, v53, v28, v0
	v_mul_i32_i24_e32 v0, v97, v134
	v_mul_i32_i24_e32 v28, v100, v136
	v_add3_u32 v99, v99, v28, v0
	v_mul_i32_i24_e32 v0, v97, v138
	v_mul_i32_i24_e32 v28, v100, v140
	s_delay_alu instid0(VALU_DEP_1) | instskip(SKIP_4) | instid1(VALU_DEP_3)
	v_add3_u32 v110, v110, v28, v0
	v_mul_i32_i24_e32 v0, v130, v241
	v_mul_i32_i24_e32 v28, v128, v12
	v_bfe_i32 v128, v55, 0, 8
	v_ashrrev_i32_e32 v130, 24, v55
	v_add3_u32 v105, v105, v0, v28
	s_delay_alu instid0(VALU_DEP_3) | instskip(NEXT) | instid1(VALU_DEP_3)
	v_mul_i32_i24_e32 v0, v128, v90
	v_mul_i32_i24_e32 v28, v130, v94
	s_delay_alu instid0(VALU_DEP_1) | instskip(SKIP_2) | instid1(VALU_DEP_1)
	v_add3_u32 v77, v77, v28, v0
	v_mul_i32_i24_e32 v0, v128, v134
	v_mul_i32_i24_e32 v28, v130, v136
	v_add3_u32 v112, v112, v28, v0
	v_mul_i32_i24_e32 v0, v128, v138
	v_mul_i32_i24_e32 v28, v130, v140
	s_delay_alu instid0(VALU_DEP_1) | instskip(SKIP_3) | instid1(VALU_DEP_2)
	v_add3_u32 v96, v96, v28, v0
	v_mul_i32_i24_e32 v0, v18, v241
	v_mul_i32_i24_e32 v18, v164, v12
	v_ashrrev_i32_e32 v164, 24, v59
	v_add3_u32 v18, v106, v0, v18
	v_add_nc_u32_e32 v0, 0xc14, v165
	ds_load_2addr_b32 v[28:29], v0 offset1:1
	s_wait_dscnt 0x0
	v_bfe_i32 v106, v28, 0, 8
	v_ashrrev_i32_e32 v144, 24, v28
	s_delay_alu instid0(VALU_DEP_2) | instskip(NEXT) | instid1(VALU_DEP_2)
	v_mul_i32_i24_e32 v0, v106, v90
	v_mul_i32_i24_e32 v32, v144, v94
	s_delay_alu instid0(VALU_DEP_1) | instskip(SKIP_2) | instid1(VALU_DEP_1)
	v_add3_u32 v19, v19, v32, v0
	v_mul_i32_i24_e32 v0, v106, v134
	v_mul_i32_i24_e32 v32, v144, v136
	v_add3_u32 v127, v127, v32, v0
	v_mul_i32_i24_e32 v0, v106, v138
	v_mul_i32_i24_e32 v32, v144, v140
	s_delay_alu instid0(VALU_DEP_1) | instskip(SKIP_3) | instid1(VALU_DEP_2)
	v_add3_u32 v132, v132, v32, v0
	v_mul_i32_i24_e32 v0, v79, v241
	v_mul_i32_i24_e32 v32, v142, v12
	v_ashrrev_i32_e32 v142, 24, v57
	v_add3_u32 v79, v109, v0, v32
	v_bfe_i32 v109, v57, 0, 8
	s_delay_alu instid0(VALU_DEP_3) | instskip(NEXT) | instid1(VALU_DEP_2)
	v_mul_i32_i24_e32 v32, v142, v94
	v_mul_i32_i24_e32 v0, v109, v90
	s_delay_alu instid0(VALU_DEP_1) | instskip(SKIP_2) | instid1(VALU_DEP_1)
	v_add3_u32 v75, v75, v32, v0
	v_mul_i32_i24_e32 v0, v109, v134
	v_mul_i32_i24_e32 v32, v142, v136
	v_add3_u32 v80, v80, v32, v0
	v_mul_i32_i24_e32 v0, v109, v138
	v_mul_i32_i24_e32 v32, v142, v140
	s_delay_alu instid0(VALU_DEP_1) | instskip(SKIP_2) | instid1(VALU_DEP_1)
	v_add3_u32 v1, v1, v32, v0
	v_mul_i32_i24_e32 v0, v172, v241
	v_mul_i32_i24_e32 v32, v78, v12
	v_add3_u32 v2, v2, v0, v32
	v_add_nc_u32_e32 v0, 0x1414, v165
	ds_load_2addr_b32 v[32:33], v0 offset1:1
	s_wait_dscnt 0x0
	v_bfe_i32 v78, v32, 0, 8
	v_ashrrev_i32_e32 v146, 24, v32
	s_delay_alu instid0(VALU_DEP_2) | instskip(NEXT) | instid1(VALU_DEP_2)
	v_mul_i32_i24_e32 v0, v78, v90
	v_mul_i32_i24_e32 v47, v146, v94
	s_delay_alu instid0(VALU_DEP_1) | instskip(SKIP_2) | instid1(VALU_DEP_1)
	v_add3_u32 v83, v83, v47, v0
	v_mul_i32_i24_e32 v0, v78, v134
	v_mul_i32_i24_e32 v47, v146, v136
	v_add3_u32 v4, v4, v47, v0
	v_mul_i32_i24_e32 v0, v78, v138
	v_mul_i32_i24_e32 v47, v146, v140
	;; [unrolled: 1-line block ×3, first 2 shown]
	s_delay_alu instid0(VALU_DEP_2) | instskip(SKIP_3) | instid1(VALU_DEP_2)
	v_add3_u32 v84, v84, v47, v0
	v_mul_i32_i24_e32 v0, v174, v241
	v_mul_i32_i24_e32 v47, v173, v12
	;; [unrolled: 1-line block ×3, first 2 shown]
	v_add3_u32 v5, v5, v0, v47
	v_mul_i32_i24_e32 v0, v148, v90
	v_mul_i32_i24_e32 v47, v164, v94
	s_delay_alu instid0(VALU_DEP_1) | instskip(SKIP_2) | instid1(VALU_DEP_1)
	v_add3_u32 v7, v7, v47, v0
	v_mul_i32_i24_e32 v0, v148, v134
	v_mul_i32_i24_e32 v47, v164, v136
	v_add3_u32 v86, v86, v47, v0
	v_mul_i32_i24_e32 v0, v148, v138
	v_mul_i32_i24_e32 v47, v164, v140
	s_delay_alu instid0(VALU_DEP_1) | instskip(SKIP_1) | instid1(VALU_DEP_1)
	v_add3_u32 v8, v8, v47, v0
	v_mul_i32_i24_e32 v0, v85, v241
	v_add3_u32 v9, v9, v0, v12
	v_add_nc_u32_e32 v0, 0x1c14, v165
	v_add_nc_u32_e32 v165, 32, v165
	ds_load_2addr_b32 v[47:48], v0 offset1:1
	s_wait_dscnt 0x0
	v_bfe_i32 v12, v47, 0, 8
	v_ashrrev_i32_e32 v81, 24, v47
	s_delay_alu instid0(VALU_DEP_2) | instskip(NEXT) | instid1(VALU_DEP_2)
	v_mul_i32_i24_e32 v0, v12, v90
	v_mul_i32_i24_e32 v53, v81, v94
	;; [unrolled: 1-line block ×3, first 2 shown]
	s_delay_alu instid0(VALU_DEP_2) | instskip(SKIP_2) | instid1(VALU_DEP_1)
	v_add3_u32 v85, v87, v53, v0
	v_mul_i32_i24_e32 v0, v12, v134
	v_mul_i32_i24_e32 v53, v81, v136
	v_add3_u32 v11, v11, v53, v0
	v_mul_i32_i24_e32 v0, v12, v138
	v_mul_i32_i24_e32 v53, v81, v140
	;; [unrolled: 1-line block ×4, first 2 shown]
	s_delay_alu instid0(VALU_DEP_3) | instskip(SKIP_3) | instid1(VALU_DEP_2)
	v_add3_u32 v87, v89, v53, v0
	v_bfe_i32 v0, v25, 8, 8
	v_and_b32_e32 v53, 0xffff, v23
	v_mul_i32_i24_e32 v25, v240, v95
	v_mul_i32_i24_e32 v23, v0, v53
	s_delay_alu instid0(VALU_DEP_1) | instskip(SKIP_1) | instid1(VALU_DEP_1)
	v_add3_u32 v22, v22, v23, v93
	v_mul_i32_i24_e32 v23, v239, v74
	v_add3_u32 v13, v13, v23, v25
	v_mul_i32_i24_e32 v23, v239, v102
	v_mul_i32_i24_e32 v25, v240, v98
	;; [unrolled: 1-line block ×3, first 2 shown]
	s_delay_alu instid0(VALU_DEP_2) | instskip(SKIP_2) | instid1(VALU_DEP_1)
	v_add3_u32 v14, v14, v23, v25
	v_mul_i32_i24_e32 v23, v239, v104
	v_mul_i32_i24_e32 v25, v240, v101
	v_add3_u32 v16, v16, v23, v25
	v_mul_i32_i24_e32 v23, v88, v238
	v_mul_i32_i24_e32 v25, v92, v236
	s_delay_alu instid0(VALU_DEP_1) | instskip(SKIP_4) | instid1(VALU_DEP_2)
	v_add3_u32 v15, v15, v23, v25
	v_bfe_u32 v25, v52, 20, 4
	v_bfe_u32 v23, v52, 12, 4
	v_bfe_i32 v52, v26, 8, 8
	v_bfe_i32 v26, v26, 16, 8
	v_mul_i32_i24_e32 v74, v52, v23
	s_delay_alu instid0(VALU_DEP_2) | instskip(NEXT) | instid1(VALU_DEP_1)
	v_mul_i32_i24_e32 v88, v26, v25
	v_add3_u32 v74, v103, v74, v88
	v_bfe_u32 v88, v50, 12, 4
	v_bfe_u32 v50, v50, 20, 4
	s_delay_alu instid0(VALU_DEP_2) | instskip(NEXT) | instid1(VALU_DEP_2)
	v_mul_i32_i24_e32 v89, v52, v88
	v_mul_i32_i24_e32 v92, v26, v50
	s_delay_alu instid0(VALU_DEP_1) | instskip(SKIP_3) | instid1(VALU_DEP_3)
	v_add3_u32 v89, v99, v89, v92
	v_bfe_u32 v92, v61, 12, 4
	v_bfe_u32 v61, v61, 20, 4
	v_bfe_i32 v99, v55, 16, 8
	v_mul_i32_i24_e32 v93, v52, v92
	s_delay_alu instid0(VALU_DEP_3) | instskip(NEXT) | instid1(VALU_DEP_3)
	v_mul_i32_i24_e32 v95, v26, v61
	v_mul_i32_i24_e32 v101, v99, v25
	;; [unrolled: 1-line block ×3, first 2 shown]
	s_delay_alu instid0(VALU_DEP_3) | instskip(SKIP_1) | instid1(VALU_DEP_1)
	v_add3_u32 v93, v110, v93, v95
	v_mul_i32_i24_e32 v95, v107, v238
	v_add3_u32 v95, v105, v95, v98
	v_bfe_i32 v98, v55, 8, 8
	s_delay_alu instid0(VALU_DEP_1) | instskip(NEXT) | instid1(VALU_DEP_1)
	v_mul_i32_i24_e32 v55, v98, v23
	v_add3_u32 v77, v77, v55, v101
	v_mul_i32_i24_e32 v55, v98, v88
	v_mul_i32_i24_e32 v101, v99, v50
	;; [unrolled: 1-line block ×3, first 2 shown]
	s_delay_alu instid0(VALU_DEP_2) | instskip(SKIP_2) | instid1(VALU_DEP_2)
	v_add3_u32 v101, v112, v55, v101
	v_mul_i32_i24_e32 v55, v98, v92
	v_mul_i32_i24_e32 v98, v98, v116
	v_add3_u32 v96, v96, v55, v102
	v_mul_i32_i24_e32 v55, v114, v238
	v_mul_i32_i24_e32 v102, v115, v236
	s_delay_alu instid0(VALU_DEP_1) | instskip(SKIP_2) | instid1(VALU_DEP_2)
	v_add3_u32 v18, v18, v55, v102
	v_bfe_i32 v102, v28, 8, 8
	v_bfe_i32 v28, v28, 16, 8
	v_mul_i32_i24_e32 v55, v102, v23
	s_delay_alu instid0(VALU_DEP_2) | instskip(SKIP_1) | instid1(VALU_DEP_2)
	v_mul_i32_i24_e32 v103, v28, v25
	v_mul_i32_i24_e32 v104, v28, v61
	v_add3_u32 v19, v19, v55, v103
	v_mul_i32_i24_e32 v55, v102, v88
	v_mul_i32_i24_e32 v103, v28, v50
	;; [unrolled: 1-line block ×3, first 2 shown]
	s_delay_alu instid0(VALU_DEP_2) | instskip(SKIP_1) | instid1(VALU_DEP_1)
	v_add3_u32 v103, v127, v55, v103
	v_mul_i32_i24_e32 v55, v102, v92
	v_add3_u32 v104, v132, v55, v104
	v_mul_i32_i24_e32 v55, v118, v238
	s_delay_alu instid0(VALU_DEP_1) | instskip(SKIP_2) | instid1(VALU_DEP_2)
	v_add3_u32 v68, v79, v55, v68
	v_bfe_i32 v79, v57, 8, 8
	v_bfe_i32 v57, v57, 16, 8
	v_mul_i32_i24_e32 v55, v79, v23
	s_delay_alu instid0(VALU_DEP_2) | instskip(NEXT) | instid1(VALU_DEP_1)
	v_mul_i32_i24_e32 v105, v57, v25
	v_add3_u32 v75, v75, v55, v105
	v_mul_i32_i24_e32 v55, v79, v88
	v_mul_i32_i24_e32 v105, v57, v50
	s_delay_alu instid0(VALU_DEP_1) | instskip(SKIP_4) | instid1(VALU_DEP_3)
	v_add3_u32 v80, v80, v55, v105
	v_mul_i32_i24_e32 v55, v79, v92
	v_mul_i32_i24_e32 v105, v57, v61
	;; [unrolled: 1-line block ×4, first 2 shown]
	v_add3_u32 v1, v1, v55, v105
	v_mul_i32_i24_e32 v55, v82, v236
	s_delay_alu instid0(VALU_DEP_1) | instskip(SKIP_2) | instid1(VALU_DEP_2)
	v_add3_u32 v2, v2, v3, v55
	v_bfe_i32 v3, v32, 8, 8
	v_bfe_i32 v32, v32, 16, 8
	v_mul_i32_i24_e32 v55, v3, v23
	s_delay_alu instid0(VALU_DEP_2) | instskip(NEXT) | instid1(VALU_DEP_1)
	v_mul_i32_i24_e32 v82, v32, v25
	v_add3_u32 v82, v83, v55, v82
	v_mul_i32_i24_e32 v55, v3, v88
	v_mul_i32_i24_e32 v83, v32, v50
	s_delay_alu instid0(VALU_DEP_1) | instskip(SKIP_4) | instid1(VALU_DEP_3)
	v_add3_u32 v4, v4, v55, v83
	v_mul_i32_i24_e32 v55, v3, v92
	v_mul_i32_i24_e32 v83, v32, v61
	;; [unrolled: 1-line block ×4, first 2 shown]
	v_add3_u32 v83, v84, v55, v83
	v_mul_i32_i24_e32 v55, v72, v236
	s_delay_alu instid0(VALU_DEP_1) | instskip(SKIP_2) | instid1(VALU_DEP_2)
	v_add3_u32 v5, v5, v6, v55
	v_bfe_i32 v6, v59, 8, 8
	v_bfe_i32 v59, v59, 16, 8
	v_mul_i32_i24_e32 v55, v6, v23
	s_delay_alu instid0(VALU_DEP_2) | instskip(SKIP_1) | instid1(VALU_DEP_2)
	v_mul_i32_i24_e32 v72, v59, v25
	v_mul_i32_i24_e32 v84, v59, v61
	v_add3_u32 v7, v7, v55, v72
	v_mul_i32_i24_e32 v55, v6, v88
	v_mul_i32_i24_e32 v72, v59, v50
	;; [unrolled: 1-line block ×3, first 2 shown]
	s_delay_alu instid0(VALU_DEP_2) | instskip(SKIP_3) | instid1(VALU_DEP_3)
	v_add3_u32 v72, v86, v55, v72
	v_mul_i32_i24_e32 v55, v6, v92
	v_bfe_i32 v86, v54, 8, 8
	v_mul_i32_i24_e32 v6, v6, v116
	v_add3_u32 v8, v8, v55, v84
	v_mul_i32_i24_e32 v55, v70, v236
	s_delay_alu instid0(VALU_DEP_1) | instskip(SKIP_2) | instid1(VALU_DEP_3)
	v_add3_u32 v9, v9, v10, v55
	v_bfe_i32 v10, v47, 8, 8
	v_bfe_i32 v47, v47, 16, 8
	v_add3_u32 v9, v9, v81, v12
	s_delay_alu instid0(VALU_DEP_3) | instskip(NEXT) | instid1(VALU_DEP_3)
	v_mul_i32_i24_e32 v55, v10, v23
	v_mul_i32_i24_e32 v70, v47, v25
	;; [unrolled: 1-line block ×4, first 2 shown]
	v_bfe_i32 v12, v71, 8, 8
	v_ashrrev_i32_e32 v81, 24, v71
	v_add3_u32 v70, v85, v55, v70
	v_mul_i32_i24_e32 v55, v10, v88
	v_bfe_u32 v85, v20, 24, 4
	s_delay_alu instid0(VALU_DEP_2) | instskip(SKIP_4) | instid1(VALU_DEP_3)
	v_add3_u32 v11, v11, v55, v84
	v_mul_i32_i24_e32 v55, v10, v92
	v_mul_i32_i24_e32 v84, v47, v61
	;; [unrolled: 1-line block ×4, first 2 shown]
	v_add3_u32 v84, v87, v55, v84
	v_add3_u32 v55, v111, v17, v22
	v_mul_i32_i24_e32 v17, v237, v90
	v_mul_i32_i24_e32 v22, v91, v23
	v_ashrrev_i32_e32 v87, 24, v54
	v_add3_u32 v9, v9, v10, v47
	v_bfe_i32 v10, v71, 0, 8
	v_bfe_i32 v47, v71, 16, 8
	v_add3_u32 v13, v13, v17, v22
	v_mul_i32_i24_e32 v17, v237, v134
	v_mul_i32_i24_e32 v22, v91, v88
	;; [unrolled: 1-line block ×3, first 2 shown]
	s_delay_alu instid0(VALU_DEP_4) | instskip(SKIP_1) | instid1(VALU_DEP_4)
	v_add3_u32 v13, v13, v25, v94
	v_mul_i32_i24_e32 v25, v230, v50
	v_add3_u32 v14, v14, v17, v22
	v_mul_i32_i24_e32 v17, v237, v138
	v_mul_i32_i24_e32 v22, v91, v92
	;; [unrolled: 1-line block ×3, first 2 shown]
	s_delay_alu instid0(VALU_DEP_2) | instskip(SKIP_2) | instid1(VALU_DEP_4)
	v_add3_u32 v16, v16, v17, v22
	v_mul_i32_i24_e32 v17, v97, v233
	v_mul_i32_i24_e32 v22, v100, v232
	v_add3_u32 v14, v14, v25, v50
	v_mul_i32_i24_e32 v25, v230, v61
	v_mul_i32_i24_e32 v50, v231, v140
	s_delay_alu instid0(VALU_DEP_4) | instskip(SKIP_1) | instid1(VALU_DEP_3)
	v_add3_u32 v15, v15, v22, v17
	v_bfe_u32 v17, v20, 8, 4
	v_add3_u32 v16, v16, v25, v50
	v_mul_i32_i24_e32 v25, v26, v226
	v_mul_i32_i24_e32 v26, v52, v116
	s_delay_alu instid0(VALU_DEP_4) | instskip(SKIP_2) | instid1(VALU_DEP_4)
	v_mul_i32_i24_e32 v22, v86, v17
	v_and_b32_e32 v50, 15, v20
	v_bfe_u32 v52, v20, 16, 4
	v_add3_u32 v15, v15, v26, v25
	s_delay_alu instid0(VALU_DEP_4)
	v_add3_u32 v74, v74, v23, v22
	v_add_nc_u32_e32 v22, 0x2108, v171
	v_bfe_i32 v25, v54, 0, 8
	v_bfe_i32 v26, v54, 16, 8
	v_mul_i32_i24_e32 v71, v10, v50
	v_add_nc_u32_e32 v171, 16, v171
	ds_load_2addr_b32 v[22:23], v22 offset1:1
	v_mul_i32_i24_e32 v54, v25, v50
	v_mul_i32_i24_e32 v61, v26, v52
	s_delay_alu instid0(VALU_DEP_1)
	v_add3_u32 v54, v74, v54, v61
	s_wait_dscnt 0x0
	v_bfe_u32 v88, v22, 8, 4
	v_bfe_u32 v90, v22, 24, 4
	v_and_b32_e32 v61, 15, v22
	v_bfe_u32 v74, v22, 16, 4
	s_delay_alu instid0(VALU_DEP_4) | instskip(NEXT) | instid1(VALU_DEP_4)
	v_mul_i32_i24_e32 v91, v86, v88
	v_mul_i32_i24_e32 v92, v87, v90
	s_delay_alu instid0(VALU_DEP_4) | instskip(NEXT) | instid1(VALU_DEP_2)
	v_mul_i32_i24_e32 v94, v25, v61
	v_add3_u32 v89, v89, v92, v91
	v_bfe_u32 v91, v30, 8, 4
	v_bfe_u32 v92, v30, 24, 4
	s_delay_alu instid0(VALU_DEP_2) | instskip(NEXT) | instid1(VALU_DEP_2)
	v_mul_i32_i24_e32 v97, v86, v91
	v_mul_i32_i24_e32 v100, v87, v92
	s_delay_alu instid0(VALU_DEP_1) | instskip(SKIP_2) | instid1(VALU_DEP_1)
	v_add3_u32 v93, v93, v100, v97
	v_mul_i32_i24_e32 v97, v128, v233
	v_mul_i32_i24_e32 v100, v130, v232
	v_add3_u32 v95, v95, v100, v97
	v_bfe_i32 v97, v65, 8, 8
	v_ashrrev_i32_e32 v100, 24, v65
	s_delay_alu instid0(VALU_DEP_3) | instskip(NEXT) | instid1(VALU_DEP_3)
	v_add3_u32 v95, v95, v98, v99
	v_mul_i32_i24_e32 v105, v97, v17
	s_delay_alu instid0(VALU_DEP_3) | instskip(SKIP_2) | instid1(VALU_DEP_3)
	v_mul_i32_i24_e32 v107, v100, v85
	v_bfe_i32 v98, v65, 0, 8
	v_bfe_i32 v65, v65, 16, 8
	v_add3_u32 v77, v77, v107, v105
	v_mul_i32_i24_e32 v105, v97, v88
	v_mul_i32_i24_e32 v107, v100, v90
	;; [unrolled: 1-line block ×3, first 2 shown]
	s_delay_alu instid0(VALU_DEP_2) | instskip(SKIP_2) | instid1(VALU_DEP_1)
	v_add3_u32 v101, v101, v107, v105
	v_mul_i32_i24_e32 v105, v97, v91
	v_mul_i32_i24_e32 v107, v100, v92
	v_add3_u32 v96, v96, v107, v105
	v_mul_i32_i24_e32 v105, v106, v233
	v_mul_i32_i24_e32 v106, v144, v232
	s_delay_alu instid0(VALU_DEP_1) | instskip(SKIP_2) | instid1(VALU_DEP_2)
	v_add3_u32 v18, v18, v106, v105
	v_bfe_i32 v105, v63, 8, 8
	v_ashrrev_i32_e32 v106, 24, v63
	v_mul_i32_i24_e32 v107, v105, v17
	s_delay_alu instid0(VALU_DEP_2) | instskip(NEXT) | instid1(VALU_DEP_1)
	v_mul_i32_i24_e32 v108, v106, v85
	v_add3_u32 v19, v19, v108, v107
	v_mul_i32_i24_e32 v107, v105, v88
	v_mul_i32_i24_e32 v108, v106, v90
	s_delay_alu instid0(VALU_DEP_1) | instskip(SKIP_2) | instid1(VALU_DEP_1)
	v_add3_u32 v103, v103, v108, v107
	v_mul_i32_i24_e32 v107, v105, v91
	v_mul_i32_i24_e32 v108, v106, v92
	v_add3_u32 v104, v104, v108, v107
	v_mul_i32_i24_e32 v107, v109, v233
	v_mul_i32_i24_e32 v108, v142, v232
	s_delay_alu instid0(VALU_DEP_1) | instskip(SKIP_2) | instid1(VALU_DEP_3)
	v_add3_u32 v68, v68, v108, v107
	v_bfe_i32 v107, v69, 8, 8
	v_ashrrev_i32_e32 v108, 24, v69
	v_add3_u32 v57, v68, v79, v57
	s_delay_alu instid0(VALU_DEP_3) | instskip(NEXT) | instid1(VALU_DEP_3)
	v_mul_i32_i24_e32 v109, v107, v17
	v_mul_i32_i24_e32 v110, v108, v85
	v_bfe_i32 v68, v69, 0, 8
	v_bfe_i32 v69, v69, 16, 8
	s_delay_alu instid0(VALU_DEP_3) | instskip(SKIP_3) | instid1(VALU_DEP_2)
	v_add3_u32 v75, v75, v110, v109
	v_mul_i32_i24_e32 v109, v107, v88
	v_mul_i32_i24_e32 v110, v108, v90
	;; [unrolled: 1-line block ×3, first 2 shown]
	v_add3_u32 v80, v80, v110, v109
	v_mul_i32_i24_e32 v109, v107, v91
	v_mul_i32_i24_e32 v110, v108, v92
	s_delay_alu instid0(VALU_DEP_1) | instskip(SKIP_1) | instid1(VALU_DEP_1)
	v_add3_u32 v1, v1, v110, v109
	v_mul_i32_i24_e32 v109, v146, v232
	v_add3_u32 v2, v2, v109, v78
	v_bfe_i32 v78, v67, 8, 8
	v_ashrrev_i32_e32 v109, 24, v67
	s_delay_alu instid0(VALU_DEP_3) | instskip(NEXT) | instid1(VALU_DEP_3)
	v_add3_u32 v2, v2, v3, v32
	v_mul_i32_i24_e32 v110, v78, v17
	s_delay_alu instid0(VALU_DEP_3) | instskip(SKIP_2) | instid1(VALU_DEP_3)
	v_mul_i32_i24_e32 v111, v109, v85
	v_bfe_i32 v3, v67, 0, 8
	v_bfe_i32 v32, v67, 16, 8
	v_add3_u32 v82, v82, v111, v110
	v_mul_i32_i24_e32 v110, v78, v88
	v_mul_i32_i24_e32 v111, v109, v90
	;; [unrolled: 1-line block ×3, first 2 shown]
	s_delay_alu instid0(VALU_DEP_2) | instskip(SKIP_3) | instid1(VALU_DEP_2)
	v_add3_u32 v4, v4, v111, v110
	v_mul_i32_i24_e32 v110, v78, v91
	v_mul_i32_i24_e32 v111, v109, v92
	;; [unrolled: 1-line block ×3, first 2 shown]
	v_add3_u32 v83, v83, v111, v110
	v_mul_i32_i24_e32 v110, v148, v233
	v_mul_i32_i24_e32 v111, v164, v232
	s_delay_alu instid0(VALU_DEP_1) | instskip(SKIP_2) | instid1(VALU_DEP_3)
	v_add3_u32 v5, v5, v111, v110
	v_bfe_i32 v110, v73, 8, 8
	v_ashrrev_i32_e32 v111, 24, v73
	v_add3_u32 v5, v5, v6, v59
	s_delay_alu instid0(VALU_DEP_3) | instskip(NEXT) | instid1(VALU_DEP_3)
	v_mul_i32_i24_e32 v112, v110, v17
	v_mul_i32_i24_e32 v114, v111, v85
	v_bfe_i32 v6, v73, 0, 8
	v_bfe_i32 v59, v73, 16, 8
	s_delay_alu instid0(VALU_DEP_3) | instskip(SKIP_3) | instid1(VALU_DEP_2)
	v_add3_u32 v7, v7, v114, v112
	v_mul_i32_i24_e32 v112, v110, v88
	v_mul_i32_i24_e32 v114, v111, v90
	;; [unrolled: 1-line block ×3, first 2 shown]
	v_add3_u32 v72, v72, v114, v112
	v_mul_i32_i24_e32 v112, v110, v91
	v_mul_i32_i24_e32 v114, v111, v92
	s_delay_alu instid0(VALU_DEP_1) | instskip(SKIP_4) | instid1(VALU_DEP_3)
	v_add3_u32 v8, v8, v114, v112
	v_mul_i32_i24_e32 v112, v12, v17
	v_mul_i32_i24_e32 v114, v81, v85
	;; [unrolled: 1-line block ×4, first 2 shown]
	v_add3_u32 v70, v70, v114, v112
	v_mul_i32_i24_e32 v112, v12, v88
	v_mul_i32_i24_e32 v114, v81, v90
	s_delay_alu instid0(VALU_DEP_1) | instskip(SKIP_4) | instid1(VALU_DEP_3)
	v_add3_u32 v11, v11, v114, v112
	v_mul_i32_i24_e32 v112, v12, v91
	v_mul_i32_i24_e32 v114, v81, v92
	;; [unrolled: 1-line block ×4, first 2 shown]
	v_add3_u32 v84, v84, v114, v112
	v_mul_i32_i24_e32 v112, v26, v74
	s_delay_alu instid0(VALU_DEP_3) | instskip(SKIP_2) | instid1(VALU_DEP_4)
	v_add3_u32 v9, v9, v81, v12
	v_bfe_i32 v12, v48, 0, 8
	v_ashrrev_i32_e32 v81, 24, v48
	v_add3_u32 v89, v89, v94, v112
	v_and_b32_e32 v94, 15, v30
	v_bfe_u32 v112, v30, 16, 4
	s_delay_alu instid0(VALU_DEP_2) | instskip(NEXT) | instid1(VALU_DEP_2)
	v_mul_i32_i24_e32 v114, v25, v94
	v_mul_i32_i24_e32 v115, v26, v112
	;; [unrolled: 1-line block ×4, first 2 shown]
	s_delay_alu instid0(VALU_DEP_3) | instskip(SKIP_1) | instid1(VALU_DEP_1)
	v_add3_u32 v93, v93, v114, v115
	v_mul_i32_i24_e32 v114, v65, v52
	v_add3_u32 v77, v77, v99, v114
	v_mul_i32_i24_e32 v99, v98, v61
	v_mul_i32_i24_e32 v114, v65, v74
	s_delay_alu instid0(VALU_DEP_1) | instskip(SKIP_3) | instid1(VALU_DEP_2)
	v_add3_u32 v99, v101, v99, v114
	v_mul_i32_i24_e32 v101, v98, v94
	v_mul_i32_i24_e32 v114, v65, v112
	;; [unrolled: 1-line block ×3, first 2 shown]
	v_add3_u32 v96, v96, v101, v114
	v_mul_i32_i24_e32 v101, v102, v116
	s_delay_alu instid0(VALU_DEP_1) | instskip(SKIP_2) | instid1(VALU_DEP_2)
	v_add3_u32 v18, v18, v101, v28
	v_bfe_i32 v28, v63, 0, 8
	v_bfe_i32 v63, v63, 16, 8
	v_mul_i32_i24_e32 v101, v28, v50
	s_delay_alu instid0(VALU_DEP_2) | instskip(SKIP_1) | instid1(VALU_DEP_2)
	v_mul_i32_i24_e32 v102, v63, v52
	v_mul_i32_i24_e32 v50, v227, v50
	v_add3_u32 v19, v19, v101, v102
	v_mul_i32_i24_e32 v101, v28, v61
	v_mul_i32_i24_e32 v102, v63, v74
	s_delay_alu instid0(VALU_DEP_4) | instskip(SKIP_2) | instid1(VALU_DEP_4)
	v_add3_u32 v13, v13, v17, v50
	v_mul_i32_i24_e32 v17, v227, v61
	v_mul_i32_i24_e32 v50, v76, v88
	v_add3_u32 v101, v103, v101, v102
	v_mul_i32_i24_e32 v102, v28, v94
	v_mul_i32_i24_e32 v103, v63, v112
	s_delay_alu instid0(VALU_DEP_4)
	v_add3_u32 v14, v14, v50, v17
	v_mul_i32_i24_e32 v17, v227, v94
	v_mul_i32_i24_e32 v50, v76, v91
	v_ashrrev_i32_e32 v91, 24, v56
	v_add3_u32 v102, v104, v102, v103
	v_mul_i32_i24_e32 v103, v69, v52
	v_mul_i32_i24_e32 v28, v28, v218
	v_add3_u32 v16, v16, v50, v17
	v_mul_i32_i24_e32 v17, v87, v221
	v_mul_i32_i24_e32 v50, v86, v250
	;; [unrolled: 3-line block ×3, first 2 shown]
	v_lshrrev_b32_e32 v86, 28, v30
	v_add3_u32 v15, v15, v17, v50
	v_bfe_u32 v17, v20, 4, 4
	v_bfe_i32 v50, v27, 0, 8
	v_add3_u32 v79, v80, v79, v103
	v_mul_i32_i24_e32 v80, v68, v94
	v_mul_i32_i24_e32 v103, v69, v112
	v_add3_u32 v15, v15, v25, v26
	v_mul_i32_i24_e32 v76, v50, v17
	v_bfe_u32 v25, v20, 12, 4
	v_mul_i32_i24_e32 v63, v63, v217
	v_add3_u32 v1, v1, v80, v103
	v_mul_i32_i24_e32 v80, v32, v52
	s_delay_alu instid0(VALU_DEP_1) | instskip(SKIP_2) | instid1(VALU_DEP_1)
	v_add3_u32 v67, v82, v67, v80
	v_mul_i32_i24_e32 v80, v3, v61
	v_mul_i32_i24_e32 v82, v32, v74
	v_add3_u32 v4, v4, v80, v82
	v_mul_i32_i24_e32 v80, v3, v94
	v_mul_i32_i24_e32 v82, v32, v112
	;; [unrolled: 1-line block ×3, first 2 shown]
	s_delay_alu instid0(VALU_DEP_2) | instskip(SKIP_1) | instid1(VALU_DEP_1)
	v_add3_u32 v80, v83, v80, v82
	v_mul_i32_i24_e32 v82, v59, v52
	v_add3_u32 v7, v7, v73, v82
	v_mul_i32_i24_e32 v73, v6, v61
	v_mul_i32_i24_e32 v82, v59, v74
	s_delay_alu instid0(VALU_DEP_1) | instskip(SKIP_3) | instid1(VALU_DEP_2)
	v_add3_u32 v72, v72, v73, v82
	v_mul_i32_i24_e32 v73, v6, v94
	v_mul_i32_i24_e32 v82, v59, v112
	;; [unrolled: 1-line block ×3, first 2 shown]
	v_add3_u32 v8, v8, v73, v82
	v_mul_i32_i24_e32 v73, v47, v52
	v_mul_i32_i24_e32 v52, v220, v52
	s_delay_alu instid0(VALU_DEP_2)
	v_add3_u32 v70, v70, v71, v73
	v_mul_i32_i24_e32 v71, v10, v61
	v_mul_i32_i24_e32 v73, v47, v74
	v_lshrrev_b32_e32 v61, 28, v20
	v_add3_u32 v13, v13, v52, v85
	v_mul_i32_i24_e32 v52, v220, v74
	v_mul_i32_i24_e32 v74, v219, v90
	v_add3_u32 v11, v11, v71, v73
	v_mul_i32_i24_e32 v71, v10, v94
	v_mul_i32_i24_e32 v73, v47, v112
	v_bfe_i32 v85, v27, 16, 8
	v_add3_u32 v14, v14, v52, v74
	v_mul_i32_i24_e32 v52, v220, v112
	v_mul_i32_i24_e32 v74, v219, v92
	v_add3_u32 v71, v84, v71, v73
	v_ashrrev_i32_e32 v73, 24, v27
	v_bfe_u32 v20, v20, 20, 4
	v_mul_i32_i24_e32 v94, v91, v61
	v_add3_u32 v16, v16, v52, v74
	v_bfe_i32 v74, v27, 8, 8
	v_mul_i32_i24_e32 v82, v73, v61
	v_mul_i32_i24_e32 v27, v85, v20
	;; [unrolled: 1-line block ×5, first 2 shown]
	v_add3_u32 v54, v54, v82, v76
	v_bfe_u32 v76, v22, 4, 4
	v_lshrrev_b32_e32 v82, 28, v22
	s_delay_alu instid0(VALU_DEP_3) | instskip(NEXT) | instid1(VALU_DEP_3)
	v_add3_u32 v26, v54, v26, v27
	v_mul_i32_i24_e32 v83, v50, v76
	s_delay_alu instid0(VALU_DEP_3) | instskip(SKIP_2) | instid1(VALU_DEP_3)
	v_mul_i32_i24_e32 v84, v73, v82
	v_bfe_u32 v27, v22, 12, 4
	v_bfe_u32 v22, v22, 20, 4
	v_add3_u32 v83, v89, v84, v83
	v_bfe_u32 v84, v30, 4, 4
	v_mul_i32_i24_e32 v89, v97, v250
	v_mul_i32_i24_e32 v52, v74, v27
	;; [unrolled: 1-line block ×3, first 2 shown]
	s_delay_alu instid0(VALU_DEP_4) | instskip(NEXT) | instid1(VALU_DEP_2)
	v_mul_i32_i24_e32 v87, v50, v84
	v_add3_u32 v52, v83, v52, v54
	v_bfe_u32 v54, v30, 12, 4
	s_delay_alu instid0(VALU_DEP_3) | instskip(SKIP_2) | instid1(VALU_DEP_4)
	v_add3_u32 v87, v93, v88, v87
	v_mul_i32_i24_e32 v88, v100, v221
	v_bfe_u32 v30, v30, 20, 4
	v_mul_i32_i24_e32 v83, v74, v54
	s_delay_alu instid0(VALU_DEP_3) | instskip(SKIP_1) | instid1(VALU_DEP_4)
	v_add3_u32 v88, v95, v88, v89
	v_bfe_i32 v89, v56, 0, 8
	v_mul_i32_i24_e32 v90, v85, v30
	v_mul_i32_i24_e32 v95, v91, v86
	s_delay_alu instid0(VALU_DEP_3) | instskip(NEXT) | instid1(VALU_DEP_3)
	v_mul_i32_i24_e32 v93, v89, v17
	v_add3_u32 v83, v87, v83, v90
	v_mul_i32_i24_e32 v87, v98, v218
	v_bfe_u32 v98, v23, 24, 4
	s_delay_alu instid0(VALU_DEP_4)
	v_add3_u32 v77, v77, v94, v93
	v_mul_i32_i24_e32 v93, v89, v76
	v_mul_i32_i24_e32 v94, v91, v82
	v_add3_u32 v65, v88, v87, v65
	v_bfe_i32 v87, v56, 8, 8
	v_bfe_i32 v56, v56, 16, 8
	s_delay_alu instid0(VALU_DEP_4) | instskip(SKIP_1) | instid1(VALU_DEP_4)
	v_add3_u32 v93, v99, v94, v93
	v_mul_i32_i24_e32 v94, v89, v84
	v_mul_i32_i24_e32 v88, v87, v25
	s_delay_alu instid0(VALU_DEP_4) | instskip(SKIP_1) | instid1(VALU_DEP_4)
	v_mul_i32_i24_e32 v90, v56, v20
	v_mul_i32_i24_e32 v92, v56, v30
	v_add3_u32 v94, v96, v95, v94
	v_mul_i32_i24_e32 v95, v106, v221
	v_mul_i32_i24_e32 v96, v105, v250
	v_add3_u32 v77, v77, v88, v90
	v_mul_i32_i24_e32 v88, v87, v27
	v_mul_i32_i24_e32 v90, v56, v22
	;; [unrolled: 1-line block ×3, first 2 shown]
	v_add3_u32 v18, v18, v95, v96
	v_bfe_i32 v95, v29, 0, 8
	v_ashrrev_i32_e32 v96, 24, v29
	v_add3_u32 v88, v93, v88, v90
	v_mul_i32_i24_e32 v90, v87, v54
	v_add3_u32 v18, v18, v28, v63
	v_mul_i32_i24_e32 v97, v95, v17
	v_mul_i32_i24_e32 v99, v96, v61
	v_bfe_i32 v63, v29, 8, 8
	v_add3_u32 v90, v94, v90, v92
	v_bfe_i32 v92, v29, 16, 8
	v_mul_i32_i24_e32 v100, v96, v86
	v_add3_u32 v19, v19, v99, v97
	v_mul_i32_i24_e32 v97, v95, v76
	v_mul_i32_i24_e32 v99, v96, v82
	;; [unrolled: 1-line block ×5, first 2 shown]
	s_delay_alu instid0(VALU_DEP_4)
	v_add3_u32 v97, v101, v99, v97
	v_mul_i32_i24_e32 v99, v95, v84
	v_mul_i32_i24_e32 v101, v107, v250
	v_add3_u32 v19, v19, v28, v29
	v_mul_i32_i24_e32 v28, v63, v27
	v_mul_i32_i24_e32 v29, v92, v22
	v_add3_u32 v99, v102, v100, v99
	v_mul_i32_i24_e32 v100, v108, v221
	s_delay_alu instid0(VALU_DEP_3) | instskip(SKIP_1) | instid1(VALU_DEP_3)
	v_add3_u32 v93, v97, v28, v29
	v_mul_i32_i24_e32 v28, v63, v54
	v_add3_u32 v57, v57, v100, v101
	v_bfe_i32 v100, v58, 0, 8
	v_ashrrev_i32_e32 v101, 24, v58
	v_mul_i32_i24_e32 v29, v92, v30
	v_bfe_u32 v97, v23, 8, 4
	v_mul_i32_i24_e32 v63, v63, v66
	v_mul_i32_i24_e32 v102, v100, v17
	;; [unrolled: 1-line block ×3, first 2 shown]
	v_add3_u32 v94, v99, v28, v29
	v_mul_i32_i24_e32 v28, v68, v218
	v_mul_i32_i24_e32 v29, v69, v217
	v_bfe_i32 v68, v58, 8, 8
	v_bfe_i32 v58, v58, 16, 8
	v_add3_u32 v75, v75, v103, v102
	v_mul_i32_i24_e32 v102, v100, v76
	v_mul_i32_i24_e32 v103, v101, v82
	v_add3_u32 v57, v57, v28, v29
	v_mul_i32_i24_e32 v28, v68, v25
	v_mul_i32_i24_e32 v29, v58, v20
	s_delay_alu instid0(VALU_DEP_4) | instskip(SKIP_2) | instid1(VALU_DEP_4)
	v_add3_u32 v79, v79, v103, v102
	v_mul_i32_i24_e32 v102, v100, v84
	v_mul_i32_i24_e32 v103, v101, v86
	v_add3_u32 v69, v75, v28, v29
	v_mul_i32_i24_e32 v28, v68, v27
	v_mul_i32_i24_e32 v29, v58, v22
	s_delay_alu instid0(VALU_DEP_4) | instskip(SKIP_1) | instid1(VALU_DEP_3)
	v_add3_u32 v1, v1, v103, v102
	v_mul_i32_i24_e32 v102, v109, v221
	v_add3_u32 v75, v79, v28, v29
	v_mul_i32_i24_e32 v28, v68, v54
	v_mul_i32_i24_e32 v29, v58, v30
	s_delay_alu instid0(VALU_DEP_4)
	v_add3_u32 v2, v2, v102, v78
	v_bfe_i32 v78, v33, 0, 8
	v_ashrrev_i32_e32 v102, 24, v33
	v_bfe_i32 v79, v33, 16, 8
	v_add3_u32 v1, v1, v28, v29
	v_mul_i32_i24_e32 v28, v32, v217
	v_mul_i32_i24_e32 v103, v78, v17
	;; [unrolled: 1-line block ×5, first 2 shown]
	v_add3_u32 v2, v2, v3, v28
	v_bfe_i32 v3, v33, 8, 8
	v_add3_u32 v67, v67, v104, v103
	v_mul_i32_i24_e32 v103, v78, v76
	v_mul_i32_i24_e32 v104, v102, v82
	;; [unrolled: 1-line block ×4, first 2 shown]
	s_delay_alu instid0(VALU_DEP_3) | instskip(SKIP_2) | instid1(VALU_DEP_4)
	v_add3_u32 v4, v4, v104, v103
	v_mul_i32_i24_e32 v103, v78, v84
	v_mul_i32_i24_e32 v104, v102, v86
	v_add3_u32 v67, v67, v28, v29
	v_mul_i32_i24_e32 v28, v3, v27
	v_mul_i32_i24_e32 v29, v79, v22
	s_delay_alu instid0(VALU_DEP_4) | instskip(SKIP_2) | instid1(VALU_DEP_4)
	v_add3_u32 v80, v80, v104, v103
	v_mul_i32_i24_e32 v103, v111, v221
	v_mul_i32_i24_e32 v104, v110, v250
	v_add3_u32 v4, v4, v28, v29
	v_mul_i32_i24_e32 v28, v3, v54
	v_mul_i32_i24_e32 v29, v79, v30
	;; [unrolled: 1-line block ×3, first 2 shown]
	v_add3_u32 v5, v5, v103, v104
	v_bfe_i32 v103, v60, 0, 8
	v_ashrrev_i32_e32 v104, 24, v60
	v_add3_u32 v80, v80, v28, v29
	v_mul_i32_i24_e32 v28, v59, v217
	v_bfe_i32 v59, v60, 16, 8
	v_mul_i32_i24_e32 v105, v103, v17
	v_mul_i32_i24_e32 v106, v104, v61
	s_delay_alu instid0(VALU_DEP_4) | instskip(SKIP_2) | instid1(VALU_DEP_4)
	v_add3_u32 v5, v5, v6, v28
	v_bfe_i32 v6, v60, 8, 8
	v_mul_i32_i24_e32 v29, v59, v20
	v_add3_u32 v7, v7, v106, v105
	v_mul_i32_i24_e32 v105, v103, v76
	v_mul_i32_i24_e32 v106, v104, v82
	v_mul_i32_i24_e32 v28, v6, v25
	s_delay_alu instid0(VALU_DEP_2) | instskip(SKIP_2) | instid1(VALU_DEP_4)
	v_add3_u32 v72, v72, v106, v105
	v_mul_i32_i24_e32 v105, v103, v84
	v_mul_i32_i24_e32 v106, v104, v86
	v_add3_u32 v7, v7, v28, v29
	v_mul_i32_i24_e32 v28, v6, v27
	v_mul_i32_i24_e32 v29, v59, v22
	s_delay_alu instid0(VALU_DEP_4) | instskip(SKIP_2) | instid1(VALU_DEP_4)
	v_add3_u32 v8, v8, v106, v105
	v_mul_i32_i24_e32 v105, v12, v17
	v_mul_i32_i24_e32 v17, v216, v17
	v_add3_u32 v60, v72, v28, v29
	v_mul_i32_i24_e32 v28, v6, v54
	v_mul_i32_i24_e32 v29, v59, v30
	;; [unrolled: 1-line block ×3, first 2 shown]
	v_bfe_i32 v72, v48, 16, 8
	v_mul_i32_i24_e32 v61, v208, v61
	v_mul_i32_i24_e32 v59, v59, v207
	v_add3_u32 v8, v8, v28, v29
	v_mul_i32_i24_e32 v28, v47, v217
	v_add3_u32 v70, v70, v106, v105
	v_mul_i32_i24_e32 v105, v12, v76
	v_mul_i32_i24_e32 v106, v81, v82
	;; [unrolled: 1-line block ×3, first 2 shown]
	v_add3_u32 v9, v9, v10, v28
	v_bfe_i32 v10, v48, 8, 8
	v_mul_i32_i24_e32 v20, v209, v20
	v_add3_u32 v11, v11, v106, v105
	v_mul_i32_i24_e32 v105, v12, v84
	v_mul_i32_i24_e32 v106, v81, v86
	;; [unrolled: 1-line block ×6, first 2 shown]
	v_add3_u32 v71, v71, v106, v105
	v_add3_u32 v70, v70, v28, v29
	;; [unrolled: 1-line block ×3, first 2 shown]
	v_mul_i32_i24_e32 v17, v216, v76
	v_mul_i32_i24_e32 v25, v24, v27
	;; [unrolled: 1-line block ×5, first 2 shown]
	v_bfe_u32 v105, v31, 8, 4
	v_add3_u32 v14, v14, v17, v25
	v_mul_i32_i24_e32 v17, v216, v84
	v_bfe_u32 v106, v31, 24, 4
	v_add3_u32 v11, v11, v28, v29
	v_mul_i32_i24_e32 v28, v10, v54
	v_mul_i32_i24_e32 v29, v72, v30
	v_add3_u32 v16, v16, v17, v24
	v_mul_i32_i24_e32 v17, v50, v211
	v_mul_i32_i24_e32 v24, v73, v210
	v_bfe_u32 v54, v21, 24, 4
	v_add3_u32 v71, v71, v28, v29
	v_add3_u32 v13, v13, v20, v61
	v_mul_i32_i24_e32 v20, v209, v22
	v_add3_u32 v15, v15, v24, v17
	ds_load_2addr_b32 v[24:25], v121 offset1:3
	v_bfe_u32 v17, v21, 8, 4
	v_mul_i32_i24_e32 v22, v208, v82
	v_bfe_u32 v82, v23, 16, 4
	v_mul_i32_i24_e32 v10, v10, v66
	s_delay_alu instid0(VALU_DEP_3) | instskip(SKIP_3) | instid1(VALU_DEP_2)
	v_add3_u32 v14, v14, v20, v22
	v_mul_i32_i24_e32 v20, v209, v30
	v_mul_i32_i24_e32 v22, v208, v86
	v_bfe_u32 v86, v31, 16, 4
	v_add3_u32 v16, v16, v20, v22
	v_mul_i32_i24_e32 v20, v85, v207
	v_mul_i32_i24_e32 v22, v74, v66
	s_wait_dscnt 0x0
	v_bfe_i32 v73, v25, 8, 8
	v_ashrrev_i32_e32 v76, 24, v25
	s_delay_alu instid0(VALU_DEP_3)
	v_add3_u32 v15, v15, v22, v20
	v_and_b32_e32 v20, 15, v21
	v_bfe_u32 v22, v21, 16, 4
	v_mul_i32_i24_e32 v27, v73, v17
	v_mul_i32_i24_e32 v28, v76, v54
	v_bfe_i32 v30, v25, 0, 8
	v_bfe_i32 v25, v25, 16, 8
	s_delay_alu instid0(VALU_DEP_3)
	v_add3_u32 v84, v26, v28, v27
	v_mul_i32_i24_e32 v26, v73, v97
	v_mul_i32_i24_e32 v27, v76, v98
	;; [unrolled: 1-line block ×5, first 2 shown]
	s_delay_alu instid0(VALU_DEP_4) | instskip(SKIP_4) | instid1(VALU_DEP_3)
	v_add3_u32 v99, v52, v27, v26
	v_mul_i32_i24_e32 v26, v73, v105
	v_mul_i32_i24_e32 v27, v76, v106
	v_add3_u32 v61, v84, v61, v74
	v_and_b32_e32 v74, 15, v23
	v_add3_u32 v83, v83, v27, v26
	v_mul_i32_i24_e32 v26, v89, v211
	v_mul_i32_i24_e32 v27, v91, v210
	s_delay_alu instid0(VALU_DEP_4) | instskip(NEXT) | instid1(VALU_DEP_2)
	v_mul_i32_i24_e32 v84, v30, v74
	v_add3_u32 v65, v65, v27, v26
	ds_load_2addr_b32 v[26:27], v49 offset1:3
	v_add3_u32 v84, v99, v84, v85
	v_and_b32_e32 v85, 15, v31
	v_add3_u32 v56, v65, v87, v56
	s_delay_alu instid0(VALU_DEP_2)
	v_mul_i32_i24_e32 v99, v30, v85
	s_wait_dscnt 0x0
	v_bfe_i32 v89, v27, 8, 8
	v_ashrrev_i32_e32 v91, 24, v27
	v_bfe_i32 v65, v27, 0, 8
	v_bfe_i32 v27, v27, 16, 8
	s_delay_alu instid0(VALU_DEP_4) | instskip(NEXT) | instid1(VALU_DEP_4)
	v_mul_i32_i24_e32 v28, v89, v17
	v_mul_i32_i24_e32 v29, v91, v54
	s_delay_alu instid0(VALU_DEP_4) | instskip(NEXT) | instid1(VALU_DEP_2)
	v_mul_i32_i24_e32 v87, v65, v20
	v_add3_u32 v77, v77, v29, v28
	v_mul_i32_i24_e32 v28, v89, v97
	v_mul_i32_i24_e32 v29, v91, v98
	s_delay_alu instid0(VALU_DEP_1) | instskip(SKIP_2) | instid1(VALU_DEP_1)
	v_add3_u32 v88, v88, v29, v28
	v_mul_i32_i24_e32 v28, v89, v105
	v_mul_i32_i24_e32 v29, v91, v106
	v_add3_u32 v90, v90, v29, v28
	v_mul_i32_i24_e32 v28, v95, v211
	v_mul_i32_i24_e32 v29, v96, v210
	s_delay_alu instid0(VALU_DEP_1) | instskip(SKIP_4) | instid1(VALU_DEP_2)
	v_add3_u32 v18, v18, v29, v28
	ds_load_2addr_b32 v[28:29], v51 offset1:3
	s_wait_dscnt 0x0
	v_bfe_i32 v95, v29, 8, 8
	v_ashrrev_i32_e32 v96, 24, v29
	v_mul_i32_i24_e32 v32, v95, v17
	s_delay_alu instid0(VALU_DEP_2) | instskip(NEXT) | instid1(VALU_DEP_1)
	v_mul_i32_i24_e32 v33, v96, v54
	v_add3_u32 v19, v19, v33, v32
	v_mul_i32_i24_e32 v32, v95, v97
	v_mul_i32_i24_e32 v33, v96, v98
	s_delay_alu instid0(VALU_DEP_1) | instskip(SKIP_2) | instid1(VALU_DEP_1)
	v_add3_u32 v93, v93, v33, v32
	v_mul_i32_i24_e32 v32, v95, v105
	v_mul_i32_i24_e32 v33, v96, v106
	v_add3_u32 v94, v94, v33, v32
	v_mul_i32_i24_e32 v32, v100, v211
	v_mul_i32_i24_e32 v33, v101, v210
	s_delay_alu instid0(VALU_DEP_1)
	v_add3_u32 v57, v57, v33, v32
	ds_load_2addr_b32 v[32:33], v254 offset1:3
	v_add3_u32 v57, v57, v68, v58
	s_wait_dscnt 0x0
	v_bfe_i32 v100, v33, 8, 8
	v_ashrrev_i32_e32 v101, 24, v33
	v_bfe_i32 v58, v33, 0, 8
	v_bfe_i32 v33, v33, 16, 8
	s_delay_alu instid0(VALU_DEP_4) | instskip(NEXT) | instid1(VALU_DEP_4)
	v_mul_i32_i24_e32 v47, v100, v17
	v_mul_i32_i24_e32 v48, v101, v54
	s_delay_alu instid0(VALU_DEP_4) | instskip(NEXT) | instid1(VALU_DEP_2)
	v_mul_i32_i24_e32 v68, v58, v20
	v_add3_u32 v69, v69, v48, v47
	v_mul_i32_i24_e32 v47, v100, v97
	v_mul_i32_i24_e32 v48, v101, v98
	s_delay_alu instid0(VALU_DEP_1) | instskip(SKIP_2) | instid1(VALU_DEP_1)
	v_add3_u32 v75, v75, v48, v47
	v_mul_i32_i24_e32 v47, v100, v105
	v_mul_i32_i24_e32 v48, v101, v106
	v_add3_u32 v1, v1, v48, v47
	v_mul_i32_i24_e32 v47, v78, v211
	v_mul_i32_i24_e32 v48, v102, v210
	s_delay_alu instid0(VALU_DEP_1) | instskip(SKIP_4) | instid1(VALU_DEP_2)
	v_add3_u32 v2, v2, v48, v47
	ds_load_2addr_b32 v[47:48], v255 offset1:3
	s_wait_dscnt 0x0
	v_bfe_i32 v78, v48, 8, 8
	v_ashrrev_i32_e32 v102, 24, v48
	v_mul_i32_i24_e32 v49, v78, v17
	s_delay_alu instid0(VALU_DEP_2) | instskip(NEXT) | instid1(VALU_DEP_1)
	v_mul_i32_i24_e32 v50, v102, v54
	v_add3_u32 v67, v67, v50, v49
	v_mul_i32_i24_e32 v49, v78, v97
	v_mul_i32_i24_e32 v50, v102, v98
	s_delay_alu instid0(VALU_DEP_1) | instskip(SKIP_3) | instid1(VALU_DEP_2)
	v_add3_u32 v4, v4, v50, v49
	v_mul_i32_i24_e32 v49, v78, v105
	v_mul_i32_i24_e32 v50, v102, v106
	;; [unrolled: 1-line block ×3, first 2 shown]
	v_add3_u32 v80, v80, v50, v49
	v_mul_i32_i24_e32 v49, v103, v211
	v_mul_i32_i24_e32 v50, v104, v210
	s_delay_alu instid0(VALU_DEP_1)
	v_add3_u32 v5, v5, v50, v49
	ds_load_2addr_b32 v[49:50], v123 offset1:3
	v_add3_u32 v5, v5, v6, v59
	s_wait_dscnt 0x0
	v_bfe_i32 v103, v50, 8, 8
	v_ashrrev_i32_e32 v104, 24, v50
	v_bfe_i32 v6, v50, 0, 8
	v_bfe_i32 v50, v50, 16, 8
	s_delay_alu instid0(VALU_DEP_4) | instskip(NEXT) | instid1(VALU_DEP_4)
	v_mul_i32_i24_e32 v51, v103, v17
	v_mul_i32_i24_e32 v52, v104, v54
	s_delay_alu instid0(VALU_DEP_4) | instskip(NEXT) | instid1(VALU_DEP_2)
	v_mul_i32_i24_e32 v59, v6, v20
	v_add3_u32 v7, v7, v52, v51
	v_mul_i32_i24_e32 v51, v103, v97
	v_mul_i32_i24_e32 v52, v104, v98
	s_delay_alu instid0(VALU_DEP_1) | instskip(SKIP_2) | instid1(VALU_DEP_1)
	v_add3_u32 v60, v60, v52, v51
	v_mul_i32_i24_e32 v51, v103, v105
	v_mul_i32_i24_e32 v52, v104, v106
	v_add3_u32 v8, v8, v52, v51
	v_mul_i32_i24_e32 v51, v81, v210
	s_delay_alu instid0(VALU_DEP_1) | instskip(SKIP_4) | instid1(VALU_DEP_2)
	v_add3_u32 v9, v9, v51, v12
	ds_load_2addr_b32 v[51:52], v124 offset1:3
	s_wait_dscnt 0x0
	v_bfe_i32 v12, v52, 8, 8
	v_ashrrev_i32_e32 v81, 24, v52
	v_mul_i32_i24_e32 v107, v12, v17
	s_delay_alu instid0(VALU_DEP_2) | instskip(SKIP_2) | instid1(VALU_DEP_3)
	v_mul_i32_i24_e32 v108, v81, v54
	v_mul_i32_i24_e32 v17, v64, v17
	;; [unrolled: 1-line block ×3, first 2 shown]
	v_add3_u32 v70, v70, v108, v107
	v_mul_i32_i24_e32 v107, v12, v97
	v_mul_i32_i24_e32 v108, v81, v98
	s_delay_alu instid0(VALU_DEP_1) | instskip(SKIP_4) | instid1(VALU_DEP_3)
	v_add3_u32 v11, v11, v108, v107
	v_mul_i32_i24_e32 v107, v12, v105
	v_mul_i32_i24_e32 v108, v81, v106
	v_mul_i32_i24_e32 v81, v81, v253
	v_mul_i32_i24_e32 v12, v12, v62
	v_add3_u32 v71, v71, v108, v107
	v_mul_i32_i24_e32 v107, v25, v86
	v_mul_i32_i24_e32 v25, v25, v248
	s_delay_alu instid0(VALU_DEP_2) | instskip(SKIP_1) | instid1(VALU_DEP_1)
	v_add3_u32 v83, v83, v99, v107
	v_mul_i32_i24_e32 v99, v27, v22
	v_add3_u32 v77, v77, v87, v99
	v_mul_i32_i24_e32 v87, v65, v74
	v_mul_i32_i24_e32 v99, v27, v82
	s_delay_alu instid0(VALU_DEP_1) | instskip(SKIP_4) | instid1(VALU_DEP_3)
	v_add3_u32 v87, v88, v87, v99
	v_mul_i32_i24_e32 v88, v65, v85
	v_mul_i32_i24_e32 v99, v27, v86
	;; [unrolled: 1-line block ×4, first 2 shown]
	v_add3_u32 v88, v90, v88, v99
	v_mul_i32_i24_e32 v90, v92, v207
	s_delay_alu instid0(VALU_DEP_1) | instskip(SKIP_2) | instid1(VALU_DEP_2)
	v_add3_u32 v18, v18, v63, v90
	v_bfe_i32 v63, v29, 0, 8
	v_bfe_i32 v29, v29, 16, 8
	v_mul_i32_i24_e32 v90, v63, v20
	s_delay_alu instid0(VALU_DEP_2) | instskip(NEXT) | instid1(VALU_DEP_1)
	v_mul_i32_i24_e32 v92, v29, v22
	v_add3_u32 v19, v19, v90, v92
	v_mul_i32_i24_e32 v90, v63, v74
	v_mul_i32_i24_e32 v92, v29, v82
	s_delay_alu instid0(VALU_DEP_1) | instskip(SKIP_4) | instid1(VALU_DEP_3)
	v_add3_u32 v90, v93, v90, v92
	v_mul_i32_i24_e32 v92, v63, v85
	v_mul_i32_i24_e32 v93, v29, v86
	;; [unrolled: 1-line block ×4, first 2 shown]
	v_add3_u32 v92, v94, v92, v93
	v_mul_i32_i24_e32 v93, v33, v22
	s_delay_alu instid0(VALU_DEP_1) | instskip(SKIP_2) | instid1(VALU_DEP_1)
	v_add3_u32 v68, v69, v68, v93
	v_mul_i32_i24_e32 v69, v58, v74
	v_mul_i32_i24_e32 v93, v33, v82
	v_add3_u32 v69, v75, v69, v93
	v_mul_i32_i24_e32 v75, v58, v85
	v_mul_i32_i24_e32 v93, v33, v86
	;; [unrolled: 1-line block ×4, first 2 shown]
	s_delay_alu instid0(VALU_DEP_3) | instskip(SKIP_1) | instid1(VALU_DEP_1)
	v_add3_u32 v1, v1, v75, v93
	v_mul_i32_i24_e32 v75, v79, v207
	v_add3_u32 v2, v2, v3, v75
	v_bfe_i32 v3, v48, 0, 8
	v_bfe_i32 v48, v48, 16, 8
	s_delay_alu instid0(VALU_DEP_2) | instskip(NEXT) | instid1(VALU_DEP_2)
	v_mul_i32_i24_e32 v75, v3, v20
	v_mul_i32_i24_e32 v79, v48, v22
	s_delay_alu instid0(VALU_DEP_1) | instskip(SKIP_2) | instid1(VALU_DEP_1)
	v_add3_u32 v67, v67, v75, v79
	v_mul_i32_i24_e32 v75, v3, v74
	v_mul_i32_i24_e32 v79, v48, v82
	v_add3_u32 v4, v4, v75, v79
	v_mul_i32_i24_e32 v75, v3, v85
	v_mul_i32_i24_e32 v79, v48, v86
	;; [unrolled: 1-line block ×4, first 2 shown]
	s_delay_alu instid0(VALU_DEP_3) | instskip(SKIP_1) | instid1(VALU_DEP_1)
	v_add3_u32 v75, v80, v75, v79
	v_mul_i32_i24_e32 v79, v50, v22
	v_add3_u32 v7, v7, v59, v79
	v_mul_i32_i24_e32 v59, v6, v74
	v_mul_i32_i24_e32 v79, v50, v82
	s_delay_alu instid0(VALU_DEP_1) | instskip(SKIP_4) | instid1(VALU_DEP_3)
	v_add3_u32 v59, v60, v59, v79
	v_mul_i32_i24_e32 v60, v6, v85
	v_mul_i32_i24_e32 v79, v50, v86
	;; [unrolled: 1-line block ×4, first 2 shown]
	v_add3_u32 v8, v8, v60, v79
	v_mul_i32_i24_e32 v60, v72, v207
	s_delay_alu instid0(VALU_DEP_1) | instskip(SKIP_2) | instid1(VALU_DEP_3)
	v_add3_u32 v9, v9, v10, v60
	v_bfe_i32 v10, v52, 0, 8
	v_bfe_i32 v52, v52, 16, 8
	v_add3_u32 v9, v9, v81, v12
	s_delay_alu instid0(VALU_DEP_3) | instskip(SKIP_1) | instid1(VALU_DEP_4)
	v_mul_i32_i24_e32 v60, v10, v20
	v_mul_i32_i24_e32 v20, v119, v20
	;; [unrolled: 1-line block ×4, first 2 shown]
	v_bfe_i32 v12, v45, 0, 8
	s_delay_alu instid0(VALU_DEP_4)
	v_add3_u32 v13, v13, v17, v20
	v_mul_i32_i24_e32 v17, v119, v74
	v_mul_i32_i24_e32 v20, v64, v97
	v_add3_u32 v60, v70, v60, v66
	v_mul_i32_i24_e32 v66, v10, v74
	v_mul_i32_i24_e32 v70, v52, v82
	v_add3_u32 v13, v13, v22, v54
	v_add3_u32 v14, v14, v20, v17
	v_mul_i32_i24_e32 v17, v119, v85
	v_mul_i32_i24_e32 v20, v64, v105
	v_add3_u32 v11, v11, v66, v70
	v_mul_i32_i24_e32 v66, v10, v85
	v_mul_i32_i24_e32 v70, v52, v86
	v_bfe_i32 v64, v35, 0, 8
	v_add3_u32 v16, v16, v20, v17
	v_mul_i32_i24_e32 v17, v76, v253
	v_mul_i32_i24_e32 v20, v73, v62
	v_add3_u32 v66, v71, v66, v70
	v_ashrrev_i32_e32 v70, 24, v35
	v_lshrrev_b32_e32 v76, 28, v31
	v_mul_i32_i24_e32 v22, v251, v82
	v_add3_u32 v15, v15, v17, v20
	v_bfe_u32 v17, v21, 4, 4
	v_lshrrev_b32_e32 v20, 28, v21
	v_mul_i32_i24_e32 v80, v70, v76
	v_mul_i32_i24_e32 v54, v252, v98
	;; [unrolled: 1-line block ×6, first 2 shown]
	v_add3_u32 v14, v14, v22, v54
	v_mul_i32_i24_e32 v22, v251, v86
	v_mul_i32_i24_e32 v54, v252, v106
	v_add3_u32 v61, v61, v72, v71
	v_bfe_u32 v71, v23, 4, 4
	v_lshrrev_b32_e32 v72, 28, v23
	v_mul_i32_i24_e32 v52, v52, v248
	v_add3_u32 v16, v16, v22, v54
	v_mul_i32_i24_e32 v22, v30, v249
	v_mul_i32_i24_e32 v73, v64, v71
	;; [unrolled: 1-line block ×3, first 2 shown]
	v_bfe_i32 v30, v35, 16, 8
	v_add3_u32 v9, v9, v10, v52
	v_add3_u32 v15, v15, v22, v25
	v_bfe_u32 v22, v21, 20, 4
	v_add3_u32 v73, v84, v74, v73
	v_bfe_u32 v74, v31, 4, 4
	v_bfe_u32 v21, v21, 12, 4
	v_bfe_i32 v25, v35, 8, 8
	v_mul_i32_i24_e32 v54, v30, v22
	v_bfe_i32 v10, v45, 8, 8
	v_mul_i32_i24_e32 v79, v64, v74
	s_delay_alu instid0(VALU_DEP_4) | instskip(NEXT) | instid1(VALU_DEP_3)
	v_mul_i32_i24_e32 v35, v25, v21
	v_mul_i32_i24_e32 v52, v10, v21
	s_delay_alu instid0(VALU_DEP_3)
	v_add3_u32 v79, v83, v80, v79
	v_mul_i32_i24_e32 v80, v91, v253
	v_mul_i32_i24_e32 v83, v89, v62
	v_add3_u32 v35, v61, v35, v54
	v_bfe_u32 v54, v23, 12, 4
	v_bfe_u32 v23, v23, 20, 4
	s_delay_alu instid0(VALU_DEP_4) | instskip(SKIP_3) | instid1(VALU_DEP_4)
	v_add3_u32 v56, v56, v80, v83
	v_bfe_i32 v80, v37, 0, 8
	v_ashrrev_i32_e32 v83, 24, v37
	v_mul_i32_i24_e32 v61, v25, v54
	v_add3_u32 v27, v56, v65, v27
	s_delay_alu instid0(VALU_DEP_4) | instskip(NEXT) | instid1(VALU_DEP_4)
	v_mul_i32_i24_e32 v84, v80, v17
	v_mul_i32_i24_e32 v85, v83, v20
	v_bfe_i32 v56, v37, 8, 8
	v_bfe_i32 v37, v37, 16, 8
	s_delay_alu instid0(VALU_DEP_3) | instskip(SKIP_3) | instid1(VALU_DEP_2)
	v_add3_u32 v77, v77, v85, v84
	v_mul_i32_i24_e32 v84, v80, v71
	v_mul_i32_i24_e32 v85, v83, v72
	;; [unrolled: 1-line block ×3, first 2 shown]
	v_add3_u32 v84, v87, v85, v84
	v_mul_i32_i24_e32 v85, v80, v74
	v_mul_i32_i24_e32 v87, v83, v76
	s_delay_alu instid0(VALU_DEP_1) | instskip(SKIP_2) | instid1(VALU_DEP_1)
	v_add3_u32 v85, v88, v87, v85
	v_mul_i32_i24_e32 v87, v96, v253
	v_mul_i32_i24_e32 v88, v95, v62
	v_add3_u32 v18, v18, v87, v88
	v_bfe_i32 v87, v39, 0, 8
	v_ashrrev_i32_e32 v88, 24, v39
	s_delay_alu instid0(VALU_DEP_3) | instskip(NEXT) | instid1(VALU_DEP_3)
	v_add3_u32 v18, v18, v63, v29
	v_mul_i32_i24_e32 v89, v87, v17
	s_delay_alu instid0(VALU_DEP_3) | instskip(SKIP_2) | instid1(VALU_DEP_3)
	v_mul_i32_i24_e32 v91, v88, v20
	v_bfe_i32 v29, v39, 8, 8
	v_bfe_i32 v39, v39, 16, 8
	v_add3_u32 v19, v19, v91, v89
	v_mul_i32_i24_e32 v89, v87, v71
	v_mul_i32_i24_e32 v91, v88, v72
	;; [unrolled: 1-line block ×3, first 2 shown]
	s_delay_alu instid0(VALU_DEP_2) | instskip(SKIP_2) | instid1(VALU_DEP_1)
	v_add3_u32 v89, v90, v91, v89
	v_mul_i32_i24_e32 v90, v87, v74
	v_mul_i32_i24_e32 v91, v88, v76
	v_add3_u32 v90, v92, v91, v90
	v_mul_i32_i24_e32 v91, v101, v253
	v_mul_i32_i24_e32 v92, v100, v62
	s_delay_alu instid0(VALU_DEP_1) | instskip(SKIP_2) | instid1(VALU_DEP_3)
	v_add3_u32 v57, v57, v91, v92
	v_bfe_i32 v91, v41, 0, 8
	v_ashrrev_i32_e32 v92, 24, v41
	v_add3_u32 v33, v57, v58, v33
	s_delay_alu instid0(VALU_DEP_3) | instskip(NEXT) | instid1(VALU_DEP_3)
	v_mul_i32_i24_e32 v93, v91, v17
	v_mul_i32_i24_e32 v94, v92, v20
	v_bfe_i32 v57, v41, 8, 8
	v_bfe_i32 v41, v41, 16, 8
	s_delay_alu instid0(VALU_DEP_3) | instskip(SKIP_3) | instid1(VALU_DEP_2)
	v_add3_u32 v68, v68, v94, v93
	v_mul_i32_i24_e32 v93, v91, v71
	v_mul_i32_i24_e32 v94, v92, v72
	;; [unrolled: 1-line block ×3, first 2 shown]
	v_add3_u32 v69, v69, v94, v93
	v_mul_i32_i24_e32 v93, v91, v74
	v_mul_i32_i24_e32 v94, v92, v76
	s_delay_alu instid0(VALU_DEP_1) | instskip(SKIP_1) | instid1(VALU_DEP_1)
	v_add3_u32 v1, v1, v94, v93
	v_mul_i32_i24_e32 v93, v102, v253
	v_add3_u32 v2, v2, v93, v78
	v_bfe_i32 v78, v43, 0, 8
	v_ashrrev_i32_e32 v93, 24, v43
	s_delay_alu instid0(VALU_DEP_3) | instskip(NEXT) | instid1(VALU_DEP_3)
	v_add3_u32 v2, v2, v3, v48
	v_mul_i32_i24_e32 v94, v78, v17
	s_delay_alu instid0(VALU_DEP_3) | instskip(SKIP_2) | instid1(VALU_DEP_3)
	v_mul_i32_i24_e32 v95, v93, v20
	v_bfe_i32 v3, v43, 8, 8
	v_bfe_i32 v43, v43, 16, 8
	v_add3_u32 v67, v67, v95, v94
	v_mul_i32_i24_e32 v94, v78, v71
	v_mul_i32_i24_e32 v95, v93, v72
	;; [unrolled: 1-line block ×3, first 2 shown]
	s_delay_alu instid0(VALU_DEP_2) | instskip(SKIP_2) | instid1(VALU_DEP_1)
	v_add3_u32 v4, v4, v95, v94
	v_mul_i32_i24_e32 v94, v78, v74
	v_mul_i32_i24_e32 v95, v93, v76
	v_add3_u32 v75, v75, v95, v94
	v_mul_i32_i24_e32 v94, v104, v253
	v_mul_i32_i24_e32 v95, v103, v62
	v_ashrrev_i32_e32 v62, 24, v45
	v_bfe_i32 v45, v45, 16, 8
	s_delay_alu instid0(VALU_DEP_3) | instskip(SKIP_2) | instid1(VALU_DEP_3)
	v_add3_u32 v5, v5, v94, v95
	v_bfe_i32 v94, v46, 0, 8
	v_ashrrev_i32_e32 v95, 24, v46
	v_add3_u32 v5, v5, v6, v50
	s_delay_alu instid0(VALU_DEP_3) | instskip(NEXT) | instid1(VALU_DEP_3)
	v_mul_i32_i24_e32 v96, v94, v17
	v_mul_i32_i24_e32 v97, v95, v20
	v_bfe_i32 v6, v46, 8, 8
	v_bfe_i32 v46, v46, 16, 8
	v_mul_i32_i24_e32 v17, v247, v17
	s_delay_alu instid0(VALU_DEP_4) | instskip(SKIP_4) | instid1(VALU_DEP_3)
	v_add3_u32 v7, v7, v97, v96
	v_mul_i32_i24_e32 v96, v94, v71
	v_mul_i32_i24_e32 v97, v95, v72
	;; [unrolled: 1-line block ×4, first 2 shown]
	v_add3_u32 v59, v59, v97, v96
	v_mul_i32_i24_e32 v96, v94, v74
	v_mul_i32_i24_e32 v97, v95, v76
	s_delay_alu instid0(VALU_DEP_4) | instskip(SKIP_2) | instid1(VALU_DEP_4)
	v_add3_u32 v13, v13, v17, v21
	v_mul_i32_i24_e32 v17, v247, v71
	v_mul_i32_i24_e32 v21, v0, v54
	v_add3_u32 v8, v8, v97, v96
	v_mul_i32_i24_e32 v96, v62, v20
	v_mul_i32_i24_e32 v20, v40, v20
	s_delay_alu instid0(VALU_DEP_4) | instskip(SKIP_1) | instid1(VALU_DEP_4)
	v_add3_u32 v14, v14, v17, v21
	v_mul_i32_i24_e32 v17, v247, v74
	v_add3_u32 v60, v60, v96, v81
	v_mul_i32_i24_e32 v81, v12, v71
	v_mul_i32_i24_e32 v96, v62, v72
	s_delay_alu instid0(VALU_DEP_1) | instskip(SKIP_4) | instid1(VALU_DEP_3)
	v_add3_u32 v11, v11, v96, v81
	v_mul_i32_i24_e32 v81, v12, v74
	v_mul_i32_i24_e32 v96, v62, v76
	;; [unrolled: 1-line block ×4, first 2 shown]
	v_add3_u32 v66, v66, v96, v81
	v_mul_i32_i24_e32 v81, v30, v23
	s_delay_alu instid0(VALU_DEP_1) | instskip(SKIP_2) | instid1(VALU_DEP_2)
	v_add3_u32 v61, v73, v61, v81
	v_bfe_u32 v73, v31, 12, 4
	v_bfe_u32 v31, v31, 20, 4
	v_mul_i32_i24_e32 v81, v25, v73
	s_delay_alu instid0(VALU_DEP_2) | instskip(SKIP_1) | instid1(VALU_DEP_2)
	v_mul_i32_i24_e32 v82, v30, v31
	v_mul_i32_i24_e32 v0, v0, v73
	v_add3_u32 v79, v79, v81, v82
	v_mul_i32_i24_e32 v81, v37, v22
	v_mul_i32_i24_e32 v82, v37, v31
	s_delay_alu instid0(VALU_DEP_4)
	v_add3_u32 v0, v16, v17, v0
	v_mul_i32_i24_e32 v16, v64, v44
	v_mul_i32_i24_e32 v17, v70, v42
	v_add3_u32 v65, v77, v65, v81
	v_mul_i32_i24_e32 v77, v56, v54
	v_mul_i32_i24_e32 v81, v37, v23
	;; [unrolled: 1-line block ×3, first 2 shown]
	v_add3_u32 v15, v15, v17, v16
	v_bfe_i32 v16, v24, 0, 8
	v_bfe_i32 v17, v24, 8, 8
	v_add3_u32 v77, v84, v77, v81
	v_mul_i32_i24_e32 v81, v56, v73
	v_mul_i32_i24_e32 v84, v39, v31
	;; [unrolled: 1-line block ×3, first 2 shown]
	s_delay_alu instid0(VALU_DEP_3) | instskip(SKIP_1) | instid1(VALU_DEP_1)
	v_add3_u32 v81, v85, v81, v82
	v_mul_i32_i24_e32 v82, v39, v22
	v_add3_u32 v19, v19, v63, v82
	v_mul_i32_i24_e32 v63, v29, v54
	v_mul_i32_i24_e32 v82, v39, v23
	s_delay_alu instid0(VALU_DEP_1) | instskip(SKIP_2) | instid1(VALU_DEP_2)
	v_add3_u32 v63, v89, v63, v82
	v_mul_i32_i24_e32 v82, v29, v73
	v_mul_i32_i24_e32 v29, v29, v53
	v_add3_u32 v82, v90, v82, v84
	v_mul_i32_i24_e32 v84, v41, v22
	s_delay_alu instid0(VALU_DEP_1) | instskip(SKIP_2) | instid1(VALU_DEP_1)
	v_add3_u32 v58, v68, v58, v84
	v_mul_i32_i24_e32 v68, v57, v54
	v_mul_i32_i24_e32 v84, v41, v23
	v_add3_u32 v68, v69, v68, v84
	v_mul_i32_i24_e32 v69, v57, v73
	v_mul_i32_i24_e32 v84, v41, v31
	s_delay_alu instid0(VALU_DEP_1) | instskip(SKIP_1) | instid1(VALU_DEP_1)
	v_add3_u32 v1, v1, v69, v84
	v_mul_i32_i24_e32 v69, v43, v22
	v_add3_u32 v48, v67, v48, v69
	v_mul_i32_i24_e32 v67, v3, v54
	v_mul_i32_i24_e32 v69, v43, v23
	s_delay_alu instid0(VALU_DEP_1) | instskip(SKIP_4) | instid1(VALU_DEP_3)
	v_add3_u32 v4, v4, v67, v69
	v_mul_i32_i24_e32 v67, v3, v73
	v_mul_i32_i24_e32 v69, v43, v31
	;; [unrolled: 1-line block ×4, first 2 shown]
	v_add3_u32 v67, v75, v67, v69
	v_mul_i32_i24_e32 v69, v46, v22
	s_delay_alu instid0(VALU_DEP_1) | instskip(SKIP_2) | instid1(VALU_DEP_1)
	v_add3_u32 v7, v7, v50, v69
	v_mul_i32_i24_e32 v50, v6, v54
	v_mul_i32_i24_e32 v69, v46, v23
	v_add3_u32 v50, v59, v50, v69
	v_mul_i32_i24_e32 v59, v6, v73
	v_mul_i32_i24_e32 v69, v46, v31
	;; [unrolled: 1-line block ×4, first 2 shown]
	s_delay_alu instid0(VALU_DEP_3) | instskip(SKIP_2) | instid1(VALU_DEP_2)
	v_add3_u32 v8, v8, v59, v69
	v_mul_i32_i24_e32 v59, v45, v22
	v_mul_i32_i24_e32 v22, v38, v22
	v_add3_u32 v52, v60, v52, v59
	s_delay_alu instid0(VALU_DEP_2)
	v_add3_u32 v13, v13, v22, v20
	v_mul_i32_i24_e32 v20, v38, v23
	v_mul_i32_i24_e32 v22, v40, v72
	;; [unrolled: 1-line block ×5, first 2 shown]
	s_delay_alu instid0(VALU_DEP_4)
	v_add3_u32 v14, v14, v20, v22
	v_mul_i32_i24_e32 v20, v38, v31
	v_mul_i32_i24_e32 v22, v40, v76
	v_add3_u32 v11, v11, v59, v60
	v_mul_i32_i24_e32 v59, v10, v73
	v_mul_i32_i24_e32 v60, v45, v31
	v_add3_u32 v21, v35, v21, v54
	v_add3_u32 v0, v0, v20, v22
	v_mul_i32_i24_e32 v20, v30, v36
	v_mul_i32_i24_e32 v22, v25, v53
	;; [unrolled: 1-line block ×4, first 2 shown]
	v_add3_u32 v59, v66, v59, v60
	v_mul_i32_i24_e32 v60, v17, v235
	v_add3_u32 v15, v15, v22, v20
	v_bfe_i32 v20, v24, 16, 8
	v_ashrrev_i32_e32 v22, 24, v24
	v_add3_u32 v35, v61, v35, v54
	v_mul_i32_i24_e32 v54, v16, v234
	v_mul_i32_i24_e32 v61, v83, v42
	;; [unrolled: 1-line block ×5, first 2 shown]
	v_add3_u32 v54, v79, v54, v60
	v_mul_i32_i24_e32 v60, v80, v44
	v_mul_i32_i24_e32 v30, v56, v53
	v_add3_u32 v21, v21, v23, v24
	v_mul_i32_i24_e32 v23, v20, v214
	v_mul_i32_i24_e32 v24, v22, v215
	v_add3_u32 v27, v27, v61, v60
	v_bfe_i32 v60, v26, 0, 8
	v_bfe_i32 v61, v26, 8, 8
	v_mul_i32_i24_e32 v16, v206, v16
	v_add3_u32 v23, v35, v23, v24
	v_mul_i32_i24_e32 v24, v20, v228
	v_mul_i32_i24_e32 v64, v60, v223
	;; [unrolled: 1-line block ×5, first 2 shown]
	v_add3_u32 v24, v54, v24, v25
	v_mul_i32_i24_e32 v25, v37, v36
	v_add3_u32 v64, v65, v64, v66
	v_mul_i32_i24_e32 v65, v60, v224
	v_mul_i32_i24_e32 v66, v61, v225
	v_add3_u32 v15, v15, v16, v17
	v_add3_u32 v25, v27, v30, v25
	v_bfe_i32 v27, v26, 16, 8
	v_ashrrev_i32_e32 v26, 24, v26
	v_add3_u32 v65, v77, v65, v66
	v_mul_i32_i24_e32 v66, v60, v234
	v_mul_i32_i24_e32 v16, v206, v60
	v_mul_i32_i24_e32 v30, v27, v212
	v_mul_i32_i24_e32 v31, v26, v213
	v_mul_i32_i24_e32 v35, v26, v215
	v_add3_u32 v66, v81, v66, v69
	v_mul_i32_i24_e32 v69, v87, v44
	v_mul_i32_i24_e32 v37, v26, v229
	v_add3_u32 v30, v64, v30, v31
	v_mul_i32_i24_e32 v31, v27, v214
	v_mul_i32_i24_e32 v17, v34, v61
	v_add3_u32 v18, v18, v70, v69
	v_bfe_i32 v69, v28, 0, 8
	v_bfe_i32 v70, v28, 8, 8
	v_add3_u32 v31, v65, v31, v35
	v_mul_i32_i24_e32 v35, v27, v228
	v_mul_i32_i24_e32 v40, v57, v53
	;; [unrolled: 1-line block ×4, first 2 shown]
	v_add3_u32 v16, v25, v16, v17
	v_add3_u32 v35, v66, v35, v37
	v_mul_i32_i24_e32 v37, v39, v36
	v_mul_i32_i24_e32 v17, v206, v69
	v_add3_u32 v19, v19, v71, v73
	v_mul_i32_i24_e32 v73, v70, v225
	v_mul_i32_i24_e32 v25, v34, v70
	v_add3_u32 v18, v18, v29, v37
	v_bfe_i32 v29, v28, 16, 8
	v_ashrrev_i32_e32 v28, 24, v28
	v_mul_i32_i24_e32 v10, v10, v53
	v_cvt_f32_i32_e32 v0, v0
	v_add3_u32 v17, v18, v17, v25
	v_mul_i32_i24_e32 v37, v29, v212
	v_mul_i32_i24_e32 v38, v28, v213
	;; [unrolled: 1-line block ×3, first 2 shown]
	v_fma_mix_f32 v0, v201, v0, v201 op_sel:[0,0,1] op_sel_hi:[1,0,1]
	s_delay_alu instid0(VALU_DEP_3) | instskip(SKIP_2) | instid1(VALU_DEP_4)
	v_add3_u32 v19, v19, v37, v38
	v_mul_i32_i24_e32 v37, v29, v214
	v_mul_i32_i24_e32 v38, v28, v215
	v_add_f32_e32 v163, v163, v0
	s_delay_alu instid0(VALU_DEP_4) | instskip(NEXT) | instid1(VALU_DEP_1)
	v_cvt_f32_i32_e32 v19, v19
	v_fma_mix_f32 v19, v196, v19, v196 op_sel:[0,0,1] op_sel_hi:[1,0,1]
	s_delay_alu instid0(VALU_DEP_1) | instskip(SKIP_1) | instid1(VALU_DEP_1)
	v_add_f32_e32 v143, v143, v19
	v_mul_i32_i24_e32 v71, v69, v224
	v_add3_u32 v63, v63, v71, v73
	v_mul_i32_i24_e32 v71, v69, v234
	v_mul_i32_i24_e32 v73, v70, v235
	s_delay_alu instid0(VALU_DEP_3) | instskip(SKIP_1) | instid1(VALU_DEP_3)
	v_add3_u32 v37, v63, v37, v38
	v_mul_i32_i24_e32 v38, v29, v228
	v_add3_u32 v71, v82, v71, v73
	v_mul_i32_i24_e32 v73, v91, v44
	s_delay_alu instid0(VALU_DEP_2) | instskip(NEXT) | instid1(VALU_DEP_2)
	v_add3_u32 v38, v71, v38, v39
	v_add3_u32 v33, v33, v74, v73
	v_bfe_i32 v73, v32, 0, 8
	v_bfe_i32 v74, v32, 8, 8
	v_mul_i32_i24_e32 v39, v41, v36
	v_mul_i32_i24_e32 v36, v45, v36
	s_delay_alu instid0(VALU_DEP_4) | instskip(NEXT) | instid1(VALU_DEP_4)
	v_mul_i32_i24_e32 v75, v73, v223
	v_mul_i32_i24_e32 v77, v74, v222
	s_delay_alu instid0(VALU_DEP_4)
	v_add3_u32 v33, v33, v40, v39
	v_bfe_i32 v39, v32, 16, 8
	v_ashrrev_i32_e32 v32, 24, v32
	v_mul_i32_i24_e32 v18, v206, v73
	v_add3_u32 v58, v58, v75, v77
	v_mul_i32_i24_e32 v75, v73, v224
	v_mul_i32_i24_e32 v77, v74, v225
	;; [unrolled: 1-line block ×6, first 2 shown]
	v_add3_u32 v68, v68, v75, v77
	v_mul_i32_i24_e32 v75, v73, v234
	v_mul_i32_i24_e32 v77, v74, v235
	v_add3_u32 v18, v33, v18, v25
	v_add3_u32 v40, v58, v40, v41
	v_mul_i32_i24_e32 v41, v39, v214
	v_mul_i32_i24_e32 v56, v32, v229
	v_add3_u32 v1, v1, v75, v77
	v_mul_i32_i24_e32 v75, v78, v44
	v_mul_i32_i24_e32 v77, v93, v42
	v_add3_u32 v41, v68, v41, v54
	v_mul_i32_i24_e32 v54, v39, v228
	s_delay_alu instid0(VALU_DEP_3) | instskip(SKIP_2) | instid1(VALU_DEP_4)
	v_add3_u32 v2, v2, v77, v75
	v_bfe_i32 v75, v47, 0, 8
	v_bfe_i32 v77, v47, 8, 8
	v_add3_u32 v1, v1, v54, v56
	s_delay_alu instid0(VALU_DEP_4) | instskip(NEXT) | instid1(VALU_DEP_4)
	v_add3_u32 v2, v2, v3, v43
	v_mul_i32_i24_e32 v78, v75, v223
	s_delay_alu instid0(VALU_DEP_4)
	v_mul_i32_i24_e32 v79, v77, v222
	v_mul_i32_i24_e32 v25, v206, v75
	;; [unrolled: 1-line block ×3, first 2 shown]
	v_bfe_i32 v3, v47, 16, 8
	v_ashrrev_i32_e32 v43, 24, v47
	v_add3_u32 v48, v48, v78, v79
	v_mul_i32_i24_e32 v78, v75, v224
	v_mul_i32_i24_e32 v79, v77, v225
	v_add3_u32 v2, v2, v25, v33
	v_mul_i32_i24_e32 v47, v3, v212
	v_mul_i32_i24_e32 v54, v43, v213
	v_cvt_f32_i32_e32 v1, v1
	v_add3_u32 v4, v4, v78, v79
	v_mul_i32_i24_e32 v78, v75, v234
	v_mul_i32_i24_e32 v79, v77, v235
	v_add3_u32 v47, v48, v47, v54
	v_mul_i32_i24_e32 v48, v3, v214
	v_mul_i32_i24_e32 v54, v43, v215
	v_fma_mix_f32 v1, v186, v1, v186 op_sel:[0,0,1] op_sel_hi:[1,0,1]
	v_add3_u32 v67, v67, v78, v79
	v_mul_i32_i24_e32 v79, v95, v42
	v_mul_i32_i24_e32 v42, v62, v42
	;; [unrolled: 1-line block ×3, first 2 shown]
	v_bfe_i32 v44, v51, 8, 8
	v_add3_u32 v4, v4, v48, v54
	v_mul_i32_i24_e32 v48, v3, v228
	v_add3_u32 v9, v9, v42, v12
	v_bfe_i32 v12, v51, 0, 8
	v_add3_u32 v5, v5, v79, v78
	v_bfe_i32 v78, v49, 0, 8
	v_bfe_i32 v79, v49, 8, 8
	v_mul_i32_i24_e32 v62, v44, v222
	v_mul_i32_i24_e32 v42, v12, v223
	v_add3_u32 v5, v5, v6, v46
	v_mul_i32_i24_e32 v25, v206, v78
	v_mul_i32_i24_e32 v33, v34, v79
	v_add3_u32 v9, v9, v10, v36
	v_add3_u32 v42, v52, v42, v62
	v_mul_i32_i24_e32 v52, v12, v224
	v_mul_i32_i24_e32 v62, v44, v225
	v_add3_u32 v5, v5, v25, v33
	v_mul_i32_i24_e32 v25, v34, v44
	v_mul_i32_i24_e32 v80, v78, v223
	;; [unrolled: 1-line block ×3, first 2 shown]
	v_add3_u32 v11, v11, v52, v62
	v_mul_i32_i24_e32 v52, v12, v234
	v_mul_i32_i24_e32 v12, v206, v12
	;; [unrolled: 1-line block ×3, first 2 shown]
	v_bfe_i32 v6, v49, 16, 8
	v_ashrrev_i32_e32 v46, 24, v49
	v_add3_u32 v7, v7, v80, v81
	v_add3_u32 v9, v9, v12, v25
	v_mul_i32_i24_e32 v12, v204, v20
	v_mul_i32_i24_e32 v20, v205, v22
	;; [unrolled: 1-line block ×4, first 2 shown]
	v_add3_u32 v48, v67, v48, v54
	v_mul_i32_i24_e32 v49, v6, v212
	v_add3_u32 v12, v15, v12, v20
	v_mul_i32_i24_e32 v15, v204, v27
	v_mul_i32_i24_e32 v20, v205, v26
	;; [unrolled: 1-line block ×3, first 2 shown]
	v_add3_u32 v50, v50, v80, v81
	v_mul_i32_i24_e32 v3, v204, v3
	v_bfe_i32 v10, v51, 16, 8
	v_add3_u32 v15, v16, v15, v20
	v_mul_i32_i24_e32 v16, v204, v29
	v_mul_i32_i24_e32 v20, v205, v28
	v_add3_u32 v7, v7, v49, v54
	v_mul_i32_i24_e32 v49, v6, v214
	v_mul_i32_i24_e32 v54, v46, v215
	v_ashrrev_i32_e32 v36, 24, v51
	v_add3_u32 v16, v17, v16, v20
	v_mul_i32_i24_e32 v17, v204, v39
	v_mul_i32_i24_e32 v20, v205, v32
	v_add3_u32 v49, v50, v49, v54
	v_mul_i32_i24_e32 v50, v6, v228
	v_cvt_f32_i32_e32 v4, v4
	v_add_f32_e32 v157, v157, v1
	v_add3_u32 v17, v18, v17, v20
	v_mul_i32_i24_e32 v18, v205, v43
	scratch_load_b32 v1, off, off th:TH_LOAD_LU ; 4-byte Folded Reload
	v_fma_mix_f32 v4, v185, v4, v185 op_sel:[0,0,1] op_sel_hi:[1,0,1]
	v_cvt_f32_i32_e32 v7, v7
	v_cvt_f32_i32_e32 v0, v12
	v_add3_u32 v2, v2, v3, v18
	v_mul_i32_i24_e32 v3, v204, v6
	v_mul_i32_i24_e32 v6, v205, v46
	v_add_f32_e32 v145, v145, v4
	scratch_load_b32 v4, off, off offset:4 th:TH_LOAD_LU ; 4-byte Folded Reload
	v_fma_mix_f32 v7, v188, v7, v188 op_sel:[0,0,1] op_sel_hi:[1,0,1]
	v_cvt_f32_i32_e32 v2, v2
	v_add3_u32 v3, v5, v3, v6
	v_mul_i32_i24_e32 v5, v204, v10
	v_mul_i32_i24_e32 v6, v205, v36
	v_add_f32_e32 v126, v126, v7
	scratch_load_b32 v7, off, off offset:12 th:TH_LOAD_LU ; 4-byte Folded Reload
	v_mul_i32_i24_e32 v81, v79, v235
	v_mul_i32_i24_e32 v54, v46, v229
	v_add3_u32 v5, v9, v5, v6
	v_cvt_f32_i32_e32 v6, v55
	v_mul_i32_i24_e32 v45, v10, v212
	v_mul_i32_i24_e32 v62, v44, v235
	v_cvt_f32_i32_e32 v9, v14
	v_cvt_f32_i32_e32 v14, v24
	v_fma_mix_f32 v6, v180, v6, v180 op_sel:[0,0,1] op_sel_hi:[1,0,1]
	v_cvt_f32_i32_e32 v18, v30
	v_add3_u32 v52, v59, v52, v62
	v_cvt_f32_i32_e32 v20, v31
	v_cvt_f32_i32_e32 v22, v37
	v_add_f32_e32 v176, v176, v6
	v_cvt_f32_i32_e32 v6, v13
	v_cvt_f32_i32_e32 v13, v23
	;; [unrolled: 1-line block ×5, first 2 shown]
	v_fma_mix_f32 v6, v179, v6, v179 op_sel:[0,0,1] op_sel_hi:[1,0,1]
	v_cvt_f32_i32_e32 v26, v47
	v_fma_mix_f32 v23, v191, v23, v191 op_sel:[0,0,1] op_sel_hi:[1,0,1]
	v_cvt_f32_i32_e32 v27, v48
	v_cvt_f32_i32_e32 v28, v49
	v_add_f32_e32 v155, v155, v6
	scratch_load_b32 v6, off, off offset:8 th:TH_LOAD_LU ; 4-byte Folded Reload
	v_add_f32_e32 v159, v159, v23
	v_mul_i32_i24_e32 v80, v78, v234
	v_cvt_f32_i32_e32 v3, v3
	v_cvt_f32_i32_e32 v5, v5
	v_fma_mix_f32 v9, v203, v9, v203 op_sel:[0,0,1] op_sel_hi:[1,0,1]
	v_fma_mix_f32 v13, v199, v13, v199 op_sel:[0,0,1] op_sel_hi:[1,0,1]
	v_add3_u32 v8, v8, v80, v81
	v_fma_mix_f32 v14, v197, v14, v197 op_sel:[0,0,1] op_sel_hi:[1,0,1]
	v_fma_mix_f32 v18, v200, v18, v200 op_sel:[0,0,1] op_sel_hi:[1,0,1]
	;; [unrolled: 1-line block ×4, first 2 shown]
	v_add3_u32 v8, v8, v50, v54
	v_mul_i32_i24_e32 v50, v36, v213
	v_fma_mix_f32 v24, v194, v24, v194 op_sel:[0,0,1] op_sel_hi:[1,0,1]
	v_fma_mix_f32 v25, v192, v25, v192 op_sel:[0,0,1] op_sel_hi:[1,0,1]
	;; [unrolled: 1-line block ×3, first 2 shown]
	v_cvt_f32_i32_e32 v8, v8
	v_add3_u32 v42, v42, v45, v50
	v_mul_i32_i24_e32 v45, v10, v214
	v_mul_i32_i24_e32 v50, v36, v215
	v_fma_mix_f32 v27, v184, v27, v184 op_sel:[0,0,1] op_sel_hi:[1,0,1]
	v_fma_mix_f32 v28, v189, v28, v189 op_sel:[0,0,1] op_sel_hi:[1,0,1]
	v_cvt_f32_i32_e32 v29, v42
	v_fma_mix_f32 v8, v190, v8, v190 op_sel:[0,0,1] op_sel_hi:[1,0,1]
	v_add3_u32 v11, v11, v45, v50
	v_mul_i32_i24_e32 v45, v10, v228
	v_mul_i32_i24_e32 v50, v36, v229
	v_cvt_f32_i32_e32 v10, v21
	v_cvt_f32_i32_e32 v21, v35
	;; [unrolled: 1-line block ×3, first 2 shown]
	v_fma_mix_f32 v29, v181, v29, v181 op_sel:[0,0,1] op_sel_hi:[1,0,1]
	v_add3_u32 v45, v52, v45, v50
	v_fma_mix_f32 v10, v202, v10, v202 op_sel:[0,0,1] op_sel_hi:[1,0,1]
	v_fma_mix_f32 v21, v195, v21, v195 op_sel:[0,0,1] op_sel_hi:[1,0,1]
	;; [unrolled: 1-line block ×4, first 2 shown]
	v_cvt_f32_i32_e32 v30, v45
	v_add_f32_e32 v160, v160, v9
	v_add_f32_e32 v152, v152, v10
	;; [unrolled: 1-line block ×4, first 2 shown]
	v_fma_mix_f32 v30, v183, v30, v183 op_sel:[0,0,1] op_sel_hi:[1,0,1]
	v_dual_add_f32 v149, v149, v18 :: v_dual_add_f32 v156, v156, v20
	v_add_f32_e32 v161, v161, v21
	v_add_f32_e32 v153, v153, v22
	v_dual_add_f32 v137, v137, v24 :: v_dual_add_f32 v150, v150, v25
	v_dual_add_f32 v131, v131, v26 :: v_dual_add_f32 v154, v154, v27
	v_add_f32_e32 v139, v139, v28
	v_dual_add_f32 v151, v151, v8 :: v_dual_add_f32 v122, v122, v29
	v_add_f32_e32 v133, v133, v11
	v_add_f32_e32 v147, v147, v30
	;; [unrolled: 1-line block ×3, first 2 shown]
	s_wait_loadcnt 0x3
	v_fma_mix_f32 v0, v1, v0, v1 op_sel:[0,0,1] op_sel_hi:[1,0,1]
	v_cvt_f32_i32_e32 v1, v15
	s_delay_alu instid0(VALU_DEP_2) | instskip(SKIP_1) | instid1(VALU_DEP_2)
	v_add_f32_e32 v141, v141, v0
	s_wait_loadcnt 0x2
	v_fma_mix_f32 v1, v4, v1, v4 op_sel:[0,0,1] op_sel_hi:[1,0,1]
	v_cvt_f32_i32_e32 v4, v16
	s_delay_alu instid0(VALU_DEP_2) | instskip(SKIP_1) | instid1(VALU_DEP_2)
	v_add_f32_e32 v135, v135, v1
	s_wait_loadcnt 0x0
	v_fma_mix_f32 v4, v6, v4, v6 op_sel:[0,0,1] op_sel_hi:[1,0,1]
	v_cvt_f32_i32_e32 v6, v17
	s_delay_alu instid0(VALU_DEP_2) | instskip(NEXT) | instid1(VALU_DEP_2)
	v_add_f32_e32 v129, v129, v4
	v_fma_mix_f32 v6, v7, v6, v7 op_sel:[0,0,1] op_sel_hi:[1,0,1]
	scratch_load_b32 v7, off, off offset:16 th:TH_LOAD_LU ; 4-byte Folded Reload
	v_add_f32_e32 v125, v125, v6
	s_wait_loadcnt 0x0
	v_fma_mix_f32 v2, v7, v2, v7 op_sel:[0,0,1] op_sel_hi:[1,0,1]
	scratch_load_b32 v7, off, off offset:20 th:TH_LOAD_LU ; 4-byte Folded Reload
	v_add_f32_e32 v120, v120, v2
	s_wait_loadcnt 0x0
	v_fma_mix_f32 v5, v7, v5, v7 op_sel:[0,0,1] op_sel_hi:[1,0,1]
	s_delay_alu instid0(VALU_DEP_1)
	v_add_f32_e32 v113, v113, v5
	s_cbranch_scc1 .LBB140_9
; %bb.10:                               ;   in Loop: Header=BB140_7 Depth=1
	s_and_b32 s10, s7, -4
	s_wait_storecnt 0x0
	s_wait_alu 0xfffe
	s_cmp_eq_u32 s10, 4
	s_barrier_signal -1
	s_barrier_wait -1
	global_inv scope:SCOPE_SE
	s_cbranch_scc1 .LBB140_5
; %bb.11:                               ;   in Loop: Header=BB140_7 Depth=1
	s_clause 0x5
	scratch_load_b32 v0, off, off offset:380
	scratch_load_b32 v1, off, off offset:32
	;; [unrolled: 1-line block ×5, first 2 shown]
	scratch_load_b64 v[5:6], off, off offset:64
	s_mov_b32 s10, 12
	s_wait_loadcnt 0x5
	v_add_nc_u32_e32 v0, s4, v0
	s_wait_loadcnt 0x4
	s_delay_alu instid0(VALU_DEP_1)
	v_add_nc_u32_e32 v1, v0, v1
	s_wait_loadcnt 0x3
	v_add_nc_u32_e32 v2, v0, v2
	s_wait_loadcnt 0x2
	v_add_nc_u32_e32 v3, v0, v3
	s_wait_loadcnt 0x1
	v_add_nc_u32_e32 v4, v0, v4
	s_wait_loadcnt 0x0
	v_mad_co_i64_i32 v[20:21], null, v1, 36, v[5:6]
	scratch_load_b32 v1, off, off offset:48 ; 4-byte Folded Reload
	v_mad_co_i64_i32 v[22:23], null, v2, 36, v[5:6]
	scratch_load_b32 v2, off, off offset:60 ; 4-byte Folded Reload
	;; [unrolled: 2-line block ×3, first 2 shown]
	v_mad_co_i64_i32 v[26:27], null, v4, 36, v[5:6]
	s_wait_loadcnt 0x2
	v_add_nc_u32_e32 v1, v0, v1
	s_delay_alu instid0(VALU_DEP_1) | instskip(SKIP_3) | instid1(VALU_DEP_1)
	v_mad_co_i64_i32 v[28:29], null, v1, 36, v[5:6]
	scratch_load_b32 v1, off, off offset:52 ; 4-byte Folded Reload
	s_wait_loadcnt 0x2
	v_add_nc_u32_e32 v2, v0, v2
	v_mad_co_i64_i32 v[30:31], null, v2, 36, v[5:6]
	scratch_load_b32 v2, off, off offset:112 th:TH_LOAD_LU ; 4-byte Folded Reload
	s_wait_loadcnt 0x1
	v_add_nc_u32_e32 v1, v0, v1
	v_add_nc_u32_e32 v0, v0, v3
	s_delay_alu instid0(VALU_DEP_2) | instskip(NEXT) | instid1(VALU_DEP_2)
	v_mad_co_i64_i32 v[32:33], null, v1, 36, v[5:6]
	v_mad_co_i64_i32 v[34:35], null, v0, 36, v[5:6]
	s_wait_loadcnt 0x0
	v_add_nc_u32_e32 v2, 4, v2
	s_delay_alu instid0(VALU_DEP_1)
	v_mad_co_u64_u32 v[36:37], null, v2, 36, s[2:3]
	s_clause 0x8
	global_load_b32 v0, v[30:31], off offset:4
	global_load_b32 v1, v[20:21], off offset:4
	;; [unrolled: 1-line block ×8, first 2 shown]
	global_load_b32 v8, v[36:37], off
	s_clause 0x2
	scratch_load_b32 v69, off, off offset:72
	scratch_load_b32 v70, off, off offset:76
	;; [unrolled: 1-line block ×3, first 2 shown]
	s_wait_loadcnt 0x0
	v_mad_u32_u24 v165, 0x84, v9, 64
	s_clause 0x4
	scratch_load_b32 v171, off, off offset:396
	scratch_load_b32 v72, off, off offset:392
	;; [unrolled: 1-line block ×5, first 2 shown]
	s_wait_loadcnt 0x0
	ds_store_b32 v9, v0
	scratch_load_b32 v0, off, off offset:80 ; 4-byte Folded Reload
	s_wait_loadcnt 0x0
	ds_store_b32 v0, v1
	scratch_load_b32 v0, off, off offset:84 ; 4-byte Folded Reload
	s_wait_loadcnt 0x0
	ds_store_b32 v0, v2
	scratch_load_b32 v0, off, off offset:88 ; 4-byte Folded Reload
	s_wait_loadcnt 0x0
	ds_store_b32 v0, v3
	scratch_load_b32 v0, off, off offset:92 ; 4-byte Folded Reload
	s_wait_loadcnt 0x0
	ds_store_b32 v0, v4
	scratch_load_b32 v0, off, off offset:96 ; 4-byte Folded Reload
	s_wait_loadcnt 0x0
	ds_store_b32 v0, v5
	scratch_load_b32 v0, off, off offset:100 ; 4-byte Folded Reload
	s_wait_loadcnt 0x0
	ds_store_b32 v0, v6
	scratch_load_b32 v0, off, off offset:104 ; 4-byte Folded Reload
	s_wait_loadcnt 0x0
	ds_store_b32 v0, v7
	scratch_load_b32 v0, off, off offset:28 ; 4-byte Folded Reload
	s_wait_loadcnt 0x0
	ds_store_b32 v0, v8
	s_wait_dscnt 0x0
	s_barrier_signal -1
	s_barrier_wait -1
	global_inv scope:SCOPE_SE
.LBB140_12:                             ;   Parent Loop BB140_7 Depth=1
                                        ; =>  This Inner Loop Header: Depth=2
	ds_load_2addr_b32 v[20:21], v69 offset1:32
	ds_load_b32 v25, v171
	ds_load_b32 v24, v72
	;; [unrolled: 1-line block ×4, first 2 shown]
	ds_load_2addr_b32 v[37:38], v70 offset0:5 offset1:6
	ds_load_2addr_b32 v[41:42], v165 offset1:1
	ds_load_2addr_b32 v[33:34], v165 offset0:2 offset1:3
	ds_load_2addr_b32 v[35:36], v70 offset0:4 offset1:7
	ds_load_2addr_b32 v[39:40], v70 offset1:3
	ds_load_2addr_b32 v[43:44], v70 offset0:1 offset1:2
	v_add_nc_u32_e32 v252, 0x400, v70
	v_add_nc_u32_e32 v253, 0x800, v70
	;; [unrolled: 1-line block ×11, first 2 shown]
	s_wait_dscnt 0x9
	v_pk_mul_f16 v3, v20, v25
	s_wait_dscnt 0x8
	v_pk_mul_f16 v166, v20, v24
	;; [unrolled: 2-line block ×4, first 2 shown]
	v_pk_mul_f16 v0, v25, v21
	v_pk_mul_f16 v196, v24, v21
	;; [unrolled: 1-line block ×4, first 2 shown]
	ds_load_2addr_b32 v[20:21], v69 offset0:64 offset1:96
	scratch_store_b32 off, v0, off          ; 4-byte Folded Spill
	s_wait_dscnt 0x3
	v_bfe_i32 v248, v35, 16, 8
	v_bfe_u32 v244, v41, 20, 4
	v_bfe_u32 v198, v41, 16, 4
	s_wait_dscnt 0x1
	v_bfe_i32 v239, v43, 16, 8
	v_bfe_u32 v234, v42, 16, 4
	v_bfe_i32 v227, v37, 16, 8
	v_mul_i32_i24_e32 v6, v244, v248
	v_bfe_u32 v224, v42, 20, 4
	v_lshrrev_b32_e32 v246, 28, v41
	v_mul_i32_i24_e32 v7, v239, v234
	v_ashrrev_i32_e32 v249, 24, v35
	v_bfe_u32 v199, v41, 24, 4
	v_mul_i32_i24_e32 v8, v227, v224
	v_bfe_u32 v241, v42, 24, 4
	v_lshrrev_b32_e32 v231, 28, v42
	v_ashrrev_i32_e32 v240, 24, v43
	v_ashrrev_i32_e32 v228, 24, v37
	v_bfe_i32 v45, v35, 0, 8
	s_wait_dscnt 0x0
	v_pk_mul_f16 v0, v25, v20
	v_pk_mul_f16 v194, v24, v20
	;; [unrolled: 1-line block ×5, first 2 shown]
	scratch_store_b32 off, v0, off offset:4 ; 4-byte Folded Spill
	v_pk_mul_f16 v0, v25, v21
	v_pk_mul_f16 v187, v23, v21
	;; [unrolled: 1-line block ×3, first 2 shown]
	ds_load_2addr_b32 v[20:21], v69 offset0:128 offset1:160
	v_mul_i32_i24_e32 v9, v228, v231
	scratch_store_b32 off, v0, off offset:8 ; 4-byte Folded Spill
	v_bfe_u32 v250, v41, 4, 4
	v_and_b32_e32 v200, 15, v41
	v_bfe_i32 v245, v43, 0, 8
	v_and_b32_e32 v236, 15, v42
	v_bfe_i32 v235, v37, 0, 8
	v_bfe_u32 v232, v42, 4, 4
	v_bfe_u32 v221, v33, 24, 4
	v_lshrrev_b32_e32 v204, 28, v33
	v_ashrrev_i32_e32 v219, 24, v44
	v_ashrrev_i32_e32 v202, 24, v38
	v_mul_i32_i24_e32 v10, v235, v232
	v_bfe_i32 v220, v44, 16, 8
	v_bfe_u32 v215, v33, 16, 4
	v_bfe_i32 v203, v38, 16, 8
	v_bfe_u32 v201, v33, 20, 4
	v_bfe_i32 v225, v44, 0, 8
	v_and_b32_e32 v216, 15, v33
	s_wait_dscnt 0x0
	v_pk_mul_f16 v0, v25, v20
	v_pk_mul_f16 v188, v24, v20
	;; [unrolled: 1-line block ×5, first 2 shown]
	scratch_store_b32 off, v0, off offset:12 ; 4-byte Folded Spill
	v_pk_mul_f16 v0, v25, v21
	v_pk_mul_f16 v179, v23, v21
	;; [unrolled: 1-line block ×3, first 2 shown]
	ds_load_2addr_b32 v[20:21], v69 offset0:192 offset1:224
	v_bfe_i32 v214, v38, 0, 8
	scratch_store_b32 off, v0, off offset:16 ; 4-byte Folded Spill
	v_bfe_u32 v209, v33, 4, 4
	v_bfe_i32 v242, v40, 16, 8
	v_bfe_u32 v237, v34, 16, 4
	v_bfe_u32 v247, v34, 24, 4
	v_lshrrev_b32_e32 v229, 28, v34
	v_ashrrev_i32_e32 v243, 24, v40
	v_ashrrev_i32_e32 v226, 24, v36
	v_bfe_i32 v251, v40, 0, 8
	v_and_b32_e32 v238, 15, v34
	v_bfe_i32 v233, v36, 0, 8
	v_bfe_u32 v230, v34, 4, 4
	v_add_nc_u32_e32 v69, 4, v69
	s_wait_alu 0xfffe
	s_add_co_i32 s10, s10, 4
	s_wait_alu 0xfffe
	s_cmp_lt_u32 s10, 28
	s_wait_dscnt 0x0
	v_pk_mul_f16 v0, v25, v21
	v_pk_mul_f16 v182, v24, v20
	;; [unrolled: 1-line block ×3, first 2 shown]
	v_ashrrev_i32_e32 v24, 24, v39
	v_pk_mul_f16 v167, v25, v20
	scratch_store_b32 off, v0, off offset:20 ; 4-byte Folded Spill
	v_bfe_i32 v0, v39, 16, 8
	v_bfe_i32 v25, v39, 0, 8
	v_pk_mul_f16 v183, v23, v20
	v_pk_mul_f16 v184, v22, v20
	v_add_nc_u32_e32 v20, 0x1080, v165
	v_mad_i32_i24 v6, v198, v0, v6
	v_pk_mul_f16 v5, v23, v21
	v_pk_mul_f16 v177, v22, v21
	s_delay_alu instid0(VALU_DEP_3) | instskip(SKIP_2) | instid1(VALU_DEP_2)
	v_add3_u32 v6, v6, v7, v8
	v_mul_i32_i24_e32 v7, v246, v249
	v_mul_i32_i24_e32 v8, v240, v241
	v_mad_i32_i24 v7, v199, v24, v7
	s_delay_alu instid0(VALU_DEP_1) | instskip(SKIP_2) | instid1(VALU_DEP_2)
	v_add3_u32 v7, v7, v8, v9
	v_mul_i32_i24_e32 v8, v250, v45
	v_mul_i32_i24_e32 v9, v245, v236
	v_mad_i32_i24 v8, v200, v25, v8
	s_delay_alu instid0(VALU_DEP_1) | instskip(SKIP_2) | instid1(VALU_DEP_1)
	v_add3_u32 v8, v8, v9, v10
	v_mul_i32_i24_e32 v9, v219, v221
	v_mul_i32_i24_e32 v10, v202, v204
	v_add3_u32 v46, v7, v9, v10
	v_mul_i32_i24_e32 v7, v220, v215
	v_mul_i32_i24_e32 v9, v203, v201
	v_add_nc_u32_e32 v10, 0x404, v70
	s_delay_alu instid0(VALU_DEP_2) | instskip(SKIP_2) | instid1(VALU_DEP_1)
	v_add3_u32 v48, v6, v7, v9
	v_mul_i32_i24_e32 v6, v225, v216
	v_mul_i32_i24_e32 v7, v214, v209
	v_add3_u32 v47, v8, v6, v7
	v_lshrrev_b16 v6, 8, v39
	v_add_nc_u32_e32 v7, 0x2100, v165
	s_delay_alu instid0(VALU_DEP_2)
	v_bfe_i32 v39, v6, 0, 8
	v_add_nc_u32_e32 v6, 0x1088, v165
	ds_load_2addr_b32 v[52:53], v20 offset1:1
	ds_load_2addr_b32 v[20:21], v6 offset1:1
	ds_load_2addr_b32 v[50:51], v7 offset1:1
	s_wait_dscnt 0x2
	v_and_b32_e32 v211, 15, v52
	v_bfe_u32 v210, v52, 8, 4
	v_bfe_u32 v205, v52, 16, 4
	;; [unrolled: 1-line block ×3, first 2 shown]
	s_wait_dscnt 0x0
	v_and_b32_e32 v212, 15, v50
	v_mul_i32_i24_e32 v6, v25, v211
	v_bfe_u32 v213, v50, 8, 4
	v_mul_i32_i24_e32 v7, v0, v205
	v_mul_i32_i24_e32 v8, v24, v206
	v_bfe_u32 v207, v50, 16, 4
	v_mad_i32_i24 v6, v39, v210, v6
	v_bfe_u32 v208, v50, 24, 4
	v_bfe_u32 v11, v52, 4, 4
	;; [unrolled: 1-line block ×3, first 2 shown]
	v_lshrrev_b32_e32 v14, 28, v52
	v_add3_u32 v6, v6, v7, v8
	v_mul_i32_i24_e32 v7, v25, v212
	v_mul_i32_i24_e32 v8, v0, v207
	;; [unrolled: 1-line block ×3, first 2 shown]
	v_bfe_u32 v19, v50, 12, 4
	v_bfe_u32 v49, v50, 4, 4
	v_mad_i32_i24 v7, v39, v213, v7
	v_bfe_u32 v74, v50, 20, 4
	v_lshrrev_b32_e32 v75, 28, v50
	v_bfe_u32 v127, v51, 8, 4
	v_bfe_u32 v128, v51, 24, 4
	v_add3_u32 v7, v7, v8, v9
	v_add_nc_u32_e32 v8, 0x3180, v165
	v_add_nc_u32_e32 v9, 0x3188, v165
	ds_load_2addr_b32 v[61:62], v8 offset1:1
	ds_load_2addr_b32 v[22:23], v9 offset1:1
	;; [unrolled: 1-line block ×3, first 2 shown]
	ds_load_2addr_b32 v[28:29], v252 offset0:4 offset1:7
	ds_load_2addr_b32 v[31:32], v253 offset0:4 offset1:7
	s_wait_dscnt 0x4
	v_and_b32_e32 v222, 15, v61
	v_bfe_u32 v217, v61, 16, 4
	v_bfe_u32 v218, v61, 24, 4
	;; [unrolled: 1-line block ×3, first 2 shown]
	s_wait_dscnt 0x1
	v_bfe_i32 v10, v28, 8, 8
	v_mul_i32_i24_e32 v8, v25, v222
	v_mul_i32_i24_e32 v0, v0, v217
	;; [unrolled: 1-line block ×3, first 2 shown]
	v_bfe_i32 v12, v28, 0, 8
	v_bfe_i32 v15, v28, 16, 8
	v_mad_i32_i24 v8, v39, v223, v8
	v_ashrrev_i32_e32 v16, 24, v28
	v_bfe_u32 v56, v61, 12, 4
	v_bfe_u32 v57, v61, 4, 4
	v_mul_i32_i24_e32 v17, v15, v13
	v_add3_u32 v8, v8, v0, v9
	v_bfe_u32 v9, v52, 12, 4
	v_mul_i32_i24_e32 v18, v16, v14
	v_mul_i32_i24_e32 v24, v16, v75
	v_bfe_u32 v77, v61, 20, 4
	v_lshrrev_b32_e32 v78, 28, v61
	v_mul_i32_i24_e32 v0, v10, v9
	s_wait_dscnt 0x0
	v_bfe_i32 v79, v31, 8, 8
	v_bfe_i32 v80, v31, 0, 8
	;; [unrolled: 1-line block ×3, first 2 shown]
	v_ashrrev_i32_e32 v82, 24, v31
	v_mad_i32_i24 v0, v12, v11, v0
	ds_load_2addr_b32 v[30:31], v254 offset0:4 offset1:7
	ds_load_2addr_b32 v[27:28], v255 offset0:4 offset1:7
	v_bfe_i32 v52, v36, 16, 8
	v_ashrrev_i32_e32 v118, 24, v54
	v_add3_u32 v18, v0, v17, v18
	v_mul_i32_i24_e32 v0, v10, v19
	v_mul_i32_i24_e32 v17, v15, v74
	v_bfe_u32 v130, v62, 8, 4
	v_bfe_u32 v132, v62, 24, 4
	s_delay_alu instid0(VALU_DEP_4) | instskip(NEXT) | instid1(VALU_DEP_1)
	v_mad_i32_i24 v0, v12, v49, v0
	v_add3_u32 v50, v0, v17, v24
	v_mul_i32_i24_e32 v0, v10, v56
	v_mul_i32_i24_e32 v17, v15, v77
	;; [unrolled: 1-line block ×3, first 2 shown]
	s_wait_dscnt 0x1
	v_bfe_i32 v83, v30, 8, 8
	v_mad_i32_i24 v0, v12, v57, v0
	v_bfe_i32 v84, v30, 0, 8
	v_bfe_i32 v85, v30, 16, 8
	v_ashrrev_i32_e32 v86, 24, v30
	s_wait_dscnt 0x0
	v_bfe_i32 v87, v27, 8, 8
	v_add3_u32 v58, v0, v17, v24
	v_mul_i32_i24_e32 v0, v79, v9
	v_mul_i32_i24_e32 v17, v81, v13
	;; [unrolled: 1-line block ×3, first 2 shown]
	v_bfe_i32 v88, v27, 0, 8
	v_bfe_i32 v89, v27, 16, 8
	v_mad_i32_i24 v0, v80, v11, v0
	v_ashrrev_i32_e32 v90, 24, v27
	ds_load_2addr_b32 v[26:27], v2 offset0:4 offset1:7
	v_add3_u32 v59, v0, v17, v24
	v_mul_i32_i24_e32 v0, v79, v19
	v_mul_i32_i24_e32 v17, v81, v74
	v_mul_i32_i24_e32 v24, v82, v75
	s_delay_alu instid0(VALU_DEP_3) | instskip(NEXT) | instid1(VALU_DEP_1)
	v_mad_i32_i24 v0, v80, v49, v0
	v_add3_u32 v63, v0, v17, v24
	v_mul_i32_i24_e32 v0, v79, v56
	v_mul_i32_i24_e32 v17, v81, v77
	;; [unrolled: 1-line block ×3, first 2 shown]
	s_delay_alu instid0(VALU_DEP_3)
	v_mad_i32_i24 v0, v80, v57, v0
	s_wait_dscnt 0x0
	v_bfe_i32 v93, v26, 8, 8
	v_bfe_i32 v94, v26, 0, 8
	;; [unrolled: 1-line block ×3, first 2 shown]
	v_ashrrev_i32_e32 v96, 24, v26
	v_add3_u32 v64, v0, v17, v24
	v_mul_i32_i24_e32 v0, v83, v9
	v_mul_i32_i24_e32 v17, v85, v13
	;; [unrolled: 1-line block ×4, first 2 shown]
	s_delay_alu instid0(VALU_DEP_4) | instskip(NEXT) | instid1(VALU_DEP_1)
	v_mad_i32_i24 v0, v84, v11, v0
	v_add3_u32 v65, v0, v17, v24
	v_mul_i32_i24_e32 v0, v83, v19
	v_mul_i32_i24_e32 v17, v85, v74
	v_mul_i32_i24_e32 v24, v86, v75
	s_delay_alu instid0(VALU_DEP_3) | instskip(NEXT) | instid1(VALU_DEP_1)
	v_mad_i32_i24 v0, v84, v49, v0
	v_add3_u32 v66, v0, v17, v24
	v_mul_i32_i24_e32 v0, v83, v56
	v_mul_i32_i24_e32 v17, v85, v77
	v_mul_i32_i24_e32 v24, v86, v78
	s_delay_alu instid0(VALU_DEP_3) | instskip(NEXT) | instid1(VALU_DEP_1)
	;; [unrolled: 6-line block ×5, first 2 shown]
	v_mad_i32_i24 v0, v88, v57, v0
	v_add3_u32 v92, v0, v17, v24
	v_mul_i32_i24_e32 v17, v93, v9
	v_mul_i32_i24_e32 v24, v95, v13
	s_delay_alu instid0(VALU_DEP_2) | instskip(NEXT) | instid1(VALU_DEP_1)
	v_mad_i32_i24 v17, v94, v11, v17
	v_add3_u32 v97, v17, v24, v25
	v_mul_i32_i24_e32 v17, v93, v19
	v_mul_i32_i24_e32 v24, v95, v74
	;; [unrolled: 1-line block ×3, first 2 shown]
	s_delay_alu instid0(VALU_DEP_3) | instskip(NEXT) | instid1(VALU_DEP_1)
	v_mad_i32_i24 v17, v94, v49, v17
	v_add3_u32 v98, v17, v24, v25
	v_mul_i32_i24_e32 v17, v93, v56
	v_mul_i32_i24_e32 v24, v95, v77
	;; [unrolled: 1-line block ×3, first 2 shown]
	s_delay_alu instid0(VALU_DEP_3) | instskip(NEXT) | instid1(VALU_DEP_1)
	v_mad_i32_i24 v17, v94, v57, v17
	v_add3_u32 v99, v17, v24, v25
	ds_load_2addr_b32 v[25:26], v119 offset0:4 offset1:7
	s_wait_dscnt 0x0
	v_bfe_i32 v100, v25, 8, 8
	v_bfe_i32 v101, v25, 0, 8
	;; [unrolled: 1-line block ×3, first 2 shown]
	v_ashrrev_i32_e32 v103, 24, v25
	s_delay_alu instid0(VALU_DEP_4) | instskip(NEXT) | instid1(VALU_DEP_3)
	v_mul_i32_i24_e32 v17, v100, v9
	v_mul_i32_i24_e32 v24, v102, v13
	s_delay_alu instid0(VALU_DEP_3) | instskip(NEXT) | instid1(VALU_DEP_3)
	v_mul_i32_i24_e32 v25, v103, v14
	v_mad_i32_i24 v17, v101, v11, v17
	s_delay_alu instid0(VALU_DEP_1) | instskip(SKIP_3) | instid1(VALU_DEP_3)
	v_add3_u32 v104, v17, v24, v25
	v_mul_i32_i24_e32 v17, v100, v19
	v_mul_i32_i24_e32 v24, v102, v74
	;; [unrolled: 1-line block ×3, first 2 shown]
	v_mad_i32_i24 v17, v101, v49, v17
	s_delay_alu instid0(VALU_DEP_1) | instskip(SKIP_3) | instid1(VALU_DEP_3)
	v_add3_u32 v105, v17, v24, v25
	v_mul_i32_i24_e32 v17, v100, v56
	v_mul_i32_i24_e32 v24, v102, v77
	;; [unrolled: 1-line block ×3, first 2 shown]
	v_mad_i32_i24 v17, v101, v57, v17
	s_delay_alu instid0(VALU_DEP_1)
	v_add3_u32 v106, v17, v24, v25
	ds_load_2addr_b32 v[24:25], v121 offset0:4 offset1:7
	s_wait_dscnt 0x0
	v_bfe_i32 v107, v24, 8, 8
	v_bfe_i32 v108, v24, 0, 8
	v_bfe_i32 v109, v24, 16, 8
	v_ashrrev_i32_e32 v110, 24, v24
	s_delay_alu instid0(VALU_DEP_4) | instskip(NEXT) | instid1(VALU_DEP_3)
	v_mul_i32_i24_e32 v17, v107, v9
	v_mul_i32_i24_e32 v24, v109, v13
	s_delay_alu instid0(VALU_DEP_3) | instskip(SKIP_1) | instid1(VALU_DEP_4)
	v_mul_i32_i24_e32 v30, v110, v14
	v_mul_i32_i24_e32 v13, v248, v13
	v_mad_i32_i24 v17, v108, v11, v17
	v_mul_i32_i24_e32 v11, v45, v11
	v_mul_i32_i24_e32 v14, v249, v14
	s_delay_alu instid0(VALU_DEP_3) | instskip(SKIP_3) | instid1(VALU_DEP_3)
	v_add3_u32 v111, v17, v24, v30
	v_mul_i32_i24_e32 v17, v107, v19
	v_mul_i32_i24_e32 v24, v109, v74
	;; [unrolled: 1-line block ×3, first 2 shown]
	v_mad_i32_i24 v17, v108, v49, v17
	s_delay_alu instid0(VALU_DEP_1) | instskip(SKIP_3) | instid1(VALU_DEP_3)
	v_add3_u32 v112, v17, v24, v30
	v_mul_i32_i24_e32 v17, v107, v56
	v_mul_i32_i24_e32 v24, v109, v77
	;; [unrolled: 1-line block ×3, first 2 shown]
	v_mad_i32_i24 v17, v108, v57, v17
	s_delay_alu instid0(VALU_DEP_1) | instskip(SKIP_3) | instid1(VALU_DEP_3)
	v_add3_u32 v114, v17, v24, v30
	v_and_b32_e32 v17, 0xf0f0f0f, v41
	v_lshrrev_b32_e32 v24, 4, v41
	v_lshrrev_b16 v30, 8, v35
	v_lshrrev_b16 v17, 8, v17
	s_delay_alu instid0(VALU_DEP_3) | instskip(NEXT) | instid1(VALU_DEP_3)
	v_lshrrev_b16 v24, 8, v24
	v_bfe_i32 v35, v30, 0, 8
	v_and_b32_e32 v30, 0xf0f0f0f, v42
	v_lshrrev_b32_e32 v42, 4, v42
	s_delay_alu instid0(VALU_DEP_4) | instskip(SKIP_1) | instid1(VALU_DEP_4)
	v_and_b32_e32 v41, 15, v24
	v_and_b32_e32 v24, 0xffff, v17
	v_lshrrev_b16 v30, 8, v30
	v_mul_i32_i24_e32 v9, v35, v9
	v_lshrrev_b16 v42, 8, v42
	v_and_b32_e32 v41, 0xffff, v41
	v_mul_i32_i24_e32 v17, v24, v39
	v_and_b32_e32 v115, 0xffff, v30
	v_bfe_i32 v39, v43, 8, 8
	v_add3_u32 v6, v6, v9, v11
	v_mul_i32_i24_e32 v43, v41, v35
	v_mul_i32_i24_e32 v9, v45, v49
	;; [unrolled: 1-line block ×4, first 2 shown]
	v_bfe_i32 v19, v54, 8, 8
	v_add_nc_u32_e32 v49, 0x1404, v70
	v_mul_i32_i24_e32 v10, v41, v10
	v_add3_u32 v7, v7, v11, v9
	v_add3_u32 v43, v17, v43, v30
	v_bfe_u32 v30, v34, 20, 4
	v_mul_i32_i24_e32 v9, v45, v57
	v_mul_i32_i24_e32 v11, v35, v56
	;; [unrolled: 1-line block ×6, first 2 shown]
	v_add3_u32 v8, v8, v11, v9
	v_bfe_u32 v9, v53, 8, 4
	v_bfe_u32 v11, v53, 24, 4
	v_add3_u32 v17, v48, v17, v60
	v_mul_i32_i24_e32 v48, v243, v247
	v_mul_i32_i24_e32 v60, v226, v229
	;; [unrolled: 1-line block ×6, first 2 shown]
	v_add3_u32 v116, v46, v48, v60
	v_mul_i32_i24_e32 v46, v251, v238
	v_mul_i32_i24_e32 v48, v233, v230
	v_add3_u32 v18, v18, v45, v35
	v_mul_i32_i24_e32 v35, v19, v127
	v_mul_i32_i24_e32 v45, v118, v128
	v_mad_i32_i24 v10, v250, v12, v10
	v_add3_u32 v76, v47, v46, v48
	v_mul_i32_i24_e32 v46, v118, v132
	v_add_nc_u32_e32 v47, 0xc04, v70
	v_add3_u32 v35, v50, v45, v35
	v_mul_i32_i24_e32 v45, v19, v130
	v_mad_i32_i24 v12, v250, v80, v79
	v_mad_i32_i24 v80, v250, v88, v87
	v_mul_i32_i24_e32 v100, v41, v100
	v_mad_i32_i24 v79, v250, v84, v83
	v_add3_u32 v134, v58, v46, v45
	v_add_nc_u32_e32 v45, 0x804, v70
	v_add_nc_u32_e32 v46, 0x814, v70
	ds_load_2addr_b32 v[60:61], v45 offset1:1
	ds_load_2addr_b32 v[45:46], v46 offset1:1
	;; [unrolled: 1-line block ×3, first 2 shown]
	v_mad_i32_i24 v83, v250, v94, v93
	v_mad_i32_i24 v84, v250, v101, v100
	v_add3_u32 v6, v6, v13, v14
	v_mul_i32_i24_e32 v13, v248, v74
	v_mul_i32_i24_e32 v14, v249, v75
	;; [unrolled: 1-line block ×3, first 2 shown]
	v_and_b32_e32 v42, 15, v42
	v_bfe_u32 v74, v51, 16, 4
	v_bfe_u32 v75, v62, 16, 4
	v_add3_u32 v7, v7, v13, v14
	v_mul_i32_i24_e32 v13, v248, v77
	v_mul_i32_i24_e32 v14, v249, v78
	v_mad_i32_i24 v41, v250, v108, v41
	v_and_b32_e32 v250, 0xffff, v42
	s_delay_alu instid0(VALU_DEP_3)
	v_add3_u32 v8, v8, v13, v14
	s_wait_dscnt 0x2
	v_bfe_i32 v136, v60, 8, 8
	v_ashrrev_i32_e32 v138, 24, v60
	s_wait_dscnt 0x0
	v_bfe_i32 v146, v56, 8, 8
	v_ashrrev_i32_e32 v148, 24, v56
	v_mul_i32_i24_e32 v13, v244, v15
	v_mul_i32_i24_e32 v47, v136, v9
	;; [unrolled: 1-line block ×4, first 2 shown]
	v_bfe_i32 v15, v54, 0, 8
	v_bfe_i32 v16, v54, 16, 8
	;; [unrolled: 1-line block ×3, first 2 shown]
	v_add3_u32 v140, v59, v48, v47
	v_mul_i32_i24_e32 v47, v136, v127
	v_mul_i32_i24_e32 v48, v138, v128
	v_add3_u32 v10, v10, v13, v14
	v_and_b32_e32 v13, 15, v53
	v_bfe_u32 v14, v53, 16, 4
	s_delay_alu instid0(VALU_DEP_4) | instskip(SKIP_2) | instid1(VALU_DEP_1)
	v_add3_u32 v142, v63, v48, v47
	v_mul_i32_i24_e32 v47, v136, v130
	v_mul_i32_i24_e32 v48, v138, v132
	v_add3_u32 v144, v64, v48, v47
	v_mul_i32_i24_e32 v47, v146, v9
	v_mul_i32_i24_e32 v48, v148, v11
	s_delay_alu instid0(VALU_DEP_1) | instskip(SKIP_3) | instid1(VALU_DEP_2)
	v_add3_u32 v172, v65, v48, v47
	v_mul_i32_i24_e32 v47, v146, v127
	v_mul_i32_i24_e32 v48, v148, v128
	v_add_nc_u32_e32 v65, 0x1c04, v70
	v_add3_u32 v173, v66, v48, v47
	v_mul_i32_i24_e32 v47, v146, v130
	v_mul_i32_i24_e32 v48, v148, v132
	s_delay_alu instid0(VALU_DEP_1)
	v_add3_u32 v174, v67, v48, v47
	v_add_nc_u32_e32 v47, 0x1004, v70
	v_add_nc_u32_e32 v48, 0x1014, v70
	ds_load_2addr_b32 v[63:64], v47 offset1:1
	ds_load_2addr_b32 v[47:48], v48 offset1:1
	ds_load_2addr_b32 v[58:59], v49 offset1:1
	s_wait_dscnt 0x2
	v_bfe_i32 v175, v63, 8, 8
	v_ashrrev_i32_e32 v0, 24, v63
	s_wait_dscnt 0x0
	v_bfe_i32 v71, v58, 8, 8
	v_ashrrev_i32_e32 v168, 24, v58
	v_mul_i32_i24_e32 v49, v175, v9
	v_mul_i32_i24_e32 v50, v0, v11
	s_delay_alu instid0(VALU_DEP_1) | instskip(SKIP_2) | instid1(VALU_DEP_1)
	v_add3_u32 v1, v68, v50, v49
	v_mul_i32_i24_e32 v49, v175, v127
	v_mul_i32_i24_e32 v50, v0, v128
	v_add3_u32 v91, v91, v50, v49
	v_mul_i32_i24_e32 v49, v175, v130
	v_mul_i32_i24_e32 v50, v0, v132
	;; [unrolled: 1-line block ×3, first 2 shown]
	s_delay_alu instid0(VALU_DEP_2) | instskip(SKIP_2) | instid1(VALU_DEP_1)
	v_add3_u32 v92, v92, v50, v49
	v_mul_i32_i24_e32 v49, v71, v9
	v_mul_i32_i24_e32 v50, v168, v11
	v_add3_u32 v97, v97, v50, v49
	v_mul_i32_i24_e32 v49, v71, v127
	v_mul_i32_i24_e32 v50, v168, v128
	s_delay_alu instid0(VALU_DEP_1) | instskip(SKIP_2) | instid1(VALU_DEP_1)
	v_add3_u32 v98, v98, v50, v49
	v_mul_i32_i24_e32 v49, v71, v130
	v_mul_i32_i24_e32 v50, v168, v132
	v_add3_u32 v99, v99, v50, v49
	v_add_nc_u32_e32 v49, 0x1804, v70
	v_add_nc_u32_e32 v50, 0x1814, v70
	ds_load_2addr_b32 v[67:68], v49 offset1:1
	ds_load_2addr_b32 v[49:50], v50 offset1:1
	;; [unrolled: 1-line block ×3, first 2 shown]
	s_wait_dscnt 0x2
	v_bfe_i32 v169, v67, 8, 8
	v_ashrrev_i32_e32 v170, 24, v67
	s_wait_dscnt 0x0
	v_bfe_i32 v87, v65, 8, 8
	v_ashrrev_i32_e32 v88, 24, v65
	v_mul_i32_i24_e32 v123, v169, v9
	v_mul_i32_i24_e32 v124, v170, v11
	s_delay_alu instid0(VALU_DEP_4) | instskip(NEXT) | instid1(VALU_DEP_4)
	v_mul_i32_i24_e32 v93, v87, v9
	v_mul_i32_i24_e32 v94, v88, v11
	v_mul_i32_i24_e32 v100, v88, v128
	v_mul_i32_i24_e32 v101, v88, v132
	v_add3_u32 v104, v104, v124, v123
	v_mul_i32_i24_e32 v123, v169, v127
	v_mul_i32_i24_e32 v124, v170, v128
	v_add3_u32 v93, v111, v94, v93
	v_mul_i32_i24_e32 v94, v87, v127
	v_mul_i32_i24_e32 v9, v39, v9
	v_mul_i32_i24_e32 v11, v240, v11
	v_add3_u32 v105, v105, v124, v123
	v_mul_i32_i24_e32 v123, v169, v130
	v_mul_i32_i24_e32 v124, v170, v132
	v_add3_u32 v94, v112, v100, v94
	v_mul_i32_i24_e32 v100, v87, v130
	s_delay_alu instid0(VALU_DEP_3) | instskip(SKIP_2) | instid1(VALU_DEP_4)
	v_add3_u32 v106, v106, v124, v123
	v_bfe_i32 v124, v44, 8, 8
	v_and_b32_e32 v44, 0xf0f0f0f, v33
	v_add3_u32 v100, v114, v101, v100
	v_bfe_i32 v101, v37, 8, 8
	v_lshrrev_b32_e32 v33, 4, v33
	v_bfe_u32 v114, v51, 4, 4
	v_lshrrev_b16 v44, 8, v44
	s_delay_alu instid0(VALU_DEP_4) | instskip(NEXT) | instid1(VALU_DEP_4)
	v_mul_i32_i24_e32 v42, v101, v250
	v_lshrrev_b16 v33, 8, v33
	s_delay_alu instid0(VALU_DEP_3) | instskip(SKIP_1) | instid1(VALU_DEP_3)
	v_and_b32_e32 v123, 0xffff, v44
	v_mul_i32_i24_e32 v44, v16, v74
	v_and_b32_e32 v33, 15, v33
	s_delay_alu instid0(VALU_DEP_3) | instskip(NEXT) | instid1(VALU_DEP_1)
	v_mul_i32_i24_e32 v37, v124, v123
	v_add3_u32 v37, v43, v42, v37
	v_mul_i32_i24_e32 v42, v15, v13
	v_mul_i32_i24_e32 v43, v16, v14
	s_delay_alu instid0(VALU_DEP_1) | instskip(SKIP_1) | instid1(VALU_DEP_1)
	v_add3_u32 v18, v18, v42, v43
	v_and_b32_e32 v42, 15, v51
	v_mul_i32_i24_e32 v43, v15, v42
	s_delay_alu instid0(VALU_DEP_1) | instskip(SKIP_2) | instid1(VALU_DEP_2)
	v_add3_u32 v54, v35, v43, v44
	v_and_b32_e32 v43, 15, v62
	v_mul_i32_i24_e32 v44, v16, v75
	v_mul_i32_i24_e32 v35, v15, v43
	s_delay_alu instid0(VALU_DEP_1)
	v_add3_u32 v77, v134, v35, v44
	v_mul_i32_i24_e32 v35, v244, v81
	v_mul_i32_i24_e32 v44, v246, v82
	v_bfe_i32 v81, v60, 16, 8
	v_bfe_i32 v60, v40, 8, 8
	v_lshrrev_b32_e32 v134, 28, v62
	s_delay_alu instid0(VALU_DEP_4) | instskip(SKIP_2) | instid1(VALU_DEP_1)
	v_add3_u32 v12, v12, v35, v44
	v_mul_i32_i24_e32 v35, v78, v13
	v_mul_i32_i24_e32 v44, v81, v14
	v_add3_u32 v82, v140, v35, v44
	v_mul_i32_i24_e32 v35, v78, v42
	v_mul_i32_i24_e32 v44, v81, v74
	s_delay_alu instid0(VALU_DEP_1) | instskip(SKIP_2) | instid1(VALU_DEP_1)
	v_add3_u32 v107, v142, v35, v44
	v_mul_i32_i24_e32 v35, v78, v43
	v_mul_i32_i24_e32 v44, v81, v75
	v_add3_u32 v108, v144, v35, v44
	v_mul_i32_i24_e32 v35, v244, v85
	v_mul_i32_i24_e32 v44, v246, v86
	v_bfe_i32 v85, v56, 0, 8
	v_bfe_i32 v86, v56, 16, 8
	s_delay_alu instid0(VALU_DEP_3) | instskip(NEXT) | instid1(VALU_DEP_3)
	v_add3_u32 v79, v79, v35, v44
	v_mul_i32_i24_e32 v35, v85, v13
	s_delay_alu instid0(VALU_DEP_3) | instskip(NEXT) | instid1(VALU_DEP_1)
	v_mul_i32_i24_e32 v44, v86, v14
	v_add3_u32 v56, v172, v35, v44
	v_mul_i32_i24_e32 v35, v85, v42
	v_mul_i32_i24_e32 v44, v86, v74
	s_delay_alu instid0(VALU_DEP_1) | instskip(SKIP_2) | instid1(VALU_DEP_1)
	v_add3_u32 v111, v173, v35, v44
	v_mul_i32_i24_e32 v35, v85, v43
	v_mul_i32_i24_e32 v44, v86, v75
	v_add3_u32 v112, v174, v35, v44
	v_mul_i32_i24_e32 v35, v244, v89
	v_mul_i32_i24_e32 v44, v246, v90
	v_bfe_i32 v89, v63, 0, 8
	v_bfe_i32 v90, v63, 16, 8
	v_and_b32_e32 v63, 0xffff, v33
	s_delay_alu instid0(VALU_DEP_4) | instskip(NEXT) | instid1(VALU_DEP_4)
	v_add3_u32 v80, v80, v35, v44
	v_mul_i32_i24_e32 v35, v89, v13
	s_delay_alu instid0(VALU_DEP_4) | instskip(NEXT) | instid1(VALU_DEP_1)
	v_mul_i32_i24_e32 v44, v90, v14
	v_add3_u32 v1, v1, v35, v44
	v_mul_i32_i24_e32 v35, v89, v42
	v_mul_i32_i24_e32 v44, v90, v74
	s_delay_alu instid0(VALU_DEP_1) | instskip(SKIP_4) | instid1(VALU_DEP_3)
	v_add3_u32 v91, v91, v35, v44
	v_mul_i32_i24_e32 v35, v89, v43
	v_mul_i32_i24_e32 v44, v90, v75
	;; [unrolled: 1-line block ×4, first 2 shown]
	v_add3_u32 v92, v92, v35, v44
	v_mul_i32_i24_e32 v35, v244, v95
	v_mul_i32_i24_e32 v44, v246, v96
	v_bfe_i32 v95, v58, 0, 8
	v_bfe_i32 v96, v58, 16, 8
	s_delay_alu instid0(VALU_DEP_3) | instskip(NEXT) | instid1(VALU_DEP_3)
	v_add3_u32 v83, v83, v35, v44
	v_mul_i32_i24_e32 v35, v95, v13
	s_delay_alu instid0(VALU_DEP_3) | instskip(NEXT) | instid1(VALU_DEP_1)
	v_mul_i32_i24_e32 v44, v96, v14
	v_add3_u32 v97, v97, v35, v44
	v_mul_i32_i24_e32 v35, v95, v42
	v_mul_i32_i24_e32 v44, v96, v74
	s_delay_alu instid0(VALU_DEP_1) | instskip(SKIP_2) | instid1(VALU_DEP_1)
	v_add3_u32 v98, v98, v35, v44
	v_mul_i32_i24_e32 v35, v95, v43
	v_mul_i32_i24_e32 v44, v96, v75
	v_add3_u32 v99, v99, v35, v44
	v_mul_i32_i24_e32 v35, v244, v102
	v_mul_i32_i24_e32 v44, v246, v103
	v_bfe_i32 v102, v67, 0, 8
	v_bfe_i32 v67, v67, 16, 8
	s_delay_alu instid0(VALU_DEP_3) | instskip(NEXT) | instid1(VALU_DEP_3)
	v_add3_u32 v84, v84, v35, v44
	v_mul_i32_i24_e32 v35, v102, v13
	s_delay_alu instid0(VALU_DEP_3) | instskip(NEXT) | instid1(VALU_DEP_1)
	v_mul_i32_i24_e32 v44, v67, v14
	v_add3_u32 v103, v104, v35, v44
	v_mul_i32_i24_e32 v35, v102, v42
	v_mul_i32_i24_e32 v44, v67, v74
	s_delay_alu instid0(VALU_DEP_1) | instskip(SKIP_3) | instid1(VALU_DEP_2)
	v_add3_u32 v104, v105, v35, v44
	v_mul_i32_i24_e32 v35, v102, v43
	v_mul_i32_i24_e32 v44, v67, v75
	;; [unrolled: 1-line block ×3, first 2 shown]
	v_add3_u32 v105, v106, v35, v44
	v_mul_i32_i24_e32 v35, v244, v109
	v_mul_i32_i24_e32 v44, v246, v110
	v_bfe_i32 v109, v65, 0, 8
	v_bfe_i32 v65, v65, 16, 8
	s_delay_alu instid0(VALU_DEP_3) | instskip(NEXT) | instid1(VALU_DEP_3)
	v_add3_u32 v106, v41, v35, v44
	v_mul_i32_i24_e32 v35, v109, v13
	v_mul_i32_i24_e32 v13, v245, v13
	s_delay_alu instid0(VALU_DEP_4) | instskip(SKIP_1) | instid1(VALU_DEP_3)
	v_mul_i32_i24_e32 v41, v65, v14
	v_mul_i32_i24_e32 v14, v239, v14
	v_add3_u32 v6, v6, v9, v13
	v_mul_i32_i24_e32 v9, v245, v42
	v_mul_i32_i24_e32 v13, v39, v127
	v_add3_u32 v93, v93, v35, v41
	;; [unrolled: 3-line block ×3, first 2 shown]
	v_add3_u32 v7, v7, v13, v9
	v_mul_i32_i24_e32 v9, v245, v43
	v_mul_i32_i24_e32 v13, v39, v130
	v_add3_u32 v94, v94, v35, v41
	v_mul_i32_i24_e32 v35, v109, v43
	v_mul_i32_i24_e32 v41, v65, v75
	v_bfe_u32 v130, v62, 4, 4
	v_add3_u32 v8, v8, v13, v9
	v_mul_i32_i24_e32 v9, v118, v241
	v_mul_i32_i24_e32 v13, v19, v115
	v_add3_u32 v100, v100, v35, v41
	v_bfe_i32 v35, v38, 8, 8
	v_and_b32_e32 v38, 0xf0f0f0f, v34
	v_lshrrev_b32_e32 v118, 28, v51
	v_add3_u32 v9, v10, v9, v13
	v_add_nc_u32_e32 v10, 0x414, v70
	v_lshrrev_b32_e32 v13, 28, v53
	v_lshrrev_b16 v38, 8, v38
	v_lshrrev_b32_e32 v34, 4, v34
	v_mul_i32_i24_e32 v11, v239, v74
	ds_load_2addr_b32 v[43:44], v10 offset1:1
	v_bfe_u32 v10, v53, 4, 4
	v_and_b32_e32 v58, 0xffff, v38
	v_mul_i32_i24_e32 v38, v35, v63
	v_lshrrev_b16 v34, 8, v34
	v_mul_i32_i24_e32 v14, v240, v128
	v_mul_i32_i24_e32 v65, v65, v234
	;; [unrolled: 1-line block ×3, first 2 shown]
	s_delay_alu instid0(VALU_DEP_4) | instskip(NEXT) | instid1(VALU_DEP_4)
	v_and_b32_e32 v34, 15, v34
	v_add3_u32 v7, v7, v11, v14
	v_mul_i32_i24_e32 v11, v239, v75
	s_delay_alu instid0(VALU_DEP_4) | instskip(SKIP_2) | instid1(VALU_DEP_2)
	v_add3_u32 v33, v37, v38, v33
	v_mul_i32_i24_e32 v14, v240, v132
	v_mul_i32_i24_e32 v75, v81, v234
	v_add3_u32 v8, v8, v11, v14
	v_mul_i32_i24_e32 v11, v15, v236
	s_wait_dscnt 0x0
	v_bfe_i32 v19, v43, 0, 8
	v_ashrrev_i32_e32 v110, 24, v43
	v_mul_i32_i24_e32 v14, v16, v234
	v_bfe_i32 v15, v43, 8, 8
	v_bfe_i32 v16, v43, 16, 8
	v_mul_i32_i24_e32 v37, v19, v10
	v_mul_i32_i24_e32 v38, v110, v13
	v_add3_u32 v9, v9, v11, v14
	v_bfe_u32 v11, v53, 20, 4
	v_bfe_u32 v14, v53, 12, 4
	;; [unrolled: 1-line block ×3, first 2 shown]
	v_add3_u32 v18, v18, v38, v37
	v_mul_i32_i24_e32 v37, v19, v114
	v_mul_i32_i24_e32 v38, v110, v118
	s_delay_alu instid0(VALU_DEP_4) | instskip(NEXT) | instid1(VALU_DEP_2)
	v_mul_i32_i24_e32 v74, v16, v53
	v_add3_u32 v127, v54, v38, v37
	v_mul_i32_i24_e32 v37, v19, v130
	v_mul_i32_i24_e32 v38, v110, v134
	s_delay_alu instid0(VALU_DEP_1) | instskip(SKIP_4) | instid1(VALU_DEP_3)
	v_add3_u32 v77, v77, v38, v37
	v_mul_i32_i24_e32 v37, v138, v241
	v_mul_i32_i24_e32 v38, v136, v115
	v_bfe_i32 v136, v45, 0, 8
	v_ashrrev_i32_e32 v138, 24, v45
	v_add3_u32 v12, v12, v37, v38
	s_delay_alu instid0(VALU_DEP_3) | instskip(NEXT) | instid1(VALU_DEP_3)
	v_mul_i32_i24_e32 v37, v136, v10
	v_mul_i32_i24_e32 v38, v138, v13
	s_delay_alu instid0(VALU_DEP_1) | instskip(SKIP_2) | instid1(VALU_DEP_1)
	v_add3_u32 v82, v82, v38, v37
	v_mul_i32_i24_e32 v37, v136, v114
	v_mul_i32_i24_e32 v38, v138, v118
	v_add3_u32 v107, v107, v38, v37
	v_mul_i32_i24_e32 v37, v136, v130
	v_mul_i32_i24_e32 v38, v138, v134
	s_delay_alu instid0(VALU_DEP_1) | instskip(SKIP_3) | instid1(VALU_DEP_2)
	v_add3_u32 v108, v108, v38, v37
	v_mul_i32_i24_e32 v37, v148, v241
	v_mul_i32_i24_e32 v38, v146, v115
	v_ashrrev_i32_e32 v146, 24, v47
	v_add3_u32 v79, v79, v37, v38
	v_add_nc_u32_e32 v37, 0xc14, v70
	ds_load_2addr_b32 v[41:42], v37 offset1:1
	s_wait_dscnt 0x0
	v_bfe_i32 v140, v41, 0, 8
	v_ashrrev_i32_e32 v142, 24, v41
	s_delay_alu instid0(VALU_DEP_2) | instskip(NEXT) | instid1(VALU_DEP_2)
	v_mul_i32_i24_e32 v37, v140, v10
	v_mul_i32_i24_e32 v38, v142, v13
	s_delay_alu instid0(VALU_DEP_1) | instskip(SKIP_2) | instid1(VALU_DEP_1)
	v_add3_u32 v144, v56, v38, v37
	v_mul_i32_i24_e32 v37, v140, v114
	v_mul_i32_i24_e32 v38, v142, v118
	v_add3_u32 v111, v111, v38, v37
	v_mul_i32_i24_e32 v37, v140, v130
	v_mul_i32_i24_e32 v38, v142, v134
	s_delay_alu instid0(VALU_DEP_1) | instskip(SKIP_2) | instid1(VALU_DEP_2)
	v_add3_u32 v112, v112, v38, v37
	v_mul_i32_i24_e32 v37, v175, v115
	v_mul_i32_i24_e32 v38, v146, v13
	v_add3_u32 v0, v80, v0, v37
	v_bfe_i32 v80, v47, 0, 8
	s_delay_alu instid0(VALU_DEP_2) | instskip(NEXT) | instid1(VALU_DEP_2)
	v_add3_u32 v0, v0, v89, v90
	v_mul_i32_i24_e32 v37, v80, v10
	v_bfe_i32 v89, v47, 8, 8
	v_bfe_i32 v47, v47, 16, 8
	s_delay_alu instid0(VALU_DEP_3) | instskip(SKIP_3) | instid1(VALU_DEP_2)
	v_add3_u32 v1, v1, v38, v37
	v_mul_i32_i24_e32 v37, v80, v114
	v_mul_i32_i24_e32 v38, v146, v118
	;; [unrolled: 1-line block ×3, first 2 shown]
	v_add3_u32 v91, v91, v38, v37
	v_mul_i32_i24_e32 v37, v80, v130
	v_mul_i32_i24_e32 v38, v146, v134
	;; [unrolled: 1-line block ×3, first 2 shown]
	s_delay_alu instid0(VALU_DEP_2) | instskip(SKIP_3) | instid1(VALU_DEP_2)
	v_add3_u32 v92, v92, v38, v37
	v_mul_i32_i24_e32 v37, v168, v241
	v_mul_i32_i24_e32 v38, v71, v115
	v_bfe_i32 v168, v49, 0, 8
	v_add3_u32 v71, v83, v37, v38
	v_add_nc_u32_e32 v37, 0x1414, v70
	ds_load_2addr_b32 v[39:40], v37 offset1:1
	s_wait_dscnt 0x0
	v_bfe_i32 v83, v39, 0, 8
	v_ashrrev_i32_e32 v148, 24, v39
	s_delay_alu instid0(VALU_DEP_2) | instskip(NEXT) | instid1(VALU_DEP_2)
	v_mul_i32_i24_e32 v37, v83, v10
	v_mul_i32_i24_e32 v38, v148, v13
	s_delay_alu instid0(VALU_DEP_1) | instskip(SKIP_2) | instid1(VALU_DEP_1)
	v_add3_u32 v97, v97, v38, v37
	v_mul_i32_i24_e32 v37, v83, v114
	v_mul_i32_i24_e32 v38, v148, v118
	v_add3_u32 v98, v98, v38, v37
	v_mul_i32_i24_e32 v37, v83, v130
	v_mul_i32_i24_e32 v38, v148, v134
	;; [unrolled: 1-line block ×3, first 2 shown]
	s_delay_alu instid0(VALU_DEP_2) | instskip(SKIP_3) | instid1(VALU_DEP_2)
	v_add3_u32 v99, v99, v38, v37
	v_mul_i32_i24_e32 v37, v170, v241
	v_mul_i32_i24_e32 v38, v169, v115
	v_ashrrev_i32_e32 v169, 24, v49
	v_add3_u32 v84, v84, v37, v38
	v_mul_i32_i24_e32 v37, v168, v10
	s_delay_alu instid0(VALU_DEP_3) | instskip(NEXT) | instid1(VALU_DEP_1)
	v_mul_i32_i24_e32 v38, v169, v13
	v_add3_u32 v103, v103, v38, v37
	v_mul_i32_i24_e32 v37, v168, v114
	v_mul_i32_i24_e32 v38, v169, v118
	s_delay_alu instid0(VALU_DEP_1) | instskip(SKIP_2) | instid1(VALU_DEP_1)
	v_add3_u32 v104, v104, v38, v37
	v_mul_i32_i24_e32 v37, v168, v130
	v_mul_i32_i24_e32 v38, v169, v134
	v_add3_u32 v105, v105, v38, v37
	v_mul_i32_i24_e32 v37, v88, v241
	v_mul_i32_i24_e32 v38, v87, v115
	s_delay_alu instid0(VALU_DEP_1)
	v_add3_u32 v87, v106, v37, v38
	v_add_nc_u32_e32 v37, 0x1c14, v70
	v_add_nc_u32_e32 v70, 32, v70
	ds_load_2addr_b32 v[37:38], v37 offset1:1
	s_wait_dscnt 0x0
	v_bfe_i32 v88, v37, 0, 8
	v_ashrrev_i32_e32 v106, 24, v37
	s_delay_alu instid0(VALU_DEP_2) | instskip(NEXT) | instid1(VALU_DEP_2)
	v_mul_i32_i24_e32 v54, v88, v10
	v_mul_i32_i24_e32 v56, v106, v13
	;; [unrolled: 1-line block ×4, first 2 shown]
	s_delay_alu instid0(VALU_DEP_3) | instskip(SKIP_2) | instid1(VALU_DEP_1)
	v_add3_u32 v93, v93, v56, v54
	v_mul_i32_i24_e32 v54, v88, v114
	v_mul_i32_i24_e32 v56, v106, v118
	v_add3_u32 v94, v94, v56, v54
	v_mul_i32_i24_e32 v54, v88, v130
	v_mul_i32_i24_e32 v56, v106, v134
	;; [unrolled: 1-line block ×4, first 2 shown]
	s_delay_alu instid0(VALU_DEP_3) | instskip(SKIP_3) | instid1(VALU_DEP_2)
	v_add3_u32 v100, v100, v56, v54
	v_bfe_i32 v56, v36, 8, 8
	v_and_b32_e32 v54, 0xffff, v34
	v_mul_i32_i24_e32 v36, v16, v11
	v_mul_i32_i24_e32 v34, v56, v54
	s_delay_alu instid0(VALU_DEP_1) | instskip(SKIP_1) | instid1(VALU_DEP_1)
	v_add3_u32 v33, v33, v34, v116
	v_mul_i32_i24_e32 v34, v15, v14
	v_add3_u32 v18, v18, v34, v36
	v_bfe_u32 v34, v51, 12, 4
	v_bfe_u32 v36, v51, 20, 4
	s_delay_alu instid0(VALU_DEP_2) | instskip(NEXT) | instid1(VALU_DEP_2)
	v_mul_i32_i24_e32 v43, v15, v34
	v_mul_i32_i24_e32 v51, v16, v36
	s_delay_alu instid0(VALU_DEP_1) | instskip(SKIP_1) | instid1(VALU_DEP_1)
	v_add3_u32 v43, v127, v43, v51
	v_bfe_u32 v51, v62, 12, 4
	v_mul_i32_i24_e32 v62, v15, v51
	s_delay_alu instid0(VALU_DEP_1) | instskip(SKIP_1) | instid1(VALU_DEP_1)
	v_add3_u32 v62, v77, v62, v74
	v_mul_i32_i24_e32 v74, v78, v236
	v_add3_u32 v12, v12, v74, v75
	v_bfe_i32 v74, v45, 8, 8
	v_bfe_i32 v45, v45, 16, 8
	s_delay_alu instid0(VALU_DEP_2) | instskip(NEXT) | instid1(VALU_DEP_2)
	v_mul_i32_i24_e32 v75, v74, v14
	v_mul_i32_i24_e32 v77, v45, v11
	;; [unrolled: 1-line block ×5, first 2 shown]
	s_delay_alu instid0(VALU_DEP_4) | instskip(SKIP_2) | instid1(VALU_DEP_2)
	v_add3_u32 v75, v82, v75, v77
	v_mul_i32_i24_e32 v77, v74, v34
	v_mul_i32_i24_e32 v82, v86, v234
	v_add3_u32 v77, v107, v77, v78
	v_mul_i32_i24_e32 v78, v74, v51
	v_mul_i32_i24_e32 v74, v74, v250
	s_delay_alu instid0(VALU_DEP_2) | instskip(SKIP_1) | instid1(VALU_DEP_1)
	v_add3_u32 v78, v108, v78, v81
	v_mul_i32_i24_e32 v81, v85, v236
	v_add3_u32 v79, v79, v81, v82
	v_bfe_i32 v81, v41, 8, 8
	v_bfe_i32 v41, v41, 16, 8
	s_delay_alu instid0(VALU_DEP_2) | instskip(NEXT) | instid1(VALU_DEP_2)
	v_mul_i32_i24_e32 v82, v81, v14
	v_mul_i32_i24_e32 v85, v41, v11
	;; [unrolled: 1-line block ×5, first 2 shown]
	s_delay_alu instid0(VALU_DEP_4) | instskip(SKIP_1) | instid1(VALU_DEP_1)
	v_add3_u32 v82, v144, v82, v85
	v_mul_i32_i24_e32 v85, v81, v34
	v_add3_u32 v85, v111, v85, v86
	v_mul_i32_i24_e32 v86, v81, v51
	s_delay_alu instid0(VALU_DEP_1) | instskip(SKIP_1) | instid1(VALU_DEP_1)
	v_add3_u32 v86, v112, v86, v107
	v_mul_i32_i24_e32 v107, v47, v11
	v_add3_u32 v1, v1, v90, v107
	v_mul_i32_i24_e32 v90, v89, v34
	v_mul_i32_i24_e32 v107, v47, v36
	s_delay_alu instid0(VALU_DEP_1) | instskip(SKIP_3) | instid1(VALU_DEP_2)
	v_add3_u32 v90, v91, v90, v107
	v_mul_i32_i24_e32 v91, v89, v51
	v_mul_i32_i24_e32 v107, v47, v53
	;; [unrolled: 1-line block ×3, first 2 shown]
	v_add3_u32 v91, v92, v91, v107
	v_mul_i32_i24_e32 v92, v95, v236
	v_mul_i32_i24_e32 v95, v96, v234
	s_delay_alu instid0(VALU_DEP_1) | instskip(SKIP_2) | instid1(VALU_DEP_2)
	v_add3_u32 v71, v71, v92, v95
	v_bfe_i32 v92, v39, 8, 8
	v_bfe_i32 v39, v39, 16, 8
	v_mul_i32_i24_e32 v95, v92, v14
	s_delay_alu instid0(VALU_DEP_2) | instskip(NEXT) | instid1(VALU_DEP_1)
	v_mul_i32_i24_e32 v96, v39, v11
	v_add3_u32 v95, v97, v95, v96
	v_mul_i32_i24_e32 v96, v92, v34
	v_mul_i32_i24_e32 v97, v39, v36
	s_delay_alu instid0(VALU_DEP_1) | instskip(SKIP_3) | instid1(VALU_DEP_2)
	v_add3_u32 v96, v98, v96, v97
	v_mul_i32_i24_e32 v97, v92, v51
	v_mul_i32_i24_e32 v98, v39, v53
	;; [unrolled: 1-line block ×3, first 2 shown]
	v_add3_u32 v97, v99, v97, v98
	v_mul_i32_i24_e32 v98, v102, v236
	s_delay_alu instid0(VALU_DEP_1) | instskip(SKIP_2) | instid1(VALU_DEP_2)
	v_add3_u32 v67, v84, v98, v67
	v_bfe_i32 v84, v49, 8, 8
	v_bfe_i32 v98, v49, 16, 8
	v_mul_i32_i24_e32 v49, v84, v14
	s_delay_alu instid0(VALU_DEP_2) | instskip(SKIP_1) | instid1(VALU_DEP_2)
	v_mul_i32_i24_e32 v99, v98, v11
	v_mul_i32_i24_e32 v102, v98, v36
	v_add3_u32 v99, v103, v49, v99
	v_mul_i32_i24_e32 v49, v84, v34
	v_mul_i32_i24_e32 v103, v98, v53
	s_delay_alu instid0(VALU_DEP_2) | instskip(SKIP_2) | instid1(VALU_DEP_2)
	v_add3_u32 v102, v104, v49, v102
	v_mul_i32_i24_e32 v49, v84, v51
	v_mul_i32_i24_e32 v84, v84, v250
	v_add3_u32 v103, v105, v49, v103
	v_mul_i32_i24_e32 v49, v109, v236
	s_delay_alu instid0(VALU_DEP_1) | instskip(SKIP_2) | instid1(VALU_DEP_3)
	v_add3_u32 v65, v87, v49, v65
	v_bfe_i32 v87, v37, 8, 8
	v_bfe_i32 v37, v37, 16, 8
	v_add3_u32 v65, v65, v106, v88
	s_delay_alu instid0(VALU_DEP_3) | instskip(SKIP_1) | instid1(VALU_DEP_4)
	v_mul_i32_i24_e32 v49, v87, v14
	v_mul_i32_i24_e32 v14, v101, v14
	;; [unrolled: 1-line block ×4, first 2 shown]
	v_bfe_i32 v88, v66, 8, 8
	v_ashrrev_i32_e32 v106, 24, v66
	v_add3_u32 v6, v6, v10, v14
	v_mul_i32_i24_e32 v10, v235, v114
	v_mul_i32_i24_e32 v14, v101, v34
	v_add3_u32 v93, v93, v49, v104
	v_mul_i32_i24_e32 v49, v87, v34
	v_mul_i32_i24_e32 v104, v37, v36
	v_add3_u32 v6, v6, v11, v13
	v_add3_u32 v7, v7, v10, v14
	v_mul_i32_i24_e32 v10, v235, v130
	v_mul_i32_i24_e32 v14, v101, v51
	v_add3_u32 v94, v94, v49, v104
	v_mul_i32_i24_e32 v49, v87, v51
	v_mul_i32_i24_e32 v104, v37, v53
	v_mul_i32_i24_e32 v11, v227, v36
	v_add3_u32 v8, v8, v10, v14
	v_mul_i32_i24_e32 v10, v19, v232
	v_mul_i32_i24_e32 v14, v110, v231
	v_add3_u32 v100, v100, v49, v104
	v_add3_u32 v49, v76, v17, v33
	v_bfe_i32 v17, v55, 8, 8
	v_ashrrev_i32_e32 v19, 24, v55
	v_add3_u32 v9, v9, v14, v10
	v_bfe_u32 v10, v20, 8, 4
	v_bfe_u32 v14, v20, 24, 4
	v_mul_i32_i24_e32 v13, v228, v118
	v_mul_i32_i24_e32 v37, v37, v224
	;; [unrolled: 1-line block ×5, first 2 shown]
	v_add3_u32 v7, v7, v11, v13
	v_mul_i32_i24_e32 v11, v227, v53
	v_mul_i32_i24_e32 v13, v228, v134
	v_add3_u32 v37, v65, v87, v37
	v_add3_u32 v18, v18, v34, v33
	v_add_nc_u32_e32 v33, 0x2108, v165
	v_bfe_i32 v65, v66, 0, 8
	v_add3_u32 v8, v8, v11, v13
	v_mul_i32_i24_e32 v11, v16, v224
	v_mul_i32_i24_e32 v13, v15, v250
	ds_load_2addr_b32 v[33:34], v33 offset1:1
	v_and_b32_e32 v15, 15, v20
	v_bfe_u32 v16, v20, 16, 4
	v_bfe_i32 v66, v66, 16, 8
	v_add3_u32 v9, v9, v13, v11
	v_bfe_i32 v11, v55, 0, 8
	v_bfe_i32 v13, v55, 16, 8
	v_mul_i32_i24_e32 v87, v65, v15
	v_add_nc_u32_e32 v165, 16, v165
	s_delay_alu instid0(VALU_DEP_4) | instskip(NEXT) | instid1(VALU_DEP_4)
	v_mul_i32_i24_e32 v36, v11, v15
	v_mul_i32_i24_e32 v53, v13, v16
	s_delay_alu instid0(VALU_DEP_1)
	v_add3_u32 v18, v18, v36, v53
	s_wait_dscnt 0x0
	v_bfe_u32 v51, v33, 8, 4
	v_bfe_u32 v76, v33, 24, 4
	v_and_b32_e32 v36, 15, v33
	v_bfe_u32 v53, v33, 16, 4
	s_delay_alu instid0(VALU_DEP_4) | instskip(NEXT) | instid1(VALU_DEP_4)
	v_mul_i32_i24_e32 v101, v17, v51
	v_mul_i32_i24_e32 v104, v19, v76
	s_delay_alu instid0(VALU_DEP_4) | instskip(NEXT) | instid1(VALU_DEP_2)
	v_mul_i32_i24_e32 v55, v11, v36
	v_add3_u32 v43, v43, v104, v101
	v_bfe_u32 v101, v22, 8, 4
	v_bfe_u32 v104, v22, 24, 4
	s_delay_alu instid0(VALU_DEP_2) | instskip(NEXT) | instid1(VALU_DEP_2)
	v_mul_i32_i24_e32 v105, v17, v101
	v_mul_i32_i24_e32 v107, v19, v104
	s_delay_alu instid0(VALU_DEP_1) | instskip(SKIP_2) | instid1(VALU_DEP_1)
	v_add3_u32 v62, v62, v107, v105
	v_mul_i32_i24_e32 v105, v136, v232
	v_mul_i32_i24_e32 v107, v138, v231
	v_add3_u32 v12, v12, v107, v105
	v_bfe_i32 v105, v61, 8, 8
	v_ashrrev_i32_e32 v107, 24, v61
	s_delay_alu instid0(VALU_DEP_3) | instskip(NEXT) | instid1(VALU_DEP_3)
	v_add3_u32 v12, v12, v74, v45
	v_mul_i32_i24_e32 v108, v105, v10
	s_delay_alu instid0(VALU_DEP_3) | instskip(SKIP_2) | instid1(VALU_DEP_3)
	v_mul_i32_i24_e32 v109, v107, v14
	v_bfe_i32 v45, v61, 0, 8
	v_bfe_i32 v61, v61, 16, 8
	v_add3_u32 v75, v75, v109, v108
	v_mul_i32_i24_e32 v108, v105, v51
	v_mul_i32_i24_e32 v109, v107, v76
	;; [unrolled: 1-line block ×3, first 2 shown]
	s_delay_alu instid0(VALU_DEP_2) | instskip(SKIP_2) | instid1(VALU_DEP_1)
	v_add3_u32 v77, v77, v109, v108
	v_mul_i32_i24_e32 v108, v105, v101
	v_mul_i32_i24_e32 v109, v107, v104
	v_add3_u32 v78, v78, v109, v108
	v_mul_i32_i24_e32 v108, v140, v232
	v_mul_i32_i24_e32 v109, v142, v231
	s_delay_alu instid0(VALU_DEP_1) | instskip(SKIP_2) | instid1(VALU_DEP_2)
	v_add3_u32 v79, v79, v109, v108
	v_bfe_i32 v108, v57, 8, 8
	v_ashrrev_i32_e32 v109, 24, v57
	v_mul_i32_i24_e32 v110, v108, v10
	s_delay_alu instid0(VALU_DEP_2) | instskip(NEXT) | instid1(VALU_DEP_1)
	v_mul_i32_i24_e32 v111, v109, v14
	v_add3_u32 v82, v82, v111, v110
	v_mul_i32_i24_e32 v110, v108, v51
	v_mul_i32_i24_e32 v111, v109, v76
	s_delay_alu instid0(VALU_DEP_1) | instskip(SKIP_2) | instid1(VALU_DEP_1)
	v_add3_u32 v85, v85, v111, v110
	v_mul_i32_i24_e32 v110, v108, v101
	v_mul_i32_i24_e32 v111, v109, v104
	v_add3_u32 v86, v86, v111, v110
	v_mul_i32_i24_e32 v110, v146, v231
	s_delay_alu instid0(VALU_DEP_1) | instskip(SKIP_2) | instid1(VALU_DEP_2)
	v_add3_u32 v0, v0, v110, v80
	v_bfe_i32 v80, v64, 8, 8
	v_ashrrev_i32_e32 v110, 24, v64
	v_mul_i32_i24_e32 v111, v80, v10
	s_delay_alu instid0(VALU_DEP_2) | instskip(NEXT) | instid1(VALU_DEP_1)
	v_mul_i32_i24_e32 v112, v110, v14
	v_add3_u32 v1, v1, v112, v111
	v_mul_i32_i24_e32 v111, v80, v51
	v_mul_i32_i24_e32 v112, v110, v76
	s_delay_alu instid0(VALU_DEP_1) | instskip(SKIP_3) | instid1(VALU_DEP_2)
	v_add3_u32 v90, v90, v112, v111
	v_mul_i32_i24_e32 v111, v80, v101
	v_mul_i32_i24_e32 v112, v110, v104
	;; [unrolled: 1-line block ×3, first 2 shown]
	v_add3_u32 v91, v91, v112, v111
	v_mul_i32_i24_e32 v111, v148, v231
	s_delay_alu instid0(VALU_DEP_1) | instskip(SKIP_2) | instid1(VALU_DEP_2)
	v_add3_u32 v71, v71, v111, v83
	v_bfe_i32 v83, v59, 8, 8
	v_ashrrev_i32_e32 v111, 24, v59
	v_mul_i32_i24_e32 v112, v83, v10
	s_delay_alu instid0(VALU_DEP_2) | instskip(NEXT) | instid1(VALU_DEP_1)
	v_mul_i32_i24_e32 v114, v111, v14
	v_add3_u32 v95, v95, v114, v112
	v_mul_i32_i24_e32 v112, v83, v51
	v_mul_i32_i24_e32 v114, v111, v76
	s_delay_alu instid0(VALU_DEP_1) | instskip(SKIP_3) | instid1(VALU_DEP_2)
	v_add3_u32 v96, v96, v114, v112
	v_mul_i32_i24_e32 v112, v83, v101
	v_mul_i32_i24_e32 v114, v111, v104
	;; [unrolled: 1-line block ×3, first 2 shown]
	v_add3_u32 v97, v97, v114, v112
	v_mul_i32_i24_e32 v112, v168, v232
	v_mul_i32_i24_e32 v114, v169, v231
	s_delay_alu instid0(VALU_DEP_1) | instskip(SKIP_2) | instid1(VALU_DEP_2)
	v_add3_u32 v67, v67, v114, v112
	v_bfe_i32 v112, v68, 8, 8
	v_ashrrev_i32_e32 v114, 24, v68
	v_mul_i32_i24_e32 v115, v112, v10
	s_delay_alu instid0(VALU_DEP_2) | instskip(NEXT) | instid1(VALU_DEP_1)
	v_mul_i32_i24_e32 v116, v114, v14
	v_add3_u32 v99, v99, v116, v115
	v_mul_i32_i24_e32 v115, v112, v51
	v_mul_i32_i24_e32 v116, v114, v76
	s_delay_alu instid0(VALU_DEP_1) | instskip(SKIP_2) | instid1(VALU_DEP_1)
	v_add3_u32 v102, v102, v116, v115
	v_mul_i32_i24_e32 v115, v112, v101
	v_mul_i32_i24_e32 v116, v114, v104
	v_add3_u32 v103, v103, v116, v115
	v_mul_i32_i24_e32 v115, v88, v10
	v_mul_i32_i24_e32 v116, v106, v14
	;; [unrolled: 1-line block ×4, first 2 shown]
	s_delay_alu instid0(VALU_DEP_3) | instskip(SKIP_2) | instid1(VALU_DEP_1)
	v_add3_u32 v93, v93, v116, v115
	v_mul_i32_i24_e32 v115, v88, v51
	v_mul_i32_i24_e32 v116, v106, v76
	v_add3_u32 v94, v94, v116, v115
	v_mul_i32_i24_e32 v115, v88, v101
	v_mul_i32_i24_e32 v116, v106, v104
	;; [unrolled: 1-line block ×4, first 2 shown]
	s_delay_alu instid0(VALU_DEP_3) | instskip(SKIP_1) | instid1(VALU_DEP_3)
	v_add3_u32 v100, v100, v116, v115
	v_mul_i32_i24_e32 v115, v13, v53
	v_add3_u32 v37, v37, v106, v88
	v_bfe_i32 v88, v38, 0, 8
	v_ashrrev_i32_e32 v106, 24, v38
	s_delay_alu instid0(VALU_DEP_4) | instskip(SKIP_2) | instid1(VALU_DEP_2)
	v_add3_u32 v43, v43, v55, v115
	v_and_b32_e32 v55, 15, v22
	v_bfe_u32 v115, v22, 16, 4
	v_mul_i32_i24_e32 v116, v11, v55
	s_delay_alu instid0(VALU_DEP_2) | instskip(SKIP_2) | instid1(VALU_DEP_3)
	v_mul_i32_i24_e32 v118, v13, v115
	v_mul_i32_i24_e32 v11, v11, v216
	;; [unrolled: 1-line block ×3, first 2 shown]
	v_add3_u32 v62, v62, v116, v118
	v_mul_i32_i24_e32 v116, v61, v16
	s_delay_alu instid0(VALU_DEP_1) | instskip(SKIP_2) | instid1(VALU_DEP_1)
	v_add3_u32 v74, v75, v74, v116
	v_mul_i32_i24_e32 v75, v45, v36
	v_mul_i32_i24_e32 v116, v61, v53
	v_add3_u32 v75, v77, v75, v116
	v_mul_i32_i24_e32 v77, v45, v55
	v_mul_i32_i24_e32 v116, v61, v115
	;; [unrolled: 1-line block ×4, first 2 shown]
	s_delay_alu instid0(VALU_DEP_3) | instskip(SKIP_1) | instid1(VALU_DEP_1)
	v_add3_u32 v77, v78, v77, v116
	v_mul_i32_i24_e32 v78, v81, v250
	v_add3_u32 v41, v79, v78, v41
	v_bfe_i32 v78, v57, 0, 8
	v_bfe_i32 v57, v57, 16, 8
	s_delay_alu instid0(VALU_DEP_2) | instskip(NEXT) | instid1(VALU_DEP_2)
	v_mul_i32_i24_e32 v79, v78, v15
	v_mul_i32_i24_e32 v81, v57, v16
	s_delay_alu instid0(VALU_DEP_1) | instskip(SKIP_2) | instid1(VALU_DEP_1)
	v_add3_u32 v79, v82, v79, v81
	v_mul_i32_i24_e32 v81, v78, v36
	v_mul_i32_i24_e32 v82, v57, v53
	v_add3_u32 v81, v85, v81, v82
	v_mul_i32_i24_e32 v82, v78, v55
	v_mul_i32_i24_e32 v85, v57, v115
	;; [unrolled: 1-line block ×3, first 2 shown]
	s_delay_alu instid0(VALU_DEP_2) | instskip(SKIP_1) | instid1(VALU_DEP_1)
	v_add3_u32 v82, v86, v82, v85
	v_mul_i32_i24_e32 v85, v89, v250
	v_add3_u32 v0, v0, v85, v47
	v_bfe_i32 v47, v64, 0, 8
	v_bfe_i32 v64, v64, 16, 8
	s_delay_alu instid0(VALU_DEP_2) | instskip(NEXT) | instid1(VALU_DEP_2)
	v_mul_i32_i24_e32 v85, v47, v15
	v_mul_i32_i24_e32 v86, v64, v16
	;; [unrolled: 1-line block ×3, first 2 shown]
	s_delay_alu instid0(VALU_DEP_2) | instskip(SKIP_3) | instid1(VALU_DEP_2)
	v_add3_u32 v1, v1, v85, v86
	v_mul_i32_i24_e32 v85, v47, v36
	v_mul_i32_i24_e32 v86, v64, v53
	;; [unrolled: 1-line block ×3, first 2 shown]
	v_add3_u32 v85, v90, v85, v86
	v_mul_i32_i24_e32 v86, v47, v55
	v_mul_i32_i24_e32 v47, v47, v216
	s_delay_alu instid0(VALU_DEP_2) | instskip(SKIP_1) | instid1(VALU_DEP_1)
	v_add3_u32 v86, v91, v86, v89
	v_mul_i32_i24_e32 v89, v92, v250
	v_add3_u32 v39, v71, v89, v39
	v_bfe_i32 v71, v59, 0, 8
	v_bfe_i32 v59, v59, 16, 8
	s_delay_alu instid0(VALU_DEP_2) | instskip(NEXT) | instid1(VALU_DEP_2)
	v_mul_i32_i24_e32 v89, v71, v15
	v_mul_i32_i24_e32 v90, v59, v16
	;; [unrolled: 1-line block ×5, first 2 shown]
	s_delay_alu instid0(VALU_DEP_4) | instskip(SKIP_1) | instid1(VALU_DEP_1)
	v_add3_u32 v89, v95, v89, v90
	v_mul_i32_i24_e32 v90, v71, v36
	v_add3_u32 v90, v96, v90, v91
	v_mul_i32_i24_e32 v91, v71, v55
	v_mul_i32_i24_e32 v71, v71, v216
	s_delay_alu instid0(VALU_DEP_2) | instskip(SKIP_1) | instid1(VALU_DEP_1)
	v_add3_u32 v91, v97, v91, v92
	v_mul_i32_i24_e32 v92, v98, v224
	v_add3_u32 v67, v67, v84, v92
	v_bfe_i32 v84, v68, 0, 8
	v_bfe_i32 v68, v68, 16, 8
	s_delay_alu instid0(VALU_DEP_2) | instskip(SKIP_1) | instid1(VALU_DEP_3)
	v_mul_i32_i24_e32 v92, v84, v15
	v_mul_i32_i24_e32 v15, v225, v15
	;; [unrolled: 1-line block ×5, first 2 shown]
	s_delay_alu instid0(VALU_DEP_4) | instskip(SKIP_4) | instid1(VALU_DEP_3)
	v_add3_u32 v6, v6, v10, v15
	v_mul_i32_i24_e32 v10, v225, v36
	v_mul_i32_i24_e32 v15, v124, v51
	v_add3_u32 v92, v99, v92, v95
	v_mul_i32_i24_e32 v95, v84, v36
	v_add3_u32 v7, v7, v15, v10
	v_mul_i32_i24_e32 v10, v225, v55
	v_mul_i32_i24_e32 v15, v124, v101
	s_delay_alu instid0(VALU_DEP_4) | instskip(SKIP_1) | instid1(VALU_DEP_3)
	v_add3_u32 v95, v102, v95, v96
	v_mul_i32_i24_e32 v96, v84, v55
	v_add3_u32 v8, v8, v15, v10
	v_mul_i32_i24_e32 v10, v19, v221
	v_mul_i32_i24_e32 v15, v17, v123
	s_delay_alu instid0(VALU_DEP_4)
	v_add3_u32 v96, v103, v96, v97
	v_mul_i32_i24_e32 v97, v66, v16
	v_bfe_i32 v17, v44, 0, 8
	v_ashrrev_i32_e32 v19, 24, v44
	v_add3_u32 v9, v9, v10, v15
	v_bfe_u32 v10, v20, 4, 4
	v_lshrrev_b32_e32 v15, 28, v20
	v_add3_u32 v87, v93, v87, v97
	v_mul_i32_i24_e32 v93, v65, v36
	v_mul_i32_i24_e32 v97, v66, v53
	;; [unrolled: 1-line block ×5, first 2 shown]
	v_add3_u32 v9, v9, v11, v13
	v_add3_u32 v93, v94, v93, v97
	v_mul_i32_i24_e32 v94, v65, v55
	v_mul_i32_i24_e32 v97, v66, v115
	v_add3_u32 v18, v18, v51, v36
	v_bfe_u32 v36, v33, 4, 4
	v_lshrrev_b32_e32 v51, 28, v33
	v_add3_u32 v6, v6, v16, v14
	v_add3_u32 v94, v100, v94, v97
	v_mul_i32_i24_e32 v14, v220, v53
	v_mul_i32_i24_e32 v55, v17, v36
	;; [unrolled: 1-line block ×4, first 2 shown]
	v_bfe_i32 v11, v44, 8, 8
	v_bfe_i32 v13, v44, 16, 8
	s_delay_alu instid0(VALU_DEP_4)
	v_add3_u32 v43, v43, v97, v55
	v_bfe_u32 v55, v22, 4, 4
	v_lshrrev_b32_e32 v97, 28, v22
	v_add3_u32 v7, v7, v14, v16
	v_mul_i32_i24_e32 v14, v220, v115
	v_mul_i32_i24_e32 v16, v219, v104
	v_mul_i32_i24_e32 v98, v17, v55
	v_mul_i32_i24_e32 v99, v19, v97
	s_delay_alu instid0(VALU_DEP_3) | instskip(SKIP_2) | instid1(VALU_DEP_4)
	v_add3_u32 v8, v8, v14, v16
	v_bfe_u32 v14, v20, 12, 4
	v_bfe_u32 v16, v20, 20, 4
	v_add3_u32 v62, v62, v99, v98
	v_mul_i32_i24_e32 v98, v107, v221
	v_mul_i32_i24_e32 v99, v105, v123
	;; [unrolled: 1-line block ×4, first 2 shown]
	s_delay_alu instid0(VALU_DEP_3) | instskip(SKIP_2) | instid1(VALU_DEP_4)
	v_add3_u32 v12, v12, v98, v99
	v_bfe_i32 v98, v46, 0, 8
	v_ashrrev_i32_e32 v99, 24, v46
	v_add3_u32 v18, v18, v20, v44
	v_bfe_u32 v20, v33, 12, 4
	v_bfe_u32 v33, v33, 20, 4
	v_mul_i32_i24_e32 v100, v98, v10
	v_mul_i32_i24_e32 v101, v99, v15
	v_add3_u32 v12, v12, v45, v61
	v_mul_i32_i24_e32 v44, v11, v20
	v_mul_i32_i24_e32 v53, v13, v33
	v_bfe_i32 v61, v46, 8, 8
	v_add3_u32 v74, v74, v101, v100
	v_mul_i32_i24_e32 v100, v98, v36
	v_mul_i32_i24_e32 v101, v99, v51
	v_add3_u32 v43, v43, v44, v53
	v_bfe_u32 v44, v22, 12, 4
	v_bfe_u32 v22, v22, 20, 4
	v_mul_i32_i24_e32 v45, v61, v14
	v_add3_u32 v75, v75, v101, v100
	v_mul_i32_i24_e32 v100, v98, v55
	v_mul_i32_i24_e32 v101, v99, v97
	;; [unrolled: 1-line block ×6, first 2 shown]
	v_add3_u32 v77, v77, v101, v100
	v_mul_i32_i24_e32 v100, v109, v221
	v_mul_i32_i24_e32 v101, v108, v123
	v_add3_u32 v53, v62, v53, v76
	v_bfe_i32 v62, v46, 16, 8
	s_delay_alu instid0(VALU_DEP_3) | instskip(SKIP_2) | instid1(VALU_DEP_4)
	v_add3_u32 v41, v41, v100, v101
	v_bfe_i32 v100, v42, 0, 8
	v_ashrrev_i32_e32 v101, 24, v42
	v_mul_i32_i24_e32 v46, v62, v16
	s_delay_alu instid0(VALU_DEP_3) | instskip(NEXT) | instid1(VALU_DEP_3)
	v_mul_i32_i24_e32 v102, v100, v10
	v_mul_i32_i24_e32 v103, v101, v15
	s_delay_alu instid0(VALU_DEP_3) | instskip(SKIP_2) | instid1(VALU_DEP_4)
	v_add3_u32 v45, v74, v45, v46
	v_mul_i32_i24_e32 v46, v61, v20
	v_mul_i32_i24_e32 v74, v62, v33
	v_add3_u32 v79, v79, v103, v102
	v_mul_i32_i24_e32 v102, v100, v36
	v_mul_i32_i24_e32 v103, v101, v51
	s_delay_alu instid0(VALU_DEP_4)
	v_add3_u32 v46, v75, v46, v74
	v_mul_i32_i24_e32 v74, v61, v44
	v_mul_i32_i24_e32 v75, v62, v22
	;; [unrolled: 1-line block ×3, first 2 shown]
	v_add3_u32 v81, v81, v103, v102
	v_mul_i32_i24_e32 v102, v100, v55
	v_mul_i32_i24_e32 v103, v101, v97
	v_add3_u32 v74, v77, v74, v75
	v_mul_i32_i24_e32 v75, v78, v216
	v_mul_i32_i24_e32 v61, v61, v63
	s_delay_alu instid0(VALU_DEP_4) | instskip(SKIP_1) | instid1(VALU_DEP_4)
	v_add3_u32 v82, v82, v103, v102
	v_mul_i32_i24_e32 v102, v110, v221
	v_add3_u32 v41, v41, v75, v57
	v_bfe_i32 v57, v42, 8, 8
	v_bfe_i32 v75, v42, 16, 8
	s_delay_alu instid0(VALU_DEP_4)
	v_add3_u32 v0, v0, v102, v80
	v_bfe_i32 v80, v48, 0, 8
	v_ashrrev_i32_e32 v102, 24, v48
	v_mul_i32_i24_e32 v42, v57, v14
	v_mul_i32_i24_e32 v76, v75, v16
	;; [unrolled: 1-line block ×6, first 2 shown]
	v_add3_u32 v42, v79, v42, v76
	v_mul_i32_i24_e32 v76, v57, v20
	v_add3_u32 v0, v0, v47, v64
	v_add3_u32 v1, v1, v105, v103
	v_mul_i32_i24_e32 v103, v80, v36
	v_mul_i32_i24_e32 v105, v102, v51
	v_add3_u32 v76, v81, v76, v77
	v_mul_i32_i24_e32 v77, v57, v44
	v_bfe_i32 v64, v48, 8, 8
	v_mul_i32_i24_e32 v75, v75, v201
	v_add3_u32 v85, v85, v105, v103
	v_mul_i32_i24_e32 v103, v80, v55
	v_mul_i32_i24_e32 v105, v102, v97
	v_add3_u32 v77, v82, v77, v78
	v_bfe_i32 v78, v48, 16, 8
	v_mul_i32_i24_e32 v47, v64, v14
	v_mul_i32_i24_e32 v57, v57, v63
	v_add3_u32 v86, v86, v105, v103
	v_mul_i32_i24_e32 v103, v111, v221
	v_mul_i32_i24_e32 v48, v78, v16
	v_mul_i32_i24_e32 v79, v78, v22
	s_delay_alu instid0(VALU_DEP_3)
	v_add3_u32 v39, v39, v103, v83
	v_bfe_i32 v83, v40, 0, 8
	v_ashrrev_i32_e32 v103, 24, v40
	v_add3_u32 v1, v1, v47, v48
	v_mul_i32_i24_e32 v47, v64, v20
	v_mul_i32_i24_e32 v48, v78, v33
	;; [unrolled: 1-line block ×4, first 2 shown]
	v_add3_u32 v59, v39, v71, v59
	v_bfe_i32 v71, v40, 8, 8
	v_add3_u32 v47, v85, v47, v48
	v_mul_i32_i24_e32 v48, v64, v44
	v_add3_u32 v89, v89, v107, v105
	v_mul_i32_i24_e32 v105, v83, v36
	v_mul_i32_i24_e32 v107, v103, v51
	v_mul_i32_i24_e32 v39, v71, v14
	v_add3_u32 v48, v86, v48, v79
	v_bfe_i32 v79, v40, 16, 8
	v_mul_i32_i24_e32 v78, v78, v201
	v_add3_u32 v90, v90, v107, v105
	v_mul_i32_i24_e32 v105, v83, v55
	v_mul_i32_i24_e32 v107, v103, v97
	;; [unrolled: 1-line block ×4, first 2 shown]
	s_delay_alu instid0(VALU_DEP_3)
	v_add3_u32 v91, v91, v107, v105
	v_mul_i32_i24_e32 v105, v114, v221
	v_mul_i32_i24_e32 v107, v112, v123
	v_add3_u32 v81, v89, v39, v40
	v_mul_i32_i24_e32 v39, v71, v20
	v_mul_i32_i24_e32 v40, v79, v33
	s_delay_alu instid0(VALU_DEP_4) | instskip(SKIP_2) | instid1(VALU_DEP_4)
	v_add3_u32 v67, v67, v105, v107
	v_bfe_i32 v105, v50, 0, 8
	v_ashrrev_i32_e32 v107, 24, v50
	v_add3_u32 v82, v90, v39, v40
	v_mul_i32_i24_e32 v39, v71, v44
	v_mul_i32_i24_e32 v40, v79, v22
	;; [unrolled: 1-line block ×4, first 2 shown]
	v_bfe_i32 v90, v38, 16, 8
	v_mul_i32_i24_e32 v71, v71, v63
	v_add3_u32 v85, v91, v39, v40
	v_mul_i32_i24_e32 v39, v84, v216
	v_mul_i32_i24_e32 v40, v68, v215
	v_bfe_i32 v68, v50, 8, 8
	v_bfe_i32 v50, v50, 16, 8
	v_add3_u32 v92, v92, v109, v108
	v_mul_i32_i24_e32 v108, v105, v36
	v_mul_i32_i24_e32 v109, v107, v51
	v_add3_u32 v67, v67, v39, v40
	v_mul_i32_i24_e32 v39, v68, v14
	v_mul_i32_i24_e32 v40, v50, v16
	s_delay_alu instid0(VALU_DEP_4) | instskip(SKIP_2) | instid1(VALU_DEP_4)
	v_add3_u32 v95, v95, v109, v108
	v_mul_i32_i24_e32 v108, v105, v55
	v_mul_i32_i24_e32 v109, v107, v97
	v_add3_u32 v84, v92, v39, v40
	v_mul_i32_i24_e32 v39, v68, v20
	v_mul_i32_i24_e32 v40, v50, v33
	s_delay_alu instid0(VALU_DEP_4) | instskip(SKIP_2) | instid1(VALU_DEP_4)
	v_add3_u32 v96, v96, v109, v108
	v_mul_i32_i24_e32 v108, v88, v10
	v_mul_i32_i24_e32 v10, v214, v10
	v_add3_u32 v86, v95, v39, v40
	v_mul_i32_i24_e32 v39, v68, v44
	v_mul_i32_i24_e32 v40, v50, v22
	;; [unrolled: 1-line block ×3, first 2 shown]
	v_bfe_u32 v95, v23, 24, 4
	v_mul_i32_i24_e32 v15, v202, v15
	s_delay_alu instid0(VALU_DEP_4)
	v_add3_u32 v89, v96, v39, v40
	v_mul_i32_i24_e32 v39, v65, v216
	v_mul_i32_i24_e32 v40, v66, v215
	v_bfe_i32 v66, v38, 8, 8
	v_add3_u32 v87, v87, v109, v108
	v_mul_i32_i24_e32 v108, v88, v36
	v_mul_i32_i24_e32 v109, v106, v51
	v_add3_u32 v65, v37, v39, v40
	v_mul_i32_i24_e32 v37, v66, v14
	v_mul_i32_i24_e32 v14, v35, v14
	;; [unrolled: 1-line block ×3, first 2 shown]
	v_add3_u32 v93, v93, v109, v108
	v_mul_i32_i24_e32 v108, v88, v55
	v_mul_i32_i24_e32 v109, v106, v97
	v_add3_u32 v6, v6, v10, v14
	v_mul_i32_i24_e32 v10, v214, v36
	v_mul_i32_i24_e32 v14, v35, v20
	;; [unrolled: 3-line block ×3, first 2 shown]
	v_add3_u32 v94, v94, v109, v108
	v_add3_u32 v7, v7, v10, v14
	v_mul_i32_i24_e32 v14, v35, v44
	ds_load_2addr_b32 v[35:36], v252 offset1:3
	v_mul_i32_i24_e32 v10, v214, v55
	v_add3_u32 v91, v93, v37, v38
	v_mul_i32_i24_e32 v37, v66, v44
	v_mul_i32_i24_e32 v38, v90, v22
	v_bfe_u32 v55, v34, 24, 4
	v_add3_u32 v8, v8, v10, v14
	v_mul_i32_i24_e32 v10, v17, v209
	v_mul_i32_i24_e32 v14, v19, v204
	v_add3_u32 v92, v94, v37, v38
	v_bfe_u32 v94, v23, 8, 4
	v_mul_i32_i24_e32 v16, v203, v16
	s_delay_alu instid0(VALU_DEP_4) | instskip(SKIP_2) | instid1(VALU_DEP_4)
	v_add3_u32 v9, v9, v14, v10
	v_bfe_u32 v10, v21, 8, 4
	v_bfe_u32 v14, v21, 24, 4
	v_add3_u32 v6, v6, v16, v15
	v_mul_i32_i24_e32 v15, v203, v33
	v_mul_i32_i24_e32 v16, v202, v51
	v_add3_u32 v9, v9, v11, v13
	s_wait_dscnt 0x0
	v_bfe_i32 v17, v36, 8, 8
	v_ashrrev_i32_e32 v19, 24, v36
	v_and_b32_e32 v11, 15, v21
	v_add3_u32 v7, v7, v15, v16
	v_mul_i32_i24_e32 v15, v203, v22
	v_mul_i32_i24_e32 v20, v17, v10
	;; [unrolled: 1-line block ×5, first 2 shown]
	v_bfe_u32 v13, v21, 16, 4
	s_delay_alu instid0(VALU_DEP_4) | instskip(SKIP_1) | instid1(VALU_DEP_4)
	v_add3_u32 v18, v18, v37, v20
	v_bfe_u32 v20, v34, 8, 4
	v_add3_u32 v8, v8, v15, v16
	v_bfe_i32 v15, v36, 0, 8
	v_bfe_i32 v16, v36, 16, 8
	s_delay_alu instid0(VALU_DEP_4) | instskip(NEXT) | instid1(VALU_DEP_3)
	v_mul_i32_i24_e32 v37, v17, v20
	v_mul_i32_i24_e32 v22, v15, v11
	s_delay_alu instid0(VALU_DEP_3) | instskip(NEXT) | instid1(VALU_DEP_3)
	v_mul_i32_i24_e32 v33, v16, v13
	v_add3_u32 v93, v43, v38, v37
	v_mul_i32_i24_e32 v37, v17, v94
	v_mul_i32_i24_e32 v38, v19, v95
	s_delay_alu instid0(VALU_DEP_4) | instskip(SKIP_2) | instid1(VALU_DEP_4)
	v_add3_u32 v18, v18, v22, v33
	v_and_b32_e32 v22, 15, v34
	v_bfe_u32 v33, v34, 16, 4
	v_add3_u32 v53, v53, v38, v37
	v_mul_i32_i24_e32 v37, v98, v209
	v_mul_i32_i24_e32 v38, v99, v204
	;; [unrolled: 1-line block ×4, first 2 shown]
	s_delay_alu instid0(VALU_DEP_3)
	v_add3_u32 v12, v12, v38, v37
	ds_load_2addr_b32 v[37:38], v253 offset1:3
	v_add3_u32 v36, v93, v36, v51
	v_and_b32_e32 v51, 15, v23
	v_bfe_u32 v93, v23, 16, 4
	v_add3_u32 v12, v12, v61, v62
	s_delay_alu instid0(VALU_DEP_3)
	v_mul_i32_i24_e32 v97, v15, v51
	s_wait_dscnt 0x0
	v_bfe_i32 v96, v38, 8, 8
	v_ashrrev_i32_e32 v98, 24, v38
	v_bfe_i32 v61, v38, 0, 8
	v_bfe_i32 v38, v38, 16, 8
	s_delay_alu instid0(VALU_DEP_4) | instskip(NEXT) | instid1(VALU_DEP_4)
	v_mul_i32_i24_e32 v39, v96, v10
	v_mul_i32_i24_e32 v40, v98, v14
	s_delay_alu instid0(VALU_DEP_4) | instskip(NEXT) | instid1(VALU_DEP_2)
	v_mul_i32_i24_e32 v62, v61, v11
	v_add3_u32 v99, v45, v40, v39
	v_mul_i32_i24_e32 v39, v96, v20
	v_mul_i32_i24_e32 v40, v98, v55
	s_delay_alu instid0(VALU_DEP_1) | instskip(SKIP_2) | instid1(VALU_DEP_1)
	v_add3_u32 v104, v46, v40, v39
	v_mul_i32_i24_e32 v39, v96, v94
	v_mul_i32_i24_e32 v40, v98, v95
	v_add3_u32 v74, v74, v40, v39
	v_mul_i32_i24_e32 v39, v100, v209
	v_mul_i32_i24_e32 v40, v101, v204
	s_delay_alu instid0(VALU_DEP_1)
	v_add3_u32 v100, v41, v40, v39
	ds_load_2addr_b32 v[39:40], v254 offset1:3
	v_add3_u32 v57, v100, v57, v75
	s_wait_dscnt 0x0
	v_bfe_i32 v101, v40, 8, 8
	v_ashrrev_i32_e32 v108, 24, v40
	v_bfe_i32 v75, v40, 0, 8
	v_bfe_i32 v40, v40, 16, 8
	s_delay_alu instid0(VALU_DEP_4) | instskip(NEXT) | instid1(VALU_DEP_4)
	v_mul_i32_i24_e32 v41, v101, v10
	v_mul_i32_i24_e32 v43, v108, v14
	s_delay_alu instid0(VALU_DEP_3) | instskip(NEXT) | instid1(VALU_DEP_2)
	v_mul_i32_i24_e32 v100, v40, v13
	v_add3_u32 v109, v42, v43, v41
	v_mul_i32_i24_e32 v41, v101, v20
	v_mul_i32_i24_e32 v42, v108, v55
	s_delay_alu instid0(VALU_DEP_1) | instskip(SKIP_2) | instid1(VALU_DEP_1)
	v_add3_u32 v76, v76, v42, v41
	v_mul_i32_i24_e32 v41, v101, v94
	v_mul_i32_i24_e32 v42, v108, v95
	v_add3_u32 v77, v77, v42, v41
	v_mul_i32_i24_e32 v41, v80, v209
	v_mul_i32_i24_e32 v42, v102, v204
	s_delay_alu instid0(VALU_DEP_1)
	v_add3_u32 v0, v0, v42, v41
	ds_load_2addr_b32 v[41:42], v255 offset1:3
	v_add3_u32 v64, v0, v64, v78
	s_wait_dscnt 0x0
	v_bfe_i32 v80, v42, 8, 8
	v_ashrrev_i32_e32 v102, 24, v42
	v_bfe_i32 v78, v42, 0, 8
	v_bfe_i32 v42, v42, 16, 8
	s_delay_alu instid0(VALU_DEP_4) | instskip(NEXT) | instid1(VALU_DEP_4)
	v_mul_i32_i24_e32 v43, v80, v10
	v_mul_i32_i24_e32 v44, v102, v14
	s_delay_alu instid0(VALU_DEP_4) | instskip(NEXT) | instid1(VALU_DEP_2)
	v_mul_i32_i24_e32 v0, v78, v11
	v_add3_u32 v1, v1, v44, v43
	v_mul_i32_i24_e32 v43, v80, v20
	v_mul_i32_i24_e32 v44, v102, v55
	s_delay_alu instid0(VALU_DEP_1) | instskip(SKIP_3) | instid1(VALU_DEP_2)
	v_add3_u32 v110, v47, v44, v43
	v_mul_i32_i24_e32 v43, v80, v94
	v_mul_i32_i24_e32 v44, v102, v95
	;; [unrolled: 1-line block ×3, first 2 shown]
	v_add3_u32 v111, v48, v44, v43
	v_mul_i32_i24_e32 v43, v83, v209
	v_mul_i32_i24_e32 v44, v103, v204
	s_delay_alu instid0(VALU_DEP_1) | instskip(SKIP_4) | instid1(VALU_DEP_2)
	v_add3_u32 v59, v59, v44, v43
	ds_load_2addr_b32 v[43:44], v2 offset1:3
	s_wait_dscnt 0x0
	v_bfe_i32 v2, v44, 8, 8
	v_ashrrev_i32_e32 v83, 24, v44
	v_mul_i32_i24_e32 v45, v2, v10
	s_delay_alu instid0(VALU_DEP_2) | instskip(NEXT) | instid1(VALU_DEP_1)
	v_mul_i32_i24_e32 v46, v83, v14
	v_add3_u32 v81, v81, v46, v45
	v_mul_i32_i24_e32 v45, v2, v20
	v_mul_i32_i24_e32 v46, v83, v55
	s_delay_alu instid0(VALU_DEP_1) | instskip(SKIP_4) | instid1(VALU_DEP_3)
	v_add3_u32 v82, v82, v46, v45
	v_mul_i32_i24_e32 v45, v2, v94
	v_mul_i32_i24_e32 v46, v83, v95
	v_mul_i32_i24_e32 v83, v83, v247
	v_mul_i32_i24_e32 v2, v2, v58
	v_add3_u32 v85, v85, v46, v45
	v_mul_i32_i24_e32 v45, v105, v209
	v_mul_i32_i24_e32 v46, v107, v204
	s_delay_alu instid0(VALU_DEP_1) | instskip(SKIP_4) | instid1(VALU_DEP_2)
	v_add3_u32 v67, v67, v46, v45
	ds_load_2addr_b32 v[45:46], v119 offset1:3
	s_wait_dscnt 0x0
	v_bfe_i32 v103, v46, 8, 8
	v_ashrrev_i32_e32 v105, 24, v46
	v_mul_i32_i24_e32 v47, v103, v10
	s_delay_alu instid0(VALU_DEP_2) | instskip(NEXT) | instid1(VALU_DEP_1)
	v_mul_i32_i24_e32 v48, v105, v14
	v_add3_u32 v84, v84, v48, v47
	v_mul_i32_i24_e32 v47, v103, v20
	v_mul_i32_i24_e32 v48, v105, v55
	s_delay_alu instid0(VALU_DEP_1) | instskip(SKIP_2) | instid1(VALU_DEP_1)
	v_add3_u32 v86, v86, v48, v47
	v_mul_i32_i24_e32 v47, v103, v94
	v_mul_i32_i24_e32 v48, v105, v95
	v_add3_u32 v89, v89, v48, v47
	v_mul_i32_i24_e32 v47, v88, v209
	v_mul_i32_i24_e32 v48, v106, v204
	s_delay_alu instid0(VALU_DEP_1) | instskip(SKIP_4) | instid1(VALU_DEP_2)
	v_add3_u32 v65, v65, v48, v47
	ds_load_2addr_b32 v[47:48], v121 offset1:3
	s_wait_dscnt 0x0
	v_bfe_i32 v88, v48, 8, 8
	v_ashrrev_i32_e32 v106, 24, v48
	v_mul_i32_i24_e32 v107, v88, v10
	s_delay_alu instid0(VALU_DEP_2) | instskip(SKIP_2) | instid1(VALU_DEP_3)
	v_mul_i32_i24_e32 v112, v106, v14
	v_mul_i32_i24_e32 v10, v60, v10
	v_mul_i32_i24_e32 v14, v243, v14
	v_add3_u32 v87, v87, v112, v107
	v_mul_i32_i24_e32 v107, v88, v20
	v_mul_i32_i24_e32 v112, v106, v55
	s_delay_alu instid0(VALU_DEP_1) | instskip(SKIP_2) | instid1(VALU_DEP_1)
	v_add3_u32 v91, v91, v112, v107
	v_mul_i32_i24_e32 v107, v88, v94
	v_mul_i32_i24_e32 v112, v106, v95
	v_add3_u32 v92, v92, v112, v107
	v_mul_i32_i24_e32 v107, v16, v93
	s_delay_alu instid0(VALU_DEP_1) | instskip(SKIP_1) | instid1(VALU_DEP_1)
	v_add3_u32 v53, v53, v97, v107
	v_mul_i32_i24_e32 v97, v38, v13
	v_add3_u32 v62, v99, v62, v97
	v_mul_i32_i24_e32 v97, v61, v22
	v_mul_i32_i24_e32 v99, v38, v33
	s_delay_alu instid0(VALU_DEP_1) | instskip(SKIP_3) | instid1(VALU_DEP_2)
	v_add3_u32 v97, v104, v97, v99
	v_mul_i32_i24_e32 v99, v61, v51
	v_mul_i32_i24_e32 v104, v38, v93
	;; [unrolled: 1-line block ×3, first 2 shown]
	v_add3_u32 v74, v74, v99, v104
	v_mul_i32_i24_e32 v99, v75, v11
	v_mul_i32_i24_e32 v104, v40, v33
	s_delay_alu instid0(VALU_DEP_2) | instskip(SKIP_1) | instid1(VALU_DEP_1)
	v_add3_u32 v99, v109, v99, v100
	v_mul_i32_i24_e32 v100, v75, v22
	v_add3_u32 v76, v76, v100, v104
	v_mul_i32_i24_e32 v100, v75, v51
	v_mul_i32_i24_e32 v104, v40, v93
	;; [unrolled: 1-line block ×3, first 2 shown]
	s_delay_alu instid0(VALU_DEP_2) | instskip(SKIP_2) | instid1(VALU_DEP_2)
	v_add3_u32 v77, v77, v100, v104
	v_mul_i32_i24_e32 v100, v42, v13
	v_mul_i32_i24_e32 v104, v42, v93
	v_add3_u32 v1, v1, v0, v100
	v_mul_i32_i24_e32 v0, v78, v22
	v_mul_i32_i24_e32 v100, v42, v33
	;; [unrolled: 1-line block ×3, first 2 shown]
	s_delay_alu instid0(VALU_DEP_2) | instskip(SKIP_1) | instid1(VALU_DEP_1)
	v_add3_u32 v100, v110, v0, v100
	v_mul_i32_i24_e32 v0, v78, v51
	v_add3_u32 v104, v111, v0, v104
	v_mul_i32_i24_e32 v0, v79, v201
	s_delay_alu instid0(VALU_DEP_1) | instskip(SKIP_2) | instid1(VALU_DEP_3)
	v_add3_u32 v59, v59, v71, v0
	v_bfe_i32 v71, v44, 0, 8
	v_bfe_i32 v44, v44, 16, 8
	v_add3_u32 v2, v59, v83, v2
	s_delay_alu instid0(VALU_DEP_3) | instskip(NEXT) | instid1(VALU_DEP_3)
	v_mul_i32_i24_e32 v0, v71, v11
	v_mul_i32_i24_e32 v79, v44, v13
	v_bfe_i32 v59, v27, 0, 8
	v_ashrrev_i32_e32 v83, 24, v27
	s_delay_alu instid0(VALU_DEP_3) | instskip(SKIP_2) | instid1(VALU_DEP_1)
	v_add3_u32 v79, v81, v0, v79
	v_mul_i32_i24_e32 v0, v71, v22
	v_mul_i32_i24_e32 v81, v44, v33
	v_add3_u32 v81, v82, v0, v81
	v_mul_i32_i24_e32 v0, v71, v51
	v_mul_i32_i24_e32 v82, v44, v93
	;; [unrolled: 1-line block ×4, first 2 shown]
	s_delay_alu instid0(VALU_DEP_3)
	v_add3_u32 v82, v85, v0, v82
	v_mul_i32_i24_e32 v0, v50, v201
	v_mul_i32_i24_e32 v50, v68, v63
	v_mul_i32_i24_e32 v63, v66, v63
	v_add3_u32 v2, v2, v71, v44
	v_bfe_i32 v44, v27, 8, 8
	v_bfe_i32 v27, v27, 16, 8
	v_add3_u32 v50, v67, v50, v0
	v_bfe_i32 v67, v46, 0, 8
	v_bfe_i32 v46, v46, 16, 8
	s_delay_alu instid0(VALU_DEP_2) | instskip(NEXT) | instid1(VALU_DEP_2)
	v_mul_i32_i24_e32 v0, v67, v11
	v_mul_i32_i24_e32 v68, v46, v13
	;; [unrolled: 1-line block ×3, first 2 shown]
	s_delay_alu instid0(VALU_DEP_2) | instskip(SKIP_3) | instid1(VALU_DEP_2)
	v_add3_u32 v68, v84, v0, v68
	v_mul_i32_i24_e32 v0, v67, v22
	v_mul_i32_i24_e32 v84, v46, v33
	;; [unrolled: 1-line block ×3, first 2 shown]
	v_add3_u32 v84, v86, v0, v84
	v_mul_i32_i24_e32 v0, v67, v51
	v_mul_i32_i24_e32 v67, v67, v238
	s_delay_alu instid0(VALU_DEP_2) | instskip(SKIP_1) | instid1(VALU_DEP_1)
	v_add3_u32 v85, v89, v0, v85
	v_mul_i32_i24_e32 v0, v90, v201
	v_add3_u32 v63, v65, v63, v0
	v_bfe_i32 v65, v48, 0, 8
	v_bfe_i32 v48, v48, 16, 8
	s_delay_alu instid0(VALU_DEP_2) | instskip(NEXT) | instid1(VALU_DEP_2)
	v_mul_i32_i24_e32 v0, v65, v11
	v_mul_i32_i24_e32 v66, v48, v13
	;; [unrolled: 1-line block ×4, first 2 shown]
	s_delay_alu instid0(VALU_DEP_3) | instskip(SKIP_3) | instid1(VALU_DEP_3)
	v_add3_u32 v66, v87, v0, v66
	v_mul_i32_i24_e32 v0, v65, v22
	v_mul_i32_i24_e32 v87, v48, v93
	;; [unrolled: 1-line block ×3, first 2 shown]
	v_add3_u32 v86, v91, v0, v86
	v_mul_i32_i24_e32 v0, v65, v51
	v_mul_i32_i24_e32 v65, v65, v238
	s_delay_alu instid0(VALU_DEP_2) | instskip(SKIP_2) | instid1(VALU_DEP_2)
	v_add3_u32 v87, v92, v0, v87
	v_mul_i32_i24_e32 v0, v251, v11
	v_bfe_i32 v11, v29, 0, 8
	v_add3_u32 v6, v6, v10, v0
	v_mul_i32_i24_e32 v0, v251, v22
	v_mul_i32_i24_e32 v10, v60, v20
	v_bfe_u32 v22, v34, 4, 4
	s_delay_alu instid0(VALU_DEP_4) | instskip(SKIP_1) | instid1(VALU_DEP_4)
	v_add3_u32 v6, v6, v13, v14
	v_mul_i32_i24_e32 v13, v242, v33
	v_add3_u32 v7, v7, v10, v0
	v_mul_i32_i24_e32 v0, v60, v94
	v_mul_i32_i24_e32 v10, v251, v51
	;; [unrolled: 1-line block ×3, first 2 shown]
	s_delay_alu instid0(VALU_DEP_2)
	v_add3_u32 v8, v8, v0, v10
	v_mul_i32_i24_e32 v0, v19, v247
	v_mul_i32_i24_e32 v10, v17, v58
	v_ashrrev_i32_e32 v19, 24, v29
	v_add3_u32 v7, v7, v13, v14
	v_mul_i32_i24_e32 v13, v242, v93
	v_mul_i32_i24_e32 v14, v243, v95
	v_add3_u32 v9, v9, v0, v10
	v_bfe_u32 v10, v21, 4, 4
	v_lshrrev_b32_e32 v0, 28, v21
	s_delay_alu instid0(VALU_DEP_4) | instskip(SKIP_1) | instid1(VALU_DEP_4)
	v_add3_u32 v8, v8, v13, v14
	v_mul_i32_i24_e32 v13, v15, v238
	v_mul_i32_i24_e32 v17, v11, v10
	s_delay_alu instid0(VALU_DEP_4) | instskip(SKIP_3) | instid1(VALU_DEP_4)
	v_mul_i32_i24_e32 v20, v19, v0
	v_mul_i32_i24_e32 v14, v16, v237
	v_bfe_i32 v15, v29, 8, 8
	v_bfe_i32 v16, v29, 16, 8
	v_add3_u32 v18, v18, v20, v17
	v_lshrrev_b32_e32 v17, 28, v34
	v_mul_i32_i24_e32 v20, v11, v22
	v_add3_u32 v9, v9, v13, v14
	v_bfe_u32 v13, v21, 20, 4
	v_bfe_u32 v14, v21, 12, 4
	v_mul_i32_i24_e32 v51, v19, v17
	s_delay_alu instid0(VALU_DEP_3) | instskip(NEXT) | instid1(VALU_DEP_3)
	v_mul_i32_i24_e32 v29, v16, v13
	v_mul_i32_i24_e32 v21, v15, v14
	s_delay_alu instid0(VALU_DEP_3)
	v_add3_u32 v36, v36, v51, v20
	v_bfe_u32 v51, v23, 4, 4
	v_lshrrev_b32_e32 v20, 28, v23
	v_mul_i32_i24_e32 v71, v44, v14
	v_add3_u32 v18, v18, v21, v29
	v_bfe_u32 v21, v34, 12, 4
	v_mul_i32_i24_e32 v60, v11, v51
	v_mul_i32_i24_e32 v89, v19, v20
	v_bfe_u32 v29, v34, 20, 4
	s_delay_alu instid0(VALU_DEP_4) | instskip(NEXT) | instid1(VALU_DEP_3)
	v_mul_i32_i24_e32 v33, v15, v21
	v_add3_u32 v53, v53, v89, v60
	v_mul_i32_i24_e32 v60, v98, v247
	v_mul_i32_i24_e32 v89, v96, v58
	;; [unrolled: 1-line block ×3, first 2 shown]
	s_delay_alu instid0(VALU_DEP_2) | instskip(SKIP_2) | instid1(VALU_DEP_4)
	v_add3_u32 v12, v12, v60, v89
	v_bfe_i32 v60, v32, 0, 8
	v_ashrrev_i32_e32 v89, 24, v32
	v_add3_u32 v33, v36, v33, v34
	v_bfe_u32 v34, v23, 12, 4
	v_bfe_u32 v23, v23, 20, 4
	v_mul_i32_i24_e32 v90, v60, v10
	v_mul_i32_i24_e32 v91, v89, v0
	v_mul_i32_i24_e32 v92, v89, v20
	v_mul_i32_i24_e32 v36, v15, v34
	v_mul_i32_i24_e32 v55, v16, v23
	s_delay_alu instid0(VALU_DEP_4) | instskip(SKIP_2) | instid1(VALU_DEP_4)
	v_add3_u32 v62, v62, v91, v90
	v_mul_i32_i24_e32 v90, v60, v22
	v_mul_i32_i24_e32 v91, v89, v17
	v_add3_u32 v36, v53, v36, v55
	v_mul_i32_i24_e32 v53, v61, v238
	s_delay_alu instid0(VALU_DEP_3) | instskip(SKIP_1) | instid1(VALU_DEP_3)
	v_add3_u32 v90, v97, v91, v90
	v_mul_i32_i24_e32 v91, v60, v51
	v_add3_u32 v12, v12, v53, v38
	v_bfe_i32 v38, v32, 8, 8
	v_bfe_i32 v32, v32, 16, 8
	s_delay_alu instid0(VALU_DEP_4)
	v_add3_u32 v74, v74, v92, v91
	v_mul_i32_i24_e32 v91, v108, v247
	v_mul_i32_i24_e32 v92, v101, v58
	;; [unrolled: 1-line block ×5, first 2 shown]
	s_delay_alu instid0(VALU_DEP_4)
	v_add3_u32 v57, v57, v91, v92
	v_bfe_i32 v91, v31, 0, 8
	v_ashrrev_i32_e32 v92, 24, v31
	v_add3_u32 v53, v62, v53, v55
	v_mul_i32_i24_e32 v55, v38, v21
	v_mul_i32_i24_e32 v62, v32, v23
	v_mul_i32_i24_e32 v94, v91, v10
	v_mul_i32_i24_e32 v96, v92, v0
	v_mul_i32_i24_e32 v97, v92, v17
	v_add3_u32 v55, v90, v55, v61
	v_mul_i32_i24_e32 v61, v38, v34
	s_delay_alu instid0(VALU_DEP_4) | instskip(SKIP_1) | instid1(VALU_DEP_3)
	v_add3_u32 v94, v99, v96, v94
	v_mul_i32_i24_e32 v96, v91, v22
	v_add3_u32 v61, v74, v61, v62
	v_mul_i32_i24_e32 v62, v75, v238
	s_delay_alu instid0(VALU_DEP_3) | instskip(SKIP_2) | instid1(VALU_DEP_4)
	v_add3_u32 v76, v76, v97, v96
	v_mul_i32_i24_e32 v96, v91, v51
	v_mul_i32_i24_e32 v97, v92, v20
	v_add3_u32 v40, v57, v62, v40
	v_bfe_i32 v57, v31, 8, 8
	v_bfe_i32 v31, v31, 16, 8
	s_delay_alu instid0(VALU_DEP_4) | instskip(SKIP_1) | instid1(VALU_DEP_4)
	v_add3_u32 v77, v77, v97, v96
	v_mul_i32_i24_e32 v96, v102, v247
	v_mul_i32_i24_e32 v62, v57, v14
	s_delay_alu instid0(VALU_DEP_4) | instskip(SKIP_1) | instid1(VALU_DEP_4)
	v_mul_i32_i24_e32 v74, v31, v13
	v_mul_i32_i24_e32 v75, v31, v29
	v_add3_u32 v64, v64, v96, v80
	v_bfe_i32 v80, v28, 0, 8
	v_ashrrev_i32_e32 v96, 24, v28
	v_add3_u32 v62, v94, v62, v74
	v_mul_i32_i24_e32 v74, v57, v21
	s_delay_alu instid0(VALU_DEP_4) | instskip(NEXT) | instid1(VALU_DEP_4)
	v_mul_i32_i24_e32 v97, v80, v10
	v_mul_i32_i24_e32 v98, v96, v0
	;; [unrolled: 1-line block ×3, first 2 shown]
	s_delay_alu instid0(VALU_DEP_4)
	v_add3_u32 v74, v76, v74, v75
	v_mul_i32_i24_e32 v75, v57, v34
	v_mul_i32_i24_e32 v76, v31, v23
	v_add3_u32 v1, v1, v98, v97
	v_mul_i32_i24_e32 v97, v80, v22
	v_mul_i32_i24_e32 v98, v96, v17
	s_delay_alu instid0(VALU_DEP_4) | instskip(SKIP_1) | instid1(VALU_DEP_3)
	v_add3_u32 v75, v77, v75, v76
	v_mul_i32_i24_e32 v76, v78, v238
	v_add3_u32 v97, v100, v98, v97
	v_mul_i32_i24_e32 v98, v80, v51
	v_mul_i32_i24_e32 v100, v83, v0
	s_delay_alu instid0(VALU_DEP_4) | instskip(SKIP_4) | instid1(VALU_DEP_4)
	v_add3_u32 v42, v64, v76, v42
	v_bfe_i32 v64, v28, 8, 8
	v_bfe_i32 v28, v28, 16, 8
	v_add3_u32 v98, v104, v99, v98
	v_mul_i32_i24_e32 v99, v59, v10
	v_mul_i32_i24_e32 v76, v64, v14
	s_delay_alu instid0(VALU_DEP_4) | instskip(SKIP_1) | instid1(VALU_DEP_4)
	v_mul_i32_i24_e32 v77, v28, v13
	v_mul_i32_i24_e32 v78, v28, v23
	v_add3_u32 v79, v79, v100, v99
	v_mul_i32_i24_e32 v99, v59, v22
	v_mul_i32_i24_e32 v100, v83, v17
	v_add3_u32 v1, v1, v76, v77
	v_mul_i32_i24_e32 v76, v64, v21
	v_mul_i32_i24_e32 v77, v28, v29
	;; [unrolled: 1-line block ×3, first 2 shown]
	v_add3_u32 v81, v81, v100, v99
	v_mul_i32_i24_e32 v99, v59, v51
	v_mul_i32_i24_e32 v100, v83, v20
	v_add3_u32 v76, v97, v76, v77
	v_mul_i32_i24_e32 v77, v64, v34
	v_mul_i32_i24_e32 v59, v59, v230
	s_delay_alu instid0(VALU_DEP_4)
	v_add3_u32 v82, v82, v100, v99
	v_mul_i32_i24_e32 v99, v105, v247
	v_mul_i32_i24_e32 v100, v103, v58
	v_mul_i32_i24_e32 v58, v88, v58
	v_add3_u32 v77, v98, v77, v78
	v_mul_i32_i24_e32 v78, v27, v13
	v_ashrrev_i32_e32 v88, 24, v25
	v_add3_u32 v50, v50, v99, v100
	v_bfe_i32 v99, v26, 0, 8
	v_ashrrev_i32_e32 v100, 24, v26
	v_add3_u32 v71, v79, v71, v78
	v_mul_i32_i24_e32 v78, v44, v21
	v_add3_u32 v46, v50, v67, v46
	v_mul_i32_i24_e32 v101, v99, v10
	v_mul_i32_i24_e32 v102, v100, v0
	v_bfe_i32 v50, v26, 8, 8
	v_mul_i32_i24_e32 v79, v27, v29
	v_bfe_i32 v26, v26, 16, 8
	s_delay_alu instid0(VALU_DEP_4)
	v_add3_u32 v68, v68, v102, v101
	v_mul_i32_i24_e32 v101, v99, v22
	v_mul_i32_i24_e32 v102, v100, v17
	;; [unrolled: 1-line block ×3, first 2 shown]
	v_add3_u32 v78, v81, v78, v79
	v_mul_i32_i24_e32 v79, v44, v34
	v_mul_i32_i24_e32 v81, v27, v23
	v_add3_u32 v84, v84, v102, v101
	v_mul_i32_i24_e32 v101, v99, v51
	v_mul_i32_i24_e32 v102, v100, v20
	;; [unrolled: 1-line block ×3, first 2 shown]
	v_add3_u32 v79, v82, v79, v81
	v_mul_i32_i24_e32 v81, v26, v13
	v_mul_i32_i24_e32 v82, v26, v23
	v_add3_u32 v85, v85, v102, v101
	v_mul_i32_i24_e32 v101, v106, v247
	v_mul_i32_i24_e32 v102, v88, v0
	;; [unrolled: 3-line block ×3, first 2 shown]
	v_add3_u32 v58, v63, v101, v58
	v_bfe_i32 v63, v25, 0, 8
	v_mul_i32_i24_e32 v0, v226, v0
	v_mul_i32_i24_e32 v26, v26, v30
	v_add3_u32 v68, v84, v68, v81
	v_add3_u32 v48, v58, v65, v48
	v_bfe_i32 v58, v25, 8, 8
	v_mul_i32_i24_e32 v101, v63, v10
	v_mul_i32_i24_e32 v10, v233, v10
	;; [unrolled: 1-line block ×3, first 2 shown]
	v_bfe_i32 v25, v25, 16, 8
	v_mul_i32_i24_e32 v65, v58, v14
	v_mul_i32_i24_e32 v14, v56, v14
	v_add3_u32 v66, v66, v102, v101
	v_add3_u32 v81, v85, v81, v82
	v_mul_i32_i24_e32 v82, v25, v13
	v_mul_i32_i24_e32 v13, v52, v13
	v_add3_u32 v6, v6, v10, v14
	v_mul_i32_i24_e32 v10, v233, v22
	v_mul_i32_i24_e32 v14, v56, v21
	v_add3_u32 v65, v66, v65, v82
	v_mul_i32_i24_e32 v66, v58, v21
	v_add3_u32 v0, v6, v13, v0
	;; [unrolled: 2-line block ×3, first 2 shown]
	v_mul_i32_i24_e32 v10, v233, v51
	v_mul_i32_i24_e32 v14, v56, v34
	v_mul_i32_i24_e32 v13, v226, v17
	v_mul_i32_i24_e32 v101, v63, v22
	v_mul_i32_i24_e32 v102, v88, v17
	v_mul_i32_i24_e32 v22, v89, v229
	v_add3_u32 v8, v8, v10, v14
	v_mul_i32_i24_e32 v10, v11, v230
	v_mul_i32_i24_e32 v11, v19, v229
	v_add3_u32 v6, v7, v6, v13
	v_mul_i32_i24_e32 v7, v52, v23
	v_mul_i32_i24_e32 v13, v226, v20
	v_add3_u32 v86, v86, v102, v101
	v_add3_u32 v9, v9, v11, v10
	v_bfe_i32 v10, v35, 0, 8
	v_bfe_i32 v11, v35, 8, 8
	v_add3_u32 v7, v8, v7, v13
	v_mul_i32_i24_e32 v8, v16, v30
	v_mul_i32_i24_e32 v13, v15, v54
	;; [unrolled: 1-line block ×6, first 2 shown]
	v_add3_u32 v8, v9, v13, v8
	v_bfe_i32 v9, v35, 16, 8
	v_add3_u32 v14, v18, v14, v19
	v_mul_i32_i24_e32 v18, v10, v212
	v_mul_i32_i24_e32 v19, v11, v213
	v_ashrrev_i32_e32 v13, 24, v35
	v_add3_u32 v66, v86, v66, v82
	v_mul_i32_i24_e32 v82, v58, v34
	v_mul_i32_i24_e32 v15, v9, v205
	v_add3_u32 v18, v33, v18, v19
	v_mul_i32_i24_e32 v19, v10, v222
	v_mul_i32_i24_e32 v16, v13, v206
	;; [unrolled: 1-line block ×5, first 2 shown]
	v_add3_u32 v19, v36, v19, v21
	v_mul_i32_i24_e32 v21, v60, v230
	v_add3_u32 v14, v14, v15, v16
	v_mul_i32_i24_e32 v15, v9, v207
	v_mul_i32_i24_e32 v16, v13, v208
	;; [unrolled: 1-line block ×3, first 2 shown]
	v_add3_u32 v12, v12, v22, v21
	v_bfe_i32 v21, v37, 0, 8
	v_bfe_i32 v22, v37, 8, 8
	v_add3_u32 v15, v18, v15, v16
	v_mul_i32_i24_e32 v16, v9, v217
	v_mul_i32_i24_e32 v18, v38, v54
	;; [unrolled: 1-line block ×6, first 2 shown]
	v_add3_u32 v16, v19, v16, v17
	v_mul_i32_i24_e32 v17, v32, v30
	v_add3_u32 v33, v53, v33, v34
	v_mul_i32_i24_e32 v34, v21, v212
	v_mul_i32_i24_e32 v53, v92, v229
	v_ashrrev_i32_e32 v32, 24, v39
	v_add3_u32 v12, v12, v18, v17
	v_bfe_i32 v17, v37, 16, 8
	v_add3_u32 v34, v55, v34, v36
	v_mul_i32_i24_e32 v36, v21, v222
	v_ashrrev_i32_e32 v18, 24, v37
	v_mul_i32_i24_e32 v35, v32, v208
	v_mul_i32_i24_e32 v19, v17, v205
	v_ashrrev_i32_e32 v37, 24, v41
	v_add3_u32 v36, v61, v36, v51
	v_mul_i32_i24_e32 v51, v91, v230
	v_mul_i32_i24_e32 v20, v18, v206
	;; [unrolled: 1-line block ×4, first 2 shown]
	v_cvt_f32_i32_e32 v0, v0
	v_add3_u32 v40, v40, v53, v51
	v_bfe_i32 v51, v39, 0, 8
	v_bfe_i32 v53, v39, 8, 8
	v_add3_u32 v19, v33, v19, v20
	v_mul_i32_i24_e32 v20, v17, v207
	v_fma_mix_f32 v0, v166, v0, v166 op_sel:[0,0,1] op_sel_hi:[1,0,1]
	v_mul_i32_i24_e32 v55, v51, v211
	v_mul_i32_i24_e32 v56, v53, v210
	;; [unrolled: 1-line block ×4, first 2 shown]
	v_add3_u32 v20, v34, v20, v23
	v_mul_i32_i24_e32 v23, v17, v217
	v_add3_u32 v55, v62, v55, v56
	v_mul_i32_i24_e32 v56, v51, v212
	v_mul_i32_i24_e32 v62, v96, v229
	;; [unrolled: 1-line block ×3, first 2 shown]
	v_add3_u32 v23, v36, v23, v29
	v_mul_i32_i24_e32 v29, v31, v30
	v_add3_u32 v56, v74, v56, v60
	v_mul_i32_i24_e32 v60, v51, v222
	v_mul_i32_i24_e32 v31, v57, v54
	;; [unrolled: 1-line block ×3, first 2 shown]
	v_add3_u32 v87, v87, v102, v101
	v_mul_i32_i24_e32 v11, v24, v11
	v_add3_u32 v60, v75, v60, v61
	v_mul_i32_i24_e32 v61, v80, v230
	v_add3_u32 v29, v40, v31, v29
	v_bfe_i32 v31, v39, 16, 8
	v_mul_i32_i24_e32 v39, v37, v206
	v_mul_i32_i24_e32 v40, v37, v218
	v_add3_u32 v42, v42, v62, v61
	v_bfe_i32 v61, v41, 0, 8
	v_bfe_i32 v62, v41, 8, 8
	v_mul_i32_i24_e32 v33, v31, v205
	v_add_f32_e32 v155, v155, v0
	v_mul_i32_i24_e32 v10, v200, v10
	v_mul_i32_i24_e32 v74, v61, v211
	;; [unrolled: 1-line block ×3, first 2 shown]
	v_add3_u32 v33, v55, v33, v34
	v_mul_i32_i24_e32 v34, v31, v207
	v_add3_u32 v82, v87, v82, v84
	v_add3_u32 v8, v8, v10, v11
	;; [unrolled: 1-line block ×3, first 2 shown]
	v_mul_i32_i24_e32 v74, v61, v212
	v_mul_i32_i24_e32 v75, v62, v213
	v_add3_u32 v34, v56, v34, v35
	v_mul_i32_i24_e32 v35, v31, v217
	v_mul_i32_i24_e32 v10, v200, v21
	;; [unrolled: 1-line block ×3, first 2 shown]
	v_add3_u32 v74, v76, v74, v75
	v_mul_i32_i24_e32 v75, v61, v222
	v_mul_i32_i24_e32 v76, v62, v223
	v_add3_u32 v35, v60, v35, v36
	v_mul_i32_i24_e32 v36, v64, v54
	v_mul_i32_i24_e32 v9, v198, v9
	;; [unrolled: 1-line block ×3, first 2 shown]
	v_add3_u32 v75, v77, v75, v76
	v_mul_i32_i24_e32 v76, v83, v229
	v_add3_u32 v28, v42, v36, v28
	v_bfe_i32 v36, v41, 16, 8
	v_add3_u32 v10, v12, v10, v11
	v_mul_i32_i24_e32 v11, v200, v51
	v_add3_u32 v2, v2, v76, v59
	v_bfe_i32 v59, v43, 0, 8
	v_bfe_i32 v76, v43, 8, 8
	v_mul_i32_i24_e32 v38, v36, v205
	v_mul_i32_i24_e32 v12, v24, v53
	v_add3_u32 v8, v8, v9, v13
	v_mul_i32_i24_e32 v77, v59, v211
	v_mul_i32_i24_e32 v80, v76, v210
	v_add3_u32 v1, v1, v38, v39
	v_mul_i32_i24_e32 v38, v36, v207
	v_mul_i32_i24_e32 v39, v37, v208
	;; [unrolled: 1-line block ×3, first 2 shown]
	v_add3_u32 v71, v71, v77, v80
	v_mul_i32_i24_e32 v77, v59, v212
	v_mul_i32_i24_e32 v80, v76, v213
	v_add3_u32 v38, v74, v38, v39
	v_mul_i32_i24_e32 v39, v36, v217
	v_mul_i32_i24_e32 v13, v199, v18
	v_add3_u32 v11, v29, v11, v12
	v_add3_u32 v77, v78, v77, v80
	v_mul_i32_i24_e32 v78, v59, v222
	v_mul_i32_i24_e32 v80, v76, v223
	v_add3_u32 v39, v75, v39, v40
	v_mul_i32_i24_e32 v40, v44, v54
	v_mul_i32_i24_e32 v12, v200, v61
	;; [unrolled: 1-line block ×3, first 2 shown]
	v_add3_u32 v78, v79, v78, v80
	v_mul_i32_i24_e32 v79, v99, v230
	v_mul_i32_i24_e32 v80, v100, v229
	v_add3_u32 v2, v2, v40, v27
	v_bfe_i32 v27, v43, 16, 8
	v_ashrrev_i32_e32 v40, 24, v43
	v_add3_u32 v9, v10, v9, v13
	v_add3_u32 v46, v46, v80, v79
	v_bfe_i32 v79, v45, 0, 8
	v_bfe_i32 v80, v45, 8, 8
	v_mul_i32_i24_e32 v41, v27, v205
	v_mul_i32_i24_e32 v42, v40, v206
	;; [unrolled: 1-line block ×6, first 2 shown]
	v_add3_u32 v41, v71, v41, v42
	v_mul_i32_i24_e32 v42, v27, v207
	v_mul_i32_i24_e32 v10, v198, v31
	v_add3_u32 v67, v67, v83, v84
	v_mul_i32_i24_e32 v83, v79, v212
	v_mul_i32_i24_e32 v84, v80, v213
	;; [unrolled: 3-line block ×3, first 2 shown]
	v_mul_i32_i24_e32 v63, v63, v230
	v_add3_u32 v68, v68, v83, v84
	v_mul_i32_i24_e32 v83, v79, v222
	v_mul_i32_i24_e32 v84, v80, v223
	v_add3_u32 v43, v78, v43, v44
	v_mul_i32_i24_e32 v44, v50, v54
	v_add3_u32 v12, v28, v12, v21
	;; [unrolled: 2-line block ×3, first 2 shown]
	v_mul_i32_i24_e32 v83, v88, v229
	v_mul_i32_i24_e32 v22, v24, v76
	v_add3_u32 v10, v11, v10, v13
	v_mul_i32_i24_e32 v11, v198, v36
	v_mul_i32_i24_e32 v13, v199, v37
	v_add3_u32 v48, v48, v83, v63
	v_bfe_i32 v63, v47, 0, 8
	v_bfe_i32 v84, v47, 8, 8
	v_add3_u32 v26, v46, v44, v26
	v_bfe_i32 v44, v45, 16, 8
	v_ashrrev_i32_e32 v45, 24, v45
	v_mul_i32_i24_e32 v25, v25, v30
	v_mul_i32_i24_e32 v30, v58, v54
	v_add3_u32 v2, v2, v21, v22
	v_mul_i32_i24_e32 v21, v200, v79
	v_mul_i32_i24_e32 v22, v24, v80
	v_add3_u32 v11, v12, v11, v13
	;; [unrolled: 3-line block ×3, first 2 shown]
	v_bfe_i32 v30, v47, 16, 8
	v_ashrrev_i32_e32 v47, 24, v47
	v_add3_u32 v21, v26, v21, v22
	v_mul_i32_i24_e32 v22, v200, v63
	v_mul_i32_i24_e32 v24, v24, v84
	v_add3_u32 v2, v2, v12, v13
	v_mul_i32_i24_e32 v12, v198, v44
	v_mul_i32_i24_e32 v13, v199, v45
	;; [unrolled: 1-line block ×3, first 2 shown]
	v_add3_u32 v22, v25, v22, v24
	v_mul_i32_i24_e32 v46, v44, v205
	v_mul_i32_i24_e32 v50, v45, v206
	v_add3_u32 v12, v21, v12, v13
	v_mul_i32_i24_e32 v13, v198, v30
	v_mul_i32_i24_e32 v85, v84, v210
	;; [unrolled: 1-line block ×3, first 2 shown]
	v_add3_u32 v46, v67, v46, v50
	v_mul_i32_i24_e32 v50, v44, v207
	v_add3_u32 v13, v22, v13, v17
	v_cvt_f32_i32_e32 v17, v49
	v_mul_i32_i24_e32 v55, v45, v218
	v_mul_i32_i24_e32 v48, v30, v205
	v_add3_u32 v50, v68, v50, v52
	v_mul_i32_i24_e32 v52, v44, v217
	v_fma_mix_f32 v3, v3, v17, v3 op_sel:[0,0,1] op_sel_hi:[1,0,1]
	v_cvt_f32_i32_e32 v17, v20
	v_cvt_f32_i32_e32 v20, v34
	v_mul_i32_i24_e32 v54, v47, v206
	v_cvt_f32_i32_e32 v1, v1
	v_add_f32_e32 v176, v176, v3
	v_cvt_f32_i32_e32 v3, v6
	v_fma_mix_f32 v20, v187, v20, v187 op_sel:[0,0,1] op_sel_hi:[1,0,1]
	v_add3_u32 v52, v81, v52, v55
	v_mul_i32_i24_e32 v55, v47, v208
	v_fma_mix_f32 v1, v188, v1, v188 op_sel:[0,0,1] op_sel_hi:[1,0,1]
	v_fma_mix_f32 v3, v197, v3, v197 op_sel:[0,0,1] op_sel_hi:[1,0,1]
	v_add_f32_e32 v153, v153, v20
	v_cvt_f32_i32_e32 v6, v7
	v_cvt_f32_i32_e32 v7, v14
	s_delay_alu instid0(VALU_DEP_4)
	v_dual_add_f32 v137, v137, v1 :: v_dual_add_f32 v160, v160, v3
	v_mul_i32_i24_e32 v83, v63, v211
	s_clause 0x1
	scratch_load_b32 v1, off, off th:TH_LOAD_LU
	scratch_load_b32 v3, off, off offset:4 th:TH_LOAD_LU
	v_fma_mix_f32 v7, v196, v7, v196 op_sel:[0,0,1] op_sel_hi:[1,0,1]
	v_cvt_f32_i32_e32 v0, v8
	v_add3_u32 v65, v65, v83, v85
	v_mul_i32_i24_e32 v83, v63, v212
	v_mul_i32_i24_e32 v85, v84, v213
	v_add_f32_e32 v152, v152, v7
	scratch_load_b32 v7, off, off offset:20 th:TH_LOAD_LU ; 4-byte Folded Reload
	v_add3_u32 v48, v65, v48, v54
	v_mul_i32_i24_e32 v54, v30, v207
	v_add3_u32 v66, v66, v83, v85
	v_cvt_f32_i32_e32 v24, v41
	v_mul_i32_i24_e32 v85, v84, v223
	v_mul_i32_i24_e32 v56, v47, v218
	v_fma_mix_f32 v6, v195, v6, v195 op_sel:[0,0,1] op_sel_hi:[1,0,1]
	v_add3_u32 v54, v66, v54, v55
	v_mul_i32_i24_e32 v55, v30, v217
	v_cvt_f32_i32_e32 v30, v48
	v_fma_mix_f32 v24, v181, v24, v181 op_sel:[0,0,1] op_sel_hi:[1,0,1]
	v_cvt_f32_i32_e32 v2, v2
	v_cvt_f32_i32_e32 v14, v15
	;; [unrolled: 1-line block ×3, first 2 shown]
	v_fma_mix_f32 v4, v4, v30, v4 op_sel:[0,0,1] op_sel_hi:[1,0,1]
	v_cvt_f32_i32_e32 v30, v54
	v_add_f32_e32 v131, v131, v24
	v_mul_i32_i24_e32 v83, v63, v222
	v_cvt_f32_i32_e32 v16, v19
	v_add_f32_e32 v122, v122, v4
	v_fma_mix_f32 v5, v5, v30, v5 op_sel:[0,0,1] op_sel_hi:[1,0,1]
	scratch_load_b32 v4, off, off offset:8 th:TH_LOAD_LU ; 4-byte Folded Reload
	v_add3_u32 v82, v82, v83, v85
	v_cvt_f32_i32_e32 v18, v23
	v_cvt_f32_i32_e32 v19, v33
	v_add_f32_e32 v133, v133, v5
	scratch_load_b32 v5, off, off offset:12 th:TH_LOAD_LU ; 4-byte Folded Reload
	v_add3_u32 v55, v82, v55, v56
	v_cvt_f32_i32_e32 v21, v35
	v_cvt_f32_i32_e32 v22, v38
	;; [unrolled: 1-line block ×9, first 2 shown]
	v_add_f32_e32 v163, v163, v6
	v_cvt_f32_i32_e32 v6, v13
	v_fma_mix_f32 v14, v193, v14, v193 op_sel:[0,0,1] op_sel_hi:[1,0,1]
	v_fma_mix_f32 v15, v191, v15, v191 op_sel:[0,0,1] op_sel_hi:[1,0,1]
	;; [unrolled: 1-line block ×15, first 2 shown]
	v_add_f32_e32 v158, v158, v14
	v_dual_add_f32 v162, v162, v15 :: v_dual_add_f32 v149, v149, v16
	v_dual_add_f32 v156, v156, v17 :: v_dual_add_f32 v161, v161, v18
	v_add_f32_e32 v143, v143, v19
	v_dual_add_f32 v159, v159, v21 :: v_dual_add_f32 v150, v150, v22
	v_add_f32_e32 v157, v157, v23
	v_dual_add_f32 v145, v145, v25 :: v_dual_add_f32 v154, v154, v26
	v_dual_add_f32 v126, v126, v27 :: v_dual_add_f32 v139, v139, v28
	v_add_f32_e32 v151, v151, v29
	v_add_f32_e32 v147, v147, v30
	s_wait_loadcnt 0x4
	v_fma_mix_f32 v0, v1, v0, v1 op_sel:[0,0,1] op_sel_hi:[1,0,1]
	v_cvt_f32_i32_e32 v1, v9
	s_delay_alu instid0(VALU_DEP_2) | instskip(SKIP_1) | instid1(VALU_DEP_2)
	v_add_f32_e32 v141, v141, v0
	s_wait_loadcnt 0x3
	v_fma_mix_f32 v1, v3, v1, v3 op_sel:[0,0,1] op_sel_hi:[1,0,1]
	v_cvt_f32_i32_e32 v3, v10
	s_wait_loadcnt 0x2
	v_fma_mix_f32 v6, v7, v6, v7 op_sel:[0,0,1] op_sel_hi:[1,0,1]
	s_delay_alu instid0(VALU_DEP_3) | instskip(NEXT) | instid1(VALU_DEP_2)
	v_add_f32_e32 v135, v135, v1
	v_add_f32_e32 v113, v113, v6
	s_wait_loadcnt 0x1
	v_fma_mix_f32 v3, v4, v3, v4 op_sel:[0,0,1] op_sel_hi:[1,0,1]
	v_cvt_f32_i32_e32 v4, v11
	s_delay_alu instid0(VALU_DEP_2) | instskip(SKIP_1) | instid1(VALU_DEP_2)
	v_add_f32_e32 v129, v129, v3
	s_wait_loadcnt 0x0
	v_fma_mix_f32 v4, v5, v4, v5 op_sel:[0,0,1] op_sel_hi:[1,0,1]
	scratch_load_b32 v5, off, off offset:16 th:TH_LOAD_LU ; 4-byte Folded Reload
	v_add_f32_e32 v125, v125, v4
	s_wait_loadcnt 0x0
	v_fma_mix_f32 v2, v5, v2, v5 op_sel:[0,0,1] op_sel_hi:[1,0,1]
	v_cvt_f32_i32_e32 v5, v12
	s_delay_alu instid0(VALU_DEP_2) | instskip(NEXT) | instid1(VALU_DEP_2)
	v_add_f32_e32 v120, v120, v2
	v_fma_mix_f32 v5, v167, v5, v167 op_sel:[0,0,1] op_sel_hi:[1,0,1]
	s_delay_alu instid0(VALU_DEP_1)
	v_add_f32_e32 v117, v117, v5
	s_cbranch_scc1 .LBB140_12
; %bb.13:                               ;   in Loop: Header=BB140_7 Depth=1
	s_wait_storecnt 0x0
	s_barrier_signal -1
	s_barrier_wait -1
	global_inv scope:SCOPE_SE
	s_branch .LBB140_5
.LBB140_14:
	s_clause 0x2
	scratch_load_b32 v6, off, off offset:400 th:TH_LOAD_LU
	scratch_load_b32 v34, off, off offset:24 th:TH_LOAD_LU
	scratch_load_b32 v35, off, off offset:404
	v_cvt_f16_f32_e64 v12, v176
	v_cvt_f16_f32_e64 v13, v155
	;; [unrolled: 1-line block ×16, first 2 shown]
	v_cvt_f16_f32_e32 v20, v125
	v_cvt_f16_f32_e64 v19, v137
	v_cvt_f16_f32_e64 v18, v150
	v_cvt_f16_f32_e64 v17, v157
	v_cvt_f16_f32_e32 v16, v120
	v_cvt_f16_f32_e64 v15, v131
	v_cvt_f16_f32_e64 v11, v145
	;; [unrolled: 1-line block ×3, first 2 shown]
	v_cvt_f16_f32_e32 v9, v117
	v_cvt_f16_f32_e32 v8, v126
	v_cvt_f16_f32_e64 v7, v139
	v_cvt_f16_f32_e64 v5, v151
	v_cvt_f16_f32_e32 v4, v113
	v_cvt_f16_f32_e32 v3, v122
	v_cvt_f16_f32_e64 v2, v133
	v_cvt_f16_f32_e64 v1, v147
.LBB140_15:
	s_mov_b32 s0, exec_lo
	s_wait_loadcnt 0x0
	v_cmpx_gt_u32_e64 s6, v35
	s_cbranch_execz .LBB140_66
; %bb.16:
	v_add_nc_u32_e32 v0, s14, v34
	v_mul_lo_u32 v34, v35, s12
	s_delay_alu instid0(VALU_DEP_2)
	v_cmp_gt_u32_e32 vcc_lo, s12, v0
	s_and_saveexec_b32 s1, vcc_lo
	s_cbranch_execz .LBB140_18
; %bb.17:
	s_delay_alu instid0(VALU_DEP_2) | instskip(NEXT) | instid1(VALU_DEP_1)
	v_dual_mov_b32 v36, 0 :: v_dual_add_nc_u32 v35, v0, v34
	v_lshlrev_b64_e32 v[35:36], 1, v[35:36]
	s_wait_kmcnt 0x0
	s_delay_alu instid0(VALU_DEP_1) | instskip(NEXT) | instid1(VALU_DEP_1)
	v_add_co_u32 v35, s0, s8, v35
	v_add_co_ci_u32_e64 v36, null, s9, v36, s0
	global_store_b16 v[35:36], v12, off
.LBB140_18:
	s_or_b32 exec_lo, exec_lo, s1
	v_add_nc_u32_e32 v12, 32, v0
	s_delay_alu instid0(VALU_DEP_1)
	v_cmp_gt_u32_e64 s0, s12, v12
	s_and_saveexec_b32 s2, s0
	s_cbranch_execz .LBB140_20
; %bb.19:
	v_dual_mov_b32 v36, 0 :: v_dual_add_nc_u32 v35, v12, v34
	s_delay_alu instid0(VALU_DEP_1) | instskip(SKIP_1) | instid1(VALU_DEP_1)
	v_lshlrev_b64_e32 v[35:36], 1, v[35:36]
	s_wait_kmcnt 0x0
	v_add_co_u32 v35, s1, s8, v35
	s_wait_alu 0xf1ff
	s_delay_alu instid0(VALU_DEP_2)
	v_add_co_ci_u32_e64 v36, null, s9, v36, s1
	global_store_b16 v[35:36], v13, off
.LBB140_20:
	s_wait_alu 0xfffe
	s_or_b32 exec_lo, exec_lo, s2
	v_add_nc_u32_e32 v13, 64, v0
	s_delay_alu instid0(VALU_DEP_1)
	v_cmp_gt_u32_e64 s1, s12, v13
	s_and_saveexec_b32 s3, s1
	s_cbranch_execz .LBB140_22
; %bb.21:
	v_dual_mov_b32 v36, 0 :: v_dual_add_nc_u32 v35, v13, v34
	s_delay_alu instid0(VALU_DEP_1) | instskip(SKIP_1) | instid1(VALU_DEP_1)
	v_lshlrev_b64_e32 v[35:36], 1, v[35:36]
	s_wait_kmcnt 0x0
	v_add_co_u32 v35, s2, s8, v35
	s_wait_alu 0xf1ff
	s_delay_alu instid0(VALU_DEP_2)
	v_add_co_ci_u32_e64 v36, null, s9, v36, s2
	global_store_b16 v[35:36], v14, off
.LBB140_22:
	s_wait_alu 0xfffe
	;; [unrolled: 18-line block ×3, first 2 shown]
	s_or_b32 exec_lo, exec_lo, s4
	v_add3_u32 v33, v6, s13, 8
	s_delay_alu instid0(VALU_DEP_1)
	v_cmp_gt_u32_e64 s3, s6, v33
	s_and_b32 exec_lo, exec_lo, s3
	s_cbranch_execz .LBB140_66
; %bb.25:
	v_mul_lo_u32 v33, v33, s12
	s_and_saveexec_b32 s4, vcc_lo
	s_cbranch_execnz .LBB140_67
; %bb.26:
	s_wait_alu 0xfffe
	s_or_b32 exec_lo, exec_lo, s4
	s_and_saveexec_b32 s4, s0
	s_cbranch_execnz .LBB140_68
.LBB140_27:
	s_wait_alu 0xfffe
	s_or_b32 exec_lo, exec_lo, s4
	s_and_saveexec_b32 s4, s1
	s_cbranch_execnz .LBB140_69
.LBB140_28:
	s_wait_alu 0xfffe
	s_or_b32 exec_lo, exec_lo, s4
	s_and_saveexec_b32 s4, s2
	s_cbranch_execz .LBB140_30
.LBB140_29:
	v_dual_mov_b32 v31, 0 :: v_dual_add_nc_u32 v30, v33, v14
	s_delay_alu instid0(VALU_DEP_1) | instskip(SKIP_1) | instid1(VALU_DEP_1)
	v_lshlrev_b64_e32 v[30:31], 1, v[30:31]
	s_wait_kmcnt 0x0
	v_add_co_u32 v30, s3, s8, v30
	s_wait_alu 0xf1ff
	s_delay_alu instid0(VALU_DEP_2)
	v_add_co_ci_u32_e64 v31, null, s9, v31, s3
	global_store_b16 v[30:31], v29, off
.LBB140_30:
	s_wait_alu 0xfffe
	s_or_b32 exec_lo, exec_lo, s4
	v_add3_u32 v29, v6, s13, 16
	s_delay_alu instid0(VALU_DEP_1)
	v_cmp_gt_u32_e64 s3, s6, v29
	s_and_b32 exec_lo, exec_lo, s3
	s_cbranch_execz .LBB140_66
; %bb.31:
	v_mul_lo_u32 v29, v29, s12
	s_and_saveexec_b32 s4, vcc_lo
	s_cbranch_execnz .LBB140_70
; %bb.32:
	s_wait_alu 0xfffe
	s_or_b32 exec_lo, exec_lo, s4
	s_and_saveexec_b32 s4, s0
	s_cbranch_execnz .LBB140_71
.LBB140_33:
	s_wait_alu 0xfffe
	s_or_b32 exec_lo, exec_lo, s4
	s_and_saveexec_b32 s4, s1
	s_cbranch_execnz .LBB140_72
.LBB140_34:
	s_wait_alu 0xfffe
	s_or_b32 exec_lo, exec_lo, s4
	s_and_saveexec_b32 s4, s2
	s_cbranch_execz .LBB140_36
.LBB140_35:
	v_dual_mov_b32 v27, 0 :: v_dual_add_nc_u32 v26, v29, v14
	s_delay_alu instid0(VALU_DEP_1) | instskip(SKIP_1) | instid1(VALU_DEP_1)
	v_lshlrev_b64_e32 v[26:27], 1, v[26:27]
	s_wait_kmcnt 0x0
	v_add_co_u32 v26, s3, s8, v26
	s_wait_alu 0xf1ff
	s_delay_alu instid0(VALU_DEP_2)
	v_add_co_ci_u32_e64 v27, null, s9, v27, s3
	global_store_b16 v[26:27], v25, off
.LBB140_36:
	s_wait_alu 0xfffe
	s_or_b32 exec_lo, exec_lo, s4
	v_add3_u32 v25, v6, s13, 24
	s_delay_alu instid0(VALU_DEP_1)
	v_cmp_gt_u32_e64 s3, s6, v25
	s_and_b32 exec_lo, exec_lo, s3
	s_cbranch_execz .LBB140_66
; %bb.37:
	v_mul_lo_u32 v25, v25, s12
	s_and_saveexec_b32 s4, vcc_lo
	s_cbranch_execnz .LBB140_73
; %bb.38:
	s_wait_alu 0xfffe
	s_or_b32 exec_lo, exec_lo, s4
	s_and_saveexec_b32 s4, s0
	s_cbranch_execnz .LBB140_74
.LBB140_39:
	s_wait_alu 0xfffe
	s_or_b32 exec_lo, exec_lo, s4
	s_and_saveexec_b32 s4, s1
	s_cbranch_execnz .LBB140_75
.LBB140_40:
	s_wait_alu 0xfffe
	s_or_b32 exec_lo, exec_lo, s4
	s_and_saveexec_b32 s4, s2
	s_cbranch_execz .LBB140_42
.LBB140_41:
	v_dual_mov_b32 v23, 0 :: v_dual_add_nc_u32 v22, v25, v14
	s_delay_alu instid0(VALU_DEP_1) | instskip(SKIP_1) | instid1(VALU_DEP_1)
	v_lshlrev_b64_e32 v[22:23], 1, v[22:23]
	s_wait_kmcnt 0x0
	v_add_co_u32 v22, s3, s8, v22
	s_wait_alu 0xf1ff
	s_delay_alu instid0(VALU_DEP_2)
	v_add_co_ci_u32_e64 v23, null, s9, v23, s3
	global_store_b16 v[22:23], v21, off
.LBB140_42:
	s_wait_alu 0xfffe
	s_or_b32 exec_lo, exec_lo, s4
	v_add3_u32 v21, v6, s13, 32
	s_delay_alu instid0(VALU_DEP_1)
	v_cmp_gt_u32_e64 s3, s6, v21
	s_and_b32 exec_lo, exec_lo, s3
	s_cbranch_execz .LBB140_66
; %bb.43:
	v_mul_lo_u32 v21, v21, s12
	s_and_saveexec_b32 s4, vcc_lo
	s_cbranch_execnz .LBB140_76
; %bb.44:
	s_wait_alu 0xfffe
	s_or_b32 exec_lo, exec_lo, s4
	s_and_saveexec_b32 s4, s0
	s_cbranch_execnz .LBB140_77
.LBB140_45:
	s_wait_alu 0xfffe
	s_or_b32 exec_lo, exec_lo, s4
	s_and_saveexec_b32 s4, s1
	s_cbranch_execnz .LBB140_78
.LBB140_46:
	s_wait_alu 0xfffe
	s_or_b32 exec_lo, exec_lo, s4
	s_and_saveexec_b32 s4, s2
	s_cbranch_execz .LBB140_48
.LBB140_47:
	v_dual_mov_b32 v19, 0 :: v_dual_add_nc_u32 v18, v21, v14
	s_delay_alu instid0(VALU_DEP_1) | instskip(SKIP_1) | instid1(VALU_DEP_1)
	v_lshlrev_b64_e32 v[18:19], 1, v[18:19]
	s_wait_kmcnt 0x0
	v_add_co_u32 v18, s3, s8, v18
	s_wait_alu 0xf1ff
	s_delay_alu instid0(VALU_DEP_2)
	v_add_co_ci_u32_e64 v19, null, s9, v19, s3
	global_store_b16 v[18:19], v17, off
.LBB140_48:
	s_wait_alu 0xfffe
	s_or_b32 exec_lo, exec_lo, s4
	v_add3_u32 v17, v6, s13, 40
	s_delay_alu instid0(VALU_DEP_1)
	v_cmp_gt_u32_e64 s3, s6, v17
	s_and_b32 exec_lo, exec_lo, s3
	s_cbranch_execz .LBB140_66
; %bb.49:
	v_mul_lo_u32 v17, v17, s12
	s_and_saveexec_b32 s4, vcc_lo
	s_cbranch_execnz .LBB140_79
; %bb.50:
	s_wait_alu 0xfffe
	s_or_b32 exec_lo, exec_lo, s4
	s_and_saveexec_b32 s4, s0
	s_cbranch_execnz .LBB140_80
.LBB140_51:
	s_wait_alu 0xfffe
	s_or_b32 exec_lo, exec_lo, s4
	s_and_saveexec_b32 s4, s1
	s_cbranch_execnz .LBB140_81
.LBB140_52:
	s_wait_alu 0xfffe
	s_or_b32 exec_lo, exec_lo, s4
	s_and_saveexec_b32 s4, s2
	s_cbranch_execz .LBB140_54
.LBB140_53:
	v_dual_mov_b32 v16, 0 :: v_dual_add_nc_u32 v15, v17, v14
	s_delay_alu instid0(VALU_DEP_1) | instskip(SKIP_1) | instid1(VALU_DEP_1)
	v_lshlrev_b64_e32 v[15:16], 1, v[15:16]
	s_wait_kmcnt 0x0
	v_add_co_u32 v15, s3, s8, v15
	s_wait_alu 0xf1ff
	s_delay_alu instid0(VALU_DEP_2)
	v_add_co_ci_u32_e64 v16, null, s9, v16, s3
	global_store_b16 v[15:16], v10, off
.LBB140_54:
	s_wait_alu 0xfffe
	s_or_b32 exec_lo, exec_lo, s4
	v_add3_u32 v10, v6, s13, 48
	s_delay_alu instid0(VALU_DEP_1)
	v_cmp_gt_u32_e64 s3, s6, v10
	s_and_b32 exec_lo, exec_lo, s3
	s_cbranch_execz .LBB140_66
; %bb.55:
	v_mul_lo_u32 v10, v10, s12
	s_and_saveexec_b32 s4, vcc_lo
	s_cbranch_execnz .LBB140_82
; %bb.56:
	s_wait_alu 0xfffe
	s_or_b32 exec_lo, exec_lo, s4
	s_and_saveexec_b32 s4, s0
	s_cbranch_execnz .LBB140_83
.LBB140_57:
	s_wait_alu 0xfffe
	s_or_b32 exec_lo, exec_lo, s4
	s_and_saveexec_b32 s4, s1
	s_cbranch_execnz .LBB140_84
.LBB140_58:
	s_wait_alu 0xfffe
	s_or_b32 exec_lo, exec_lo, s4
	s_and_saveexec_b32 s4, s2
	s_cbranch_execz .LBB140_60
.LBB140_59:
	v_dual_mov_b32 v8, 0 :: v_dual_add_nc_u32 v7, v10, v14
	s_delay_alu instid0(VALU_DEP_1) | instskip(SKIP_1) | instid1(VALU_DEP_1)
	v_lshlrev_b64_e32 v[7:8], 1, v[7:8]
	s_wait_kmcnt 0x0
	v_add_co_u32 v7, s3, s8, v7
	s_wait_alu 0xf1ff
	s_delay_alu instid0(VALU_DEP_2)
	v_add_co_ci_u32_e64 v8, null, s9, v8, s3
	global_store_b16 v[7:8], v5, off
.LBB140_60:
	s_wait_alu 0xfffe
	s_or_b32 exec_lo, exec_lo, s4
	v_add3_u32 v5, v6, s13, 56
	s_delay_alu instid0(VALU_DEP_1)
	v_cmp_gt_u32_e64 s3, s6, v5
	s_and_b32 exec_lo, exec_lo, s3
	s_cbranch_execz .LBB140_66
; %bb.61:
	v_mul_lo_u32 v5, v5, s12
	s_and_saveexec_b32 s3, vcc_lo
	s_cbranch_execnz .LBB140_85
; %bb.62:
	s_wait_alu 0xfffe
	s_or_b32 exec_lo, exec_lo, s3
	s_and_saveexec_b32 s3, s0
	s_cbranch_execnz .LBB140_86
.LBB140_63:
	s_wait_alu 0xfffe
	s_or_b32 exec_lo, exec_lo, s3
	s_and_saveexec_b32 s0, s1
	s_cbranch_execnz .LBB140_87
.LBB140_64:
	s_wait_alu 0xfffe
	s_or_b32 exec_lo, exec_lo, s0
	s_delay_alu instid0(SALU_CYCLE_1)
	s_and_b32 exec_lo, exec_lo, s2
	s_cbranch_execz .LBB140_66
.LBB140_65:
	v_dual_mov_b32 v3, 0 :: v_dual_add_nc_u32 v2, v5, v14
	s_delay_alu instid0(VALU_DEP_1) | instskip(SKIP_1) | instid1(VALU_DEP_1)
	v_lshlrev_b64_e32 v[2:3], 1, v[2:3]
	s_wait_kmcnt 0x0
	v_add_co_u32 v2, vcc_lo, s8, v2
	s_wait_alu 0xfffd
	s_delay_alu instid0(VALU_DEP_2)
	v_add_co_ci_u32_e64 v3, null, s9, v3, vcc_lo
	global_store_b16 v[2:3], v1, off
.LBB140_66:
	s_nop 0
	s_sendmsg sendmsg(MSG_DEALLOC_VGPRS)
	s_endpgm
.LBB140_67:
	s_delay_alu instid0(VALU_DEP_1) | instskip(NEXT) | instid1(VALU_DEP_1)
	v_dual_mov_b32 v35, 0 :: v_dual_add_nc_u32 v34, v33, v0
	v_lshlrev_b64_e32 v[34:35], 1, v[34:35]
	s_wait_kmcnt 0x0
	s_delay_alu instid0(VALU_DEP_1) | instskip(SKIP_1) | instid1(VALU_DEP_2)
	v_add_co_u32 v34, s3, s8, v34
	s_wait_alu 0xf1ff
	v_add_co_ci_u32_e64 v35, null, s9, v35, s3
	global_store_b16 v[34:35], v32, off
	s_wait_alu 0xfffe
	s_or_b32 exec_lo, exec_lo, s4
	s_and_saveexec_b32 s4, s0
	s_cbranch_execz .LBB140_27
.LBB140_68:
	s_delay_alu instid0(VALU_DEP_1) | instskip(NEXT) | instid1(VALU_DEP_1)
	v_dual_mov_b32 v35, 0 :: v_dual_add_nc_u32 v34, v33, v12
	v_lshlrev_b64_e32 v[34:35], 1, v[34:35]
	s_wait_kmcnt 0x0
	s_delay_alu instid0(VALU_DEP_1) | instskip(SKIP_1) | instid1(VALU_DEP_2)
	v_add_co_u32 v34, s3, s8, v34
	s_wait_alu 0xf1ff
	v_add_co_ci_u32_e64 v35, null, s9, v35, s3
	global_store_b16 v[34:35], v31, off
	s_wait_alu 0xfffe
	s_or_b32 exec_lo, exec_lo, s4
	s_and_saveexec_b32 s4, s1
	s_cbranch_execz .LBB140_28
.LBB140_69:
	v_dual_mov_b32 v32, 0 :: v_dual_add_nc_u32 v31, v33, v13
	s_delay_alu instid0(VALU_DEP_1) | instskip(SKIP_1) | instid1(VALU_DEP_1)
	v_lshlrev_b64_e32 v[31:32], 1, v[31:32]
	s_wait_kmcnt 0x0
	v_add_co_u32 v31, s3, s8, v31
	s_wait_alu 0xf1ff
	s_delay_alu instid0(VALU_DEP_2)
	v_add_co_ci_u32_e64 v32, null, s9, v32, s3
	global_store_b16 v[31:32], v30, off
	s_wait_alu 0xfffe
	s_or_b32 exec_lo, exec_lo, s4
	s_and_saveexec_b32 s4, s2
	s_cbranch_execnz .LBB140_29
	s_branch .LBB140_30
.LBB140_70:
	s_delay_alu instid0(VALU_DEP_1) | instskip(NEXT) | instid1(VALU_DEP_1)
	v_dual_mov_b32 v31, 0 :: v_dual_add_nc_u32 v30, v29, v0
	v_lshlrev_b64_e32 v[30:31], 1, v[30:31]
	s_wait_kmcnt 0x0
	s_delay_alu instid0(VALU_DEP_1) | instskip(SKIP_1) | instid1(VALU_DEP_2)
	v_add_co_u32 v30, s3, s8, v30
	s_wait_alu 0xf1ff
	v_add_co_ci_u32_e64 v31, null, s9, v31, s3
	global_store_b16 v[30:31], v28, off
	s_wait_alu 0xfffe
	s_or_b32 exec_lo, exec_lo, s4
	s_and_saveexec_b32 s4, s0
	s_cbranch_execz .LBB140_33
.LBB140_71:
	s_delay_alu instid0(VALU_DEP_1) | instskip(NEXT) | instid1(VALU_DEP_1)
	v_dual_mov_b32 v31, 0 :: v_dual_add_nc_u32 v30, v29, v12
	v_lshlrev_b64_e32 v[30:31], 1, v[30:31]
	s_wait_kmcnt 0x0
	s_delay_alu instid0(VALU_DEP_1) | instskip(SKIP_1) | instid1(VALU_DEP_2)
	v_add_co_u32 v30, s3, s8, v30
	s_wait_alu 0xf1ff
	v_add_co_ci_u32_e64 v31, null, s9, v31, s3
	global_store_b16 v[30:31], v27, off
	s_wait_alu 0xfffe
	s_or_b32 exec_lo, exec_lo, s4
	s_and_saveexec_b32 s4, s1
	s_cbranch_execz .LBB140_34
.LBB140_72:
	v_dual_mov_b32 v28, 0 :: v_dual_add_nc_u32 v27, v29, v13
	s_delay_alu instid0(VALU_DEP_1) | instskip(SKIP_1) | instid1(VALU_DEP_1)
	v_lshlrev_b64_e32 v[27:28], 1, v[27:28]
	s_wait_kmcnt 0x0
	v_add_co_u32 v27, s3, s8, v27
	s_wait_alu 0xf1ff
	s_delay_alu instid0(VALU_DEP_2)
	v_add_co_ci_u32_e64 v28, null, s9, v28, s3
	global_store_b16 v[27:28], v26, off
	s_wait_alu 0xfffe
	s_or_b32 exec_lo, exec_lo, s4
	s_and_saveexec_b32 s4, s2
	s_cbranch_execnz .LBB140_35
	s_branch .LBB140_36
.LBB140_73:
	s_delay_alu instid0(VALU_DEP_1) | instskip(NEXT) | instid1(VALU_DEP_1)
	v_dual_mov_b32 v27, 0 :: v_dual_add_nc_u32 v26, v25, v0
	v_lshlrev_b64_e32 v[26:27], 1, v[26:27]
	s_wait_kmcnt 0x0
	s_delay_alu instid0(VALU_DEP_1) | instskip(SKIP_1) | instid1(VALU_DEP_2)
	v_add_co_u32 v26, s3, s8, v26
	s_wait_alu 0xf1ff
	v_add_co_ci_u32_e64 v27, null, s9, v27, s3
	global_store_b16 v[26:27], v24, off
	s_wait_alu 0xfffe
	s_or_b32 exec_lo, exec_lo, s4
	s_and_saveexec_b32 s4, s0
	s_cbranch_execz .LBB140_39
.LBB140_74:
	s_delay_alu instid0(VALU_DEP_1) | instskip(NEXT) | instid1(VALU_DEP_1)
	v_dual_mov_b32 v27, 0 :: v_dual_add_nc_u32 v26, v25, v12
	v_lshlrev_b64_e32 v[26:27], 1, v[26:27]
	s_wait_kmcnt 0x0
	s_delay_alu instid0(VALU_DEP_1) | instskip(SKIP_1) | instid1(VALU_DEP_2)
	v_add_co_u32 v26, s3, s8, v26
	s_wait_alu 0xf1ff
	v_add_co_ci_u32_e64 v27, null, s9, v27, s3
	global_store_b16 v[26:27], v23, off
	s_wait_alu 0xfffe
	s_or_b32 exec_lo, exec_lo, s4
	s_and_saveexec_b32 s4, s1
	s_cbranch_execz .LBB140_40
.LBB140_75:
	v_dual_mov_b32 v24, 0 :: v_dual_add_nc_u32 v23, v25, v13
	s_delay_alu instid0(VALU_DEP_1) | instskip(SKIP_1) | instid1(VALU_DEP_1)
	v_lshlrev_b64_e32 v[23:24], 1, v[23:24]
	s_wait_kmcnt 0x0
	v_add_co_u32 v23, s3, s8, v23
	s_wait_alu 0xf1ff
	s_delay_alu instid0(VALU_DEP_2)
	v_add_co_ci_u32_e64 v24, null, s9, v24, s3
	global_store_b16 v[23:24], v22, off
	s_wait_alu 0xfffe
	s_or_b32 exec_lo, exec_lo, s4
	s_and_saveexec_b32 s4, s2
	s_cbranch_execnz .LBB140_41
	s_branch .LBB140_42
.LBB140_76:
	s_delay_alu instid0(VALU_DEP_1) | instskip(NEXT) | instid1(VALU_DEP_1)
	v_dual_mov_b32 v23, 0 :: v_dual_add_nc_u32 v22, v21, v0
	v_lshlrev_b64_e32 v[22:23], 1, v[22:23]
	s_wait_kmcnt 0x0
	s_delay_alu instid0(VALU_DEP_1) | instskip(SKIP_1) | instid1(VALU_DEP_2)
	v_add_co_u32 v22, s3, s8, v22
	s_wait_alu 0xf1ff
	v_add_co_ci_u32_e64 v23, null, s9, v23, s3
	global_store_b16 v[22:23], v20, off
	s_wait_alu 0xfffe
	s_or_b32 exec_lo, exec_lo, s4
	s_and_saveexec_b32 s4, s0
	s_cbranch_execz .LBB140_45
.LBB140_77:
	s_delay_alu instid0(VALU_DEP_1) | instskip(NEXT) | instid1(VALU_DEP_1)
	v_dual_mov_b32 v23, 0 :: v_dual_add_nc_u32 v22, v21, v12
	v_lshlrev_b64_e32 v[22:23], 1, v[22:23]
	s_wait_kmcnt 0x0
	s_delay_alu instid0(VALU_DEP_1) | instskip(SKIP_1) | instid1(VALU_DEP_2)
	v_add_co_u32 v22, s3, s8, v22
	s_wait_alu 0xf1ff
	v_add_co_ci_u32_e64 v23, null, s9, v23, s3
	global_store_b16 v[22:23], v19, off
	s_wait_alu 0xfffe
	s_or_b32 exec_lo, exec_lo, s4
	s_and_saveexec_b32 s4, s1
	s_cbranch_execz .LBB140_46
.LBB140_78:
	v_dual_mov_b32 v20, 0 :: v_dual_add_nc_u32 v19, v21, v13
	s_delay_alu instid0(VALU_DEP_1) | instskip(SKIP_1) | instid1(VALU_DEP_1)
	v_lshlrev_b64_e32 v[19:20], 1, v[19:20]
	s_wait_kmcnt 0x0
	v_add_co_u32 v19, s3, s8, v19
	s_wait_alu 0xf1ff
	s_delay_alu instid0(VALU_DEP_2)
	v_add_co_ci_u32_e64 v20, null, s9, v20, s3
	global_store_b16 v[19:20], v18, off
	s_wait_alu 0xfffe
	s_or_b32 exec_lo, exec_lo, s4
	s_and_saveexec_b32 s4, s2
	s_cbranch_execnz .LBB140_47
	s_branch .LBB140_48
.LBB140_79:
	s_delay_alu instid0(VALU_DEP_1) | instskip(NEXT) | instid1(VALU_DEP_1)
	v_dual_mov_b32 v19, 0 :: v_dual_add_nc_u32 v18, v17, v0
	v_lshlrev_b64_e32 v[18:19], 1, v[18:19]
	s_wait_kmcnt 0x0
	s_delay_alu instid0(VALU_DEP_1) | instskip(SKIP_1) | instid1(VALU_DEP_2)
	v_add_co_u32 v18, s3, s8, v18
	s_wait_alu 0xf1ff
	v_add_co_ci_u32_e64 v19, null, s9, v19, s3
	global_store_b16 v[18:19], v16, off
	s_wait_alu 0xfffe
	s_or_b32 exec_lo, exec_lo, s4
	s_and_saveexec_b32 s4, s0
	s_cbranch_execz .LBB140_51
.LBB140_80:
	s_delay_alu instid0(VALU_DEP_1) | instskip(NEXT) | instid1(VALU_DEP_1)
	v_dual_mov_b32 v19, 0 :: v_dual_add_nc_u32 v18, v17, v12
	v_lshlrev_b64_e32 v[18:19], 1, v[18:19]
	s_wait_kmcnt 0x0
	s_delay_alu instid0(VALU_DEP_1) | instskip(SKIP_1) | instid1(VALU_DEP_2)
	v_add_co_u32 v18, s3, s8, v18
	s_wait_alu 0xf1ff
	v_add_co_ci_u32_e64 v19, null, s9, v19, s3
	global_store_b16 v[18:19], v15, off
	s_wait_alu 0xfffe
	s_or_b32 exec_lo, exec_lo, s4
	s_and_saveexec_b32 s4, s1
	s_cbranch_execz .LBB140_52
.LBB140_81:
	v_dual_mov_b32 v16, 0 :: v_dual_add_nc_u32 v15, v17, v13
	s_delay_alu instid0(VALU_DEP_1) | instskip(SKIP_1) | instid1(VALU_DEP_1)
	v_lshlrev_b64_e32 v[15:16], 1, v[15:16]
	s_wait_kmcnt 0x0
	v_add_co_u32 v15, s3, s8, v15
	s_wait_alu 0xf1ff
	s_delay_alu instid0(VALU_DEP_2)
	v_add_co_ci_u32_e64 v16, null, s9, v16, s3
	global_store_b16 v[15:16], v11, off
	s_wait_alu 0xfffe
	s_or_b32 exec_lo, exec_lo, s4
	s_and_saveexec_b32 s4, s2
	s_cbranch_execnz .LBB140_53
	s_branch .LBB140_54
.LBB140_82:
	s_delay_alu instid0(VALU_DEP_1) | instskip(NEXT) | instid1(VALU_DEP_1)
	v_dual_mov_b32 v16, 0 :: v_dual_add_nc_u32 v15, v10, v0
	v_lshlrev_b64_e32 v[15:16], 1, v[15:16]
	s_wait_kmcnt 0x0
	s_delay_alu instid0(VALU_DEP_1) | instskip(SKIP_1) | instid1(VALU_DEP_2)
	v_add_co_u32 v15, s3, s8, v15
	s_wait_alu 0xf1ff
	v_add_co_ci_u32_e64 v16, null, s9, v16, s3
	global_store_b16 v[15:16], v9, off
	s_wait_alu 0xfffe
	s_or_b32 exec_lo, exec_lo, s4
	s_and_saveexec_b32 s4, s0
	s_cbranch_execz .LBB140_57
.LBB140_83:
	s_delay_alu instid0(VALU_DEP_1) | instskip(NEXT) | instid1(VALU_DEP_1)
	v_dual_mov_b32 v16, 0 :: v_dual_add_nc_u32 v15, v10, v12
	v_lshlrev_b64_e32 v[15:16], 1, v[15:16]
	s_wait_kmcnt 0x0
	s_delay_alu instid0(VALU_DEP_1) | instskip(SKIP_1) | instid1(VALU_DEP_2)
	v_add_co_u32 v15, s3, s8, v15
	s_wait_alu 0xf1ff
	v_add_co_ci_u32_e64 v16, null, s9, v16, s3
	global_store_b16 v[15:16], v8, off
	s_wait_alu 0xfffe
	s_or_b32 exec_lo, exec_lo, s4
	s_and_saveexec_b32 s4, s1
	s_cbranch_execz .LBB140_58
.LBB140_84:
	v_dual_mov_b32 v9, 0 :: v_dual_add_nc_u32 v8, v10, v13
	s_delay_alu instid0(VALU_DEP_1) | instskip(SKIP_1) | instid1(VALU_DEP_1)
	v_lshlrev_b64_e32 v[8:9], 1, v[8:9]
	s_wait_kmcnt 0x0
	v_add_co_u32 v8, s3, s8, v8
	s_wait_alu 0xf1ff
	s_delay_alu instid0(VALU_DEP_2)
	v_add_co_ci_u32_e64 v9, null, s9, v9, s3
	global_store_b16 v[8:9], v7, off
	s_wait_alu 0xfffe
	s_or_b32 exec_lo, exec_lo, s4
	s_and_saveexec_b32 s4, s2
	s_cbranch_execnz .LBB140_59
	s_branch .LBB140_60
.LBB140_85:
	s_delay_alu instid0(VALU_DEP_1) | instskip(NEXT) | instid1(VALU_DEP_1)
	v_dual_mov_b32 v7, 0 :: v_dual_add_nc_u32 v6, v5, v0
	v_lshlrev_b64_e32 v[6:7], 1, v[6:7]
	s_wait_kmcnt 0x0
	s_delay_alu instid0(VALU_DEP_1) | instskip(SKIP_1) | instid1(VALU_DEP_2)
	v_add_co_u32 v6, vcc_lo, s8, v6
	s_wait_alu 0xfffd
	v_add_co_ci_u32_e64 v7, null, s9, v7, vcc_lo
	global_store_b16 v[6:7], v4, off
	s_wait_alu 0xfffe
	s_or_b32 exec_lo, exec_lo, s3
	s_and_saveexec_b32 s3, s0
	s_cbranch_execz .LBB140_63
.LBB140_86:
	s_delay_alu instid0(VALU_DEP_1) | instskip(NEXT) | instid1(VALU_DEP_1)
	v_dual_mov_b32 v7, 0 :: v_dual_add_nc_u32 v6, v5, v12
	v_lshlrev_b64_e32 v[6:7], 1, v[6:7]
	s_wait_kmcnt 0x0
	s_delay_alu instid0(VALU_DEP_1) | instskip(SKIP_1) | instid1(VALU_DEP_2)
	v_add_co_u32 v6, vcc_lo, s8, v6
	s_wait_alu 0xfffd
	v_add_co_ci_u32_e64 v7, null, s9, v7, vcc_lo
	global_store_b16 v[6:7], v3, off
	s_wait_alu 0xfffe
	s_or_b32 exec_lo, exec_lo, s3
	s_and_saveexec_b32 s0, s1
	s_cbranch_execz .LBB140_64
.LBB140_87:
	v_dual_mov_b32 v4, 0 :: v_dual_add_nc_u32 v3, v5, v13
	s_delay_alu instid0(VALU_DEP_1) | instskip(SKIP_1) | instid1(VALU_DEP_1)
	v_lshlrev_b64_e32 v[3:4], 1, v[3:4]
	s_wait_kmcnt 0x0
	v_add_co_u32 v3, vcc_lo, s8, v3
	s_wait_alu 0xfffd
	s_delay_alu instid0(VALU_DEP_2) | instskip(SKIP_3) | instid1(SALU_CYCLE_1)
	v_add_co_ci_u32_e64 v4, null, s9, v4, vcc_lo
	global_store_b16 v[3:4], v2, off
	s_wait_alu 0xfffe
	s_or_b32 exec_lo, exec_lo, s0
	s_and_b32 exec_lo, exec_lo, s2
	s_cbranch_execnz .LBB140_65
	s_branch .LBB140_66
	.section	.rodata,"a",@progbits
	.p2align	6, 0x0
	.amdhsa_kernel _ZL12mul_mat_q4_1IN3c104HalfELb1EEvPKvS3_PT_iiiii
		.amdhsa_group_segment_fixed_size 30336
		.amdhsa_private_segment_fixed_size 412
		.amdhsa_kernarg_size 44
		.amdhsa_user_sgpr_count 2
		.amdhsa_user_sgpr_dispatch_ptr 0
		.amdhsa_user_sgpr_queue_ptr 0
		.amdhsa_user_sgpr_kernarg_segment_ptr 1
		.amdhsa_user_sgpr_dispatch_id 0
		.amdhsa_user_sgpr_private_segment_size 0
		.amdhsa_wavefront_size32 1
		.amdhsa_uses_dynamic_stack 0
		.amdhsa_enable_private_segment 1
		.amdhsa_system_sgpr_workgroup_id_x 1
		.amdhsa_system_sgpr_workgroup_id_y 1
		.amdhsa_system_sgpr_workgroup_id_z 0
		.amdhsa_system_sgpr_workgroup_info 0
		.amdhsa_system_vgpr_workitem_id 1
		.amdhsa_next_free_vgpr 256
		.amdhsa_next_free_sgpr 17
		.amdhsa_reserve_vcc 1
		.amdhsa_float_round_mode_32 0
		.amdhsa_float_round_mode_16_64 0
		.amdhsa_float_denorm_mode_32 3
		.amdhsa_float_denorm_mode_16_64 3
		.amdhsa_fp16_overflow 0
		.amdhsa_workgroup_processor_mode 1
		.amdhsa_memory_ordered 1
		.amdhsa_forward_progress 1
		.amdhsa_inst_pref_size 255
		.amdhsa_round_robin_scheduling 0
		.amdhsa_exception_fp_ieee_invalid_op 0
		.amdhsa_exception_fp_denorm_src 0
		.amdhsa_exception_fp_ieee_div_zero 0
		.amdhsa_exception_fp_ieee_overflow 0
		.amdhsa_exception_fp_ieee_underflow 0
		.amdhsa_exception_fp_ieee_inexact 0
		.amdhsa_exception_int_div_zero 0
	.end_amdhsa_kernel
	.section	.text._ZL12mul_mat_q4_1IN3c104HalfELb1EEvPKvS3_PT_iiiii,"axG",@progbits,_ZL12mul_mat_q4_1IN3c104HalfELb1EEvPKvS3_PT_iiiii,comdat
.Lfunc_end140:
	.size	_ZL12mul_mat_q4_1IN3c104HalfELb1EEvPKvS3_PT_iiiii, .Lfunc_end140-_ZL12mul_mat_q4_1IN3c104HalfELb1EEvPKvS3_PT_iiiii
                                        ; -- End function
	.set _ZL12mul_mat_q4_1IN3c104HalfELb1EEvPKvS3_PT_iiiii.num_vgpr, 256
	.set _ZL12mul_mat_q4_1IN3c104HalfELb1EEvPKvS3_PT_iiiii.num_agpr, 0
	.set _ZL12mul_mat_q4_1IN3c104HalfELb1EEvPKvS3_PT_iiiii.numbered_sgpr, 17
	.set _ZL12mul_mat_q4_1IN3c104HalfELb1EEvPKvS3_PT_iiiii.num_named_barrier, 0
	.set _ZL12mul_mat_q4_1IN3c104HalfELb1EEvPKvS3_PT_iiiii.private_seg_size, 412
	.set _ZL12mul_mat_q4_1IN3c104HalfELb1EEvPKvS3_PT_iiiii.uses_vcc, 1
	.set _ZL12mul_mat_q4_1IN3c104HalfELb1EEvPKvS3_PT_iiiii.uses_flat_scratch, 1
	.set _ZL12mul_mat_q4_1IN3c104HalfELb1EEvPKvS3_PT_iiiii.has_dyn_sized_stack, 0
	.set _ZL12mul_mat_q4_1IN3c104HalfELb1EEvPKvS3_PT_iiiii.has_recursion, 0
	.set _ZL12mul_mat_q4_1IN3c104HalfELb1EEvPKvS3_PT_iiiii.has_indirect_call, 0
	.section	.AMDGPU.csdata,"",@progbits
; Kernel info:
; codeLenInByte = 36412
; TotalNumSgprs: 19
; NumVgprs: 256
; ScratchSize: 412
; MemoryBound: 0
; FloatMode: 240
; IeeeMode: 1
; LDSByteSize: 30336 bytes/workgroup (compile time only)
; SGPRBlocks: 0
; VGPRBlocks: 31
; NumSGPRsForWavesPerEU: 19
; NumVGPRsForWavesPerEU: 256
; Occupancy: 5
; WaveLimiterHint : 0
; COMPUTE_PGM_RSRC2:SCRATCH_EN: 1
; COMPUTE_PGM_RSRC2:USER_SGPR: 2
; COMPUTE_PGM_RSRC2:TRAP_HANDLER: 0
; COMPUTE_PGM_RSRC2:TGID_X_EN: 1
; COMPUTE_PGM_RSRC2:TGID_Y_EN: 1
; COMPUTE_PGM_RSRC2:TGID_Z_EN: 0
; COMPUTE_PGM_RSRC2:TIDIG_COMP_CNT: 1
	.section	.text._ZL12mul_mat_q5_0IN3c104HalfELb0EEvPKvS3_PT_iiiii,"axG",@progbits,_ZL12mul_mat_q5_0IN3c104HalfELb0EEvPKvS3_PT_iiiii,comdat
	.globl	_ZL12mul_mat_q5_0IN3c104HalfELb0EEvPKvS3_PT_iiiii ; -- Begin function _ZL12mul_mat_q5_0IN3c104HalfELb0EEvPKvS3_PT_iiiii
	.p2align	8
	.type	_ZL12mul_mat_q5_0IN3c104HalfELb0EEvPKvS3_PT_iiiii,@function
_ZL12mul_mat_q5_0IN3c104HalfELb0EEvPKvS3_PT_iiiii: ; @_ZL12mul_mat_q5_0IN3c104HalfELb0EEvPKvS3_PT_iiiii
; %bb.0:
	s_clause 0x1
	s_load_b32 s10, s[0:1], 0x18
	s_load_b96 s[4:6], s[0:1], 0x20
	v_bfe_u32 v25, v0, 10, 10
	v_and_b32_e32 v26, 0x3ff, v0
	s_lshl_b32 s7, ttmp7, 6
	s_wait_kmcnt 0x0
	s_cmp_gt_i32 s10, 31
	s_cbranch_scc1 .LBB141_2
; %bb.1:
	v_bfe_u32 v6, v0, 10, 10
	v_and_b32_e32 v37, 0x3ff, v0
	s_mov_b32 s2, 0
	s_delay_alu instid0(VALU_DEP_2)
	v_add_nc_u32_e32 v27, s7, v6
	s_branch .LBB141_3
.LBB141_2:
	s_mov_b32 s2, -1
                                        ; implicit-def: $vgpr6
                                        ; implicit-def: $vgpr37
                                        ; implicit-def: $vgpr27
.LBB141_3:
	s_load_b64 s[8:9], s[0:1], 0x10
	v_dual_mov_b32 v1, 0 :: v_dual_mov_b32 v10, 0
	v_dual_mov_b32 v5, 0 :: v_dual_mov_b32 v28, 0
	;; [unrolled: 1-line block ×16, first 2 shown]
	s_and_not1_b32 vcc_lo, exec_lo, s2
	s_lshl_b32 s14, ttmp9, 7
	s_cbranch_vccnz .LBB141_14
; %bb.4:
	v_dual_mov_b32 v36, 0 :: v_dual_add_nc_u32 v27, s7, v25
	s_ashr_i32 s11, s10, 31
	v_bfe_u32 v35, v0, 2, 8
	s_lshr_b32 s11, s11, 27
	s_delay_alu instid0(VALU_DEP_2)
	v_dual_mov_b32 v126, 0 :: v_dual_add_nc_u32 v5, 8, v27
	v_dual_mov_b32 v120, 0 :: v_dual_add_nc_u32 v7, 16, v27
	v_add_nc_u32_e32 v9, 24, v27
	v_add_nc_u32_e32 v11, 32, v27
	v_dual_mov_b32 v140, 0 :: v_dual_add_nc_u32 v13, 40, v27
	v_dual_mov_b32 v134, 0 :: v_dual_add_nc_u32 v15, 48, v27
	;; [unrolled: 1-line block ×3, first 2 shown]
	s_add_co_i32 s10, s10, s11
	s_add_co_i32 s11, s4, -1
	v_cvt_f64_u32_e32 v[3:4], v27
	v_cvt_f64_i32_e32 v[1:2], s11
	v_cvt_f64_u32_e32 v[5:6], v5
	v_cvt_f64_u32_e32 v[7:8], v7
	;; [unrolled: 1-line block ×7, first 2 shown]
	s_ashr_i32 s15, s10, 5
	v_bfe_u32 v56, v0, 3, 7
	s_ashr_i32 s12, s5, 31
	v_mul_lo_u32 v28, s15, v25
	s_lshr_b32 s12, s12, 27
	v_add_nc_u32_e32 v81, 0x60, v26
	s_add_co_i32 s5, s5, s12
	s_lshl_b32 s16, s15, 3
	s_ashr_i32 s5, s5, 5
	v_and_b32_e32 v19, 3, v0
	v_and_b32_e32 v60, 7, v0
	v_add_nc_u32_e32 v29, s16, v28
	v_lshlrev_b32_e32 v114, 3, v81
	v_dual_mov_b32 v145, 0 :: v_dual_add_nc_u32 v20, 8, v25
	v_dual_mov_b32 v138, 0 :: v_dual_lshlrev_b32 v39, 2, v19
	v_lshlrev_b32_e32 v70, 2, v60
	s_delay_alu instid0(VALU_DEP_4)
	v_dual_mov_b32 v114, 0 :: v_dual_lshlrev_b32 v133, 2, v114
	v_add_nc_u32_e32 v30, s16, v29
	v_dual_mov_b32 v130, 0 :: v_dual_add_nc_u32 v21, 16, v25
	v_dual_mov_b32 v135, 0 :: v_dual_add_nc_u32 v22, 24, v25
	;; [unrolled: 1-line block ×3, first 2 shown]
	v_add_nc_u32_e32 v24, 40, v25
	v_add_nc_u32_e32 v92, 48, v25
	v_and_b32_e32 v0, 31, v0
	v_min_num_f64_e32 v[3:4], v[3:4], v[1:2]
	v_min_num_f64_e32 v[5:6], v[5:6], v[1:2]
	;; [unrolled: 1-line block ×8, first 2 shown]
	v_lshl_add_u32 v18, v25, 2, v56
	v_dual_mov_b32 v136, 0 :: v_dual_add_nc_u32 v17, 56, v25
	v_lshl_or_b32 v101, v0, 2, 0x8200
	s_load_b128 s[0:3], s[0:1], 0x0
	s_delay_alu instid0(VALU_DEP_3)
	v_and_b32_e32 v67, 0x7fc, v18
	v_mul_lo_u32 v66, s15, v18
	s_and_not1_b32 s10, s10, 31
	v_lshlrev_b32_e32 v33, 3, v26
	v_lshrrev_b32_e32 v116, 2, v81
	s_mul_i32 s12, s15, s14
	s_movk_i32 s17, 0x6180
	s_ashr_i32 s13, s12, 31
	v_lshlrev_b32_e32 v79, 5, v25
	v_dual_mov_b32 v116, 0 :: v_dual_lshlrev_b32 v131, 2, v116
	v_mad_u32_u24 v37, 0x104, v25, v33
	s_mul_u64 s[12:13], s[12:13], 22
	v_lshlrev_b32_e32 v80, 4, v25
	v_lshlrev_b32_e32 v81, 5, v20
	;; [unrolled: 1-line block ×3, first 2 shown]
	v_dual_mov_b32 v143, 0 :: v_dual_add_nc_u32 v40, 0x820, v37
	v_dual_mov_b32 v141, 0 :: v_dual_add_nc_u32 v42, 0x1040, v37
	s_wait_kmcnt 0x0
	s_add_nc_u64 s[0:1], s[0:1], s[12:13]
	s_movk_i32 s12, 0x2080
	s_movk_i32 s13, 0x4100
	v_dual_mov_b32 v118, 0 :: v_dual_add_nc_u32 v43, 0x1860, v37
	v_cvt_i32_f64_e32 v3, v[3:4]
	v_cvt_i32_f64_e32 v5, v[5:6]
	;; [unrolled: 1-line block ×8, first 2 shown]
	v_lshl_add_u32 v1, v25, 3, v35
	v_add_nc_u32_e32 v6, 32, v18
	v_add_nc_u32_e32 v14, 64, v18
	;; [unrolled: 1-line block ×3, first 2 shown]
	v_lshlrev_b32_e32 v8, 5, v18
	v_and_b32_e32 v1, 63, v1
	v_and_b32_e32 v11, 0xffc, v6
	;; [unrolled: 1-line block ×4, first 2 shown]
	v_add3_u32 v4, v67, v70, 0xa200
	v_or_b32_e32 v71, s7, v1
	v_add3_u32 v11, v11, v70, 0xa200
	v_add3_u32 v16, v16, v70, 0xa200
	;; [unrolled: 1-line block ×3, first 2 shown]
	v_lshlrev_b32_e32 v70, 2, v26
	v_min_i32_e32 v71, s11, v71
	v_lshl_or_b32 v72, v1, 4, v39
	s_wait_alu 0xfffe
	v_add_nc_u32_e32 v67, s10, v66
	v_lshlrev_b32_e32 v6, 5, v6
	v_and_b32_e32 v100, 28, v70
	v_mad_co_u64_u32 v[0:1], null, v71, s5, v[19:20]
	v_add_nc_u32_e32 v70, 0xb280, v72
	v_lshlrev_b32_e32 v19, 7, v17
	v_add_nc_u32_e32 v1, 32, v26
	v_add_nc_u32_e32 v68, s10, v67
	v_lshlrev_b32_e32 v14, 5, v14
	v_lshlrev_b32_e32 v15, 5, v15
	v_add_nc_u32_e32 v121, v101, v19
	v_lshlrev_b32_e32 v104, 3, v1
	v_mul_lo_u32 v71, s5, v3
	v_lshlrev_b32_e32 v3, 7, v25
	v_mul_lo_u32 v72, s5, v5
	;; [unrolled: 2-line block ×4, first 2 shown]
	v_mul_lo_u32 v78, s5, v2
	v_add_nc_u32_e32 v2, 64, v26
	v_lshlrev_b32_e32 v9, 7, v22
	v_mul_lo_u32 v75, s5, v10
	v_lshlrev_b32_e32 v10, 7, v23
	v_mul_lo_u32 v76, s5, v12
	v_lshlrev_b32_e32 v109, 3, v2
	v_lshlrev_b32_e32 v12, 7, v24
	v_mul_lo_u32 v77, s5, v13
	v_dual_mov_b32 v122, 0 :: v_dual_lshlrev_b32 v13, 7, v92
	s_delay_alu instid0(VALU_DEP_4)
	v_lshlrev_b32_e32 v129, 2, v109
	v_mov_b32_e32 v109, 0
	v_add_nc_u32_e32 v31, s16, v30
	v_add_nc_u32_e32 v108, v101, v3
	;; [unrolled: 1-line block ×9, first 2 shown]
	s_delay_alu instid0(VALU_DEP_4) | instskip(SKIP_3) | instid1(VALU_DEP_4)
	v_dual_mov_b32 v101, 0 :: v_dual_add_nc_u32 v34, s16, v32
	v_mov_b32_e32 v137, 0
	v_lshrrev_b32_e32 v111, 2, v2
	v_dual_mov_b32 v124, 0 :: v_dual_mov_b32 v147, 0
	v_dual_mov_b32 v139, 0 :: v_dual_add_nc_u32 v38, s16, v34
	s_delay_alu instid0(VALU_DEP_3) | instskip(SKIP_2) | instid1(VALU_DEP_4)
	v_lshlrev_b32_e32 v127, 2, v111
	v_mov_b32_e32 v111, 0
	v_lshrrev_b32_e32 v106, 2, v1
	v_add_nc_u32_e32 v41, s16, v38
	v_lshrrev_b32_e32 v99, 3, v1
	v_add_co_u32 v1, s5, s2, v100
	v_dual_mov_b32 v146, 0 :: v_dual_add_nc_u32 v45, 0x2080, v37
	s_delay_alu instid0(VALU_DEP_4) | instskip(SKIP_2) | instid1(VALU_DEP_3)
	v_add_nc_u32_e32 v44, s16, v41
	v_dual_mov_b32 v144, 0 :: v_dual_add_nc_u32 v47, 0x28a0, v37
	v_dual_mov_b32 v142, 0 :: v_dual_add_nc_u32 v49, 0x30c0, v37
	v_add_nc_u32_e32 v46, s16, v44
	v_dual_mov_b32 v132, 0 :: v_dual_add_nc_u32 v51, 0x38e0, v37
	v_add_nc_u32_e32 v52, 0x4100, v37
	v_add_nc_u32_e32 v54, 0x4920, v37
	s_delay_alu instid0(VALU_DEP_4)
	v_add_nc_u32_e32 v48, s16, v46
	v_add_nc_u32_e32 v55, 0x5140, v37
	;; [unrolled: 1-line block ×9, first 2 shown]
	v_lshlrev_b32_e32 v83, 5, v21
	v_add_nc_u32_e32 v53, s16, v50
	v_lshlrev_b32_e32 v84, 4, v21
	v_lshlrev_b32_e32 v85, 5, v22
	v_lshlrev_b32_e32 v86, 4, v22
	v_lshlrev_b32_e32 v87, 5, v23
	v_add_nc_u32_e32 v58, s16, v53
	v_lshlrev_b32_e32 v88, 4, v23
	v_lshlrev_b32_e32 v89, 5, v24
	v_lshlrev_b32_e32 v90, 4, v24
	;; [unrolled: 5-line block ×3, first 2 shown]
	v_mul_u32_u24_e32 v95, 0x104, v26
	v_add_nc_u32_e32 v64, s16, v61
	v_mad_u32_u24 v96, 0x104, v26, s12
	v_mad_u32_u24 v97, 0x104, v26, s13
	;; [unrolled: 1-line block ×3, first 2 shown]
	s_wait_alu 0xf1ff
	v_add_co_ci_u32_e64 v2, null, s3, 0, s5
	v_add_nc_u32_e32 v102, v4, v8
	v_add_nc_u32_e32 v103, v11, v6
	;; [unrolled: 1-line block ×4, first 2 shown]
	v_lshlrev_b32_e32 v123, 2, v106
	v_dual_mov_b32 v104, 0 :: v_dual_lshlrev_b32 v125, 2, v104
	v_mov_b32_e32 v100, 0
	v_mov_b32_e32 v106, 0
	s_mov_b32 s11, 0
	s_add_co_i32 s5, s15, 3
	s_wait_alu 0xfffe
	s_mov_b32 s10, s11
	s_branch .LBB141_6
.LBB141_5:                              ;   in Loop: Header=BB141_6 Depth=1
	s_add_co_i32 s10, s10, 8
	s_add_co_i32 s5, s5, -8
	s_wait_alu 0xfffe
	s_cmp_ge_i32 s10, s15
	s_cbranch_scc1 .LBB141_13
.LBB141_6:                              ; =>This Loop Header: Depth=1
                                        ;     Child Loop BB141_8 Depth 2
                                        ;     Child Loop BB141_11 Depth 2
	s_wait_alu 0xfffe
	s_mul_u64 s[12:13], s[10:11], 22
	s_cmp_gt_u32 s5, 3
	s_wait_alu 0xfffe
	s_add_nc_u64 s[12:13], s[0:1], s[12:13]
	s_wait_alu 0xfffe
	v_mad_co_u64_u32 v[3:4], null, v35, 22, s[12:13]
	s_delay_alu instid0(VALU_DEP_1) | instskip(SKIP_3) | instid1(VALU_DEP_4)
	v_mad_co_u64_u32 v[5:6], null, v28, 22, v[3:4]
	v_mad_co_u64_u32 v[7:8], null, v29, 22, v[3:4]
	v_mad_co_u64_u32 v[9:10], null, v30, 22, v[3:4]
	v_mad_co_u64_u32 v[16:17], null, v31, 22, v[3:4]
	v_add_co_u32 v11, vcc_lo, v5, v39
	s_wait_alu 0xfffd
	v_add_co_ci_u32_e64 v12, null, 0, v6, vcc_lo
	v_add_co_u32 v13, vcc_lo, v7, v39
	s_wait_alu 0xfffd
	v_add_co_ci_u32_e64 v14, null, 0, v8, vcc_lo
	;; [unrolled: 3-line block ×4, first 2 shown]
	s_clause 0x7
	global_load_b32 v15, v[11:12], off offset:6
	global_load_b32 v13, v[13:14], off offset:6
	;; [unrolled: 1-line block ×8, first 2 shown]
	v_mad_co_u64_u32 v[5:6], null, v32, 22, v[3:4]
	v_mad_co_u64_u32 v[19:20], null, v34, 22, v[3:4]
	;; [unrolled: 1-line block ×4, first 2 shown]
	s_delay_alu instid0(VALU_DEP_4)
	v_add_co_u32 v23, vcc_lo, v5, v39
	s_wait_alu 0xfffd
	v_add_co_ci_u32_e64 v24, null, 0, v6, vcc_lo
	v_add_co_u32 v154, vcc_lo, v19, v39
	s_wait_alu 0xfffd
	v_add_co_ci_u32_e64 v155, null, 0, v20, vcc_lo
	s_clause 0x5
	global_load_b32 v8, v[152:153], off offset:2
	global_load_b32 v10, v[150:151], off offset:2
	;; [unrolled: 1-line block ×6, first 2 shown]
	v_add_co_u32 v5, vcc_lo, v150, v39
	s_wait_alu 0xfffd
	v_add_co_ci_u32_e64 v6, null, 0, v151, vcc_lo
	v_add_co_u32 v19, vcc_lo, v152, v39
	s_wait_alu 0xfffd
	v_add_co_ci_u32_e64 v20, null, 0, v153, vcc_lo
	s_clause 0x1
	global_load_b32 v9, v[5:6], off offset:6
	global_load_b32 v7, v[19:20], off offset:6
	v_mad_co_u64_u32 v[152:153], null, v44, 22, v[3:4]
	v_mad_co_u64_u32 v[5:6], null, v60, 22, s[12:13]
	;; [unrolled: 1-line block ×5, first 2 shown]
	v_add_co_u32 v150, vcc_lo, v152, v39
	v_mad_co_u64_u32 v[19:20], null, v66, 22, v[5:6]
	s_wait_alu 0xfffd
	v_add_co_ci_u32_e64 v151, null, 0, v153, vcc_lo
	v_add_co_u32 v164, vcc_lo, v154, v39
	s_wait_alu 0xfffd
	v_add_co_ci_u32_e64 v165, null, 0, v155, vcc_lo
	v_add_co_u32 v166, vcc_lo, v156, v39
	;; [unrolled: 3-line block ×3, first 2 shown]
	s_wait_alu 0xfffd
	v_add_co_ci_u32_e64 v169, null, 0, v159, vcc_lo
	s_clause 0x8
	global_load_u16 v20, v[19:20], off
	global_load_b32 v170, v[150:151], off offset:6
	global_load_b32 v164, v[164:165], off offset:6
	global_load_b32 v150, v[166:167], off offset:6
	global_load_b32 v19, v[168:169], off offset:6
	global_load_b32 v21, v[158:159], off offset:2
	global_load_b32 v151, v[156:157], off offset:2
	global_load_b32 v154, v[154:155], off offset:2
	global_load_b32 v152, v[152:153], off offset:2
	v_mad_co_u64_u32 v[160:161], null, v53, 22, v[3:4]
	v_mad_co_u64_u32 v[162:163], null, v58, 22, v[3:4]
	s_wait_loadcnt 0x18
	v_and_b32_e32 v153, 0xf0f0f0f, v15
	v_lshrrev_b32_e32 v15, 4, v15
	s_wait_loadcnt 0x17
	v_and_b32_e32 v155, 0xf0f0f0f, v13
	v_lshrrev_b32_e32 v13, 4, v13
	s_wait_loadcnt 0x14
	v_ashrrev_i32_e32 v14, v39, v14
	s_wait_loadcnt 0x13
	v_ashrrev_i32_e32 v16, v39, v16
	;; [unrolled: 2-line block ×4, first 2 shown]
	v_and_b32_e32 v156, 0xf0f0f0f, v11
	v_lshrrev_b32_e32 v11, 4, v11
	v_lshlrev_b32_e32 v180, 4, v16
	v_lshlrev_b32_e32 v173, 4, v17
	v_lshlrev_b32_e32 v165, 4, v18
	v_lshlrev_b32_e32 v166, 11, v18
	v_lshlrev_b32_e32 v167, 18, v18
	v_lshlrev_b32_e32 v168, 25, v18
	v_lshrrev_b32_e32 v169, 12, v18
	v_lshrrev_b32_e32 v171, 5, v18
	v_lshlrev_b32_e32 v172, 2, v18
	v_lshlrev_b32_e32 v18, 9, v18
	;; [unrolled: 1-line block ×3, first 2 shown]
	s_wait_loadcnt 0xe
	v_ashrrev_i32_e32 v22, v39, v22
	v_lshlrev_b32_e32 v175, 18, v17
	v_lshlrev_b32_e32 v176, 25, v17
	v_lshrrev_b32_e32 v177, 12, v17
	v_lshrrev_b32_e32 v178, 5, v17
	v_lshlrev_b32_e32 v179, 2, v17
	v_lshlrev_b32_e32 v17, 9, v17
	;; [unrolled: 1-line block ×5, first 2 shown]
	v_lshrrev_b32_e32 v184, 12, v16
	v_lshrrev_b32_e32 v185, 5, v16
	v_lshlrev_b32_e32 v186, 2, v16
	v_lshlrev_b32_e32 v16, 9, v16
	;; [unrolled: 1-line block ×4, first 2 shown]
	s_wait_loadcnt 0xd
	v_ashrrev_i32_e32 v149, v39, v149
	s_wait_loadcnt 0xb
	v_and_b32_e32 v159, 0xf0f0f0f, v23
	v_lshrrev_b32_e32 v23, 4, v23
	v_and_b32_e32 v15, 0xf0f0f0f, v15
	v_lshlrev_b32_e32 v201, 4, v22
	v_lshlrev_b32_e32 v202, 11, v22
	;; [unrolled: 1-line block ×4, first 2 shown]
	v_lshrrev_b32_e32 v205, 12, v22
	v_lshrrev_b32_e32 v206, 5, v22
	v_lshlrev_b32_e32 v207, 2, v22
	v_lshlrev_b32_e32 v22, 9, v22
	v_and_b32_e32 v165, 16, v165
	v_and_b32_e32 v166, 0x1000, v166
	;; [unrolled: 1-line block ×25, first 2 shown]
	v_lshrrev_b32_e32 v12, 4, v12
	v_lshlrev_b32_e32 v189, 18, v14
	v_lshlrev_b32_e32 v190, 25, v14
	v_lshrrev_b32_e32 v191, 12, v14
	v_lshrrev_b32_e32 v192, 5, v14
	v_lshlrev_b32_e32 v193, 2, v14
	v_lshlrev_b32_e32 v14, 9, v14
	;; [unrolled: 1-line block ×4, first 2 shown]
	v_and_b32_e32 v23, 0xf0f0f0f, v23
	v_and_b32_e32 v205, 16, v205
	;; [unrolled: 1-line block ×5, first 2 shown]
	v_or3_b32 v165, v165, v153, v166
	v_or3_b32 v153, v153, v167, v168
	v_or3_b32 v166, v169, v15, v171
	v_or3_b32 v15, v15, v172, v18
	v_or3_b32 v18, v173, v155, v174
	v_and_b32_e32 v175, 0x100000, v175
	v_and_b32_e32 v176, 0x10000000, v176
	v_or3_b32 v167, v177, v13, v178
	v_or3_b32 v13, v13, v179, v17
	;; [unrolled: 1-line block ×6, first 2 shown]
	v_and_b32_e32 v158, 0xf0f0f0f, v24
	v_and_b32_e32 v12, 0xf0f0f0f, v12
	v_lshlrev_b32_e32 v196, 18, v149
	v_lshlrev_b32_e32 v197, 25, v149
	v_and_b32_e32 v191, 16, v191
	v_and_b32_e32 v192, 0x1000, v192
	;; [unrolled: 1-line block ×6, first 2 shown]
	v_or3_b32 v172, v205, v23, v206
	v_or3_b32 v22, v23, v207, v22
	v_lshrrev_b32_e32 v23, 16, v153
	v_and_b32_e32 v153, 0x1f00, v165
	v_lshlrev_b16 v165, 8, v165
	v_and_b32_e32 v173, 0x1f00, v166
	v_lshlrev_b16 v166, 8, v166
	;; [unrolled: 2-line block ×3, first 2 shown]
	v_and_b32_e32 v182, 0x100000, v182
	v_and_b32_e32 v183, 0x10000000, v183
	v_or3_b32 v155, v155, v175, v176
	v_and_b32_e32 v176, 0x1f00, v17
	v_lshlrev_b16 v17, 8, v17
	v_and_b32_e32 v189, 0x100000, v189
	v_and_b32_e32 v190, 0x10000000, v190
	;; [unrolled: 1-line block ×3, first 2 shown]
	v_lshlrev_b16 v16, 8, v16
	v_and_b32_e32 v196, 0x100000, v196
	v_and_b32_e32 v197, 0x10000000, v197
	v_or3_b32 v169, v191, v12, v192
	v_or3_b32 v12, v12, v193, v14
	v_or3_b32 v14, v194, v158, v195
	v_lshrrev_b32_e32 v22, 16, v22
	v_add_nc_u16 v153, 0xf000, v153
	v_add_nc_u16 v165, 0xf000, v165
	v_and_b32_e32 v184, 0x1f00, v23
	v_lshlrev_b16 v23, 8, v23
	v_add_nc_u16 v166, 0xf000, v166
	v_add_nc_u16 v18, 0xf000, v18
	v_or3_b32 v156, v156, v182, v183
	v_add_nc_u16 v17, 0xf000, v17
	v_or3_b32 v157, v157, v189, v190
	;; [unrolled: 2-line block ×3, first 2 shown]
	v_lshrrev_b32_e32 v15, 16, v15
	v_and_b32_e32 v180, 0x1f00, v14
	v_lshlrev_b16 v14, 8, v14
	v_and_b32_e32 v195, 0x1f00, v22
	v_lshlrev_b16 v196, 8, v22
	v_perm_b32 v22, v165, v153, 0xc0c0105
	v_add_nc_u16 v153, 0xf000, v184
	v_add_nc_u16 v23, 0xf000, v23
	v_lshrrev_b16 v166, 8, v166
	v_lshrrev_b32_e32 v155, 16, v155
	v_lshrrev_b32_e32 v13, 16, v13
	v_and_b32_e32 v175, 0x1f00, v167
	v_lshlrev_b16 v167, 8, v167
	v_lshrrev_b16 v18, 8, v18
	v_lshrrev_b32_e32 v156, 16, v156
	v_lshrrev_b32_e32 v11, 16, v11
	v_and_b32_e32 v177, 0x1f00, v168
	v_lshlrev_b16 v168, 8, v168
	;; [unrolled: 5-line block ×3, first 2 shown]
	v_lshrrev_b16 v16, 8, v16
	v_and_b32_e32 v185, 0x1f00, v15
	v_lshlrev_b16 v15, 8, v15
	v_add_nc_u16 v14, 0xf000, v14
	v_perm_b32 v23, v23, v153, 0xc0c0105
	v_or_b32_e32 v153, v173, v166
	v_and_b32_e32 v186, 0x1f00, v155
	v_lshlrev_b16 v155, 8, v155
	v_add_nc_u16 v175, 0xf000, v175
	v_add_nc_u16 v167, 0xf000, v167
	v_and_b32_e32 v187, 0x1f00, v13
	v_lshlrev_b16 v13, 8, v13
	v_or_b32_e32 v18, v174, v18
	v_and_b32_e32 v188, 0x1f00, v156
	v_lshlrev_b16 v156, 8, v156
	v_add_nc_u16 v177, 0xf000, v177
	v_add_nc_u16 v168, 0xf000, v168
	v_and_b32_e32 v189, 0x1f00, v11
	v_lshlrev_b16 v11, 8, v11
	;; [unrolled: 7-line block ×3, first 2 shown]
	v_or_b32_e32 v16, v178, v16
	v_add_nc_u16 v165, 0xf000, v185
	v_add_nc_u16 v15, 0xf000, v15
	v_lshrrev_b16 v14, 8, v14
	v_lshl_or_b32 v22, v23, 16, v22
	v_add_nc_u16 v23, 0xf000, v153
	v_add_nc_u16 v184, 0xf000, v186
	;; [unrolled: 1-line block ×3, first 2 shown]
	v_perm_b32 v167, v167, v175, 0xc0c0105
	v_add_nc_u16 v175, 0xf000, v187
	v_add_nc_u16 v13, 0xf000, v13
	;; [unrolled: 1-line block ×3, first 2 shown]
	v_lshrrev_b32_e32 v24, 4, v24
	v_lshrrev_b32_e32 v198, 12, v149
	;; [unrolled: 1-line block ×3, first 2 shown]
	v_lshlrev_b32_e32 v200, 2, v149
	v_lshlrev_b32_e32 v149, 9, v149
	v_add_nc_u16 v185, 0xf000, v188
	v_add_nc_u16 v156, 0xf000, v156
	v_perm_b32 v168, v168, v177, 0xc0c0105
	v_add_nc_u16 v177, 0xf000, v189
	v_add_nc_u16 v11, 0xf000, v11
	;; [unrolled: 1-line block ×5, first 2 shown]
	v_perm_b32 v169, v169, v179, 0xc0c0105
	v_add_nc_u16 v179, 0xf000, v191
	v_add_nc_u16 v12, 0xf000, v12
	;; [unrolled: 1-line block ×3, first 2 shown]
	v_perm_b32 v15, v15, v165, 0xc0c0105
	v_or_b32_e32 v14, v180, v14
	v_and_b32_e32 v23, 0xffff, v23
	v_perm_b32 v155, v155, v184, 0xc0c0105
	v_perm_b32 v13, v13, v175, 0xc0c0105
	v_and_b32_e32 v18, 0xffff, v18
	v_and_b32_e32 v24, 0xf0f0f0f, v24
	;; [unrolled: 1-line block ×8, first 2 shown]
	v_perm_b32 v156, v156, v185, 0xc0c0105
	v_perm_b32 v11, v11, v177, 0xc0c0105
	v_and_b32_e32 v17, 0xffff, v17
	v_perm_b32 v157, v157, v186, 0xc0c0105
	v_perm_b32 v12, v12, v179, 0xc0c0105
	v_and_b32_e32 v16, 0xffff, v16
	v_add_nc_u16 v14, 0xf000, v14
	v_lshl_or_b32 v15, v15, 16, v23
	v_lshl_or_b32 v13, v13, 16, v167
	;; [unrolled: 1-line block ×3, first 2 shown]
	v_or3_b32 v171, v198, v24, v199
	v_or3_b32 v24, v24, v200, v149
	;; [unrolled: 1-line block ×3, first 2 shown]
	v_lshl_or_b32 v11, v11, 16, v168
	v_lshl_or_b32 v17, v156, 16, v17
	;; [unrolled: 1-line block ×4, first 2 shown]
	v_and_b32_e32 v153, 0xffff, v14
	ds_store_2addr_b32 v37, v22, v15 offset1:1
	ds_store_2addr_b32 v40, v18, v13 offset1:1
	;; [unrolled: 1-line block ×4, first 2 shown]
	v_mad_co_u64_u32 v[13:14], null, v61, 22, v[3:4]
	v_and_b32_e32 v203, 0x100000, v203
	v_and_b32_e32 v204, 0x10000000, v204
	;; [unrolled: 1-line block ×3, first 2 shown]
	v_lshlrev_b16 v149, 8, v149
	v_mad_co_u64_u32 v[3:4], null, v64, 22, v[3:4]
	v_add_co_u32 v11, vcc_lo, v160, v39
	s_wait_alu 0xfffd
	v_add_co_ci_u32_e64 v12, null, 0, v161, vcc_lo
	v_add_co_u32 v15, vcc_lo, v162, v39
	v_or3_b32 v159, v159, v203, v204
	v_add_nc_u16 v149, 0xf000, v149
	s_wait_alu 0xfffd
	v_add_co_ci_u32_e64 v16, null, 0, v163, vcc_lo
	v_add_co_u32 v17, vcc_lo, v13, v39
	s_wait_alu 0xfffd
	v_add_co_ci_u32_e64 v18, null, 0, v14, vcc_lo
	v_add_co_u32 v22, vcc_lo, v3, v39
	v_lshrrev_b32_e32 v158, 16, v158
	v_lshrrev_b32_e32 v159, 16, v159
	v_lshrrev_b16 v149, 8, v149
	s_wait_alu 0xfffd
	v_add_co_ci_u32_e64 v23, null, 0, v4, vcc_lo
	s_clause 0x7
	global_load_b32 v11, v[11:12], off offset:6
	global_load_b32 v12, v[15:16], off offset:6
	;; [unrolled: 1-line block ×8, first 2 shown]
	v_and_b32_e32 v183, 0x1f00, v172
	v_lshlrev_b16 v172, 8, v172
	v_and_b32_e32 v192, 0x1f00, v158
	v_lshlrev_b16 v158, 8, v158
	;; [unrolled: 2-line block ×3, first 2 shown]
	v_or_b32_e32 v149, v182, v149
	v_add_nc_u16 v183, 0xf000, v183
	v_add_nc_u16 v172, 0xf000, v172
	;; [unrolled: 1-line block ×9, first 2 shown]
	v_perm_b32 v158, v158, v187, 0xc0c0105
	v_perm_b32 v3, v159, v188, 0xc0c0105
	;; [unrolled: 1-line block ×3, first 2 shown]
	v_and_b32_e32 v4, 0xffff, v149
	v_ashrrev_i32_e32 v10, v39, v10
	v_perm_b32 v23, v155, v189, 0xc0c0105
	v_lshl_or_b32 v149, v158, 16, v153
	s_wait_loadcnt 0x12
	v_and_b32_e32 v155, 0xf0f0f0f, v9
	v_lshl_or_b32 v3, v3, 16, v4
	v_lshlrev_b32_e32 v4, 4, v10
	v_lshl_or_b32 v22, v23, 16, v22
	v_lshlrev_b32_e32 v23, 18, v10
	v_lshlrev_b32_e32 v153, 25, v10
	;; [unrolled: 1-line block ×3, first 2 shown]
	v_and_b32_e32 v4, 16, v4
	v_lshrrev_b32_e32 v9, 4, v9
	v_and_b32_e32 v23, 0x100000, v23
	v_and_b32_e32 v153, 0x10000000, v153
	v_lshrrev_b32_e32 v157, 12, v10
	v_lshrrev_b32_e32 v158, 5, v10
	v_and_b32_e32 v156, 0x1000, v156
	v_and_b32_e32 v9, 0xf0f0f0f, v9
	v_or3_b32 v23, v155, v23, v153
	v_and_b32_e32 v153, 16, v157
	v_and_b32_e32 v157, 0x1000, v158
	v_or3_b32 v4, v4, v155, v156
	v_lshlrev_b32_e32 v155, 2, v10
	v_lshlrev_b32_e32 v10, 9, v10
	v_lshrrev_b32_e32 v23, 16, v23
	v_or3_b32 v153, v153, v9, v157
	v_and_b32_e32 v156, 0x1f00, v4
	v_and_b32_e32 v155, 0x100000, v155
	;; [unrolled: 1-line block ×3, first 2 shown]
	v_lshlrev_b16 v4, 8, v4
	v_lshlrev_b16 v157, 8, v153
	v_add_nc_u16 v156, 0xf000, v156
	v_and_b32_e32 v158, 0x1f00, v23
	v_or3_b32 v9, v9, v155, v10
	v_add_nc_u16 v4, 0xf000, v4
	v_add_nc_u16 v10, 0xf000, v157
	v_lshlrev_b16 v23, 8, v23
	v_and_b32_e32 v153, 0x1f00, v153
	v_lshrrev_b32_e32 v9, 16, v9
	v_perm_b32 v4, v4, v156, 0xc0c0105
	v_lshrrev_b16 v10, 8, v10
	v_add_nc_u16 v155, 0xf000, v158
	v_add_nc_u16 v23, 0xf000, v23
	v_and_b32_e32 v156, 0x1f00, v9
	v_lshlrev_b16 v9, 8, v9
	v_or_b32_e32 v10, v153, v10
	v_ashrrev_i32_e32 v8, v39, v8
	v_perm_b32 v23, v23, v155, 0xc0c0105
	v_add_nc_u16 v153, 0xf000, v156
	v_add_nc_u16 v9, 0xf000, v9
	;; [unrolled: 1-line block ×3, first 2 shown]
	v_lshrrev_b32_e32 v156, 12, v8
	v_lshrrev_b32_e32 v157, 5, v8
	v_lshl_or_b32 v4, v23, 16, v4
	v_perm_b32 v9, v9, v153, 0xc0c0105
	s_wait_loadcnt 0x11
	v_and_b32_e32 v153, 0xf0f0f0f, v7
	v_lshrrev_b32_e32 v7, 4, v7
	v_lshlrev_b32_e32 v23, 4, v8
	v_lshlrev_b32_e32 v155, 11, v8
	v_lshlrev_b32_e32 v158, 18, v8
	v_lshlrev_b32_e32 v159, 25, v8
	v_and_b32_e32 v7, 0xf0f0f0f, v7
	v_and_b32_e32 v156, 16, v156
	v_and_b32_e32 v157, 0x1000, v157
	v_and_b32_e32 v23, 16, v23
	v_and_b32_e32 v155, 0x1000, v155
	v_and_b32_e32 v158, 0x100000, v158
	v_lshlrev_b32_e32 v160, 2, v8
	v_lshlrev_b32_e32 v8, 9, v8
	v_and_b32_e32 v159, 0x10000000, v159
	v_or3_b32 v156, v156, v7, v157
	v_or3_b32 v23, v23, v153, v155
	v_and_b32_e32 v155, 0x100000, v160
	v_and_b32_e32 v8, 0x10000000, v8
	v_or3_b32 v153, v153, v158, v159
	v_lshlrev_b16 v157, 8, v156
	v_and_b32_e32 v158, 0x1f00, v23
	v_and_b32_e32 v156, 0x1f00, v156
	v_or3_b32 v7, v7, v155, v8
	v_lshrrev_b32_e32 v8, 16, v153
	v_add_nc_u16 v153, 0xf000, v157
	v_lshlrev_b16 v23, 8, v23
	v_add_nc_u16 v155, 0xf000, v158
	v_lshrrev_b32_e32 v7, 16, v7
	v_and_b32_e32 v157, 0x1f00, v8
	v_lshrrev_b16 v153, 8, v153
	v_add_nc_u16 v23, 0xf000, v23
	v_lshlrev_b16 v8, 8, v8
	v_and_b32_e32 v158, 0x1f00, v7
	v_lshlrev_b16 v7, 8, v7
	v_or_b32_e32 v153, v156, v153
	v_add_nc_u16 v156, 0xf000, v157
	s_wait_loadcnt 0x8
	v_ashrrev_i32_e32 v152, v39, v152
	v_add_nc_u16 v157, 0xf000, v158
	v_add_nc_u16 v7, 0xf000, v7
	;; [unrolled: 1-line block ×3, first 2 shown]
	v_and_b32_e32 v10, 0xffff, v10
	v_add_nc_u16 v8, 0xf000, v8
	v_perm_b32 v23, v23, v155, 0xc0c0105
	v_perm_b32 v7, v7, v157, 0xc0c0105
	v_and_b32_e32 v153, 0xffff, v153
	v_lshlrev_b32_e32 v155, 11, v152
	v_perm_b32 v8, v8, v156, 0xc0c0105
	v_lshl_or_b32 v9, v9, 16, v10
	v_lshlrev_b32_e32 v10, 4, v152
	v_lshl_or_b32 v7, v7, 16, v153
	v_and_b32_e32 v153, 0x1000, v155
	v_lshrrev_b32_e32 v155, 4, v170
	v_lshrrev_b32_e32 v156, 12, v152
	;; [unrolled: 1-line block ×3, first 2 shown]
	v_lshl_or_b32 v8, v8, 16, v23
	v_and_b32_e32 v23, 0xf0f0f0f, v170
	v_and_b32_e32 v10, 16, v10
	v_lshlrev_b32_e32 v158, 18, v152
	v_lshlrev_b32_e32 v159, 25, v152
	v_and_b32_e32 v155, 0xf0f0f0f, v155
	v_and_b32_e32 v156, 16, v156
	v_and_b32_e32 v157, 0x1000, v157
	v_lshlrev_b32_e32 v160, 2, v152
	v_lshlrev_b32_e32 v152, 9, v152
	v_and_b32_e32 v158, 0x100000, v158
	v_and_b32_e32 v159, 0x10000000, v159
	v_or3_b32 v156, v156, v155, v157
	v_or3_b32 v10, v10, v23, v153
	v_and_b32_e32 v153, 0x100000, v160
	v_and_b32_e32 v152, 0x10000000, v152
	v_or3_b32 v23, v23, v158, v159
	v_lshlrev_b16 v157, 8, v156
	v_lshrrev_b32_e32 v24, 16, v24
	v_and_b32_e32 v181, 0x1f00, v171
	v_or3_b32 v152, v155, v153, v152
	v_lshlrev_b16 v171, 8, v171
	v_and_b32_e32 v158, 0x1f00, v10
	v_lshrrev_b32_e32 v23, 16, v23
	v_add_nc_u16 v153, 0xf000, v157
	v_lshrrev_b32_e32 v152, 16, v152
	v_add_nc_u16 v181, 0xf000, v181
	v_add_nc_u16 v171, 0xf000, v171
	v_and_b32_e32 v193, 0x1f00, v24
	v_lshlrev_b16 v24, 8, v24
	v_lshlrev_b16 v10, 8, v10
	v_add_nc_u16 v155, 0xf000, v158
	v_and_b32_e32 v156, 0x1f00, v156
	v_lshrrev_b16 v153, 8, v153
	v_and_b32_e32 v157, 0x1f00, v23
	v_lshlrev_b16 v23, 8, v23
	v_and_b32_e32 v158, 0x1f00, v152
	v_lshlrev_b16 v152, 8, v152
	v_perm_b32 v171, v171, v181, 0xc0c0105
	v_add_nc_u16 v181, 0xf000, v193
	v_add_nc_u16 v24, 0xf000, v24
	;; [unrolled: 1-line block ×3, first 2 shown]
	v_or_b32_e32 v153, v156, v153
	v_add_nc_u16 v156, 0xf000, v157
	v_add_nc_u16 v23, 0xf000, v23
	;; [unrolled: 1-line block ×4, first 2 shown]
	v_ashrrev_i32_e32 v154, v39, v154
	v_perm_b32 v24, v24, v181, 0xc0c0105
	v_perm_b32 v10, v10, v155, 0xc0c0105
	;; [unrolled: 1-line block ×4, first 2 shown]
	v_lshlrev_b32_e32 v155, 4, v154
	v_lshlrev_b32_e32 v156, 11, v154
	v_lshlrev_b32_e32 v157, 18, v154
	v_lshlrev_b32_e32 v158, 25, v154
	v_lshl_or_b32 v24, v24, 16, v171
	v_and_b32_e32 v159, 0xf0f0f0f, v164
	v_and_b32_e32 v155, 16, v155
	;; [unrolled: 1-line block ×5, first 2 shown]
	ds_store_2addr_b32 v45, v149, v24 offset1:1
	ds_store_2addr_b32 v47, v3, v22 offset1:1
	;; [unrolled: 1-line block ×4, first 2 shown]
	v_lshl_or_b32 v9, v23, 16, v10
	v_or3_b32 v4, v155, v159, v156
	v_lshrrev_b32_e32 v7, 4, v164
	v_or3_b32 v3, v159, v157, v158
	v_lshrrev_b32_e32 v8, 12, v154
	v_lshrrev_b32_e32 v23, 5, v154
	v_lshlrev_b32_e32 v24, 2, v154
	v_lshlrev_b32_e32 v149, 9, v154
	v_add_nc_u16 v153, 0xf000, v153
	v_lshrrev_b32_e32 v3, 16, v3
	v_and_b32_e32 v22, 0x1f00, v4
	v_and_b32_e32 v7, 0xf0f0f0f, v7
	;; [unrolled: 1-line block ×4, first 2 shown]
	v_lshlrev_b16 v4, 8, v4
	v_and_b32_e32 v24, 0x100000, v24
	v_and_b32_e32 v149, 0x10000000, v149
	;; [unrolled: 1-line block ×3, first 2 shown]
	v_add_nc_u16 v22, 0xf000, v22
	v_or3_b32 v23, v8, v7, v23
	v_add_nc_u16 v4, 0xf000, v4
	v_and_b32_e32 v8, 0x1f00, v3
	v_lshlrev_b16 v3, 8, v3
	v_or3_b32 v7, v7, v24, v149
	v_lshl_or_b32 v10, v152, 16, v153
	v_perm_b32 v22, v4, v22, 0xc0c0105
	v_add_nc_u16 v149, 0xf000, v8
	v_add_nc_u16 v152, 0xf000, v3
	v_lshrrev_b32_e32 v153, 16, v7
	v_mad_co_u64_u32 v[3:4], null, v67, 22, v[5:6]
	v_mad_co_u64_u32 v[7:8], null, v68, 22, v[5:6]
	;; [unrolled: 1-line block ×3, first 2 shown]
	v_lshlrev_b16 v24, 8, v23
	v_and_b32_e32 v154, 0x1f00, v153
	s_clause 0x2
	global_load_u16 v3, v[3:4], off
	global_load_u16 v7, v[7:8], off
	;; [unrolled: 1-line block ×3, first 2 shown]
	v_add_nc_u16 v24, 0xf000, v24
	v_lshlrev_b16 v153, 8, v153
	v_and_b32_e32 v23, 0x1f00, v23
	v_ashrrev_i32_e32 v4, v39, v151
	v_add_nc_u16 v6, 0xf000, v154
	v_lshrrev_b16 v24, 8, v24
	v_add_nc_u16 v8, 0xf000, v153
	ds_store_2addr_b32 v52, v9, v10 offset1:1
	v_lshrrev_b32_e32 v153, 5, v4
	v_lshlrev_b32_e32 v151, 11, v4
	v_or_b32_e32 v23, v23, v24
	v_perm_b32 v24, v152, v149, 0xc0c0105
	v_perm_b32 v6, v8, v6, 0xc0c0105
	v_lshrrev_b32_e32 v152, 12, v4
	v_lshlrev_b32_e32 v149, 4, v4
	v_add_nc_u16 v8, 0xf000, v23
	v_and_b32_e32 v23, 0xf0f0f0f, v150
	v_lshrrev_b32_e32 v150, 4, v150
	v_and_b32_e32 v152, 16, v152
	v_and_b32_e32 v153, 0x1000, v153
	;; [unrolled: 1-line block ×5, first 2 shown]
	v_lshlrev_b32_e32 v154, 18, v4
	v_lshlrev_b32_e32 v155, 25, v4
	v_lshlrev_b32_e32 v156, 2, v4
	v_lshlrev_b32_e32 v4, 9, v4
	v_or3_b32 v152, v152, v150, v153
	v_and_b32_e32 v154, 0x100000, v154
	v_and_b32_e32 v155, 0x10000000, v155
	v_or3_b32 v149, v149, v23, v151
	v_and_b32_e32 v151, 0x100000, v156
	v_and_b32_e32 v4, 0x10000000, v4
	v_lshlrev_b16 v153, 8, v152
	v_or3_b32 v23, v23, v154, v155
	v_and_b32_e32 v154, 0x1f00, v149
	v_and_b32_e32 v152, 0x1f00, v152
	v_or3_b32 v4, v150, v151, v4
	v_add_nc_u16 v150, 0xf000, v153
	v_lshrrev_b32_e32 v23, 16, v23
	v_lshlrev_b16 v149, 8, v149
	v_add_nc_u16 v151, 0xf000, v154
	v_lshrrev_b32_e32 v4, 16, v4
	v_lshrrev_b16 v150, 8, v150
	v_and_b32_e32 v153, 0x1f00, v23
	v_lshlrev_b16 v23, 8, v23
	v_and_b32_e32 v8, 0xffff, v8
	v_and_b32_e32 v154, 0x1f00, v4
	v_lshlrev_b16 v4, 8, v4
	v_or_b32_e32 v150, v152, v150
	v_add_nc_u16 v149, 0xf000, v149
	v_add_nc_u16 v152, 0xf000, v153
	;; [unrolled: 1-line block ×6, first 2 shown]
	v_lshl_or_b32 v6, v6, 16, v8
	v_ashrrev_i32_e32 v8, v39, v21
	v_perm_b32 v149, v149, v151, 0xc0c0105
	v_perm_b32 v23, v23, v152, 0xc0c0105
	;; [unrolled: 1-line block ×3, first 2 shown]
	v_and_b32_e32 v150, 0xffff, v150
	v_lshl_or_b32 v22, v24, 16, v22
	v_lshlrev_b32_e32 v9, 4, v8
	v_lshlrev_b32_e32 v10, 11, v8
	v_lshl_or_b32 v21, v23, 16, v149
	v_lshl_or_b32 v4, v4, 16, v150
	ds_store_2addr_b32 v54, v22, v6 offset1:1
	ds_store_2addr_b32 v55, v21, v4 offset1:1
	v_and_b32_e32 v4, 0xf0f0f0f, v19
	v_and_b32_e32 v6, 16, v9
	;; [unrolled: 1-line block ×3, first 2 shown]
	v_lshrrev_b32_e32 v10, 4, v19
	v_lshrrev_b32_e32 v19, 12, v8
	;; [unrolled: 1-line block ×3, first 2 shown]
	v_lshlrev_b32_e32 v22, 18, v8
	v_lshlrev_b32_e32 v23, 25, v8
	v_and_b32_e32 v10, 0xf0f0f0f, v10
	v_and_b32_e32 v19, 16, v19
	;; [unrolled: 1-line block ×4, first 2 shown]
	v_lshlrev_b32_e32 v24, 2, v8
	v_lshlrev_b32_e32 v8, 9, v8
	v_and_b32_e32 v23, 0x10000000, v23
	v_or3_b32 v19, v19, v10, v21
	v_or3_b32 v6, v6, v4, v9
	v_and_b32_e32 v9, 0x100000, v24
	v_and_b32_e32 v8, 0x10000000, v8
	v_or3_b32 v4, v4, v22, v23
	v_lshlrev_b16 v21, 8, v19
	v_and_b32_e32 v22, 0x1f00, v6
	v_lshlrev_b16 v6, 8, v6
	v_or3_b32 v8, v10, v9, v8
	v_lshrrev_b32_e32 v4, 16, v4
	v_add_nc_u16 v9, 0xf000, v21
	v_and_b32_e32 v19, 0x1f00, v19
	v_add_nc_u16 v10, 0xf000, v22
	v_lshrrev_b32_e32 v8, 16, v8
	v_and_b32_e32 v21, 0x1f00, v4
	v_lshrrev_b16 v9, 8, v9
	v_lshlrev_b16 v4, 8, v4
	v_add_nc_u16 v6, 0xf000, v6
	v_and_b32_e32 v22, 0x1f00, v8
	v_lshlrev_b16 v8, 8, v8
	v_or_b32_e32 v9, v19, v9
	v_add_nc_u16 v19, 0xf000, v21
	v_add_nc_u16 v4, 0xf000, v4
	s_wait_loadcnt 0x3
	v_ashrrev_i32_e32 v18, v39, v18
	v_add_nc_u16 v21, 0xf000, v22
	v_add_nc_u16 v8, 0xf000, v8
	;; [unrolled: 1-line block ×3, first 2 shown]
	v_perm_b32 v6, v6, v10, 0xc0c0105
	v_perm_b32 v4, v4, v19, 0xc0c0105
	v_lshlrev_b32_e32 v10, 18, v18
	v_lshlrev_b32_e32 v19, 25, v18
	v_perm_b32 v8, v8, v21, 0xc0c0105
	v_and_b32_e32 v9, 0xffff, v9
	v_and_b32_e32 v21, 0xf0f0f0f, v11
	v_lshlrev_b32_e32 v22, 4, v18
	v_lshlrev_b32_e32 v23, 11, v18
	v_and_b32_e32 v10, 0x100000, v10
	v_and_b32_e32 v19, 0x10000000, v19
	v_lshl_or_b32 v4, v4, 16, v6
	v_lshl_or_b32 v6, v8, 16, v9
	v_and_b32_e32 v8, 16, v22
	v_and_b32_e32 v9, 0x1000, v23
	v_or3_b32 v10, v21, v10, v19
	v_lshrrev_b32_e32 v11, 4, v11
	v_lshrrev_b32_e32 v19, 12, v18
	;; [unrolled: 1-line block ×3, first 2 shown]
	v_or3_b32 v8, v8, v21, v9
	v_lshrrev_b32_e32 v9, 16, v10
	v_and_b32_e32 v10, 0xf0f0f0f, v11
	v_and_b32_e32 v11, 16, v19
	;; [unrolled: 1-line block ×3, first 2 shown]
	v_lshlrev_b32_e32 v21, 2, v18
	v_lshlrev_b32_e32 v18, 9, v18
	v_and_b32_e32 v22, 0x1f00, v8
	ds_store_2addr_b32 v57, v4, v6 offset1:1
	v_or3_b32 v11, v11, v10, v19
	v_and_b32_e32 v19, 0x100000, v21
	v_and_b32_e32 v18, 0x10000000, v18
	v_add_nc_u16 v21, 0xf000, v22
	v_lshlrev_b16 v8, 8, v8
	v_lshlrev_b16 v22, 8, v11
	v_and_b32_e32 v6, 0x1f00, v9
	v_or3_b32 v4, v10, v19, v18
	v_lshlrev_b16 v9, 8, v9
	v_and_b32_e32 v11, 0x1f00, v11
	v_add_nc_u16 v10, 0xf000, v22
	v_add_nc_u16 v8, 0xf000, v8
	v_lshrrev_b32_e32 v4, 16, v4
	v_add_nc_u16 v6, 0xf000, v6
	v_add_nc_u16 v9, 0xf000, v9
	v_lshrrev_b16 v10, 8, v10
	v_ashrrev_i32_e32 v14, v39, v14
	v_and_b32_e32 v18, 0x1f00, v4
	v_lshlrev_b16 v4, 8, v4
	v_perm_b32 v8, v8, v21, 0xc0c0105
	v_or_b32_e32 v10, v11, v10
	v_perm_b32 v6, v9, v6, 0xc0c0105
	v_add_nc_u16 v9, 0xf000, v18
	v_lshlrev_b32_e32 v11, 4, v14
	v_add_nc_u16 v4, 0xf000, v4
	v_add_nc_u16 v10, 0xf000, v10
	v_lshlrev_b32_e32 v18, 11, v14
	v_lshlrev_b32_e32 v21, 18, v14
	;; [unrolled: 1-line block ×3, first 2 shown]
	v_and_b32_e32 v19, 0xf0f0f0f, v12
	v_and_b32_e32 v11, 16, v11
	;; [unrolled: 1-line block ×3, first 2 shown]
	v_perm_b32 v4, v4, v9, 0xc0c0105
	v_and_b32_e32 v9, 0xffff, v10
	v_and_b32_e32 v10, 0x100000, v21
	;; [unrolled: 1-line block ×3, first 2 shown]
	v_or3_b32 v11, v11, v19, v18
	v_lshl_or_b32 v6, v6, 16, v8
	v_lshl_or_b32 v4, v4, 16, v9
	v_lshrrev_b32_e32 v8, 4, v12
	v_or3_b32 v9, v19, v10, v21
	v_lshlrev_b32_e32 v12, 2, v14
	v_lshlrev_b32_e32 v18, 9, v14
	v_lshrrev_b32_e32 v19, 12, v14
	v_lshrrev_b32_e32 v14, 5, v14
	v_and_b32_e32 v8, 0xf0f0f0f, v8
	v_and_b32_e32 v12, 0x100000, v12
	;; [unrolled: 1-line block ×3, first 2 shown]
	v_lshrrev_b32_e32 v9, 16, v9
	v_and_b32_e32 v19, 16, v19
	v_and_b32_e32 v14, 0x1000, v14
	;; [unrolled: 1-line block ×3, first 2 shown]
	v_or3_b32 v12, v8, v12, v18
	v_lshlrev_b16 v11, 8, v11
	v_and_b32_e32 v18, 0x1f00, v9
	v_or3_b32 v8, v19, v8, v14
	v_add_nc_u16 v10, 0xf000, v10
	v_lshlrev_b16 v9, 8, v9
	v_lshrrev_b32_e32 v12, 16, v12
	v_add_nc_u16 v11, 0xf000, v11
	v_add_nc_u16 v14, 0xf000, v18
	v_lshlrev_b16 v18, 8, v8
	v_add_nc_u16 v9, 0xf000, v9
	v_and_b32_e32 v19, 0x1f00, v12
	v_perm_b32 v10, v11, v10, 0xc0c0105
	v_ashrrev_i32_e32 v11, v39, v13
	v_add_nc_u16 v13, 0xf000, v18
	v_perm_b32 v9, v9, v14, 0xc0c0105
	v_add_nc_u16 v14, 0xf000, v19
	v_lshlrev_b16 v12, 8, v12
	v_lshlrev_b32_e32 v18, 4, v11
	v_and_b32_e32 v8, 0x1f00, v8
	v_lshrrev_b16 v13, 8, v13
	v_lshlrev_b32_e32 v19, 11, v11
	v_lshlrev_b32_e32 v22, 18, v11
	;; [unrolled: 1-line block ×3, first 2 shown]
	v_and_b32_e32 v21, 0xf0f0f0f, v15
	v_and_b32_e32 v18, 16, v18
	;; [unrolled: 1-line block ×3, first 2 shown]
	v_add_nc_u16 v12, 0xf000, v12
	v_or_b32_e32 v8, v8, v13
	v_and_b32_e32 v13, 0x100000, v22
	v_and_b32_e32 v22, 0x10000000, v23
	v_or3_b32 v18, v18, v21, v19
	v_lshl_or_b32 v9, v9, 16, v10
	v_perm_b32 v10, v12, v14, 0xc0c0105
	v_lshrrev_b32_e32 v14, 4, v15
	v_or3_b32 v12, v21, v13, v22
	v_lshrrev_b32_e32 v15, 12, v11
	v_lshrrev_b32_e32 v19, 5, v11
	v_lshlrev_b32_e32 v21, 2, v11
	v_lshlrev_b32_e32 v11, 9, v11
	v_and_b32_e32 v14, 0xf0f0f0f, v14
	v_and_b32_e32 v15, 16, v15
	;; [unrolled: 1-line block ×6, first 2 shown]
	v_lshlrev_b16 v18, 8, v18
	v_lshrrev_b32_e32 v12, 16, v12
	v_or3_b32 v15, v15, v14, v19
	v_or3_b32 v11, v14, v21, v11
	v_add_nc_u16 v13, 0xf000, v13
	v_add_nc_u16 v14, 0xf000, v18
	v_and_b32_e32 v18, 0x1f00, v12
	v_lshlrev_b16 v19, 8, v15
	v_lshrrev_b32_e32 v11, 16, v11
	v_lshlrev_b16 v12, 8, v12
	v_perm_b32 v13, v14, v13, 0xc0c0105
	v_add_nc_u16 v14, 0xf000, v18
	v_add_nc_u16 v18, 0xf000, v19
	v_and_b32_e32 v19, 0x1f00, v11
	v_lshlrev_b16 v11, 8, v11
	v_ashrrev_i32_e32 v17, v39, v17
	v_and_b32_e32 v15, 0x1f00, v15
	v_lshrrev_b16 v18, 8, v18
	v_add_nc_u16 v19, 0xf000, v19
	v_add_nc_u16 v11, 0xf000, v11
	;; [unrolled: 1-line block ×3, first 2 shown]
	v_lshrrev_b32_e32 v21, 12, v17
	v_lshrrev_b32_e32 v22, 5, v17
	v_or_b32_e32 v15, v15, v18
	v_perm_b32 v11, v11, v19, 0xc0c0105
	v_and_b32_e32 v19, 0xf0f0f0f, v16
	v_lshrrev_b32_e32 v16, 4, v16
	v_perm_b32 v12, v12, v14, 0xc0c0105
	v_lshlrev_b32_e32 v14, 4, v17
	v_lshlrev_b32_e32 v18, 11, v17
	v_and_b32_e32 v21, 16, v21
	v_and_b32_e32 v16, 0xf0f0f0f, v16
	;; [unrolled: 1-line block ×5, first 2 shown]
	v_lshlrev_b32_e32 v23, 18, v17
	v_lshlrev_b32_e32 v24, 25, v17
	;; [unrolled: 1-line block ×4, first 2 shown]
	v_or3_b32 v21, v21, v16, v22
	v_and_b32_e32 v23, 0x100000, v23
	v_and_b32_e32 v24, 0x10000000, v24
	v_or3_b32 v14, v14, v19, v18
	v_and_b32_e32 v18, 0x100000, v149
	v_and_b32_e32 v17, 0x10000000, v17
	v_lshlrev_b16 v22, 8, v21
	v_or3_b32 v19, v19, v23, v24
	v_and_b32_e32 v23, 0x1f00, v14
	v_and_b32_e32 v21, 0x1f00, v21
	v_or3_b32 v16, v16, v18, v17
	v_add_nc_u16 v18, 0xf000, v22
	v_lshrrev_b32_e32 v17, 16, v19
	v_lshlrev_b16 v14, 8, v14
	v_add_nc_u16 v19, 0xf000, v23
	v_lshrrev_b32_e32 v16, 16, v16
	v_lshrrev_b16 v18, 8, v18
	v_and_b32_e32 v22, 0x1f00, v17
	v_lshlrev_b16 v17, 8, v17
	v_add_nc_u16 v8, 0xf000, v8
	v_and_b32_e32 v23, 0x1f00, v16
	v_lshlrev_b16 v16, 8, v16
	v_or_b32_e32 v18, v21, v18
	v_add_nc_u16 v15, 0xf000, v15
	v_add_nc_u16 v14, 0xf000, v14
	;; [unrolled: 1-line block ×7, first 2 shown]
	v_and_b32_e32 v8, 0xffff, v8
	v_and_b32_e32 v15, 0xffff, v15
	v_perm_b32 v14, v14, v19, 0xc0c0105
	v_perm_b32 v17, v17, v21, 0xc0c0105
	;; [unrolled: 1-line block ×3, first 2 shown]
	v_and_b32_e32 v18, 0xffff, v18
	v_lshl_or_b32 v8, v10, 16, v8
	v_lshl_or_b32 v10, v12, 16, v13
	;; [unrolled: 1-line block ×3, first 2 shown]
	v_cvt_f32_f16_e32 v20, v20
	v_lshl_or_b32 v12, v17, 16, v14
	v_lshl_or_b32 v13, v16, 16, v18
	ds_store_2addr_b32 v59, v6, v4 offset1:1
	ds_store_2addr_b32 v62, v9, v8 offset1:1
	;; [unrolled: 1-line block ×3, first 2 shown]
	s_wait_loadcnt 0x1
	v_cvt_f32_f16_e32 v4, v7
	v_cvt_f32_f16_e32 v3, v3
	s_wait_loadcnt 0x0
	v_cvt_f32_f16_e32 v5, v5
	ds_store_2addr_b32 v65, v12, v13 offset1:1
	ds_store_b32 v102, v20
	ds_store_b32 v103, v3
	;; [unrolled: 1-line block ×4, first 2 shown]
	s_cbranch_scc0 .LBB141_5
; %bb.7:                                ;   in Loop: Header=BB141_6 Depth=1
	v_add_nc_u32_e32 v11, s10, v56
	v_add_nc_u32_e32 v151, s10, v0
	s_mov_b32 s12, 0
	s_delay_alu instid0(VALU_DEP_2)
	v_add_nc_u32_e32 v13, v11, v78
	v_add_nc_u32_e32 v3, v11, v71
	;; [unrolled: 1-line block ×8, first 2 shown]
	v_mad_co_u64_u32 v[11:12], null, v151, 36, s[2:3]
	v_mad_co_i64_i32 v[13:14], null, v13, 36, v[1:2]
	v_mad_co_i64_i32 v[3:4], null, v3, 36, v[1:2]
	;; [unrolled: 1-line block ×8, first 2 shown]
	s_clause 0x8
	global_load_b32 v11, v[11:12], off
	global_load_b32 v12, v[13:14], off offset:4
	global_load_b32 v3, v[3:4], off offset:4
	;; [unrolled: 1-line block ×8, first 2 shown]
	s_wait_loadcnt 0x8
	v_cvt_f32_f16_e32 v10, v11
	s_wait_loadcnt 0x7
	ds_store_b32 v121, v12
	s_wait_loadcnt 0x6
	ds_store_b32 v108, v3
	s_wait_loadcnt 0x5
	ds_store_b32 v110, v4
	s_wait_loadcnt 0x4
	ds_store_b32 v112, v5
	s_wait_loadcnt 0x3
	ds_store_b32 v113, v6
	s_wait_loadcnt 0x2
	ds_store_b32 v115, v7
	s_wait_loadcnt 0x1
	ds_store_b32 v117, v8
	s_wait_loadcnt 0x0
	ds_store_b32 v119, v9
	ds_store_b32 v70, v10
	s_wait_dscnt 0x0
	s_barrier_signal -1
	s_barrier_wait -1
	global_inv scope:SCOPE_SE
.LBB141_8:                              ;   Parent Loop BB141_6 Depth=1
                                        ; =>  This Inner Loop Header: Depth=2
	s_wait_alu 0xfffe
	s_lshl_b32 s16, s12, 3
	s_wait_alu 0xfffe
	s_add_co_i32 s13, s16, 0x8200
	v_add_nc_u32_e32 v195, s16, v97
	s_wait_alu 0xfffe
	v_lshl_add_u32 v149, v81, 2, s13
	v_lshl_add_u32 v150, v83, 2, s13
	;; [unrolled: 1-line block ×5, first 2 shown]
	ds_load_2addr_b32 v[3:4], v149 offset0:3 offset1:4
	ds_load_2addr_b32 v[159:160], v150 offset0:1 offset1:2
	;; [unrolled: 1-line block ×4, first 2 shown]
	v_lshl_add_u32 v154, v89, 2, s13
	v_add_nc_u32_e32 v194, s16, v96
	v_add_nc_u32_e32 v196, s16, v98
	v_lshl_add_u32 v156, v93, 2, s13
	v_add_nc_u32_e32 v193, s16, v95
	s_add_co_i32 s16, s12, 0xa200
	ds_load_2addr_b32 v[163:164], v153 offset0:1 offset1:2
	ds_load_2addr_b32 v[167:168], v155 offset0:1 offset1:2
	;; [unrolled: 1-line block ×3, first 2 shown]
	s_wait_dscnt 0x6
	v_lshlrev_b32_e32 v5, 16, v4
	v_lshlrev_b32_e32 v6, 8, v4
	v_perm_b32 v4, v4, v4, 0xc0c0003
	s_delay_alu instid0(VALU_DEP_2)
	v_perm_b32 v9, v6, v5, 0x7030c0c
	s_wait_dscnt 0x3
	v_lshlrev_b32_e32 v5, 16, v157
	v_lshlrev_b32_e32 v6, 8, v157
	s_wait_dscnt 0x2
	v_lshlrev_b32_e32 v19, 8, v163
	v_or_b32_e32 v4, v9, v4
	v_perm_b32 v9, v157, v157, 0xc0c0003
	v_perm_b32 v12, v6, v5, 0x7030c0c
	ds_load_2addr_b32 v[5:6], v150 offset0:3 offset1:4
	v_or_b32_e32 v157, v12, v9
	v_perm_b32 v9, v159, v159, 0xc0c0003
	s_wait_dscnt 0x0
	v_lshlrev_b32_e32 v7, 16, v6
	v_lshlrev_b32_e32 v8, 8, v6
	v_perm_b32 v6, v6, v6, 0xc0c0003
	s_delay_alu instid0(VALU_DEP_2) | instskip(SKIP_2) | instid1(VALU_DEP_3)
	v_perm_b32 v13, v8, v7, 0x7030c0c
	v_lshlrev_b32_e32 v7, 16, v159
	v_lshlrev_b32_e32 v8, 8, v159
	v_or_b32_e32 v6, v13, v6
	s_delay_alu instid0(VALU_DEP_2)
	v_perm_b32 v14, v8, v7, 0x7030c0c
	ds_load_2addr_b32 v[7:8], v152 offset0:3 offset1:4
	v_or_b32_e32 v159, v14, v9
	ds_load_2addr_b32 v[13:14], v195 offset1:1
	s_wait_dscnt 0x1
	v_lshlrev_b32_e32 v10, 16, v8
	v_lshlrev_b32_e32 v11, 8, v8
	v_perm_b32 v8, v8, v8, 0xc0c0003
	s_delay_alu instid0(VALU_DEP_2) | instskip(SKIP_2) | instid1(VALU_DEP_3)
	v_perm_b32 v15, v11, v10, 0x7030c0c
	v_lshlrev_b32_e32 v10, 16, v161
	v_lshlrev_b32_e32 v11, 8, v161
	v_or_b32_e32 v12, v15, v8
	v_perm_b32 v8, v161, v161, 0xc0c0003
	s_delay_alu instid0(VALU_DEP_3)
	v_perm_b32 v16, v11, v10, 0x7030c0c
	ds_load_2addr_b32 v[10:11], v153 offset0:3 offset1:4
	v_or_b32_e32 v161, v16, v8
	ds_load_2addr_b32 v[15:16], v194 offset1:1
	s_wait_dscnt 0x1
	v_lshlrev_b32_e32 v17, 16, v11
	v_lshlrev_b32_e32 v18, 8, v11
	v_perm_b32 v8, v11, v11, 0xc0c0003
	s_delay_alu instid0(VALU_DEP_2) | instskip(SKIP_1) | instid1(VALU_DEP_2)
	v_perm_b32 v17, v18, v17, 0x7030c0c
	v_lshlrev_b32_e32 v18, 16, v163
	v_or_b32_e32 v11, v17, v8
	s_delay_alu instid0(VALU_DEP_2) | instskip(SKIP_2) | instid1(VALU_DEP_1)
	v_perm_b32 v18, v19, v18, 0x7030c0c
	ds_load_2addr_b32 v[19:20], v154 offset0:3 offset1:4
	v_perm_b32 v8, v163, v163, 0xc0c0003
	v_or_b32_e32 v163, v18, v8
	ds_load_2addr_b32 v[17:18], v196 offset1:1
	s_wait_dscnt 0x1
	v_lshlrev_b32_e32 v21, 16, v20
	v_lshlrev_b32_e32 v22, 8, v20
	v_perm_b32 v8, v20, v20, 0xc0c0003
	s_delay_alu instid0(VALU_DEP_2) | instskip(SKIP_2) | instid1(VALU_DEP_3)
	v_perm_b32 v171, v22, v21, 0x7030c0c
	v_lshlrev_b32_e32 v21, 16, v165
	v_lshlrev_b32_e32 v22, 8, v165
	v_or_b32_e32 v20, v171, v8
	v_perm_b32 v8, v165, v165, 0xc0c0003
	s_delay_alu instid0(VALU_DEP_3) | instskip(SKIP_3) | instid1(VALU_DEP_1)
	v_perm_b32 v172, v22, v21, 0x7030c0c
	ds_load_2addr_b32 v[21:22], v155 offset0:3 offset1:4
	v_or_b32_e32 v165, v172, v8
	v_perm_b32 v172, v14, v14, 0x2010003
	v_dot4_i32_iu8 v180, v6, v172, 0 neg_lo:[1,1,0]
	v_dot4_i32_iu8 v183, v12, v172, 0 neg_lo:[1,1,0]
	;; [unrolled: 1-line block ×4, first 2 shown]
	s_wait_dscnt 0x0
	v_lshlrev_b32_e32 v23, 16, v22
	v_lshlrev_b32_e32 v24, 8, v22
	v_perm_b32 v8, v22, v22, 0xc0c0003
	s_delay_alu instid0(VALU_DEP_2) | instskip(SKIP_2) | instid1(VALU_DEP_3)
	v_perm_b32 v173, v24, v23, 0x7030c0c
	v_lshlrev_b32_e32 v23, 16, v167
	v_lshlrev_b32_e32 v24, 8, v167
	v_or_b32_e32 v22, v173, v8
	v_perm_b32 v8, v167, v167, 0xc0c0003
	s_delay_alu instid0(VALU_DEP_3)
	v_perm_b32 v174, v24, v23, 0x7030c0c
	ds_load_2addr_b32 v[23:24], v156 offset0:3 offset1:4
	v_perm_b32 v173, v16, v16, 0x2010003
	v_dot4_i32_iu8 v198, v22, v172, 0 neg_lo:[1,1,0]
	v_or_b32_e32 v167, v174, v8
	v_perm_b32 v174, v18, v18, 0x2010003
	s_delay_alu instid0(VALU_DEP_4)
	v_dot4_i32_iu8 v182, v12, v173, 0 neg_lo:[1,1,0]
	v_dot4_i32_iu8 v186, v11, v173, 0 neg_lo:[1,1,0]
	;; [unrolled: 1-line block ×7, first 2 shown]
	s_wait_dscnt 0x0
	v_lshlrev_b32_e32 v169, 16, v24
	v_lshlrev_b32_e32 v170, 8, v24
	v_perm_b32 v8, v24, v24, 0xc0c0003
	s_delay_alu instid0(VALU_DEP_2) | instskip(SKIP_2) | instid1(VALU_DEP_1)
	v_perm_b32 v175, v170, v169, 0x7030c0c
	ds_load_2addr_b32 v[169:170], v156 offset0:1 offset1:2
	v_or_b32_e32 v24, v175, v8
	v_dot4_i32_iu8 v201, v24, v172, 0 neg_lo:[1,1,0]
	v_dot4_i32_iu8 v200, v24, v173, 0 neg_lo:[1,1,0]
	s_wait_dscnt 0x0
	v_lshlrev_b32_e32 v176, 16, v169
	v_lshlrev_b32_e32 v177, 8, v169
	v_perm_b32 v8, v169, v169, 0xc0c0003
	s_delay_alu instid0(VALU_DEP_2) | instskip(SKIP_1) | instid1(VALU_DEP_2)
	v_perm_b32 v176, v177, v176, 0x7030c0c
	v_dot4_i32_iu8 v177, v4, v172, 0 neg_lo:[1,1,0]
	v_or_b32_e32 v169, v176, v8
	ds_load_2addr_b32 v[8:9], v193 offset1:1
	v_dot4_i32_iu8 v176, v4, v173, 0 neg_lo:[1,1,0]
	s_wait_dscnt 0x0
	v_perm_b32 v171, v9, v9, 0x2010003
	s_delay_alu instid0(VALU_DEP_1)
	v_dot4_i32_iu8 v175, v4, v171, 0 neg_lo:[1,1,0]
	v_dot4_i32_iu8 v178, v6, v171, 0 neg_lo:[1,1,0]
	;; [unrolled: 1-line block ×7, first 2 shown]
	ds_load_2addr_b32 v[11:12], v193 offset0:2 offset1:3
	ds_load_2addr_b32 v[171:172], v194 offset0:2 offset1:3
	v_dot4_i32_iu8 v4, v4, v174, 0 neg_lo:[1,1,0]
	v_dot4_i32_iu8 v6, v6, v174, 0 neg_lo:[1,1,0]
	;; [unrolled: 1-line block ×5, first 2 shown]
	ds_load_2addr_b32 v[173:174], v195 offset0:2 offset1:3
	s_wait_dscnt 0x2
	v_perm_b32 v202, v11, v11, 0x2010003
	s_wait_dscnt 0x1
	v_perm_b32 v204, v171, v171, 0x2010003
	v_perm_b32 v224, v172, v172, 0x2010003
	s_delay_alu instid0(VALU_DEP_3) | instskip(NEXT) | instid1(VALU_DEP_3)
	v_dot4_i32_iu8 v203, v157, v202, v175 neg_lo:[1,1,0]
	v_dot4_i32_iu8 v205, v157, v204, v176 neg_lo:[1,1,0]
	ds_load_2addr_b32 v[175:176], v196 offset0:2 offset1:3
	s_wait_dscnt 0x1
	v_perm_b32 v206, v173, v173, 0x2010003
	v_dot4_i32_iu8 v215, v165, v202, v189 neg_lo:[1,1,0]
	v_dot4_i32_iu8 v216, v165, v204, v190 neg_lo:[1,1,0]
	;; [unrolled: 1-line block ×13, first 2 shown]
	s_wait_dscnt 0x0
	v_perm_b32 v177, v175, v175, 0x2010003
	v_perm_b32 v223, v176, v176, 0x2010003
	s_delay_alu instid0(VALU_DEP_2)
	v_dot4_i32_iu8 v20, v165, v177, v20 neg_lo:[1,1,0]
	v_dot4_i32_iu8 v165, v167, v202, v192 neg_lo:[1,1,0]
	;; [unrolled: 1-line block ×7, first 2 shown]
	v_lshl_add_u32 v169, v79, 2, s13
	v_dot4_i32_iu8 v4, v157, v177, v4 neg_lo:[1,1,0]
	v_dot4_i32_iu8 v157, v159, v202, v178 neg_lo:[1,1,0]
	;; [unrolled: 1-line block ×6, first 2 shown]
	ds_load_2addr_b32 v[177:178], v169 offset0:3 offset1:4
	s_add_co_i32 s13, s12, 0xb280
	s_wait_dscnt 0x0
	v_lshlrev_b32_e32 v201, 8, v178
	v_lshlrev_b32_e32 v202, 24, v178
	;; [unrolled: 1-line block ×3, first 2 shown]
	s_delay_alu instid0(VALU_DEP_3) | instskip(NEXT) | instid1(VALU_DEP_2)
	v_perm_b32 v179, v178, v201, 0x7030c0c
	v_perm_b32 v180, v204, v202, 0xc0c0703
	s_delay_alu instid0(VALU_DEP_1)
	v_or_b32_e32 v185, v179, v180
	ds_load_2addr_b32 v[179:180], v169 offset0:1 offset1:2
	s_wait_dscnt 0x0
	v_lshlrev_b32_e32 v206, 8, v179
	v_lshlrev_b32_e32 v218, 24, v179
	v_lshlrev_b32_e32 v219, 16, v179
	s_delay_alu instid0(VALU_DEP_3) | instskip(NEXT) | instid1(VALU_DEP_2)
	v_perm_b32 v181, v179, v206, 0x7030c0c
	v_perm_b32 v182, v219, v218, 0xc0c0703
	s_delay_alu instid0(VALU_DEP_1)
	v_or_b32_e32 v186, v181, v182
	ds_load_2addr_b32 v[181:182], v169 offset0:5 offset1:6
	s_wait_dscnt 0x0
	v_lshlrev_b32_e32 v220, 8, v181
	v_lshlrev_b32_e32 v221, 24, v181
	;; [unrolled: 1-line block ×3, first 2 shown]
	v_perm_b32 v179, v181, v179, 0x7030c0c
	s_delay_alu instid0(VALU_DEP_4) | instskip(SKIP_1) | instid1(VALU_DEP_4)
	v_perm_b32 v183, v181, v220, 0x7030c0c
	v_lshlrev_b32_e32 v181, 16, v180
	v_perm_b32 v184, v222, v221, 0xc0c0703
	s_delay_alu instid0(VALU_DEP_1) | instskip(SKIP_3) | instid1(VALU_DEP_1)
	v_or_b32_e32 v187, v183, v184
	ds_load_2addr_b32 v[183:184], v169 offset1:7
	s_wait_dscnt 0x0
	v_dot4_i32_iu8 v169, v183, v13, 0 neg_lo:[1,1,0]
	v_dot4_i32_iu8 v14, v185, v14, v169 neg_lo:[1,1,0]
	v_perm_b32 v169, v174, v174, 0x2010003
	s_delay_alu instid0(VALU_DEP_2) | instskip(SKIP_1) | instid1(VALU_DEP_2)
	v_dot4_i32_iu8 v14, v186, v173, v14 neg_lo:[1,1,0]
	v_dot4_i32_iu8 v173, v183, v17, 0 neg_lo:[1,1,0]
	v_dot4_i32_iu8 v14, v187, v174, v14 neg_lo:[1,1,0]
	s_delay_alu instid0(VALU_DEP_2) | instskip(SKIP_1) | instid1(VALU_DEP_2)
	v_dot4_i32_iu8 v18, v185, v18, v173 neg_lo:[1,1,0]
	v_dot4_i32_iu8 v173, v183, v15, 0 neg_lo:[1,1,0]
	;; [unrolled: 1-line block ×3, first 2 shown]
	s_delay_alu instid0(VALU_DEP_2) | instskip(NEXT) | instid1(VALU_DEP_2)
	v_dot4_i32_iu8 v16, v185, v16, v173 neg_lo:[1,1,0]
	v_dot4_i32_iu8 v18, v187, v176, v18 neg_lo:[1,1,0]
	s_delay_alu instid0(VALU_DEP_2) | instskip(NEXT) | instid1(VALU_DEP_1)
	v_dot4_i32_iu8 v16, v186, v171, v16 neg_lo:[1,1,0]
	v_dot4_i32_iu8 v16, v187, v172, v16 neg_lo:[1,1,0]
	ds_load_2addr_b32 v[171:172], v149 offset0:5 offset1:6
	s_wait_dscnt 0x0
	v_lshlrev_b32_e32 v173, 16, v171
	v_lshlrev_b32_e32 v174, 8, v171
	v_perm_b32 v171, v171, v171, 0xc0c0003
	s_delay_alu instid0(VALU_DEP_2) | instskip(SKIP_3) | instid1(VALU_DEP_2)
	v_perm_b32 v225, v174, v173, 0x7030c0c
	ds_load_2addr_b32 v[173:174], v150 offset0:5 offset1:6
	v_or_b32_e32 v171, v225, v171
	v_perm_b32 v225, v12, v12, 0x2010003
	v_dot4_i32_iu8 v205, v171, v224, v205 neg_lo:[1,1,0]
	s_delay_alu instid0(VALU_DEP_2)
	v_dot4_i32_iu8 v203, v171, v225, v203 neg_lo:[1,1,0]
	v_dot4_i32_iu8 v207, v171, v169, v207 neg_lo:[1,1,0]
	;; [unrolled: 1-line block ×3, first 2 shown]
	s_wait_dscnt 0x0
	v_lshlrev_b32_e32 v175, 16, v173
	v_lshlrev_b32_e32 v176, 8, v173
	v_perm_b32 v173, v173, v173, 0xc0c0003
	s_delay_alu instid0(VALU_DEP_2) | instskip(SKIP_3) | instid1(VALU_DEP_2)
	v_perm_b32 v226, v176, v175, 0x7030c0c
	ds_load_2addr_b32 v[175:176], v152 offset0:5 offset1:6
	v_or_b32_e32 v173, v226, v173
	v_lshlrev_b32_e32 v226, 8, v168
	v_dot4_i32_iu8 v171, v173, v225, v157 neg_lo:[1,1,0]
	v_dot4_i32_iu8 v208, v173, v224, v208 neg_lo:[1,1,0]
	;; [unrolled: 1-line block ×4, first 2 shown]
	v_lshlrev_b32_e32 v157, 16, v158
	s_wait_dscnt 0x0
	v_lshlrev_b32_e32 v185, 16, v175
	v_lshlrev_b32_e32 v186, 8, v175
	v_perm_b32 v175, v175, v175, 0xc0c0003
	s_delay_alu instid0(VALU_DEP_2) | instskip(SKIP_3) | instid1(VALU_DEP_2)
	v_perm_b32 v227, v186, v185, 0x7030c0c
	ds_load_2addr_b32 v[185:186], v153 offset0:5 offset1:6
	v_or_b32_e32 v175, v227, v175
	v_lshlrev_b32_e32 v227, 16, v170
	v_dot4_i32_iu8 v173, v175, v225, v159 neg_lo:[1,1,0]
	v_dot4_i32_iu8 v210, v175, v224, v210 neg_lo:[1,1,0]
	;; [unrolled: 1-line block ×4, first 2 shown]
	v_lshlrev_b32_e32 v159, 8, v158
	v_lshlrev_b32_e32 v161, 16, v160
	v_perm_b32 v158, v158, v158, 0xc0c0003
	s_delay_alu instid0(VALU_DEP_3) | instskip(SKIP_4) | instid1(VALU_DEP_2)
	v_perm_b32 v157, v159, v157, 0x7030c0c
	s_wait_dscnt 0x0
	v_lshlrev_b32_e32 v187, 16, v185
	v_lshlrev_b32_e32 v188, 8, v185
	v_perm_b32 v185, v185, v185, 0xc0c0003
	v_perm_b32 v228, v188, v187, 0x7030c0c
	ds_load_2addr_b32 v[187:188], v154 offset0:5 offset1:6
	v_or_b32_e32 v185, v228, v185
	v_lshlrev_b32_e32 v228, 8, v170
	v_perm_b32 v170, v170, v170, 0xc0c0003
	s_delay_alu instid0(VALU_DEP_3)
	v_dot4_i32_iu8 v212, v185, v225, v212 neg_lo:[1,1,0]
	v_dot4_i32_iu8 v213, v185, v224, v213 neg_lo:[1,1,0]
	;; [unrolled: 1-line block ×4, first 2 shown]
	v_lshlrev_b32_e32 v163, 8, v160
	v_perm_b32 v160, v160, v160, 0xc0c0003
	s_delay_alu instid0(VALU_DEP_2) | instskip(SKIP_4) | instid1(VALU_DEP_2)
	v_perm_b32 v159, v163, v161, 0x7030c0c
	s_wait_dscnt 0x0
	v_lshlrev_b32_e32 v189, 16, v187
	v_lshlrev_b32_e32 v190, 8, v187
	v_perm_b32 v187, v187, v187, 0xc0c0003
	v_perm_b32 v229, v190, v189, 0x7030c0c
	ds_load_2addr_b32 v[189:190], v155 offset0:5 offset1:6
	v_or_b32_e32 v187, v229, v187
	s_delay_alu instid0(VALU_DEP_1)
	v_dot4_i32_iu8 v215, v187, v225, v215 neg_lo:[1,1,0]
	v_dot4_i32_iu8 v216, v187, v224, v216 neg_lo:[1,1,0]
	;; [unrolled: 1-line block ×4, first 2 shown]
	s_wait_dscnt 0x0
	v_lshlrev_b32_e32 v191, 16, v189
	v_lshlrev_b32_e32 v192, 8, v189
	v_perm_b32 v189, v189, v189, 0xc0c0003
	s_delay_alu instid0(VALU_DEP_2) | instskip(SKIP_2) | instid1(VALU_DEP_1)
	v_perm_b32 v230, v192, v191, 0x7030c0c
	ds_load_2addr_b32 v[191:192], v156 offset0:5 offset1:6
	v_or_b32_e32 v189, v230, v189
	v_dot4_i32_iu8 v165, v189, v225, v165 neg_lo:[1,1,0]
	v_dot4_i32_iu8 v187, v189, v224, v197 neg_lo:[1,1,0]
	;; [unrolled: 1-line block ×4, first 2 shown]
	v_lshlrev_b32_e32 v198, 8, v162
	s_wait_dscnt 0x0
	v_lshlrev_b32_e32 v231, 16, v191
	v_lshlrev_b32_e32 v232, 8, v191
	v_perm_b32 v191, v191, v191, 0xc0c0003
	v_lshlrev_b32_e32 v229, 16, v192
	v_lshlrev_b32_e32 v230, 8, v192
	v_perm_b32 v192, v192, v192, 0xc0c0003
	v_perm_b32 v231, v232, v231, 0x7030c0c
	s_delay_alu instid0(VALU_DEP_1) | instskip(NEXT) | instid1(VALU_DEP_1)
	v_or_b32_e32 v191, v231, v191
	v_dot4_i32_iu8 v167, v191, v225, v167 neg_lo:[1,1,0]
	v_dot4_i32_iu8 v189, v191, v224, v199 neg_lo:[1,1,0]
	;; [unrolled: 1-line block ×4, first 2 shown]
	v_lshlrev_b32_e32 v191, 16, v162
	v_lshlrev_b32_e32 v199, 16, v164
	;; [unrolled: 1-line block ×5, first 2 shown]
	v_perm_b32 v162, v162, v162, 0xc0c0003
	v_perm_b32 v164, v164, v164, 0xc0c0003
	v_lshlrev_b32_e32 v225, 16, v168
	v_perm_b32 v161, v198, v191, 0x7030c0c
	v_perm_b32 v163, v200, v199, 0x7030c0c
	;; [unrolled: 1-line block ×3, first 2 shown]
	v_or_b32_e32 v200, v157, v158
	v_or_b32_e32 v223, v159, v160
	ds_load_2addr_b32 v[157:158], v193 offset0:4 offset1:5
	ds_load_2addr_b32 v[159:160], v194 offset0:4 offset1:5
	v_perm_b32 v198, v226, v225, 0x7030c0c
	v_or_b32_e32 v224, v161, v162
	v_or_b32_e32 v225, v163, v164
	ds_load_2addr_b32 v[161:162], v195 offset0:4 offset1:5
	ds_load_2addr_b32 v[163:164], v196 offset0:4 offset1:5
	v_perm_b32 v166, v166, v166, 0xc0c0003
	v_perm_b32 v199, v228, v227, 0x7030c0c
	;; [unrolled: 1-line block ×3, first 2 shown]
	v_lshlrev_b32_e32 v227, 16, v190
	v_lshlrev_b32_e32 v228, 8, v190
	v_or_b32_e32 v166, v191, v166
	v_or_b32_e32 v170, v199, v170
	;; [unrolled: 1-line block ×3, first 2 shown]
	v_perm_b32 v190, v190, v190, 0xc0c0003
	s_wait_dscnt 0x3
	v_perm_b32 v191, v157, v157, 0x2010003
	s_wait_dscnt 0x2
	v_perm_b32 v199, v159, v159, 0x2010003
	s_delay_alu instid0(VALU_DEP_2) | instskip(NEXT) | instid1(VALU_DEP_2)
	v_dot4_i32_iu8 v198, v200, v191, v203 neg_lo:[1,1,0]
	v_dot4_i32_iu8 v203, v200, v199, v205 neg_lo:[1,1,0]
	s_wait_dscnt 0x1
	v_perm_b32 v205, v161, v161, 0x2010003
	s_wait_dscnt 0x0
	v_perm_b32 v226, v163, v163, 0x2010003
	v_dot4_i32_iu8 v165, v168, v191, v165 neg_lo:[1,1,0]
	v_dot4_i32_iu8 v167, v170, v191, v167 neg_lo:[1,1,0]
	;; [unrolled: 1-line block ×22, first 2 shown]
	v_lshlrev_b32_e32 v170, 8, v180
	v_lshlrev_b32_e32 v189, 24, v180
	v_dot4_i32_iu8 v173, v224, v191, v173 neg_lo:[1,1,0]
	v_perm_b32 v191, v182, v180, 0xc0c0703
	v_lshlrev_b32_e32 v197, 8, v182
	v_perm_b32 v180, v180, v170, 0x7030c0c
	v_lshlrev_b32_e32 v199, 16, v182
	v_lshlrev_b32_e32 v205, 24, v182
	v_perm_b32 v217, v181, v189, 0xc0c0703
	v_perm_b32 v182, v182, v197, 0x7030c0c
	v_dot4_i32_iu8 v6, v223, v226, v6 neg_lo:[1,1,0]
	v_dot4_i32_iu8 v175, v224, v226, v175 neg_lo:[1,1,0]
	;; [unrolled: 1-line block ×3, first 2 shown]
	v_or_b32_e32 v180, v180, v217
	v_perm_b32 v217, v199, v205, 0xc0c0703
	v_lshlrev_b32_e32 v223, 16, v186
	v_lshlrev_b32_e32 v224, 8, v186
	;; [unrolled: 1-line block ×3, first 2 shown]
	v_dot4_i32_iu8 v14, v180, v161, v14 neg_lo:[1,1,0]
	v_or_b32_e32 v182, v182, v217
	v_dot4_i32_iu8 v18, v180, v163, v18 neg_lo:[1,1,0]
	v_dot4_i32_iu8 v16, v180, v159, v16 neg_lo:[1,1,0]
	v_perm_b32 v161, v162, v162, 0x2010003
	v_perm_b32 v159, v160, v160, 0x2010003
	v_dot4_i32_iu8 v14, v182, v162, v14 neg_lo:[1,1,0]
	v_dot4_i32_iu8 v162, v182, v164, v18 neg_lo:[1,1,0]
	v_perm_b32 v18, v164, v164, 0x2010003
	v_dot4_i32_iu8 v16, v182, v160, v16 neg_lo:[1,1,0]
	v_lshlrev_b32_e32 v160, 16, v172
	v_lshlrev_b32_e32 v163, 8, v172
	v_perm_b32 v164, v172, v172, 0xc0c0003
	v_lshlrev_b32_e32 v172, 16, v174
	v_lshlrev_b32_e32 v180, 8, v174
	;; [unrolled: 1-line block ×5, first 2 shown]
	v_perm_b32 v174, v174, v174, 0xc0c0003
	v_perm_b32 v176, v176, v176, 0xc0c0003
	;; [unrolled: 1-line block ×11, first 2 shown]
	v_or_b32_e32 v160, v160, v164
	v_or_b32_e32 v163, v163, v174
	v_or_b32_e32 v164, v172, v176
	v_or_b32_e32 v172, v180, v186
	v_or_b32_e32 v174, v182, v188
	v_or_b32_e32 v176, v217, v190
	v_or_b32_e32 v180, v223, v192
	v_perm_b32 v182, v158, v158, 0x2010003
	v_dot4_i32_iu8 v188, v160, v159, v203 neg_lo:[1,1,0]
	v_dot4_i32_iu8 v190, v160, v161, v207 neg_lo:[1,1,0]
	;; [unrolled: 1-line block ×28, first 2 shown]
	v_lshlrev_b32_e32 v4, 16, v3
	v_lshlrev_b32_e32 v6, 8, v3
	;; [unrolled: 1-line block ×12, first 2 shown]
	v_perm_b32 v3, v3, v3, 0xc0c0003
	v_perm_b32 v5, v5, v5, 0xc0c0003
	;; [unrolled: 1-line block ×12, first 2 shown]
	v_or_b32_e32 v180, v4, v3
	v_or_b32_e32 v182, v6, v5
	v_or_b32_e32 v7, v18, v7
	v_or_b32_e32 v10, v20, v10
	v_or_b32_e32 v168, v168, v19
	v_or_b32_e32 v169, v169, v21
	ds_load_2addr_b32 v[3:4], v193 offset0:6 offset1:7
	ds_load_2addr_b32 v[5:6], v194 offset0:6 offset1:7
	;; [unrolled: 1-line block ×4, first 2 shown]
	v_lshlrev_b32_e32 v214, 16, v23
	v_lshlrev_b32_e32 v215, 8, v23
	v_perm_b32 v23, v23, v23, 0xc0c0003
	v_perm_b32 v170, v197, v170, 0xc0c0703
	s_delay_alu instid0(VALU_DEP_3) | instskip(NEXT) | instid1(VALU_DEP_1)
	v_perm_b32 v176, v215, v214, 0x7030c0c
	v_or_b32_e32 v23, v176, v23
	s_wait_dscnt 0x3
	v_perm_b32 v176, v3, v3, 0x2010003
	s_wait_dscnt 0x2
	v_perm_b32 v193, v5, v5, 0x2010003
	s_wait_dscnt 0x1
	v_perm_b32 v194, v18, v18, 0x2010003
	s_wait_dscnt 0x0
	v_perm_b32 v195, v20, v20, 0x2010003
	v_dot4_i32_iu8 v186, v180, v176, v186 neg_lo:[1,1,0]
	v_dot4_i32_iu8 v188, v180, v193, v188 neg_lo:[1,1,0]
	v_dot4_i32_iu8 v190, v180, v194, v190 neg_lo:[1,1,0]
	s_delay_alu instid0(VALU_DEP_4)
	v_dot4_i32_iu8 v160, v180, v195, v160 neg_lo:[1,1,0]
	v_dot4_i32_iu8 v171, v182, v176, v171 neg_lo:[1,1,0]
	;; [unrolled: 1-line block ×22, first 2 shown]
	v_lshlrev_b32_e32 v176, 8, v177
	v_lshlrev_b32_e32 v187, 16, v177
	;; [unrolled: 1-line block ×3, first 2 shown]
	v_dot4_i32_iu8 v169, v169, v195, v22 neg_lo:[1,1,0]
	v_dot4_i32_iu8 v161, v23, v194, v161 neg_lo:[1,1,0]
	;; [unrolled: 1-line block ×3, first 2 shown]
	v_perm_b32 v22, v177, v176, 0x7030c0c
	v_perm_b32 v23, v187, v193, 0xc0c0703
	v_lshlrev_b32_e32 v194, 8, v184
	v_lshlrev_b32_e32 v195, 16, v184
	;; [unrolled: 1-line block ×3, first 2 shown]
	v_perm_b32 v208, v19, v19, 0x2010003
	v_or_b32_e32 v22, v22, v23
	v_perm_b32 v23, v184, v194, 0x7030c0c
	v_perm_b32 v209, v21, v21, 0x2010003
	;; [unrolled: 1-line block ×3, first 2 shown]
	s_delay_alu instid0(VALU_DEP_4) | instskip(NEXT) | instid1(VALU_DEP_2)
	v_dot4_i32_iu8 v5, v22, v5, v16 neg_lo:[1,1,0]
	v_or_b32_e32 v23, v23, v207
	v_perm_b32 v207, v6, v6, 0x2010003
	s_delay_alu instid0(VALU_DEP_2) | instskip(SKIP_1) | instid1(VALU_DEP_1)
	v_dot4_i32_iu8 v16, v23, v6, v5 neg_lo:[1,1,0]
	v_dot4_i32_iu8 v5, v22, v18, v14 neg_lo:[1,1,0]
	v_dot4_i32_iu8 v14, v23, v19, v5 neg_lo:[1,1,0]
	v_dot4_i32_iu8 v5, v22, v20, v162 neg_lo:[1,1,0]
	s_delay_alu instid0(VALU_DEP_1)
	v_dot4_i32_iu8 v162, v23, v21, v5 neg_lo:[1,1,0]
	ds_load_2addr_b32 v[5:6], v149 offset1:7
	s_wait_dscnt 0x0
	v_lshlrev_b32_e32 v18, 16, v6
	v_lshlrev_b32_e32 v19, 8, v6
	v_perm_b32 v6, v6, v6, 0xc0c0003
	s_delay_alu instid0(VALU_DEP_2) | instskip(SKIP_2) | instid1(VALU_DEP_1)
	v_perm_b32 v210, v19, v18, 0x7030c0c
	ds_load_2addr_b32 v[18:19], v150 offset1:7
	v_or_b32_e32 v6, v210, v6
	v_dot4_i32_iu8 v188, v6, v207, v188 neg_lo:[1,1,0]
	v_dot4_i32_iu8 v190, v6, v208, v190 neg_lo:[1,1,0]
	s_wait_dscnt 0x0
	v_lshlrev_b32_e32 v20, 16, v19
	v_lshlrev_b32_e32 v21, 8, v19
	v_perm_b32 v19, v19, v19, 0xc0c0003
	s_delay_alu instid0(VALU_DEP_2)
	v_perm_b32 v211, v21, v20, 0x7030c0c
	ds_load_2addr_b32 v[20:21], v152 offset1:7
	v_or_b32_e32 v19, v211, v19
	s_wait_dscnt 0x0
	v_lshlrev_b32_e32 v22, 16, v21
	v_lshlrev_b32_e32 v23, 8, v21
	v_perm_b32 v21, v21, v21, 0xc0c0003
	s_delay_alu instid0(VALU_DEP_2) | instskip(SKIP_2) | instid1(VALU_DEP_1)
	v_perm_b32 v212, v23, v22, 0x7030c0c
	ds_load_2addr_b32 v[22:23], v153 offset1:7
	v_or_b32_e32 v21, v212, v21
	v_dot4_i32_iu8 v7, v21, v209, v7 neg_lo:[1,1,0]
	s_delay_alu instid0(VALU_DEP_1) | instskip(SKIP_4) | instid1(VALU_DEP_2)
	v_dot4_i32_iu8 v7, v20, v17, v7 neg_lo:[1,1,0]
	s_wait_dscnt 0x0
	v_lshlrev_b32_e32 v149, 16, v23
	v_lshlrev_b32_e32 v150, 8, v23
	v_perm_b32 v23, v23, v23, 0xc0c0003
	v_perm_b32 v213, v150, v149, 0x7030c0c
	ds_load_2addr_b32 v[149:150], v154 offset1:7
	v_or_b32_e32 v23, v213, v23
	s_delay_alu instid0(VALU_DEP_1) | instskip(NEXT) | instid1(VALU_DEP_1)
	v_dot4_i32_iu8 v10, v23, v209, v10 neg_lo:[1,1,0]
	v_dot4_i32_iu8 v10, v22, v17, v10 neg_lo:[1,1,0]
	s_wait_dscnt 0x0
	v_lshlrev_b32_e32 v152, 16, v150
	v_lshlrev_b32_e32 v153, 8, v150
	v_perm_b32 v150, v150, v150, 0xc0c0003
	s_delay_alu instid0(VALU_DEP_2)
	v_perm_b32 v214, v153, v152, 0x7030c0c
	ds_load_2addr_b32 v[152:153], v155 offset1:7
	v_or_b32_e32 v150, v214, v150
	s_wait_dscnt 0x0
	v_lshlrev_b32_e32 v154, 16, v153
	v_lshlrev_b32_e32 v155, 8, v153
	v_perm_b32 v153, v153, v153, 0xc0c0003
	s_delay_alu instid0(VALU_DEP_2) | instskip(SKIP_2) | instid1(VALU_DEP_1)
	v_perm_b32 v215, v155, v154, 0x7030c0c
	ds_load_2addr_b32 v[154:155], v156 offset1:7
	v_or_b32_e32 v153, v215, v153
	v_dot4_i32_iu8 v166, v153, v207, v166 neg_lo:[1,1,0]
	s_delay_alu instid0(VALU_DEP_1) | instskip(SKIP_4) | instid1(VALU_DEP_2)
	v_dot4_i32_iu8 v166, v152, v15, v166 neg_lo:[1,1,0]
	s_wait_dscnt 0x0
	v_lshlrev_b32_e32 v156, 16, v155
	v_lshlrev_b32_e32 v216, 8, v155
	v_perm_b32 v155, v155, v155, 0xc0c0003
	v_perm_b32 v156, v216, v156, 0x7030c0c
	s_delay_alu instid0(VALU_DEP_1) | instskip(SKIP_1) | instid1(VALU_DEP_2)
	v_or_b32_e32 v155, v156, v155
	v_perm_b32 v156, v4, v4, 0x2010003
	v_dot4_i32_iu8 v159, v155, v207, v159 neg_lo:[1,1,0]
	s_delay_alu instid0(VALU_DEP_2)
	v_dot4_i32_iu8 v186, v6, v156, v186 neg_lo:[1,1,0]
	v_dot4_i32_iu8 v6, v6, v209, v160 neg_lo:[1,1,0]
	;; [unrolled: 1-line block ×37, first 2 shown]
	v_perm_b32 v150, v184, v177, 0x7030c0c
	v_perm_b32 v175, v158, v157, 0xc0c0703
	;; [unrolled: 1-line block ×3, first 2 shown]
	v_dot4_i32_iu8 v22, v8, v149, v23 neg_lo:[1,1,0]
	v_dot4_i32_iu8 v23, v149, v15, v172 neg_lo:[1,1,0]
	;; [unrolled: 1-line block ×10, first 2 shown]
	v_perm_b32 v149, v8, v178, 0xc0c0703
	v_perm_b32 v154, v183, v9, 0xc0c0703
	v_or_b32_e32 v175, v177, v175
	v_perm_b32 v177, v12, v11, 0x7030c0c
	v_or_b32_e32 v150, v150, v191
	v_or_b32_e32 v149, v179, v149
	v_perm_b32 v153, v183, v9, 0xc0c0501
	v_perm_b32 v156, v183, v9, 0xc0c0400
	v_or_b32_e32 v154, v177, v154
	v_perm_b32 v9, v183, v9, 0xc0c0602
	v_perm_b32 v159, v8, v204, 0xc0c0503
	;; [unrolled: 1-line block ×4, first 2 shown]
	v_dot4_i32_iu8 v149, v149, v154, 0 neg_lo:[1,1,0]
	v_perm_b32 v154, v4, v3, 0x6020c0c
	v_cvt_f32_i32_e32 v5, v5
	s_delay_alu instid0(VALU_DEP_3) | instskip(SKIP_2) | instid1(VALU_DEP_2)
	v_dot4_i32_iu8 v149, v150, v175, v149 neg_lo:[1,1,0]
	v_perm_b32 v150, v158, v157, 0xc0c0602
	v_perm_b32 v175, v12, v11, 0x6020c0c
	v_or_b32_e32 v150, v154, v150
	v_perm_b32 v154, v220, v206, 0x7030c0c
	s_delay_alu instid0(VALU_DEP_3) | instskip(SKIP_1) | instid1(VALU_DEP_3)
	v_or_b32_e32 v9, v175, v9
	v_perm_b32 v175, v194, v176, 0x7030c0c
	v_or_b32_e32 v8, v154, v8
	s_delay_alu instid0(VALU_DEP_2) | instskip(SKIP_1) | instid1(VALU_DEP_3)
	v_or_b32_e32 v154, v175, v170
	v_perm_b32 v170, v195, v187, 0x7030c0c
	v_dot4_i32_iu8 v8, v8, v9, 0 neg_lo:[1,1,0]
	v_perm_b32 v9, v158, v157, 0xc0c0501
	s_delay_alu instid0(VALU_DEP_2)
	v_dot4_i32_iu8 v8, v154, v150, v8 neg_lo:[1,1,0]
	v_perm_b32 v150, v4, v3, 0x5010c0c
	v_perm_b32 v154, v12, v11, 0x5010c0c
	;; [unrolled: 1-line block ×5, first 2 shown]
	v_or_b32_e32 v9, v150, v9
	v_perm_b32 v150, v222, v219, 0x7030c0c
	v_or_b32_e32 v153, v154, v153
	v_perm_b32 v154, v199, v181, 0xc0c0703
	;; [unrolled: 2-line block ×3, first 2 shown]
	v_or_b32_e32 v150, v150, v159
	v_or_b32_e32 v11, v11, v161
	;; [unrolled: 1-line block ×3, first 2 shown]
	s_delay_alu instid0(VALU_DEP_3) | instskip(NEXT) | instid1(VALU_DEP_3)
	v_dot4_i32_iu8 v150, v150, v153, 0 neg_lo:[1,1,0]
	v_dot4_i32_iu8 v4, v11, v4, 0 neg_lo:[1,1,0]
	s_delay_alu instid0(VALU_DEP_2) | instskip(SKIP_1) | instid1(VALU_DEP_1)
	v_dot4_i32_iu8 v9, v154, v9, v150 neg_lo:[1,1,0]
	v_perm_b32 v150, v158, v157, 0xc0c0400
	v_or_b32_e32 v3, v3, v150
	v_perm_b32 v150, v203, v193, 0x7030c0c
	s_delay_alu instid0(VALU_DEP_1) | instskip(SKIP_1) | instid1(VALU_DEP_2)
	v_or_b32_e32 v12, v150, v12
	v_lshlrev_b32_e32 v150, 2, v33
	v_dot4_i32_iu8 v3, v12, v3, v4 neg_lo:[1,1,0]
	v_add_nc_u32_e32 v4, v9, v149
	v_lshlrev_b32_e32 v149, 2, v35
	s_delay_alu instid0(VALU_DEP_2) | instskip(SKIP_2) | instid1(VALU_DEP_3)
	v_add3_u32 v3, v3, v8, v4
	s_wait_alu 0xfffe
	v_add_nc_u32_e32 v4, s13, v80
	v_add3_u32 v8, s16, v149, v150
	s_delay_alu instid0(VALU_DEP_3) | instskip(SKIP_4) | instid1(VALU_DEP_1)
	v_cvt_f32_i32_e32 v3, v3
	ds_load_b32 v4, v4
	ds_load_b32 v8, v8
	s_wait_dscnt 0x0
	v_mul_f32_e32 v9, v4, v8
	v_fmac_f32_e32 v36, v9, v3
	v_add3_u32 v3, s16, v123, v125
	v_cvt_f32_i32_e32 v9, v16
	ds_load_b32 v3, v3
	s_wait_dscnt 0x0
	v_mul_f32_e32 v11, v4, v3
	s_delay_alu instid0(VALU_DEP_1)
	v_fmac_f32_e32 v140, v11, v9
	v_add3_u32 v9, s16, v127, v129
	v_cvt_f32_i32_e32 v11, v14
	ds_load_b32 v9, v9
	s_wait_dscnt 0x0
	v_mul_f32_e32 v12, v4, v9
	s_delay_alu instid0(VALU_DEP_1)
	v_fmac_f32_e32 v145, v12, v11
	v_add3_u32 v11, s16, v131, v133
	v_cvt_f32_i32_e32 v12, v162
	ds_load_b32 v11, v11
	s_wait_dscnt 0x0
	v_mul_f32_e32 v4, v4, v11
	s_delay_alu instid0(VALU_DEP_1)
	v_fmac_f32_e32 v148, v4, v12
	v_add_nc_u32_e32 v4, s13, v82
	v_cvt_f32_i32_e32 v12, v155
	ds_load_b32 v4, v4
	s_wait_dscnt 0x0
	v_mul_f32_e32 v14, v8, v4
	s_delay_alu instid0(VALU_DEP_1) | instskip(SKIP_2) | instid1(VALU_DEP_1)
	v_fmac_f32_e32 v126, v14, v12
	v_cvt_f32_i32_e32 v12, v167
	v_mul_f32_e32 v14, v3, v4
	v_fmac_f32_e32 v137, v14, v12
	v_mul_f32_e32 v14, v9, v4
	v_mul_f32_e32 v4, v11, v4
	v_cvt_f32_i32_e32 v12, v169
	s_delay_alu instid0(VALU_DEP_2) | instskip(SKIP_1) | instid1(VALU_DEP_3)
	v_dual_fmac_f32 v147, v4, v5 :: v_dual_add_nc_u32 v4, s13, v84
	v_cvt_f32_i32_e32 v5, v6
	v_fmac_f32_e32 v143, v14, v12
	ds_load_b32 v4, v4
	s_wait_dscnt 0x0
	v_mul_f32_e32 v6, v8, v4
	s_delay_alu instid0(VALU_DEP_1) | instskip(SKIP_2) | instid1(VALU_DEP_1)
	v_fmac_f32_e32 v120, v6, v5
	v_cvt_f32_i32_e32 v5, v160
	v_mul_f32_e32 v6, v3, v4
	v_fmac_f32_e32 v134, v6, v5
	v_cvt_f32_i32_e32 v5, v171
	v_mul_f32_e32 v6, v9, v4
	s_delay_alu instid0(VALU_DEP_1) | instskip(SKIP_1) | instid1(VALU_DEP_1)
	v_dual_mul_f32 v4, v11, v4 :: v_dual_fmac_f32 v141, v6, v5
	v_cvt_f32_i32_e32 v5, v18
	v_fmac_f32_e32 v146, v4, v5
	v_add_nc_u32_e32 v4, s13, v86
	v_cvt_f32_i32_e32 v5, v19
	ds_load_b32 v4, v4
	s_wait_dscnt 0x0
	v_mul_f32_e32 v6, v8, v4
	s_delay_alu instid0(VALU_DEP_1) | instskip(SKIP_2) | instid1(VALU_DEP_1)
	v_fmac_f32_e32 v114, v6, v5
	v_cvt_f32_i32_e32 v5, v163
	v_mul_f32_e32 v6, v3, v4
	v_fmac_f32_e32 v128, v6, v5
	v_cvt_f32_i32_e32 v5, v173
	v_mul_f32_e32 v6, v9, v4
	v_mul_f32_e32 v4, v11, v4
	s_delay_alu instid0(VALU_DEP_2) | instskip(SKIP_1) | instid1(VALU_DEP_1)
	v_fmac_f32_e32 v138, v6, v5
	v_cvt_f32_i32_e32 v5, v7
	v_fmac_f32_e32 v144, v4, v5
	v_add_nc_u32_e32 v4, s13, v88
	v_cvt_f32_i32_e32 v5, v20
	ds_load_b32 v4, v4
	s_wait_dscnt 0x0
	v_mul_f32_e32 v6, v8, v4
	s_delay_alu instid0(VALU_DEP_1) | instskip(SKIP_2) | instid1(VALU_DEP_1)
	v_fmac_f32_e32 v109, v6, v5
	v_cvt_f32_i32_e32 v5, v21
	v_mul_f32_e32 v6, v3, v4
	v_fmac_f32_e32 v122, v6, v5
	v_cvt_f32_i32_e32 v5, v164
	v_mul_f32_e32 v6, v9, v4
	s_delay_alu instid0(VALU_DEP_1) | instskip(SKIP_1) | instid1(VALU_DEP_1)
	v_dual_mul_f32 v4, v11, v4 :: v_dual_fmac_f32 v135, v6, v5
	v_cvt_f32_i32_e32 v5, v10
	v_fmac_f32_e32 v142, v4, v5
	v_add_nc_u32_e32 v4, s13, v90
	v_cvt_f32_i32_e32 v5, v22
	ds_load_b32 v4, v4
	s_wait_dscnt 0x0
	v_mul_f32_e32 v6, v8, v4
	s_delay_alu instid0(VALU_DEP_1) | instskip(SKIP_2) | instid1(VALU_DEP_1)
	v_fmac_f32_e32 v104, v6, v5
	v_cvt_f32_i32_e32 v5, v23
	v_mul_f32_e32 v6, v3, v4
	v_fmac_f32_e32 v116, v6, v5
	v_cvt_f32_i32_e32 v5, v172
	v_mul_f32_e32 v6, v9, v4
	v_mul_f32_e32 v4, v11, v4
	s_delay_alu instid0(VALU_DEP_2) | instskip(SKIP_1) | instid1(VALU_DEP_1)
	v_fmac_f32_e32 v130, v6, v5
	v_cvt_f32_i32_e32 v5, v174
	v_dual_fmac_f32 v139, v4, v5 :: v_dual_add_nc_u32 v4, s13, v92
	v_cvt_f32_i32_e32 v5, v165
	ds_load_b32 v4, v4
	s_wait_dscnt 0x0
	v_mul_f32_e32 v6, v8, v4
	s_delay_alu instid0(VALU_DEP_1) | instskip(SKIP_2) | instid1(VALU_DEP_1)
	v_fmac_f32_e32 v101, v6, v5
	v_cvt_f32_i32_e32 v5, v166
	v_mul_f32_e32 v6, v3, v4
	v_fmac_f32_e32 v111, v6, v5
	v_cvt_f32_i32_e32 v5, v168
	v_mul_f32_e32 v6, v9, v4
	v_mul_f32_e32 v4, v11, v4
	s_delay_alu instid0(VALU_DEP_2) | instskip(SKIP_2) | instid1(VALU_DEP_2)
	v_fmac_f32_e32 v124, v6, v5
	v_cvt_f32_i32_e32 v5, v152
	v_cvt_f32_i32_e32 v6, v24
	v_fmac_f32_e32 v136, v4, v5
	v_add_nc_u32_e32 v4, s13, v94
	s_add_co_i32 s13, s12, 4
	s_cmp_lt_u32 s12, 12
	s_wait_alu 0xfffe
	s_mov_b32 s12, s13
	ds_load_b32 v4, v4
	s_wait_dscnt 0x0
	v_mul_f32_e32 v5, v8, v4
	s_delay_alu instid0(VALU_DEP_1) | instskip(SKIP_1) | instid1(VALU_DEP_1)
	v_dual_mul_f32 v3, v3, v4 :: v_dual_fmac_f32 v100, v5, v6
	v_cvt_f32_i32_e32 v5, v15
	v_dual_fmac_f32 v106, v3, v5 :: v_dual_mul_f32 v3, v9, v4
	v_cvt_f32_i32_e32 v5, v13
	s_delay_alu instid0(VALU_DEP_1) | instskip(SKIP_2) | instid1(VALU_DEP_1)
	v_fmac_f32_e32 v118, v3, v5
	v_mul_f32_e32 v3, v11, v4
	v_cvt_f32_i32_e32 v4, v17
	v_fmac_f32_e32 v132, v3, v4
	s_cbranch_scc1 .LBB141_8
; %bb.9:                                ;   in Loop: Header=BB141_6 Depth=1
	s_and_b32 s12, s5, -4
	s_wait_loadcnt 0x0
	s_wait_alu 0xfffe
	s_cmp_eq_u32 s12, 4
	s_barrier_signal -1
	s_barrier_wait -1
	global_inv scope:SCOPE_SE
	s_cbranch_scc1 .LBB141_5
; %bb.10:                               ;   in Loop: Header=BB141_6 Depth=1
	v_add_nc_u32_e32 v11, s10, v99
	v_add_nc_u32_e32 v12, 4, v151
	s_mov_b32 s12, 16
	s_delay_alu instid0(VALU_DEP_2)
	v_add_nc_u32_e32 v13, v11, v78
	v_add_nc_u32_e32 v3, v11, v71
	;; [unrolled: 1-line block ×8, first 2 shown]
	v_mad_co_u64_u32 v[11:12], null, v12, 36, s[2:3]
	v_mad_co_i64_i32 v[13:14], null, v13, 36, v[1:2]
	v_mad_co_i64_i32 v[3:4], null, v3, 36, v[1:2]
	;; [unrolled: 1-line block ×8, first 2 shown]
	s_clause 0x8
	global_load_b32 v11, v[11:12], off
	global_load_b32 v12, v[13:14], off offset:4
	global_load_b32 v3, v[3:4], off offset:4
	global_load_b32 v4, v[5:6], off offset:4
	global_load_b32 v5, v[7:8], off offset:4
	global_load_b32 v6, v[9:10], off offset:4
	global_load_b32 v7, v[15:16], off offset:4
	global_load_b32 v8, v[17:18], off offset:4
	global_load_b32 v9, v[19:20], off offset:4
	s_wait_loadcnt 0x8
	v_cvt_f32_f16_e32 v10, v11
	s_wait_loadcnt 0x7
	ds_store_b32 v121, v12
	s_wait_loadcnt 0x6
	ds_store_b32 v108, v3
	;; [unrolled: 2-line block ×8, first 2 shown]
	ds_store_b32 v70, v10
	s_wait_dscnt 0x0
	s_barrier_signal -1
	s_barrier_wait -1
	global_inv scope:SCOPE_SE
.LBB141_11:                             ;   Parent Loop BB141_6 Depth=1
                                        ; =>  This Inner Loop Header: Depth=2
	s_wait_alu 0xfffe
	s_lshl_b32 s13, s12, 3
	s_wait_alu 0xfffe
	s_and_b32 s16, s13, 0x60
	v_add_nc_u32_e32 v195, s13, v96
	s_wait_alu 0xfffe
	s_or_b32 s16, s16, 0x8200
	v_add_nc_u32_e32 v196, s13, v97
	s_wait_alu 0xfffe
	v_lshl_add_u32 v151, v81, 2, s16
	v_lshl_add_u32 v152, v83, 2, s16
	;; [unrolled: 1-line block ×5, first 2 shown]
	ds_load_2addr_b32 v[3:4], v151 offset0:3 offset1:4
	ds_load_2addr_b32 v[160:161], v152 offset0:1 offset1:2
	;; [unrolled: 1-line block ×4, first 2 shown]
	v_lshl_add_u32 v155, v89, 2, s16
	v_add_nc_u32_e32 v197, s13, v98
	v_lshl_add_u32 v157, v93, 2, s16
	v_add_nc_u32_e32 v194, s13, v95
	s_and_b32 s13, s12, 12
	ds_load_2addr_b32 v[164:165], v154 offset0:1 offset1:2
	ds_load_2addr_b32 v[168:169], v156 offset0:1 offset1:2
	s_wait_alu 0xfffe
	s_or_b32 s13, s13, 0xb280
	ds_load_2addr_b32 v[166:167], v155 offset0:1 offset1:2
	s_wait_dscnt 0x6
	v_lshlrev_b32_e32 v5, 16, v4
	v_lshlrev_b32_e32 v6, 8, v4
	v_perm_b32 v4, v4, v4, 0xc0c0003
	s_delay_alu instid0(VALU_DEP_2)
	v_perm_b32 v9, v6, v5, 0x7030c0c
	s_wait_dscnt 0x3
	v_lshlrev_b32_e32 v5, 16, v158
	v_lshlrev_b32_e32 v6, 8, v158
	s_wait_dscnt 0x2
	v_lshlrev_b32_e32 v19, 8, v164
	v_or_b32_e32 v4, v9, v4
	v_perm_b32 v9, v158, v158, 0xc0c0003
	v_perm_b32 v12, v6, v5, 0x7030c0c
	ds_load_2addr_b32 v[5:6], v152 offset0:3 offset1:4
	v_or_b32_e32 v158, v12, v9
	v_perm_b32 v9, v160, v160, 0xc0c0003
	s_wait_dscnt 0x0
	v_lshlrev_b32_e32 v7, 16, v6
	v_lshlrev_b32_e32 v8, 8, v6
	v_perm_b32 v6, v6, v6, 0xc0c0003
	s_delay_alu instid0(VALU_DEP_2) | instskip(SKIP_2) | instid1(VALU_DEP_3)
	v_perm_b32 v13, v8, v7, 0x7030c0c
	v_lshlrev_b32_e32 v7, 16, v160
	v_lshlrev_b32_e32 v8, 8, v160
	v_or_b32_e32 v6, v13, v6
	s_delay_alu instid0(VALU_DEP_2)
	v_perm_b32 v14, v8, v7, 0x7030c0c
	ds_load_2addr_b32 v[7:8], v153 offset0:3 offset1:4
	v_or_b32_e32 v160, v14, v9
	ds_load_2addr_b32 v[13:14], v195 offset1:1
	s_wait_dscnt 0x1
	v_lshlrev_b32_e32 v10, 16, v8
	v_lshlrev_b32_e32 v11, 8, v8
	v_perm_b32 v8, v8, v8, 0xc0c0003
	s_delay_alu instid0(VALU_DEP_2) | instskip(SKIP_2) | instid1(VALU_DEP_3)
	v_perm_b32 v15, v11, v10, 0x7030c0c
	v_lshlrev_b32_e32 v10, 16, v162
	v_lshlrev_b32_e32 v11, 8, v162
	v_or_b32_e32 v12, v15, v8
	v_perm_b32 v8, v162, v162, 0xc0c0003
	s_delay_alu instid0(VALU_DEP_3)
	v_perm_b32 v16, v11, v10, 0x7030c0c
	ds_load_2addr_b32 v[10:11], v154 offset0:3 offset1:4
	v_or_b32_e32 v162, v16, v8
	ds_load_2addr_b32 v[15:16], v196 offset1:1
	s_wait_dscnt 0x1
	v_lshlrev_b32_e32 v17, 16, v11
	v_lshlrev_b32_e32 v18, 8, v11
	v_perm_b32 v8, v11, v11, 0xc0c0003
	s_delay_alu instid0(VALU_DEP_2) | instskip(SKIP_1) | instid1(VALU_DEP_2)
	v_perm_b32 v17, v18, v17, 0x7030c0c
	v_lshlrev_b32_e32 v18, 16, v164
	v_or_b32_e32 v11, v17, v8
	s_delay_alu instid0(VALU_DEP_2) | instskip(SKIP_2) | instid1(VALU_DEP_1)
	v_perm_b32 v18, v19, v18, 0x7030c0c
	ds_load_2addr_b32 v[19:20], v155 offset0:3 offset1:4
	v_perm_b32 v8, v164, v164, 0xc0c0003
	v_or_b32_e32 v164, v18, v8
	ds_load_2addr_b32 v[17:18], v197 offset1:1
	s_wait_dscnt 0x1
	v_lshlrev_b32_e32 v21, 16, v20
	v_lshlrev_b32_e32 v22, 8, v20
	v_perm_b32 v8, v20, v20, 0xc0c0003
	s_delay_alu instid0(VALU_DEP_2) | instskip(SKIP_2) | instid1(VALU_DEP_3)
	v_perm_b32 v172, v22, v21, 0x7030c0c
	v_lshlrev_b32_e32 v21, 16, v166
	v_lshlrev_b32_e32 v22, 8, v166
	v_or_b32_e32 v20, v172, v8
	v_perm_b32 v8, v166, v166, 0xc0c0003
	s_delay_alu instid0(VALU_DEP_3) | instskip(SKIP_3) | instid1(VALU_DEP_1)
	v_perm_b32 v173, v22, v21, 0x7030c0c
	ds_load_2addr_b32 v[21:22], v156 offset0:3 offset1:4
	v_or_b32_e32 v166, v173, v8
	v_perm_b32 v173, v14, v14, 0x2010003
	v_dot4_i32_iu8 v180, v6, v173, 0 neg_lo:[1,1,0]
	v_dot4_i32_iu8 v183, v12, v173, 0 neg_lo:[1,1,0]
	;; [unrolled: 1-line block ×4, first 2 shown]
	s_wait_dscnt 0x0
	v_lshlrev_b32_e32 v23, 16, v22
	v_lshlrev_b32_e32 v24, 8, v22
	v_perm_b32 v8, v22, v22, 0xc0c0003
	s_delay_alu instid0(VALU_DEP_2) | instskip(SKIP_2) | instid1(VALU_DEP_3)
	v_perm_b32 v174, v24, v23, 0x7030c0c
	v_lshlrev_b32_e32 v23, 16, v168
	v_lshlrev_b32_e32 v24, 8, v168
	v_or_b32_e32 v22, v174, v8
	v_perm_b32 v8, v168, v168, 0xc0c0003
	s_delay_alu instid0(VALU_DEP_3)
	v_perm_b32 v175, v24, v23, 0x7030c0c
	ds_load_2addr_b32 v[23:24], v157 offset0:3 offset1:4
	v_perm_b32 v174, v16, v16, 0x2010003
	v_dot4_i32_iu8 v198, v22, v173, 0 neg_lo:[1,1,0]
	v_or_b32_e32 v168, v175, v8
	v_perm_b32 v175, v18, v18, 0x2010003
	s_delay_alu instid0(VALU_DEP_4)
	v_dot4_i32_iu8 v184, v12, v174, 0 neg_lo:[1,1,0]
	v_dot4_i32_iu8 v188, v11, v174, 0 neg_lo:[1,1,0]
	;; [unrolled: 1-line block ×7, first 2 shown]
	s_wait_dscnt 0x0
	v_lshlrev_b32_e32 v170, 16, v24
	v_lshlrev_b32_e32 v171, 8, v24
	v_perm_b32 v8, v24, v24, 0xc0c0003
	s_delay_alu instid0(VALU_DEP_2) | instskip(SKIP_2) | instid1(VALU_DEP_1)
	v_perm_b32 v176, v171, v170, 0x7030c0c
	ds_load_2addr_b32 v[170:171], v157 offset0:1 offset1:2
	v_or_b32_e32 v24, v176, v8
	v_dot4_i32_iu8 v201, v24, v173, 0 neg_lo:[1,1,0]
	v_dot4_i32_iu8 v202, v24, v174, 0 neg_lo:[1,1,0]
	s_wait_dscnt 0x0
	v_lshlrev_b32_e32 v177, 16, v170
	v_lshlrev_b32_e32 v178, 8, v170
	v_perm_b32 v8, v170, v170, 0xc0c0003
	s_delay_alu instid0(VALU_DEP_2) | instskip(SKIP_1) | instid1(VALU_DEP_2)
	v_perm_b32 v177, v178, v177, 0x7030c0c
	v_dot4_i32_iu8 v178, v4, v174, 0 neg_lo:[1,1,0]
	v_or_b32_e32 v170, v177, v8
	ds_load_2addr_b32 v[8:9], v194 offset1:1
	v_dot4_i32_iu8 v177, v4, v173, 0 neg_lo:[1,1,0]
	s_wait_dscnt 0x0
	v_perm_b32 v172, v9, v9, 0x2010003
	s_delay_alu instid0(VALU_DEP_1)
	v_dot4_i32_iu8 v176, v4, v172, 0 neg_lo:[1,1,0]
	v_dot4_i32_iu8 v179, v6, v172, 0 neg_lo:[1,1,0]
	v_dot4_i32_iu8 v182, v12, v172, 0 neg_lo:[1,1,0]
	v_dot4_i32_iu8 v186, v11, v172, 0 neg_lo:[1,1,0]
	v_dot4_i32_iu8 v190, v20, v172, 0 neg_lo:[1,1,0]
	v_dot4_i32_iu8 v193, v22, v172, 0 neg_lo:[1,1,0]
	v_dot4_i32_iu8 v200, v24, v172, 0 neg_lo:[1,1,0]
	ds_load_2addr_b32 v[11:12], v194 offset0:2 offset1:3
	ds_load_2addr_b32 v[172:173], v195 offset0:2 offset1:3
	v_dot4_i32_iu8 v4, v4, v175, 0 neg_lo:[1,1,0]
	v_dot4_i32_iu8 v6, v6, v175, 0 neg_lo:[1,1,0]
	;; [unrolled: 1-line block ×5, first 2 shown]
	ds_load_2addr_b32 v[174:175], v196 offset0:2 offset1:3
	s_wait_dscnt 0x2
	v_perm_b32 v203, v11, v11, 0x2010003
	s_wait_dscnt 0x1
	v_perm_b32 v205, v172, v172, 0x2010003
	s_delay_alu instid0(VALU_DEP_2) | instskip(NEXT) | instid1(VALU_DEP_2)
	v_dot4_i32_iu8 v204, v158, v203, v176 neg_lo:[1,1,0]
	v_dot4_i32_iu8 v206, v158, v205, v177 neg_lo:[1,1,0]
	ds_load_2addr_b32 v[176:177], v197 offset0:2 offset1:3
	s_wait_dscnt 0x1
	v_perm_b32 v207, v174, v174, 0x2010003
	v_dot4_i32_iu8 v216, v166, v203, v190 neg_lo:[1,1,0]
	v_dot4_i32_iu8 v217, v166, v205, v191 neg_lo:[1,1,0]
	;; [unrolled: 1-line block ×13, first 2 shown]
	v_perm_b32 v224, v175, v175, 0x2010003
	s_wait_dscnt 0x0
	v_perm_b32 v178, v176, v176, 0x2010003
	v_perm_b32 v225, v177, v177, 0x2010003
	s_delay_alu instid0(VALU_DEP_2)
	v_dot4_i32_iu8 v20, v166, v178, v20 neg_lo:[1,1,0]
	v_dot4_i32_iu8 v166, v168, v203, v193 neg_lo:[1,1,0]
	;; [unrolled: 1-line block ×7, first 2 shown]
	v_lshl_add_u32 v170, v79, 2, s16
	v_dot4_i32_iu8 v4, v158, v178, v4 neg_lo:[1,1,0]
	v_dot4_i32_iu8 v158, v160, v203, v179 neg_lo:[1,1,0]
	;; [unrolled: 1-line block ×6, first 2 shown]
	ds_load_2addr_b32 v[178:179], v170 offset0:3 offset1:4
	s_add_co_i32 s16, s12, 0xa200
	s_wait_dscnt 0x0
	v_lshlrev_b32_e32 v202, 8, v179
	v_lshlrev_b32_e32 v203, 24, v179
	;; [unrolled: 1-line block ×3, first 2 shown]
	s_delay_alu instid0(VALU_DEP_3) | instskip(NEXT) | instid1(VALU_DEP_2)
	v_perm_b32 v180, v179, v202, 0x7030c0c
	v_perm_b32 v181, v205, v203, 0xc0c0703
	s_delay_alu instid0(VALU_DEP_1)
	v_or_b32_e32 v186, v180, v181
	ds_load_2addr_b32 v[180:181], v170 offset0:1 offset1:2
	s_wait_dscnt 0x0
	v_lshlrev_b32_e32 v207, 8, v180
	v_lshlrev_b32_e32 v219, 24, v180
	;; [unrolled: 1-line block ×3, first 2 shown]
	s_delay_alu instid0(VALU_DEP_3) | instskip(NEXT) | instid1(VALU_DEP_2)
	v_perm_b32 v182, v180, v207, 0x7030c0c
	v_perm_b32 v183, v220, v219, 0xc0c0703
	s_delay_alu instid0(VALU_DEP_1)
	v_or_b32_e32 v187, v182, v183
	ds_load_2addr_b32 v[182:183], v170 offset0:5 offset1:6
	s_wait_dscnt 0x0
	v_lshlrev_b32_e32 v221, 8, v182
	v_lshlrev_b32_e32 v222, 24, v182
	;; [unrolled: 1-line block ×3, first 2 shown]
	v_perm_b32 v180, v182, v180, 0x7030c0c
	s_delay_alu instid0(VALU_DEP_4) | instskip(SKIP_1) | instid1(VALU_DEP_4)
	v_perm_b32 v184, v182, v221, 0x7030c0c
	v_lshlrev_b32_e32 v182, 16, v181
	v_perm_b32 v185, v223, v222, 0xc0c0703
	s_delay_alu instid0(VALU_DEP_1) | instskip(SKIP_3) | instid1(VALU_DEP_1)
	v_or_b32_e32 v188, v184, v185
	ds_load_2addr_b32 v[184:185], v170 offset1:7
	s_wait_dscnt 0x0
	v_dot4_i32_iu8 v170, v184, v13, 0 neg_lo:[1,1,0]
	v_dot4_i32_iu8 v14, v186, v14, v170 neg_lo:[1,1,0]
	v_perm_b32 v170, v173, v173, 0x2010003
	s_delay_alu instid0(VALU_DEP_2) | instskip(SKIP_1) | instid1(VALU_DEP_2)
	v_dot4_i32_iu8 v14, v187, v172, v14 neg_lo:[1,1,0]
	v_dot4_i32_iu8 v172, v184, v15, 0 neg_lo:[1,1,0]
	;; [unrolled: 1-line block ×3, first 2 shown]
	s_delay_alu instid0(VALU_DEP_2) | instskip(SKIP_1) | instid1(VALU_DEP_2)
	v_dot4_i32_iu8 v16, v186, v16, v172 neg_lo:[1,1,0]
	v_dot4_i32_iu8 v172, v184, v17, 0 neg_lo:[1,1,0]
	;; [unrolled: 1-line block ×3, first 2 shown]
	s_delay_alu instid0(VALU_DEP_2) | instskip(SKIP_3) | instid1(VALU_DEP_1)
	v_dot4_i32_iu8 v18, v186, v18, v172 neg_lo:[1,1,0]
	ds_load_2addr_b32 v[172:173], v151 offset0:5 offset1:6
	v_dot4_i32_iu8 v16, v188, v175, v16 neg_lo:[1,1,0]
	v_dot4_i32_iu8 v18, v187, v176, v18 neg_lo:[1,1,0]
	;; [unrolled: 1-line block ×3, first 2 shown]
	s_wait_dscnt 0x0
	v_lshlrev_b32_e32 v174, 16, v172
	v_lshlrev_b32_e32 v175, 8, v172
	v_perm_b32 v172, v172, v172, 0xc0c0003
	s_delay_alu instid0(VALU_DEP_2) | instskip(SKIP_3) | instid1(VALU_DEP_2)
	v_perm_b32 v226, v175, v174, 0x7030c0c
	ds_load_2addr_b32 v[174:175], v152 offset0:5 offset1:6
	v_or_b32_e32 v172, v226, v172
	v_perm_b32 v226, v12, v12, 0x2010003
	v_dot4_i32_iu8 v206, v172, v170, v206 neg_lo:[1,1,0]
	s_delay_alu instid0(VALU_DEP_2)
	v_dot4_i32_iu8 v204, v172, v226, v204 neg_lo:[1,1,0]
	v_dot4_i32_iu8 v208, v172, v224, v208 neg_lo:[1,1,0]
	;; [unrolled: 1-line block ×3, first 2 shown]
	s_wait_dscnt 0x0
	v_lshlrev_b32_e32 v176, 16, v174
	v_lshlrev_b32_e32 v177, 8, v174
	v_perm_b32 v174, v174, v174, 0xc0c0003
	s_delay_alu instid0(VALU_DEP_2) | instskip(SKIP_3) | instid1(VALU_DEP_2)
	v_perm_b32 v227, v177, v176, 0x7030c0c
	ds_load_2addr_b32 v[176:177], v153 offset0:5 offset1:6
	v_or_b32_e32 v174, v227, v174
	v_lshlrev_b32_e32 v227, 8, v169
	v_dot4_i32_iu8 v172, v174, v226, v158 neg_lo:[1,1,0]
	v_dot4_i32_iu8 v209, v174, v170, v209 neg_lo:[1,1,0]
	;; [unrolled: 1-line block ×4, first 2 shown]
	v_lshlrev_b32_e32 v158, 16, v159
	s_wait_dscnt 0x0
	v_lshlrev_b32_e32 v186, 16, v176
	v_lshlrev_b32_e32 v187, 8, v176
	v_perm_b32 v176, v176, v176, 0xc0c0003
	s_delay_alu instid0(VALU_DEP_2) | instskip(SKIP_3) | instid1(VALU_DEP_2)
	v_perm_b32 v228, v187, v186, 0x7030c0c
	ds_load_2addr_b32 v[186:187], v154 offset0:5 offset1:6
	v_or_b32_e32 v176, v228, v176
	v_lshlrev_b32_e32 v228, 16, v171
	v_dot4_i32_iu8 v174, v176, v226, v160 neg_lo:[1,1,0]
	v_dot4_i32_iu8 v211, v176, v170, v211 neg_lo:[1,1,0]
	;; [unrolled: 1-line block ×4, first 2 shown]
	v_lshlrev_b32_e32 v160, 8, v159
	v_lshlrev_b32_e32 v162, 16, v161
	v_perm_b32 v159, v159, v159, 0xc0c0003
	s_delay_alu instid0(VALU_DEP_3) | instskip(SKIP_4) | instid1(VALU_DEP_2)
	v_perm_b32 v158, v160, v158, 0x7030c0c
	s_wait_dscnt 0x0
	v_lshlrev_b32_e32 v188, 16, v186
	v_lshlrev_b32_e32 v189, 8, v186
	v_perm_b32 v186, v186, v186, 0xc0c0003
	v_perm_b32 v229, v189, v188, 0x7030c0c
	ds_load_2addr_b32 v[188:189], v155 offset0:5 offset1:6
	v_or_b32_e32 v186, v229, v186
	v_lshlrev_b32_e32 v229, 8, v171
	v_perm_b32 v171, v171, v171, 0xc0c0003
	s_delay_alu instid0(VALU_DEP_3)
	v_dot4_i32_iu8 v213, v186, v226, v213 neg_lo:[1,1,0]
	v_dot4_i32_iu8 v214, v186, v170, v214 neg_lo:[1,1,0]
	;; [unrolled: 1-line block ×4, first 2 shown]
	v_lshlrev_b32_e32 v164, 8, v161
	v_perm_b32 v161, v161, v161, 0xc0c0003
	s_delay_alu instid0(VALU_DEP_2) | instskip(SKIP_4) | instid1(VALU_DEP_2)
	v_perm_b32 v160, v164, v162, 0x7030c0c
	s_wait_dscnt 0x0
	v_lshlrev_b32_e32 v190, 16, v188
	v_lshlrev_b32_e32 v191, 8, v188
	v_perm_b32 v188, v188, v188, 0xc0c0003
	v_perm_b32 v230, v191, v190, 0x7030c0c
	ds_load_2addr_b32 v[190:191], v156 offset0:5 offset1:6
	v_or_b32_e32 v188, v230, v188
	s_delay_alu instid0(VALU_DEP_1)
	v_dot4_i32_iu8 v216, v188, v226, v216 neg_lo:[1,1,0]
	v_dot4_i32_iu8 v217, v188, v170, v217 neg_lo:[1,1,0]
	;; [unrolled: 1-line block ×4, first 2 shown]
	s_wait_dscnt 0x0
	v_lshlrev_b32_e32 v192, 16, v190
	v_lshlrev_b32_e32 v193, 8, v190
	v_perm_b32 v190, v190, v190, 0xc0c0003
	s_delay_alu instid0(VALU_DEP_2) | instskip(SKIP_2) | instid1(VALU_DEP_1)
	v_perm_b32 v231, v193, v192, 0x7030c0c
	ds_load_2addr_b32 v[192:193], v157 offset0:5 offset1:6
	v_or_b32_e32 v190, v231, v190
	v_dot4_i32_iu8 v166, v190, v226, v166 neg_lo:[1,1,0]
	v_dot4_i32_iu8 v188, v190, v170, v198 neg_lo:[1,1,0]
	;; [unrolled: 1-line block ×4, first 2 shown]
	v_lshlrev_b32_e32 v199, 8, v163
	s_wait_dscnt 0x0
	v_lshlrev_b32_e32 v232, 16, v192
	v_lshlrev_b32_e32 v233, 8, v192
	v_perm_b32 v192, v192, v192, 0xc0c0003
	v_lshlrev_b32_e32 v230, 16, v193
	v_lshlrev_b32_e32 v231, 8, v193
	v_perm_b32 v193, v193, v193, 0xc0c0003
	v_perm_b32 v232, v233, v232, 0x7030c0c
	s_delay_alu instid0(VALU_DEP_1) | instskip(NEXT) | instid1(VALU_DEP_1)
	v_or_b32_e32 v192, v232, v192
	v_dot4_i32_iu8 v168, v192, v226, v168 neg_lo:[1,1,0]
	v_dot4_i32_iu8 v170, v192, v170, v200 neg_lo:[1,1,0]
	v_dot4_i32_iu8 v190, v192, v224, v201 neg_lo:[1,1,0]
	v_dot4_i32_iu8 v24, v192, v225, v24 neg_lo:[1,1,0]
	v_lshlrev_b32_e32 v192, 16, v163
	v_lshlrev_b32_e32 v200, 16, v165
	;; [unrolled: 1-line block ×5, first 2 shown]
	v_perm_b32 v163, v163, v163, 0xc0c0003
	v_perm_b32 v165, v165, v165, 0xc0c0003
	v_lshlrev_b32_e32 v226, 16, v169
	v_perm_b32 v162, v199, v192, 0x7030c0c
	v_perm_b32 v164, v201, v200, 0x7030c0c
	;; [unrolled: 1-line block ×3, first 2 shown]
	v_or_b32_e32 v201, v158, v159
	v_or_b32_e32 v224, v160, v161
	ds_load_2addr_b32 v[158:159], v194 offset0:4 offset1:5
	ds_load_2addr_b32 v[160:161], v195 offset0:4 offset1:5
	v_perm_b32 v199, v227, v226, 0x7030c0c
	v_or_b32_e32 v225, v162, v163
	v_or_b32_e32 v226, v164, v165
	ds_load_2addr_b32 v[162:163], v196 offset0:4 offset1:5
	ds_load_2addr_b32 v[164:165], v197 offset0:4 offset1:5
	v_perm_b32 v167, v167, v167, 0xc0c0003
	v_perm_b32 v200, v229, v228, 0x7030c0c
	v_perm_b32 v169, v169, v169, 0xc0c0003
	v_lshlrev_b32_e32 v228, 16, v191
	v_lshlrev_b32_e32 v229, 8, v191
	v_or_b32_e32 v167, v192, v167
	v_or_b32_e32 v171, v200, v171
	v_or_b32_e32 v169, v199, v169
	v_perm_b32 v191, v191, v191, 0xc0c0003
	s_wait_dscnt 0x3
	v_perm_b32 v192, v158, v158, 0x2010003
	s_wait_dscnt 0x2
	v_perm_b32 v200, v160, v160, 0x2010003
	s_delay_alu instid0(VALU_DEP_2) | instskip(NEXT) | instid1(VALU_DEP_2)
	v_dot4_i32_iu8 v199, v201, v192, v204 neg_lo:[1,1,0]
	v_dot4_i32_iu8 v204, v201, v200, v206 neg_lo:[1,1,0]
	s_wait_dscnt 0x1
	v_perm_b32 v206, v162, v162, 0x2010003
	s_wait_dscnt 0x0
	v_perm_b32 v227, v164, v164, 0x2010003
	v_dot4_i32_iu8 v166, v169, v192, v166 neg_lo:[1,1,0]
	v_dot4_i32_iu8 v168, v171, v192, v168 neg_lo:[1,1,0]
	;; [unrolled: 1-line block ×22, first 2 shown]
	v_lshlrev_b32_e32 v171, 8, v181
	v_lshlrev_b32_e32 v190, 24, v181
	v_dot4_i32_iu8 v174, v225, v192, v174 neg_lo:[1,1,0]
	v_perm_b32 v192, v183, v181, 0xc0c0703
	v_lshlrev_b32_e32 v198, 8, v183
	v_perm_b32 v181, v181, v171, 0x7030c0c
	v_lshlrev_b32_e32 v200, 16, v183
	v_lshlrev_b32_e32 v206, 24, v183
	v_perm_b32 v218, v182, v190, 0xc0c0703
	v_perm_b32 v183, v183, v198, 0x7030c0c
	v_dot4_i32_iu8 v6, v224, v227, v6 neg_lo:[1,1,0]
	v_dot4_i32_iu8 v176, v225, v227, v176 neg_lo:[1,1,0]
	v_dot4_i32_iu8 v186, v226, v227, v186 neg_lo:[1,1,0]
	v_or_b32_e32 v181, v181, v218
	v_perm_b32 v218, v200, v206, 0xc0c0703
	v_lshlrev_b32_e32 v224, 16, v187
	v_lshlrev_b32_e32 v225, 8, v187
	;; [unrolled: 1-line block ×3, first 2 shown]
	v_dot4_i32_iu8 v14, v181, v160, v14 neg_lo:[1,1,0]
	v_or_b32_e32 v183, v183, v218
	v_dot4_i32_iu8 v16, v181, v162, v16 neg_lo:[1,1,0]
	v_dot4_i32_iu8 v18, v181, v164, v18 neg_lo:[1,1,0]
	v_perm_b32 v160, v161, v161, 0x2010003
	v_lshlrev_b32_e32 v164, 8, v173
	v_dot4_i32_iu8 v14, v183, v161, v14 neg_lo:[1,1,0]
	v_dot4_i32_iu8 v16, v183, v163, v16 neg_lo:[1,1,0]
	v_perm_b32 v161, v163, v163, 0x2010003
	v_dot4_i32_iu8 v162, v183, v165, v18 neg_lo:[1,1,0]
	v_perm_b32 v18, v165, v165, 0x2010003
	v_lshlrev_b32_e32 v163, 16, v173
	v_perm_b32 v165, v173, v173, 0xc0c0003
	v_lshlrev_b32_e32 v173, 16, v175
	v_lshlrev_b32_e32 v181, 8, v175
	;; [unrolled: 1-line block ×5, first 2 shown]
	v_perm_b32 v175, v175, v175, 0xc0c0003
	v_perm_b32 v177, v177, v177, 0xc0c0003
	;; [unrolled: 1-line block ×11, first 2 shown]
	v_or_b32_e32 v163, v163, v165
	v_or_b32_e32 v164, v164, v175
	;; [unrolled: 1-line block ×7, first 2 shown]
	v_perm_b32 v183, v159, v159, 0x2010003
	v_dot4_i32_iu8 v189, v163, v160, v204 neg_lo:[1,1,0]
	v_dot4_i32_iu8 v191, v163, v161, v208 neg_lo:[1,1,0]
	;; [unrolled: 1-line block ×28, first 2 shown]
	v_lshlrev_b32_e32 v4, 16, v3
	v_lshlrev_b32_e32 v6, 8, v3
	;; [unrolled: 1-line block ×12, first 2 shown]
	v_perm_b32 v3, v3, v3, 0xc0c0003
	v_perm_b32 v5, v5, v5, 0xc0c0003
	;; [unrolled: 1-line block ×12, first 2 shown]
	v_or_b32_e32 v181, v4, v3
	v_or_b32_e32 v183, v6, v5
	;; [unrolled: 1-line block ×6, first 2 shown]
	ds_load_2addr_b32 v[3:4], v194 offset0:6 offset1:7
	ds_load_2addr_b32 v[5:6], v195 offset0:6 offset1:7
	;; [unrolled: 1-line block ×4, first 2 shown]
	v_lshlrev_b32_e32 v215, 16, v23
	v_lshlrev_b32_e32 v216, 8, v23
	v_perm_b32 v23, v23, v23, 0xc0c0003
	v_perm_b32 v171, v198, v171, 0xc0c0703
	s_delay_alu instid0(VALU_DEP_3) | instskip(NEXT) | instid1(VALU_DEP_1)
	v_perm_b32 v177, v216, v215, 0x7030c0c
	v_or_b32_e32 v23, v177, v23
	s_wait_dscnt 0x3
	v_perm_b32 v177, v3, v3, 0x2010003
	s_wait_dscnt 0x2
	v_perm_b32 v194, v5, v5, 0x2010003
	s_wait_dscnt 0x1
	v_perm_b32 v195, v18, v18, 0x2010003
	s_wait_dscnt 0x0
	v_perm_b32 v196, v20, v20, 0x2010003
	v_dot4_i32_iu8 v187, v181, v177, v187 neg_lo:[1,1,0]
	v_dot4_i32_iu8 v189, v181, v194, v189 neg_lo:[1,1,0]
	;; [unrolled: 1-line block ×3, first 2 shown]
	s_delay_alu instid0(VALU_DEP_4)
	v_dot4_i32_iu8 v163, v181, v196, v163 neg_lo:[1,1,0]
	v_dot4_i32_iu8 v172, v183, v177, v172 neg_lo:[1,1,0]
	;; [unrolled: 1-line block ×22, first 2 shown]
	v_lshlrev_b32_e32 v177, 8, v178
	v_lshlrev_b32_e32 v188, 16, v178
	v_lshlrev_b32_e32 v194, 24, v178
	v_dot4_i32_iu8 v170, v170, v196, v22 neg_lo:[1,1,0]
	v_dot4_i32_iu8 v161, v23, v195, v161 neg_lo:[1,1,0]
	;; [unrolled: 1-line block ×3, first 2 shown]
	v_perm_b32 v22, v178, v177, 0x7030c0c
	v_perm_b32 v23, v188, v194, 0xc0c0703
	v_lshlrev_b32_e32 v195, 8, v185
	v_lshlrev_b32_e32 v196, 16, v185
	;; [unrolled: 1-line block ×3, first 2 shown]
	v_perm_b32 v209, v19, v19, 0x2010003
	v_or_b32_e32 v22, v22, v23
	v_perm_b32 v23, v185, v195, 0x7030c0c
	v_perm_b32 v210, v21, v21, 0x2010003
	;; [unrolled: 1-line block ×3, first 2 shown]
	s_delay_alu instid0(VALU_DEP_4) | instskip(NEXT) | instid1(VALU_DEP_2)
	v_dot4_i32_iu8 v5, v22, v5, v14 neg_lo:[1,1,0]
	v_or_b32_e32 v23, v23, v208
	v_perm_b32 v208, v6, v6, 0x2010003
	s_delay_alu instid0(VALU_DEP_2) | instskip(SKIP_1) | instid1(VALU_DEP_1)
	v_dot4_i32_iu8 v14, v23, v6, v5 neg_lo:[1,1,0]
	v_dot4_i32_iu8 v5, v22, v18, v16 neg_lo:[1,1,0]
	v_dot4_i32_iu8 v16, v23, v19, v5 neg_lo:[1,1,0]
	v_dot4_i32_iu8 v5, v22, v20, v162 neg_lo:[1,1,0]
	s_delay_alu instid0(VALU_DEP_1)
	v_dot4_i32_iu8 v162, v23, v21, v5 neg_lo:[1,1,0]
	ds_load_2addr_b32 v[5:6], v151 offset1:7
	s_wait_dscnt 0x0
	v_lshlrev_b32_e32 v18, 16, v6
	v_lshlrev_b32_e32 v19, 8, v6
	v_perm_b32 v6, v6, v6, 0xc0c0003
	s_delay_alu instid0(VALU_DEP_2) | instskip(SKIP_2) | instid1(VALU_DEP_1)
	v_perm_b32 v211, v19, v18, 0x7030c0c
	ds_load_2addr_b32 v[18:19], v152 offset1:7
	v_or_b32_e32 v6, v211, v6
	v_dot4_i32_iu8 v189, v6, v208, v189 neg_lo:[1,1,0]
	v_dot4_i32_iu8 v191, v6, v209, v191 neg_lo:[1,1,0]
	s_wait_dscnt 0x0
	v_lshlrev_b32_e32 v20, 16, v19
	v_lshlrev_b32_e32 v21, 8, v19
	v_perm_b32 v19, v19, v19, 0xc0c0003
	s_delay_alu instid0(VALU_DEP_2)
	v_perm_b32 v212, v21, v20, 0x7030c0c
	ds_load_2addr_b32 v[20:21], v153 offset1:7
	v_or_b32_e32 v19, v212, v19
	s_wait_dscnt 0x0
	v_lshlrev_b32_e32 v22, 16, v21
	v_lshlrev_b32_e32 v23, 8, v21
	v_perm_b32 v21, v21, v21, 0xc0c0003
	s_delay_alu instid0(VALU_DEP_2) | instskip(SKIP_2) | instid1(VALU_DEP_1)
	v_perm_b32 v213, v23, v22, 0x7030c0c
	ds_load_2addr_b32 v[22:23], v154 offset1:7
	v_or_b32_e32 v21, v213, v21
	v_dot4_i32_iu8 v7, v21, v210, v7 neg_lo:[1,1,0]
	s_delay_alu instid0(VALU_DEP_1) | instskip(SKIP_4) | instid1(VALU_DEP_2)
	v_dot4_i32_iu8 v7, v20, v17, v7 neg_lo:[1,1,0]
	s_wait_dscnt 0x0
	v_lshlrev_b32_e32 v151, 16, v23
	v_lshlrev_b32_e32 v152, 8, v23
	v_perm_b32 v23, v23, v23, 0xc0c0003
	v_perm_b32 v214, v152, v151, 0x7030c0c
	ds_load_2addr_b32 v[151:152], v155 offset1:7
	v_or_b32_e32 v23, v214, v23
	s_delay_alu instid0(VALU_DEP_1) | instskip(NEXT) | instid1(VALU_DEP_1)
	v_dot4_i32_iu8 v10, v23, v210, v10 neg_lo:[1,1,0]
	v_dot4_i32_iu8 v10, v22, v17, v10 neg_lo:[1,1,0]
	s_wait_dscnt 0x0
	v_lshlrev_b32_e32 v153, 16, v152
	v_lshlrev_b32_e32 v154, 8, v152
	v_perm_b32 v152, v152, v152, 0xc0c0003
	s_delay_alu instid0(VALU_DEP_2)
	v_perm_b32 v215, v154, v153, 0x7030c0c
	ds_load_2addr_b32 v[153:154], v156 offset1:7
	v_or_b32_e32 v152, v215, v152
	s_wait_dscnt 0x0
	v_lshlrev_b32_e32 v155, 16, v154
	v_lshlrev_b32_e32 v156, 8, v154
	v_perm_b32 v154, v154, v154, 0xc0c0003
	s_delay_alu instid0(VALU_DEP_2) | instskip(SKIP_2) | instid1(VALU_DEP_1)
	v_perm_b32 v216, v156, v155, 0x7030c0c
	ds_load_2addr_b32 v[155:156], v157 offset1:7
	v_or_b32_e32 v154, v216, v154
	v_dot4_i32_iu8 v167, v154, v208, v167 neg_lo:[1,1,0]
	s_wait_dscnt 0x0
	v_lshlrev_b32_e32 v157, 16, v156
	v_lshlrev_b32_e32 v217, 8, v156
	v_perm_b32 v156, v156, v156, 0xc0c0003
	s_delay_alu instid0(VALU_DEP_2) | instskip(NEXT) | instid1(VALU_DEP_1)
	v_perm_b32 v157, v217, v157, 0x7030c0c
	v_or_b32_e32 v156, v157, v156
	v_perm_b32 v157, v4, v4, 0x2010003
	s_delay_alu instid0(VALU_DEP_2) | instskip(NEXT) | instid1(VALU_DEP_2)
	v_dot4_i32_iu8 v160, v156, v208, v160 neg_lo:[1,1,0]
	v_dot4_i32_iu8 v187, v6, v157, v187 neg_lo:[1,1,0]
	;; [unrolled: 1-line block ×49, first 2 shown]
	v_perm_b32 v155, v185, v178, 0x7030c0c
	v_perm_b32 v176, v159, v158, 0xc0c0703
	;; [unrolled: 1-line block ×5, first 2 shown]
	v_or_b32_e32 v155, v155, v192
	v_perm_b32 v157, v184, v9, 0xc0c0501
	v_or_b32_e32 v176, v178, v176
	v_perm_b32 v178, v12, v11, 0x7030c0c
	;; [unrolled: 2-line block ×3, first 2 shown]
	v_perm_b32 v9, v184, v9, 0xc0c0602
	v_perm_b32 v169, v8, v205, 0xc0c0503
	v_or_b32_e32 v160, v178, v160
	v_perm_b32 v175, v8, v203, 0xc0c0403
	v_perm_b32 v8, v8, v202, 0xc0c0603
	v_cvt_f32_i32_e32 v5, v5
	v_cvt_f32_i32_e32 v6, v6
	v_dot4_i32_iu8 v154, v154, v160, 0 neg_lo:[1,1,0]
	v_perm_b32 v160, v4, v3, 0x6020c0c
	s_delay_alu instid0(VALU_DEP_2) | instskip(SKIP_2) | instid1(VALU_DEP_2)
	v_dot4_i32_iu8 v154, v155, v176, v154 neg_lo:[1,1,0]
	v_perm_b32 v155, v159, v158, 0xc0c0602
	v_perm_b32 v176, v12, v11, 0x6020c0c
	v_or_b32_e32 v155, v160, v155
	v_perm_b32 v160, v221, v207, 0x7030c0c
	s_delay_alu instid0(VALU_DEP_3) | instskip(SKIP_1) | instid1(VALU_DEP_3)
	v_or_b32_e32 v9, v176, v9
	v_perm_b32 v176, v195, v177, 0x7030c0c
	v_or_b32_e32 v8, v160, v8
	s_delay_alu instid0(VALU_DEP_2) | instskip(SKIP_1) | instid1(VALU_DEP_3)
	v_or_b32_e32 v160, v176, v171
	v_perm_b32 v171, v196, v188, 0x7030c0c
	v_dot4_i32_iu8 v8, v8, v9, 0 neg_lo:[1,1,0]
	v_perm_b32 v9, v159, v158, 0xc0c0501
	s_delay_alu instid0(VALU_DEP_2)
	v_dot4_i32_iu8 v8, v160, v155, v8 neg_lo:[1,1,0]
	v_perm_b32 v155, v4, v3, 0x5010c0c
	v_perm_b32 v160, v12, v11, 0x5010c0c
	;; [unrolled: 1-line block ×5, first 2 shown]
	v_or_b32_e32 v9, v155, v9
	v_perm_b32 v155, v223, v220, 0x7030c0c
	v_or_b32_e32 v157, v160, v157
	v_perm_b32 v160, v200, v182, 0xc0c0703
	;; [unrolled: 2-line block ×3, first 2 shown]
	v_or_b32_e32 v155, v155, v169
	v_or_b32_e32 v11, v11, v175
	;; [unrolled: 1-line block ×3, first 2 shown]
	s_delay_alu instid0(VALU_DEP_3) | instskip(NEXT) | instid1(VALU_DEP_3)
	v_dot4_i32_iu8 v155, v155, v157, 0 neg_lo:[1,1,0]
	v_dot4_i32_iu8 v4, v11, v4, 0 neg_lo:[1,1,0]
	s_delay_alu instid0(VALU_DEP_2) | instskip(SKIP_1) | instid1(VALU_DEP_1)
	v_dot4_i32_iu8 v9, v160, v9, v155 neg_lo:[1,1,0]
	v_perm_b32 v155, v159, v158, 0xc0c0400
	v_or_b32_e32 v3, v3, v155
	v_perm_b32 v155, v204, v194, 0x7030c0c
	s_delay_alu instid0(VALU_DEP_1) | instskip(NEXT) | instid1(VALU_DEP_1)
	v_or_b32_e32 v12, v155, v12
	v_dot4_i32_iu8 v3, v12, v3, v4 neg_lo:[1,1,0]
	v_add_nc_u32_e32 v4, v9, v154
	s_delay_alu instid0(VALU_DEP_1) | instskip(SKIP_3) | instid1(VALU_DEP_3)
	v_add3_u32 v3, v3, v8, v4
	s_wait_alu 0xfffe
	v_add3_u32 v4, s16, v149, v150
	v_add_nc_u32_e32 v8, s13, v80
	v_cvt_f32_i32_e32 v3, v3
	ds_load_b32 v4, v4
	ds_load_b32 v8, v8
	s_wait_dscnt 0x0
	v_mul_f32_e32 v9, v8, v4
	s_delay_alu instid0(VALU_DEP_1)
	v_fmac_f32_e32 v36, v9, v3
	v_add3_u32 v3, s16, v123, v125
	v_cvt_f32_i32_e32 v9, v14
	ds_load_b32 v3, v3
	s_wait_dscnt 0x0
	v_mul_f32_e32 v11, v8, v3
	s_delay_alu instid0(VALU_DEP_1)
	v_fmac_f32_e32 v140, v11, v9
	v_add3_u32 v9, s16, v127, v129
	v_cvt_f32_i32_e32 v11, v16
	;; [unrolled: 7-line block ×3, first 2 shown]
	ds_load_b32 v11, v11
	s_wait_dscnt 0x0
	v_mul_f32_e32 v8, v8, v11
	s_delay_alu instid0(VALU_DEP_1)
	v_fmac_f32_e32 v148, v8, v12
	v_add_nc_u32_e32 v8, s13, v82
	v_cvt_f32_i32_e32 v12, v156
	ds_load_b32 v8, v8
	s_wait_dscnt 0x0
	v_mul_f32_e32 v14, v4, v8
	s_delay_alu instid0(VALU_DEP_1) | instskip(SKIP_2) | instid1(VALU_DEP_1)
	v_fmac_f32_e32 v126, v14, v12
	v_cvt_f32_i32_e32 v12, v168
	v_mul_f32_e32 v14, v3, v8
	v_fmac_f32_e32 v137, v14, v12
	v_mul_f32_e32 v14, v9, v8
	v_mul_f32_e32 v8, v11, v8
	v_cvt_f32_i32_e32 v12, v170
	s_delay_alu instid0(VALU_DEP_2) | instskip(SKIP_1) | instid1(VALU_DEP_3)
	v_fmac_f32_e32 v147, v8, v5
	v_add_nc_u32_e32 v5, s13, v84
	v_fmac_f32_e32 v143, v14, v12
	ds_load_b32 v5, v5
	s_wait_dscnt 0x0
	v_mul_f32_e32 v8, v4, v5
	s_delay_alu instid0(VALU_DEP_1) | instskip(SKIP_2) | instid1(VALU_DEP_1)
	v_fmac_f32_e32 v120, v8, v6
	v_cvt_f32_i32_e32 v6, v163
	v_mul_f32_e32 v8, v3, v5
	v_fmac_f32_e32 v134, v8, v6
	v_cvt_f32_i32_e32 v6, v172
	v_mul_f32_e32 v8, v9, v5
	v_mul_f32_e32 v5, v11, v5
	s_delay_alu instid0(VALU_DEP_2) | instskip(SKIP_1) | instid1(VALU_DEP_1)
	v_fmac_f32_e32 v141, v8, v6
	v_cvt_f32_i32_e32 v6, v18
	v_fmac_f32_e32 v146, v5, v6
	v_add_nc_u32_e32 v5, s13, v86
	v_cvt_f32_i32_e32 v6, v19
	ds_load_b32 v5, v5
	s_wait_dscnt 0x0
	v_mul_f32_e32 v8, v4, v5
	s_delay_alu instid0(VALU_DEP_1) | instskip(SKIP_2) | instid1(VALU_DEP_1)
	v_fmac_f32_e32 v114, v8, v6
	v_cvt_f32_i32_e32 v6, v164
	v_mul_f32_e32 v8, v3, v5
	v_fmac_f32_e32 v128, v8, v6
	v_cvt_f32_i32_e32 v6, v174
	v_mul_f32_e32 v8, v9, v5
	s_delay_alu instid0(VALU_DEP_1) | instskip(SKIP_1) | instid1(VALU_DEP_1)
	v_dual_mul_f32 v5, v11, v5 :: v_dual_fmac_f32 v138, v8, v6
	v_cvt_f32_i32_e32 v6, v7
	v_dual_fmac_f32 v144, v5, v6 :: v_dual_add_nc_u32 v5, s13, v88
	v_cvt_f32_i32_e32 v6, v20
	ds_load_b32 v5, v5
	s_wait_dscnt 0x0
	v_mul_f32_e32 v7, v4, v5
	s_delay_alu instid0(VALU_DEP_1) | instskip(SKIP_2) | instid1(VALU_DEP_1)
	v_fmac_f32_e32 v109, v7, v6
	v_cvt_f32_i32_e32 v6, v21
	v_mul_f32_e32 v7, v3, v5
	v_fmac_f32_e32 v122, v7, v6
	v_cvt_f32_i32_e32 v6, v165
	v_mul_f32_e32 v7, v9, v5
	v_mul_f32_e32 v5, v11, v5
	s_delay_alu instid0(VALU_DEP_2) | instskip(SKIP_1) | instid1(VALU_DEP_1)
	v_fmac_f32_e32 v135, v7, v6
	v_cvt_f32_i32_e32 v6, v10
	v_fmac_f32_e32 v142, v5, v6
	v_add_nc_u32_e32 v5, s13, v90
	v_cvt_f32_i32_e32 v6, v22
	ds_load_b32 v5, v5
	s_wait_dscnt 0x0
	v_mul_f32_e32 v7, v4, v5
	s_delay_alu instid0(VALU_DEP_1) | instskip(SKIP_2) | instid1(VALU_DEP_1)
	v_fmac_f32_e32 v104, v7, v6
	v_cvt_f32_i32_e32 v6, v23
	v_mul_f32_e32 v7, v3, v5
	v_fmac_f32_e32 v116, v7, v6
	v_cvt_f32_i32_e32 v6, v173
	v_mul_f32_e32 v7, v9, v5
	v_mul_f32_e32 v5, v11, v5
	s_delay_alu instid0(VALU_DEP_2) | instskip(SKIP_1) | instid1(VALU_DEP_1)
	v_fmac_f32_e32 v130, v7, v6
	v_cvt_f32_i32_e32 v6, v151
	v_fmac_f32_e32 v139, v5, v6
	v_add_nc_u32_e32 v5, s13, v92
	;; [unrolled: 17-line block ×3, first 2 shown]
	v_cvt_f32_i32_e32 v6, v24
	s_add_co_i32 s13, s12, 4
	s_cmp_lt_u32 s12, 28
	s_wait_alu 0xfffe
	s_mov_b32 s12, s13
	ds_load_b32 v5, v5
	s_wait_dscnt 0x0
	v_mul_f32_e32 v4, v4, v5
	s_delay_alu instid0(VALU_DEP_1) | instskip(SKIP_1) | instid1(VALU_DEP_1)
	v_dual_mul_f32 v3, v3, v5 :: v_dual_fmac_f32 v100, v4, v6
	v_cvt_f32_i32_e32 v4, v13
	v_dual_fmac_f32 v106, v3, v4 :: v_dual_mul_f32 v3, v9, v5
	v_cvt_f32_i32_e32 v4, v15
	s_delay_alu instid0(VALU_DEP_1) | instskip(SKIP_2) | instid1(VALU_DEP_1)
	v_fmac_f32_e32 v118, v3, v4
	v_mul_f32_e32 v3, v11, v5
	v_cvt_f32_i32_e32 v4, v17
	v_fmac_f32_e32 v132, v3, v4
	s_cbranch_scc1 .LBB141_11
; %bb.12:                               ;   in Loop: Header=BB141_6 Depth=1
	s_wait_loadcnt 0x0
	s_barrier_signal -1
	s_barrier_wait -1
	global_inv scope:SCOPE_SE
	s_branch .LBB141_5
.LBB141_13:
	v_cvt_f16_f32_e32 v12, v36
	v_cvt_f16_f32_e64 v13, v140
	v_cvt_f16_f32_e64 v14, v145
	v_cvt_f16_f32_e64 v36, v148
	v_cvt_f16_f32_e32 v35, v126
	v_cvt_f16_f32_e64 v34, v137
	v_cvt_f16_f32_e64 v33, v143
	v_cvt_f16_f32_e64 v32, v147
	;; [unrolled: 4-line block ×4, first 2 shown]
	v_cvt_f16_f32_e32 v20, v109
	v_cvt_f16_f32_e32 v19, v122
	v_cvt_f16_f32_e64 v18, v135
	v_cvt_f16_f32_e64 v17, v142
	v_cvt_f16_f32_e32 v16, v104
	v_cvt_f16_f32_e32 v15, v116
	v_cvt_f16_f32_e64 v11, v130
	v_cvt_f16_f32_e64 v10, v139
	v_cvt_f16_f32_e32 v9, v101
	v_cvt_f16_f32_e32 v8, v111
	v_cvt_f16_f32_e32 v7, v124
	v_cvt_f16_f32_e64 v5, v136
	v_cvt_f16_f32_e32 v4, v100
	v_cvt_f16_f32_e32 v3, v106
	;; [unrolled: 1-line block ×3, first 2 shown]
	v_cvt_f16_f32_e64 v1, v132
	v_dual_mov_b32 v6, v25 :: v_dual_mov_b32 v37, v26
.LBB141_14:
	s_mov_b32 s0, exec_lo
	v_cmpx_gt_u32_e64 s4, v27
	s_cbranch_execz .LBB141_65
; %bb.15:
	s_delay_alu instid0(VALU_DEP_2) | instskip(SKIP_1) | instid1(VALU_DEP_2)
	v_add_nc_u32_e32 v0, s14, v37
	v_mul_lo_u32 v25, v27, s6
	v_cmp_gt_u32_e32 vcc_lo, s6, v0
	s_and_saveexec_b32 s1, vcc_lo
	s_cbranch_execz .LBB141_17
; %bb.16:
	s_delay_alu instid0(VALU_DEP_2) | instskip(NEXT) | instid1(VALU_DEP_1)
	v_dual_mov_b32 v27, 0 :: v_dual_add_nc_u32 v26, v0, v25
	v_lshlrev_b64_e32 v[26:27], 1, v[26:27]
	s_wait_kmcnt 0x0
	s_delay_alu instid0(VALU_DEP_1) | instskip(NEXT) | instid1(VALU_DEP_1)
	v_add_co_u32 v26, s0, s8, v26
	v_add_co_ci_u32_e64 v27, null, s9, v27, s0
	global_store_b16 v[26:27], v12, off
.LBB141_17:
	s_or_b32 exec_lo, exec_lo, s1
	v_add_nc_u32_e32 v12, 32, v0
	s_delay_alu instid0(VALU_DEP_1)
	v_cmp_gt_u32_e64 s0, s6, v12
	s_and_saveexec_b32 s2, s0
	s_cbranch_execz .LBB141_19
; %bb.18:
	v_dual_mov_b32 v27, 0 :: v_dual_add_nc_u32 v26, v12, v25
	s_delay_alu instid0(VALU_DEP_1) | instskip(SKIP_1) | instid1(VALU_DEP_1)
	v_lshlrev_b64_e32 v[26:27], 1, v[26:27]
	s_wait_kmcnt 0x0
	v_add_co_u32 v26, s1, s8, v26
	s_wait_alu 0xf1ff
	s_delay_alu instid0(VALU_DEP_2)
	v_add_co_ci_u32_e64 v27, null, s9, v27, s1
	global_store_b16 v[26:27], v13, off
.LBB141_19:
	s_wait_alu 0xfffe
	s_or_b32 exec_lo, exec_lo, s2
	v_add_nc_u32_e32 v13, 64, v0
	s_delay_alu instid0(VALU_DEP_1)
	v_cmp_gt_u32_e64 s1, s6, v13
	s_and_saveexec_b32 s3, s1
	s_cbranch_execz .LBB141_21
; %bb.20:
	v_dual_mov_b32 v27, 0 :: v_dual_add_nc_u32 v26, v13, v25
	s_delay_alu instid0(VALU_DEP_1) | instskip(SKIP_1) | instid1(VALU_DEP_1)
	v_lshlrev_b64_e32 v[26:27], 1, v[26:27]
	s_wait_kmcnt 0x0
	v_add_co_u32 v26, s2, s8, v26
	s_wait_alu 0xf1ff
	s_delay_alu instid0(VALU_DEP_2)
	v_add_co_ci_u32_e64 v27, null, s9, v27, s2
	global_store_b16 v[26:27], v14, off
.LBB141_21:
	s_wait_alu 0xfffe
	;; [unrolled: 18-line block ×3, first 2 shown]
	s_or_b32 exec_lo, exec_lo, s5
	v_add3_u32 v25, v6, s7, 8
	s_delay_alu instid0(VALU_DEP_1)
	v_cmp_gt_u32_e64 s3, s4, v25
	s_and_b32 exec_lo, exec_lo, s3
	s_cbranch_execz .LBB141_65
; %bb.24:
	v_mul_lo_u32 v25, v25, s6
	s_and_saveexec_b32 s5, vcc_lo
	s_cbranch_execnz .LBB141_66
; %bb.25:
	s_wait_alu 0xfffe
	s_or_b32 exec_lo, exec_lo, s5
	s_and_saveexec_b32 s5, s0
	s_cbranch_execnz .LBB141_67
.LBB141_26:
	s_wait_alu 0xfffe
	s_or_b32 exec_lo, exec_lo, s5
	s_and_saveexec_b32 s5, s1
	s_cbranch_execnz .LBB141_68
.LBB141_27:
	s_wait_alu 0xfffe
	s_or_b32 exec_lo, exec_lo, s5
	s_and_saveexec_b32 s5, s2
	s_cbranch_execz .LBB141_29
.LBB141_28:
	v_dual_mov_b32 v26, 0 :: v_dual_add_nc_u32 v25, v25, v14
	s_delay_alu instid0(VALU_DEP_1) | instskip(SKIP_1) | instid1(VALU_DEP_1)
	v_lshlrev_b64_e32 v[25:26], 1, v[25:26]
	s_wait_kmcnt 0x0
	v_add_co_u32 v25, s3, s8, v25
	s_wait_alu 0xf1ff
	s_delay_alu instid0(VALU_DEP_2)
	v_add_co_ci_u32_e64 v26, null, s9, v26, s3
	global_store_b16 v[25:26], v32, off
.LBB141_29:
	s_wait_alu 0xfffe
	s_or_b32 exec_lo, exec_lo, s5
	v_add3_u32 v25, v6, s7, 16
	s_delay_alu instid0(VALU_DEP_1)
	v_cmp_gt_u32_e64 s3, s4, v25
	s_and_b32 exec_lo, exec_lo, s3
	s_cbranch_execz .LBB141_65
; %bb.30:
	v_mul_lo_u32 v25, v25, s6
	s_and_saveexec_b32 s5, vcc_lo
	s_cbranch_execnz .LBB141_69
; %bb.31:
	s_wait_alu 0xfffe
	s_or_b32 exec_lo, exec_lo, s5
	s_and_saveexec_b32 s5, s0
	s_cbranch_execnz .LBB141_70
.LBB141_32:
	s_wait_alu 0xfffe
	s_or_b32 exec_lo, exec_lo, s5
	s_and_saveexec_b32 s5, s1
	s_cbranch_execnz .LBB141_71
.LBB141_33:
	s_wait_alu 0xfffe
	s_or_b32 exec_lo, exec_lo, s5
	s_and_saveexec_b32 s5, s2
	s_cbranch_execz .LBB141_35
.LBB141_34:
	v_dual_mov_b32 v26, 0 :: v_dual_add_nc_u32 v25, v25, v14
	s_delay_alu instid0(VALU_DEP_1) | instskip(SKIP_1) | instid1(VALU_DEP_1)
	v_lshlrev_b64_e32 v[25:26], 1, v[25:26]
	s_wait_kmcnt 0x0
	v_add_co_u32 v25, s3, s8, v25
	s_wait_alu 0xf1ff
	s_delay_alu instid0(VALU_DEP_2)
	v_add_co_ci_u32_e64 v26, null, s9, v26, s3
	global_store_b16 v[25:26], v28, off
.LBB141_35:
	s_wait_alu 0xfffe
	s_or_b32 exec_lo, exec_lo, s5
	v_add3_u32 v25, v6, s7, 24
	s_delay_alu instid0(VALU_DEP_1)
	v_cmp_gt_u32_e64 s3, s4, v25
	s_and_b32 exec_lo, exec_lo, s3
	s_cbranch_execz .LBB141_65
; %bb.36:
	v_mul_lo_u32 v25, v25, s6
	s_and_saveexec_b32 s5, vcc_lo
	s_cbranch_execnz .LBB141_72
; %bb.37:
	s_wait_alu 0xfffe
	s_or_b32 exec_lo, exec_lo, s5
	s_and_saveexec_b32 s5, s0
	s_cbranch_execnz .LBB141_73
.LBB141_38:
	s_wait_alu 0xfffe
	s_or_b32 exec_lo, exec_lo, s5
	s_and_saveexec_b32 s5, s1
	s_cbranch_execnz .LBB141_74
.LBB141_39:
	s_wait_alu 0xfffe
	s_or_b32 exec_lo, exec_lo, s5
	s_and_saveexec_b32 s5, s2
	s_cbranch_execz .LBB141_41
.LBB141_40:
	v_dual_mov_b32 v23, 0 :: v_dual_add_nc_u32 v22, v25, v14
	s_delay_alu instid0(VALU_DEP_1) | instskip(SKIP_1) | instid1(VALU_DEP_1)
	v_lshlrev_b64_e32 v[22:23], 1, v[22:23]
	s_wait_kmcnt 0x0
	v_add_co_u32 v22, s3, s8, v22
	s_wait_alu 0xf1ff
	s_delay_alu instid0(VALU_DEP_2)
	v_add_co_ci_u32_e64 v23, null, s9, v23, s3
	global_store_b16 v[22:23], v21, off
.LBB141_41:
	s_wait_alu 0xfffe
	s_or_b32 exec_lo, exec_lo, s5
	v_add3_u32 v21, v6, s7, 32
	s_delay_alu instid0(VALU_DEP_1)
	v_cmp_gt_u32_e64 s3, s4, v21
	s_and_b32 exec_lo, exec_lo, s3
	s_cbranch_execz .LBB141_65
; %bb.42:
	v_mul_lo_u32 v21, v21, s6
	s_and_saveexec_b32 s5, vcc_lo
	s_cbranch_execnz .LBB141_75
; %bb.43:
	s_wait_alu 0xfffe
	s_or_b32 exec_lo, exec_lo, s5
	s_and_saveexec_b32 s5, s0
	s_cbranch_execnz .LBB141_76
.LBB141_44:
	s_wait_alu 0xfffe
	s_or_b32 exec_lo, exec_lo, s5
	s_and_saveexec_b32 s5, s1
	s_cbranch_execnz .LBB141_77
.LBB141_45:
	s_wait_alu 0xfffe
	s_or_b32 exec_lo, exec_lo, s5
	s_and_saveexec_b32 s5, s2
	s_cbranch_execz .LBB141_47
.LBB141_46:
	v_dual_mov_b32 v19, 0 :: v_dual_add_nc_u32 v18, v21, v14
	s_delay_alu instid0(VALU_DEP_1) | instskip(SKIP_1) | instid1(VALU_DEP_1)
	v_lshlrev_b64_e32 v[18:19], 1, v[18:19]
	s_wait_kmcnt 0x0
	v_add_co_u32 v18, s3, s8, v18
	s_wait_alu 0xf1ff
	s_delay_alu instid0(VALU_DEP_2)
	v_add_co_ci_u32_e64 v19, null, s9, v19, s3
	global_store_b16 v[18:19], v17, off
.LBB141_47:
	s_wait_alu 0xfffe
	s_or_b32 exec_lo, exec_lo, s5
	v_add3_u32 v17, v6, s7, 40
	s_delay_alu instid0(VALU_DEP_1)
	v_cmp_gt_u32_e64 s3, s4, v17
	s_and_b32 exec_lo, exec_lo, s3
	s_cbranch_execz .LBB141_65
; %bb.48:
	v_mul_lo_u32 v17, v17, s6
	s_and_saveexec_b32 s5, vcc_lo
	s_cbranch_execnz .LBB141_78
; %bb.49:
	s_wait_alu 0xfffe
	s_or_b32 exec_lo, exec_lo, s5
	s_and_saveexec_b32 s5, s0
	s_cbranch_execnz .LBB141_79
.LBB141_50:
	s_wait_alu 0xfffe
	s_or_b32 exec_lo, exec_lo, s5
	s_and_saveexec_b32 s5, s1
	s_cbranch_execnz .LBB141_80
.LBB141_51:
	s_wait_alu 0xfffe
	s_or_b32 exec_lo, exec_lo, s5
	s_and_saveexec_b32 s5, s2
	s_cbranch_execz .LBB141_53
.LBB141_52:
	v_dual_mov_b32 v16, 0 :: v_dual_add_nc_u32 v15, v17, v14
	s_delay_alu instid0(VALU_DEP_1) | instskip(SKIP_1) | instid1(VALU_DEP_1)
	v_lshlrev_b64_e32 v[15:16], 1, v[15:16]
	s_wait_kmcnt 0x0
	v_add_co_u32 v15, s3, s8, v15
	s_wait_alu 0xf1ff
	s_delay_alu instid0(VALU_DEP_2)
	v_add_co_ci_u32_e64 v16, null, s9, v16, s3
	global_store_b16 v[15:16], v10, off
.LBB141_53:
	s_wait_alu 0xfffe
	s_or_b32 exec_lo, exec_lo, s5
	v_add3_u32 v10, v6, s7, 48
	s_delay_alu instid0(VALU_DEP_1)
	v_cmp_gt_u32_e64 s3, s4, v10
	s_and_b32 exec_lo, exec_lo, s3
	s_cbranch_execz .LBB141_65
; %bb.54:
	v_mul_lo_u32 v10, v10, s6
	s_and_saveexec_b32 s5, vcc_lo
	s_cbranch_execnz .LBB141_81
; %bb.55:
	s_wait_alu 0xfffe
	s_or_b32 exec_lo, exec_lo, s5
	s_and_saveexec_b32 s5, s0
	s_cbranch_execnz .LBB141_82
.LBB141_56:
	s_wait_alu 0xfffe
	s_or_b32 exec_lo, exec_lo, s5
	s_and_saveexec_b32 s5, s1
	s_cbranch_execnz .LBB141_83
.LBB141_57:
	s_wait_alu 0xfffe
	s_or_b32 exec_lo, exec_lo, s5
	s_and_saveexec_b32 s5, s2
	s_cbranch_execz .LBB141_59
.LBB141_58:
	v_dual_mov_b32 v8, 0 :: v_dual_add_nc_u32 v7, v10, v14
	s_delay_alu instid0(VALU_DEP_1) | instskip(SKIP_1) | instid1(VALU_DEP_1)
	v_lshlrev_b64_e32 v[7:8], 1, v[7:8]
	s_wait_kmcnt 0x0
	v_add_co_u32 v7, s3, s8, v7
	s_wait_alu 0xf1ff
	s_delay_alu instid0(VALU_DEP_2)
	v_add_co_ci_u32_e64 v8, null, s9, v8, s3
	global_store_b16 v[7:8], v5, off
.LBB141_59:
	s_wait_alu 0xfffe
	s_or_b32 exec_lo, exec_lo, s5
	v_add3_u32 v5, v6, s7, 56
	s_delay_alu instid0(VALU_DEP_1)
	v_cmp_gt_u32_e64 s3, s4, v5
	s_and_b32 exec_lo, exec_lo, s3
	s_cbranch_execz .LBB141_65
; %bb.60:
	v_mul_lo_u32 v5, v5, s6
	s_and_saveexec_b32 s3, vcc_lo
	s_cbranch_execnz .LBB141_84
; %bb.61:
	s_wait_alu 0xfffe
	s_or_b32 exec_lo, exec_lo, s3
	s_and_saveexec_b32 s3, s0
	s_cbranch_execnz .LBB141_85
.LBB141_62:
	s_wait_alu 0xfffe
	s_or_b32 exec_lo, exec_lo, s3
	s_and_saveexec_b32 s0, s1
	s_cbranch_execnz .LBB141_86
.LBB141_63:
	s_wait_alu 0xfffe
	s_or_b32 exec_lo, exec_lo, s0
	s_delay_alu instid0(SALU_CYCLE_1)
	s_and_b32 exec_lo, exec_lo, s2
	s_cbranch_execz .LBB141_65
.LBB141_64:
	v_dual_mov_b32 v3, 0 :: v_dual_add_nc_u32 v2, v5, v14
	s_delay_alu instid0(VALU_DEP_1) | instskip(SKIP_1) | instid1(VALU_DEP_1)
	v_lshlrev_b64_e32 v[2:3], 1, v[2:3]
	s_wait_kmcnt 0x0
	v_add_co_u32 v2, vcc_lo, s8, v2
	s_wait_alu 0xfffd
	s_delay_alu instid0(VALU_DEP_2)
	v_add_co_ci_u32_e64 v3, null, s9, v3, vcc_lo
	global_store_b16 v[2:3], v1, off
.LBB141_65:
	s_nop 0
	s_sendmsg sendmsg(MSG_DEALLOC_VGPRS)
	s_endpgm
.LBB141_66:
	s_delay_alu instid0(VALU_DEP_1) | instskip(NEXT) | instid1(VALU_DEP_1)
	v_dual_mov_b32 v27, 0 :: v_dual_add_nc_u32 v26, v25, v0
	v_lshlrev_b64_e32 v[26:27], 1, v[26:27]
	s_wait_kmcnt 0x0
	s_delay_alu instid0(VALU_DEP_1) | instskip(SKIP_1) | instid1(VALU_DEP_2)
	v_add_co_u32 v26, s3, s8, v26
	s_wait_alu 0xf1ff
	v_add_co_ci_u32_e64 v27, null, s9, v27, s3
	global_store_b16 v[26:27], v35, off
	s_wait_alu 0xfffe
	s_or_b32 exec_lo, exec_lo, s5
	s_and_saveexec_b32 s5, s0
	s_cbranch_execz .LBB141_26
.LBB141_67:
	s_delay_alu instid0(VALU_DEP_1) | instskip(NEXT) | instid1(VALU_DEP_1)
	v_dual_mov_b32 v27, 0 :: v_dual_add_nc_u32 v26, v25, v12
	v_lshlrev_b64_e32 v[26:27], 1, v[26:27]
	s_wait_kmcnt 0x0
	s_delay_alu instid0(VALU_DEP_1) | instskip(SKIP_1) | instid1(VALU_DEP_2)
	v_add_co_u32 v26, s3, s8, v26
	s_wait_alu 0xf1ff
	v_add_co_ci_u32_e64 v27, null, s9, v27, s3
	global_store_b16 v[26:27], v34, off
	s_wait_alu 0xfffe
	s_or_b32 exec_lo, exec_lo, s5
	s_and_saveexec_b32 s5, s1
	s_cbranch_execz .LBB141_27
.LBB141_68:
	v_dual_mov_b32 v27, 0 :: v_dual_add_nc_u32 v26, v25, v13
	s_delay_alu instid0(VALU_DEP_1) | instskip(SKIP_1) | instid1(VALU_DEP_1)
	v_lshlrev_b64_e32 v[26:27], 1, v[26:27]
	s_wait_kmcnt 0x0
	v_add_co_u32 v26, s3, s8, v26
	s_wait_alu 0xf1ff
	s_delay_alu instid0(VALU_DEP_2)
	v_add_co_ci_u32_e64 v27, null, s9, v27, s3
	global_store_b16 v[26:27], v33, off
	s_wait_alu 0xfffe
	s_or_b32 exec_lo, exec_lo, s5
	s_and_saveexec_b32 s5, s2
	s_cbranch_execnz .LBB141_28
	s_branch .LBB141_29
.LBB141_69:
	s_delay_alu instid0(VALU_DEP_1) | instskip(NEXT) | instid1(VALU_DEP_1)
	v_dual_mov_b32 v27, 0 :: v_dual_add_nc_u32 v26, v25, v0
	v_lshlrev_b64_e32 v[26:27], 1, v[26:27]
	s_wait_kmcnt 0x0
	s_delay_alu instid0(VALU_DEP_1) | instskip(SKIP_1) | instid1(VALU_DEP_2)
	v_add_co_u32 v26, s3, s8, v26
	s_wait_alu 0xf1ff
	v_add_co_ci_u32_e64 v27, null, s9, v27, s3
	global_store_b16 v[26:27], v31, off
	s_wait_alu 0xfffe
	s_or_b32 exec_lo, exec_lo, s5
	s_and_saveexec_b32 s5, s0
	s_cbranch_execz .LBB141_32
.LBB141_70:
	s_delay_alu instid0(VALU_DEP_1) | instskip(NEXT) | instid1(VALU_DEP_1)
	v_dual_mov_b32 v27, 0 :: v_dual_add_nc_u32 v26, v25, v12
	v_lshlrev_b64_e32 v[26:27], 1, v[26:27]
	s_wait_kmcnt 0x0
	s_delay_alu instid0(VALU_DEP_1) | instskip(SKIP_1) | instid1(VALU_DEP_2)
	v_add_co_u32 v26, s3, s8, v26
	s_wait_alu 0xf1ff
	v_add_co_ci_u32_e64 v27, null, s9, v27, s3
	global_store_b16 v[26:27], v30, off
	s_wait_alu 0xfffe
	s_or_b32 exec_lo, exec_lo, s5
	s_and_saveexec_b32 s5, s1
	s_cbranch_execz .LBB141_33
.LBB141_71:
	v_dual_mov_b32 v27, 0 :: v_dual_add_nc_u32 v26, v25, v13
	s_delay_alu instid0(VALU_DEP_1) | instskip(SKIP_1) | instid1(VALU_DEP_1)
	v_lshlrev_b64_e32 v[26:27], 1, v[26:27]
	s_wait_kmcnt 0x0
	v_add_co_u32 v26, s3, s8, v26
	s_wait_alu 0xf1ff
	s_delay_alu instid0(VALU_DEP_2)
	v_add_co_ci_u32_e64 v27, null, s9, v27, s3
	global_store_b16 v[26:27], v29, off
	s_wait_alu 0xfffe
	s_or_b32 exec_lo, exec_lo, s5
	s_and_saveexec_b32 s5, s2
	s_cbranch_execnz .LBB141_34
	s_branch .LBB141_35
.LBB141_72:
	s_delay_alu instid0(VALU_DEP_1) | instskip(NEXT) | instid1(VALU_DEP_1)
	v_dual_mov_b32 v27, 0 :: v_dual_add_nc_u32 v26, v25, v0
	v_lshlrev_b64_e32 v[26:27], 1, v[26:27]
	s_wait_kmcnt 0x0
	s_delay_alu instid0(VALU_DEP_1) | instskip(SKIP_1) | instid1(VALU_DEP_2)
	v_add_co_u32 v26, s3, s8, v26
	s_wait_alu 0xf1ff
	v_add_co_ci_u32_e64 v27, null, s9, v27, s3
	global_store_b16 v[26:27], v24, off
	s_wait_alu 0xfffe
	s_or_b32 exec_lo, exec_lo, s5
	s_and_saveexec_b32 s5, s0
	s_cbranch_execz .LBB141_38
.LBB141_73:
	s_delay_alu instid0(VALU_DEP_1) | instskip(NEXT) | instid1(VALU_DEP_1)
	v_dual_mov_b32 v27, 0 :: v_dual_add_nc_u32 v26, v25, v12
	v_lshlrev_b64_e32 v[26:27], 1, v[26:27]
	s_wait_kmcnt 0x0
	s_delay_alu instid0(VALU_DEP_1) | instskip(SKIP_1) | instid1(VALU_DEP_2)
	v_add_co_u32 v26, s3, s8, v26
	s_wait_alu 0xf1ff
	v_add_co_ci_u32_e64 v27, null, s9, v27, s3
	global_store_b16 v[26:27], v23, off
	s_wait_alu 0xfffe
	s_or_b32 exec_lo, exec_lo, s5
	s_and_saveexec_b32 s5, s1
	s_cbranch_execz .LBB141_39
.LBB141_74:
	v_dual_mov_b32 v24, 0 :: v_dual_add_nc_u32 v23, v25, v13
	s_delay_alu instid0(VALU_DEP_1) | instskip(SKIP_1) | instid1(VALU_DEP_1)
	v_lshlrev_b64_e32 v[23:24], 1, v[23:24]
	s_wait_kmcnt 0x0
	v_add_co_u32 v23, s3, s8, v23
	s_wait_alu 0xf1ff
	s_delay_alu instid0(VALU_DEP_2)
	v_add_co_ci_u32_e64 v24, null, s9, v24, s3
	global_store_b16 v[23:24], v22, off
	s_wait_alu 0xfffe
	s_or_b32 exec_lo, exec_lo, s5
	s_and_saveexec_b32 s5, s2
	s_cbranch_execnz .LBB141_40
	s_branch .LBB141_41
.LBB141_75:
	s_delay_alu instid0(VALU_DEP_1) | instskip(NEXT) | instid1(VALU_DEP_1)
	v_dual_mov_b32 v23, 0 :: v_dual_add_nc_u32 v22, v21, v0
	v_lshlrev_b64_e32 v[22:23], 1, v[22:23]
	s_wait_kmcnt 0x0
	s_delay_alu instid0(VALU_DEP_1) | instskip(SKIP_1) | instid1(VALU_DEP_2)
	v_add_co_u32 v22, s3, s8, v22
	s_wait_alu 0xf1ff
	v_add_co_ci_u32_e64 v23, null, s9, v23, s3
	global_store_b16 v[22:23], v20, off
	s_wait_alu 0xfffe
	s_or_b32 exec_lo, exec_lo, s5
	s_and_saveexec_b32 s5, s0
	s_cbranch_execz .LBB141_44
.LBB141_76:
	s_delay_alu instid0(VALU_DEP_1) | instskip(NEXT) | instid1(VALU_DEP_1)
	v_dual_mov_b32 v23, 0 :: v_dual_add_nc_u32 v22, v21, v12
	v_lshlrev_b64_e32 v[22:23], 1, v[22:23]
	s_wait_kmcnt 0x0
	s_delay_alu instid0(VALU_DEP_1) | instskip(SKIP_1) | instid1(VALU_DEP_2)
	v_add_co_u32 v22, s3, s8, v22
	s_wait_alu 0xf1ff
	v_add_co_ci_u32_e64 v23, null, s9, v23, s3
	global_store_b16 v[22:23], v19, off
	s_wait_alu 0xfffe
	s_or_b32 exec_lo, exec_lo, s5
	s_and_saveexec_b32 s5, s1
	s_cbranch_execz .LBB141_45
.LBB141_77:
	v_dual_mov_b32 v20, 0 :: v_dual_add_nc_u32 v19, v21, v13
	s_delay_alu instid0(VALU_DEP_1) | instskip(SKIP_1) | instid1(VALU_DEP_1)
	v_lshlrev_b64_e32 v[19:20], 1, v[19:20]
	s_wait_kmcnt 0x0
	v_add_co_u32 v19, s3, s8, v19
	s_wait_alu 0xf1ff
	s_delay_alu instid0(VALU_DEP_2)
	v_add_co_ci_u32_e64 v20, null, s9, v20, s3
	global_store_b16 v[19:20], v18, off
	s_wait_alu 0xfffe
	s_or_b32 exec_lo, exec_lo, s5
	s_and_saveexec_b32 s5, s2
	s_cbranch_execnz .LBB141_46
	s_branch .LBB141_47
.LBB141_78:
	s_delay_alu instid0(VALU_DEP_1) | instskip(NEXT) | instid1(VALU_DEP_1)
	v_dual_mov_b32 v19, 0 :: v_dual_add_nc_u32 v18, v17, v0
	v_lshlrev_b64_e32 v[18:19], 1, v[18:19]
	s_wait_kmcnt 0x0
	s_delay_alu instid0(VALU_DEP_1) | instskip(SKIP_1) | instid1(VALU_DEP_2)
	v_add_co_u32 v18, s3, s8, v18
	s_wait_alu 0xf1ff
	v_add_co_ci_u32_e64 v19, null, s9, v19, s3
	global_store_b16 v[18:19], v16, off
	s_wait_alu 0xfffe
	s_or_b32 exec_lo, exec_lo, s5
	s_and_saveexec_b32 s5, s0
	s_cbranch_execz .LBB141_50
.LBB141_79:
	s_delay_alu instid0(VALU_DEP_1) | instskip(NEXT) | instid1(VALU_DEP_1)
	v_dual_mov_b32 v19, 0 :: v_dual_add_nc_u32 v18, v17, v12
	v_lshlrev_b64_e32 v[18:19], 1, v[18:19]
	s_wait_kmcnt 0x0
	s_delay_alu instid0(VALU_DEP_1) | instskip(SKIP_1) | instid1(VALU_DEP_2)
	v_add_co_u32 v18, s3, s8, v18
	s_wait_alu 0xf1ff
	v_add_co_ci_u32_e64 v19, null, s9, v19, s3
	global_store_b16 v[18:19], v15, off
	s_wait_alu 0xfffe
	s_or_b32 exec_lo, exec_lo, s5
	s_and_saveexec_b32 s5, s1
	s_cbranch_execz .LBB141_51
.LBB141_80:
	v_dual_mov_b32 v16, 0 :: v_dual_add_nc_u32 v15, v17, v13
	s_delay_alu instid0(VALU_DEP_1) | instskip(SKIP_1) | instid1(VALU_DEP_1)
	v_lshlrev_b64_e32 v[15:16], 1, v[15:16]
	s_wait_kmcnt 0x0
	v_add_co_u32 v15, s3, s8, v15
	s_wait_alu 0xf1ff
	s_delay_alu instid0(VALU_DEP_2)
	v_add_co_ci_u32_e64 v16, null, s9, v16, s3
	global_store_b16 v[15:16], v11, off
	s_wait_alu 0xfffe
	s_or_b32 exec_lo, exec_lo, s5
	s_and_saveexec_b32 s5, s2
	s_cbranch_execnz .LBB141_52
	s_branch .LBB141_53
.LBB141_81:
	s_delay_alu instid0(VALU_DEP_1) | instskip(NEXT) | instid1(VALU_DEP_1)
	v_dual_mov_b32 v16, 0 :: v_dual_add_nc_u32 v15, v10, v0
	v_lshlrev_b64_e32 v[15:16], 1, v[15:16]
	s_wait_kmcnt 0x0
	s_delay_alu instid0(VALU_DEP_1) | instskip(SKIP_1) | instid1(VALU_DEP_2)
	v_add_co_u32 v15, s3, s8, v15
	s_wait_alu 0xf1ff
	v_add_co_ci_u32_e64 v16, null, s9, v16, s3
	global_store_b16 v[15:16], v9, off
	s_wait_alu 0xfffe
	s_or_b32 exec_lo, exec_lo, s5
	s_and_saveexec_b32 s5, s0
	s_cbranch_execz .LBB141_56
.LBB141_82:
	s_delay_alu instid0(VALU_DEP_1) | instskip(NEXT) | instid1(VALU_DEP_1)
	v_dual_mov_b32 v16, 0 :: v_dual_add_nc_u32 v15, v10, v12
	v_lshlrev_b64_e32 v[15:16], 1, v[15:16]
	s_wait_kmcnt 0x0
	s_delay_alu instid0(VALU_DEP_1) | instskip(SKIP_1) | instid1(VALU_DEP_2)
	v_add_co_u32 v15, s3, s8, v15
	s_wait_alu 0xf1ff
	v_add_co_ci_u32_e64 v16, null, s9, v16, s3
	global_store_b16 v[15:16], v8, off
	s_wait_alu 0xfffe
	s_or_b32 exec_lo, exec_lo, s5
	s_and_saveexec_b32 s5, s1
	s_cbranch_execz .LBB141_57
.LBB141_83:
	v_dual_mov_b32 v9, 0 :: v_dual_add_nc_u32 v8, v10, v13
	s_delay_alu instid0(VALU_DEP_1) | instskip(SKIP_1) | instid1(VALU_DEP_1)
	v_lshlrev_b64_e32 v[8:9], 1, v[8:9]
	s_wait_kmcnt 0x0
	v_add_co_u32 v8, s3, s8, v8
	s_wait_alu 0xf1ff
	s_delay_alu instid0(VALU_DEP_2)
	v_add_co_ci_u32_e64 v9, null, s9, v9, s3
	global_store_b16 v[8:9], v7, off
	s_wait_alu 0xfffe
	s_or_b32 exec_lo, exec_lo, s5
	s_and_saveexec_b32 s5, s2
	s_cbranch_execnz .LBB141_58
	s_branch .LBB141_59
.LBB141_84:
	s_delay_alu instid0(VALU_DEP_1) | instskip(NEXT) | instid1(VALU_DEP_1)
	v_dual_mov_b32 v7, 0 :: v_dual_add_nc_u32 v6, v5, v0
	v_lshlrev_b64_e32 v[6:7], 1, v[6:7]
	s_wait_kmcnt 0x0
	s_delay_alu instid0(VALU_DEP_1) | instskip(SKIP_1) | instid1(VALU_DEP_2)
	v_add_co_u32 v6, vcc_lo, s8, v6
	s_wait_alu 0xfffd
	v_add_co_ci_u32_e64 v7, null, s9, v7, vcc_lo
	global_store_b16 v[6:7], v4, off
	s_wait_alu 0xfffe
	s_or_b32 exec_lo, exec_lo, s3
	s_and_saveexec_b32 s3, s0
	s_cbranch_execz .LBB141_62
.LBB141_85:
	s_delay_alu instid0(VALU_DEP_1) | instskip(NEXT) | instid1(VALU_DEP_1)
	v_dual_mov_b32 v7, 0 :: v_dual_add_nc_u32 v6, v5, v12
	v_lshlrev_b64_e32 v[6:7], 1, v[6:7]
	s_wait_kmcnt 0x0
	s_delay_alu instid0(VALU_DEP_1) | instskip(SKIP_1) | instid1(VALU_DEP_2)
	v_add_co_u32 v6, vcc_lo, s8, v6
	s_wait_alu 0xfffd
	v_add_co_ci_u32_e64 v7, null, s9, v7, vcc_lo
	global_store_b16 v[6:7], v3, off
	s_wait_alu 0xfffe
	s_or_b32 exec_lo, exec_lo, s3
	s_and_saveexec_b32 s0, s1
	s_cbranch_execz .LBB141_63
.LBB141_86:
	v_dual_mov_b32 v4, 0 :: v_dual_add_nc_u32 v3, v5, v13
	s_delay_alu instid0(VALU_DEP_1) | instskip(SKIP_1) | instid1(VALU_DEP_1)
	v_lshlrev_b64_e32 v[3:4], 1, v[3:4]
	s_wait_kmcnt 0x0
	v_add_co_u32 v3, vcc_lo, s8, v3
	s_wait_alu 0xfffd
	s_delay_alu instid0(VALU_DEP_2) | instskip(SKIP_3) | instid1(SALU_CYCLE_1)
	v_add_co_ci_u32_e64 v4, null, s9, v4, vcc_lo
	global_store_b16 v[3:4], v2, off
	s_wait_alu 0xfffe
	s_or_b32 exec_lo, exec_lo, s0
	s_and_b32 exec_lo, exec_lo, s2
	s_cbranch_execnz .LBB141_64
	s_branch .LBB141_65
	.section	.rodata,"a",@progbits
	.p2align	6, 0x0
	.amdhsa_kernel _ZL12mul_mat_q5_0IN3c104HalfELb0EEvPKvS3_PT_iiiii
		.amdhsa_group_segment_fixed_size 46720
		.amdhsa_private_segment_fixed_size 0
		.amdhsa_kernarg_size 44
		.amdhsa_user_sgpr_count 2
		.amdhsa_user_sgpr_dispatch_ptr 0
		.amdhsa_user_sgpr_queue_ptr 0
		.amdhsa_user_sgpr_kernarg_segment_ptr 1
		.amdhsa_user_sgpr_dispatch_id 0
		.amdhsa_user_sgpr_private_segment_size 0
		.amdhsa_wavefront_size32 1
		.amdhsa_uses_dynamic_stack 0
		.amdhsa_enable_private_segment 0
		.amdhsa_system_sgpr_workgroup_id_x 1
		.amdhsa_system_sgpr_workgroup_id_y 1
		.amdhsa_system_sgpr_workgroup_id_z 0
		.amdhsa_system_sgpr_workgroup_info 0
		.amdhsa_system_vgpr_workitem_id 1
		.amdhsa_next_free_vgpr 241
		.amdhsa_next_free_sgpr 18
		.amdhsa_reserve_vcc 1
		.amdhsa_float_round_mode_32 0
		.amdhsa_float_round_mode_16_64 0
		.amdhsa_float_denorm_mode_32 3
		.amdhsa_float_denorm_mode_16_64 3
		.amdhsa_fp16_overflow 0
		.amdhsa_workgroup_processor_mode 1
		.amdhsa_memory_ordered 1
		.amdhsa_forward_progress 1
		.amdhsa_inst_pref_size 202
		.amdhsa_round_robin_scheduling 0
		.amdhsa_exception_fp_ieee_invalid_op 0
		.amdhsa_exception_fp_denorm_src 0
		.amdhsa_exception_fp_ieee_div_zero 0
		.amdhsa_exception_fp_ieee_overflow 0
		.amdhsa_exception_fp_ieee_underflow 0
		.amdhsa_exception_fp_ieee_inexact 0
		.amdhsa_exception_int_div_zero 0
	.end_amdhsa_kernel
	.section	.text._ZL12mul_mat_q5_0IN3c104HalfELb0EEvPKvS3_PT_iiiii,"axG",@progbits,_ZL12mul_mat_q5_0IN3c104HalfELb0EEvPKvS3_PT_iiiii,comdat
.Lfunc_end141:
	.size	_ZL12mul_mat_q5_0IN3c104HalfELb0EEvPKvS3_PT_iiiii, .Lfunc_end141-_ZL12mul_mat_q5_0IN3c104HalfELb0EEvPKvS3_PT_iiiii
                                        ; -- End function
	.set _ZL12mul_mat_q5_0IN3c104HalfELb0EEvPKvS3_PT_iiiii.num_vgpr, 234
	.set _ZL12mul_mat_q5_0IN3c104HalfELb0EEvPKvS3_PT_iiiii.num_agpr, 0
	.set _ZL12mul_mat_q5_0IN3c104HalfELb0EEvPKvS3_PT_iiiii.numbered_sgpr, 18
	.set _ZL12mul_mat_q5_0IN3c104HalfELb0EEvPKvS3_PT_iiiii.num_named_barrier, 0
	.set _ZL12mul_mat_q5_0IN3c104HalfELb0EEvPKvS3_PT_iiiii.private_seg_size, 0
	.set _ZL12mul_mat_q5_0IN3c104HalfELb0EEvPKvS3_PT_iiiii.uses_vcc, 1
	.set _ZL12mul_mat_q5_0IN3c104HalfELb0EEvPKvS3_PT_iiiii.uses_flat_scratch, 0
	.set _ZL12mul_mat_q5_0IN3c104HalfELb0EEvPKvS3_PT_iiiii.has_dyn_sized_stack, 0
	.set _ZL12mul_mat_q5_0IN3c104HalfELb0EEvPKvS3_PT_iiiii.has_recursion, 0
	.set _ZL12mul_mat_q5_0IN3c104HalfELb0EEvPKvS3_PT_iiiii.has_indirect_call, 0
	.section	.AMDGPU.csdata,"",@progbits
; Kernel info:
; codeLenInByte = 25844
; TotalNumSgprs: 20
; NumVgprs: 234
; ScratchSize: 0
; MemoryBound: 0
; FloatMode: 240
; IeeeMode: 1
; LDSByteSize: 46720 bytes/workgroup (compile time only)
; SGPRBlocks: 0
; VGPRBlocks: 30
; NumSGPRsForWavesPerEU: 20
; NumVGPRsForWavesPerEU: 241
; Occupancy: 4
; WaveLimiterHint : 0
; COMPUTE_PGM_RSRC2:SCRATCH_EN: 0
; COMPUTE_PGM_RSRC2:USER_SGPR: 2
; COMPUTE_PGM_RSRC2:TRAP_HANDLER: 0
; COMPUTE_PGM_RSRC2:TGID_X_EN: 1
; COMPUTE_PGM_RSRC2:TGID_Y_EN: 1
; COMPUTE_PGM_RSRC2:TGID_Z_EN: 0
; COMPUTE_PGM_RSRC2:TIDIG_COMP_CNT: 1
	.section	.text._ZL12mul_mat_q5_0IN3c104HalfELb1EEvPKvS3_PT_iiiii,"axG",@progbits,_ZL12mul_mat_q5_0IN3c104HalfELb1EEvPKvS3_PT_iiiii,comdat
	.globl	_ZL12mul_mat_q5_0IN3c104HalfELb1EEvPKvS3_PT_iiiii ; -- Begin function _ZL12mul_mat_q5_0IN3c104HalfELb1EEvPKvS3_PT_iiiii
	.p2align	8
	.type	_ZL12mul_mat_q5_0IN3c104HalfELb1EEvPKvS3_PT_iiiii,@function
_ZL12mul_mat_q5_0IN3c104HalfELb1EEvPKvS3_PT_iiiii: ; @_ZL12mul_mat_q5_0IN3c104HalfELb1EEvPKvS3_PT_iiiii
; %bb.0:
	s_clause 0x1
	s_load_b128 s[4:7], s[0:1], 0x18
	s_load_b32 s12, s[0:1], 0x28
	v_bfe_u32 v43, v0, 10, 10
	v_and_b32_e32 v44, 0x3ff, v0
	s_lshl_b32 s13, ttmp7, 6
	s_wait_kmcnt 0x0
	s_cmp_gt_i32 s4, 31
	s_cbranch_scc1 .LBB142_2
; %bb.1:
	v_bfe_u32 v6, v0, 10, 10
	v_and_b32_e32 v34, 0x3ff, v0
	s_mov_b32 s2, 0
	s_delay_alu instid0(VALU_DEP_2)
	v_add_nc_u32_e32 v45, s13, v6
	s_branch .LBB142_3
.LBB142_2:
	s_mov_b32 s2, -1
                                        ; implicit-def: $vgpr6
                                        ; implicit-def: $vgpr34
                                        ; implicit-def: $vgpr45
.LBB142_3:
	s_load_b64 s[8:9], s[0:1], 0x10
	v_dual_mov_b32 v1, 0 :: v_dual_mov_b32 v10, 0
	v_dual_mov_b32 v5, 0 :: v_dual_mov_b32 v2, 0
	;; [unrolled: 1-line block ×15, first 2 shown]
	v_mov_b32_e32 v13, 0
	v_mov_b32_e32 v9, 0
	s_and_not1_b32 vcc_lo, exec_lo, s2
	s_lshl_b32 s14, ttmp9, 7
	s_cbranch_vccnz .LBB142_14
; %bb.4:
	s_not_b32 s16, s14
	s_ashr_i32 s10, s4, 31
	s_add_co_i32 s5, s5, s16
	s_lshr_b32 s10, s10, 27
	v_min_i32_e32 v2, s5, v43
	v_dual_mov_b32 v120, 0 :: v_dual_lshlrev_b32 v1, 3, v44
	s_add_co_i32 s4, s4, s10
	v_dual_mov_b32 v47, 0 :: v_dual_add_nc_u32 v36, 8, v43
	s_wait_alu 0xfffe
	s_ashr_i32 s15, s4, 5
	v_add_nc_u32_e32 v37, 16, v43
	v_mul_lo_u32 v49, v2, s15
	v_mad_co_u64_u32 v[2:3], null, 0x104, v2, v[1:2]
	v_add_nc_u32_e32 v38, 24, v43
	v_add_nc_u32_e32 v39, 32, v43
	v_dual_mov_b32 v137, 0 :: v_dual_add_nc_u32 v40, 40, v43
	v_min_i32_e32 v4, s5, v36
	v_add_nc_u32_e32 v41, 48, v43
	s_ashr_i32 s11, s7, 31
	v_min_i32_e32 v5, s5, v37
	v_add_nc_u32_e32 v42, 56, v43
	v_min_i32_e32 v6, s5, v38
	v_dual_mov_b32 v134, 0 :: v_dual_add_nc_u32 v45, s13, v43
	s_lshr_b32 s4, s11, 27
	v_min_i32_e32 v7, s5, v39
	v_min_i32_e32 v8, s5, v40
	s_wait_alu 0xfffe
	s_add_co_i32 s4, s7, s4
	v_mul_lo_u32 v50, v4, s15
	v_mad_co_u64_u32 v[3:4], null, 0x104, v4, v[1:2]
	v_min_i32_e32 v9, s5, v41
	s_add_co_i32 s7, s6, -1
	v_mul_lo_u32 v51, v5, s15
	v_mad_co_u64_u32 v[4:5], null, 0x104, v5, v[1:2]
	v_min_i32_e32 v10, s5, v42
	v_mul_lo_u32 v52, v6, s15
	v_mad_co_u64_u32 v[5:6], null, 0x104, v6, v[1:2]
	v_cvt_f64_i32_e32 v[17:18], s7
	v_cvt_f64_u32_e32 v[20:21], v45
	v_mul_lo_u32 v53, v7, s15
	v_mad_co_u64_u32 v[6:7], null, 0x104, v7, v[1:2]
	v_mul_lo_u32 v54, v8, s15
	v_mad_co_u64_u32 v[7:8], null, 0x104, v8, v[1:2]
	;; [unrolled: 2-line block ×4, first 2 shown]
	v_dual_mov_b32 v143, 0 :: v_dual_add_nc_u32 v10, 8, v45
	v_dual_mov_b32 v128, 0 :: v_dual_add_nc_u32 v13, 16, v45
	;; [unrolled: 1-line block ×3, first 2 shown]
	s_delay_alu instid0(VALU_DEP_3) | instskip(NEXT) | instid1(VALU_DEP_3)
	v_cvt_f64_u32_e32 v[22:23], v10
	v_cvt_f64_u32_e32 v[24:25], v13
	v_dual_mov_b32 v135, 0 :: v_dual_add_nc_u32 v10, 32, v45
	s_delay_alu instid0(VALU_DEP_4) | instskip(SKIP_4) | instid1(VALU_DEP_4)
	v_cvt_f64_u32_e32 v[26:27], v14
	v_dual_mov_b32 v122, 0 :: v_dual_add_nc_u32 v13, 40, v45
	v_dual_mov_b32 v147, 0 :: v_dual_add_nc_u32 v14, 48, v45
	;; [unrolled: 1-line block ×3, first 2 shown]
	v_cvt_f64_u32_e32 v[28:29], v10
	v_cvt_f64_u32_e32 v[30:31], v13
	s_delay_alu instid0(VALU_DEP_4) | instskip(NEXT) | instid1(VALU_DEP_4)
	v_cvt_f64_u32_e32 v[32:33], v14
	v_cvt_f64_u32_e32 v[34:35], v16
	v_add_nc_u32_e32 v81, 0x60, v44
	v_dual_mov_b32 v140, 0 :: v_dual_add_nc_u32 v11, 64, v43
	v_dual_mov_b32 v145, 0 :: v_dual_add_nc_u32 v12, 0x48, v43
	v_min_num_f64_e32 v[20:21], v[20:21], v[17:18]
	v_bfe_u32 v61, v0, 3, 7
	v_add_nc_u32_e32 v15, 0x50, v43
	v_lshlrev_b32_e32 v116, 3, v81
	v_add_nc_u32_e32 v13, 0x58, v43
	v_add_nc_u32_e32 v16, 0x60, v43
	v_min_i32_e32 v11, s5, v11
	v_add_nc_u32_e32 v62, 0x68, v43
	v_min_i32_e32 v12, s5, v12
	v_lshl_add_u32 v68, v43, 2, v61
	v_dual_mov_b32 v116, 0 :: v_dual_lshlrev_b32 v133, 2, v116
	v_min_i32_e32 v14, s5, v15
	v_min_i32_e32 v15, s5, v13
	;; [unrolled: 1-line block ×3, first 2 shown]
	v_mul_lo_u32 v57, v11, s15
	v_mad_co_u64_u32 v[10:11], null, 0x104, v11, v[1:2]
	v_min_num_f64_e32 v[22:23], v[22:23], v[17:18]
	v_min_num_f64_e32 v[24:25], v[24:25], v[17:18]
	v_min_i32_e32 v64, s5, v62
	v_mul_lo_u32 v58, v12, s15
	v_min_num_f64_e32 v[26:27], v[26:27], v[17:18]
	v_mad_co_u64_u32 v[11:12], null, 0x104, v12, v[1:2]
	v_min_i32_e32 v69, s5, v68
	v_mad_co_u64_u32 v[12:13], null, 0x104, v14, v[1:2]
	v_dual_mov_b32 v138, 0 :: v_dual_add_nc_u32 v65, 0x70, v43
	v_min_num_f64_e32 v[28:29], v[28:29], v[17:18]
	v_min_num_f64_e32 v[30:31], v[30:31], v[17:18]
	;; [unrolled: 1-line block ×4, first 2 shown]
	v_mul_lo_u32 v59, v14, s15
	v_mad_co_u64_u32 v[13:14], null, 0x104, v15, v[1:2]
	v_mul_lo_u32 v60, v15, s15
	v_mad_co_u64_u32 v[14:15], null, 0x104, v16, v[1:2]
	;; [unrolled: 2-line block ×3, first 2 shown]
	v_ashrrev_i32_e32 v16, 31, v69
	v_min_i32_e32 v66, s5, v65
	v_dual_mov_b32 v130, 0 :: v_dual_add_nc_u32 v65, 0x78, v43
	v_cvt_i32_f64_e32 v20, v[20:21]
	s_delay_alu instid0(VALU_DEP_4) | instskip(SKIP_1) | instid1(VALU_DEP_4)
	v_lshrrev_b32_e32 v16, 30, v16
	v_mul_lo_u32 v63, v64, s15
	v_min_i32_e32 v18, s5, v65
	v_mul_lo_u32 v64, v66, s15
	v_dual_mov_b32 v124, 0 :: v_dual_and_b32 v65, 7, v0
	v_add_nc_u32_e32 v67, v69, v16
	v_mad_co_u64_u32 v[16:17], null, 0x104, v66, v[1:2]
	v_mul_lo_u32 v66, v18, s15
	v_mad_co_u64_u32 v[17:18], null, 0x104, v18, v[1:2]
	v_add_nc_u32_e32 v70, 32, v68
	v_add_nc_u32_e32 v18, 64, v68
	v_lshrrev_b32_e32 v118, 2, v81
	v_bfe_u32 v46, v0, 2, 8
	v_lshlrev_b32_e32 v72, 2, v65
	v_min_i32_e32 v70, s5, v70
	v_min_i32_e32 v18, s5, v18
	v_dual_mov_b32 v118, 0 :: v_dual_lshlrev_b32 v131, 2, v118
	v_dual_mov_b32 v148, 0 :: v_dual_and_b32 v71, -4, v67
	v_cvt_i32_f64_e32 v22, v[22:23]
	v_cvt_i32_f64_e32 v24, v[24:25]
	;; [unrolled: 1-line block ×7, first 2 shown]
	v_add3_u32 v100, v71, v72, 0xa200
	v_ashrrev_i32_e32 v71, 31, v70
	v_ashrrev_i32_e32 v21, 31, v18
	v_lshl_add_u32 v31, v43, 3, v46
	v_mul_lo_u32 v67, v69, s15
	v_dual_mov_b32 v146, 0 :: v_dual_add_nc_u32 v73, 0x60, v68
	v_dual_mov_b32 v144, 0 :: v_dual_lshlrev_b32 v101, 5, v69
	v_lshrrev_b32_e32 v69, 30, v71
	v_lshrrev_b32_e32 v21, 30, v21
	v_and_b32_e32 v31, 63, v31
	v_min_i32_e32 v71, s5, v73
	v_lshlrev_b32_e32 v33, 5, v18
	v_dual_mov_b32 v142, 0 :: v_dual_add_nc_u32 v23, v70, v69
	v_dual_mov_b32 v132, 0 :: v_dual_add_nc_u32 v21, v18, v21
	v_mul_lo_u32 v69, v18, s15
	v_or_b32_e32 v18, s13, v31
	v_dual_mov_b32 v126, 0 :: v_dual_and_b32 v19, 3, v0
	v_ashrrev_i32_e32 v25, 31, v71
	s_wait_alu 0xfffe
	s_ashr_i32 s4, s4, 5
	v_min_i32_e32 v18, s7, v18
	s_load_b128 s[0:3], s[0:1], 0x0
	v_lshlrev_b32_e32 v48, 2, v19
	v_lshrrev_b32_e32 v25, 30, v25
	v_mul_lo_u32 v68, v70, s15
	v_mad_co_u64_u32 v[18:19], null, v18, s4, v[19:20]
	v_add_nc_u32_e32 v19, 32, v44
	s_delay_alu instid0(VALU_DEP_4)
	v_add_nc_u32_e32 v25, v71, v25
	v_lshlrev_b32_e32 v32, 5, v70
	v_mul_lo_u32 v70, v71, s15
	v_lshlrev_b32_e32 v35, 5, v71
	v_mul_lo_u32 v71, s4, v20
	v_add_nc_u32_e32 v20, 64, v44
	v_lshrrev_b32_e32 v109, 2, v19
	v_lshlrev_b32_e32 v34, 2, v44
	v_dual_mov_b32 v136, 0 :: v_dual_and_b32 v23, -4, v23
	v_and_b32_e32 v21, -4, v21
	v_and_b32_e32 v25, -4, v25
	v_and_b32_e32 v0, 31, v0
	v_lshlrev_b32_e32 v111, 3, v20
	v_lshrrev_b32_e32 v114, 2, v20
	v_lshlrev_b32_e32 v123, 2, v109
	v_mov_b32_e32 v109, 0
	v_lshl_or_b32 v31, v31, 4, v48
	v_and_b32_e32 v34, 28, v34
	v_add3_u32 v23, v23, v72, 0xa200
	v_add3_u32 v21, v21, v72, 0xa200
	;; [unrolled: 1-line block ×3, first 2 shown]
	v_mul_lo_u32 v72, s4, v22
	v_mul_lo_u32 v73, s4, v24
	;; [unrolled: 1-line block ×7, first 2 shown]
	s_movk_i32 s4, 0x2080
	v_lshl_or_b32 v104, v0, 2, 0x8200
	v_add_nc_u32_e32 v0, 0xb280, v31
	v_lshlrev_b32_e32 v31, 7, v43
	v_lshlrev_b32_e32 v22, 7, v36
	;; [unrolled: 1-line block ×5, first 2 shown]
	v_add_nc_u32_e32 v102, v100, v101
	v_lshlrev_b32_e32 v127, 2, v114
	v_dual_mov_b32 v114, 0 :: v_dual_lshlrev_b32 v129, 2, v111
	v_dual_mov_b32 v101, 0 :: v_dual_lshlrev_b32 v24, 7, v37
	v_lshlrev_b32_e32 v26, 7, v38
	v_dual_mov_b32 v100, 0 :: v_dual_lshlrev_b32 v29, 7, v41
	v_dual_mov_b32 v111, 0 :: v_dual_lshlrev_b32 v30, 7, v42
	s_wait_alu 0xfffe
	v_mad_u32_u24 v96, 0x104, v44, s4
	s_movk_i32 s4, 0x4100
	s_mul_i32 s10, s15, s14
	s_movk_i32 s5, 0x6180
	s_wait_alu 0xfffe
	v_mad_u32_u24 v97, 0x104, v44, s4
	v_lshrrev_b32_e32 v99, 3, v19
	s_wait_kmcnt 0x0
	v_add_co_u32 v19, s4, s2, v34
	s_ashr_i32 s11, s10, 31
	v_lshlrev_b32_e32 v79, 5, v43
	v_lshlrev_b32_e32 v80, 4, v43
	;; [unrolled: 1-line block ×14, first 2 shown]
	v_mul_u32_u24_e32 v95, 0x104, v44
	v_mad_u32_u24 v98, 0x104, v44, s5
	s_wait_alu 0xf1ff
	v_add_co_ci_u32_e64 v20, null, s3, 0, s4
	v_add_nc_u32_e32 v103, v23, v32
	v_add_nc_u32_e32 v105, v21, v33
	;; [unrolled: 1-line block ×11, first 2 shown]
	v_dual_mov_b32 v104, 0 :: v_dual_lshlrev_b32 v125, 2, v106
	v_lshlrev_b32_e32 v87, 5, v39
	v_lshlrev_b32_e32 v88, 4, v39
	v_mov_b32_e32 v106, 0
	s_mul_u64 s[10:11], s[10:11], 22
	s_mov_b32 s5, 0
	s_add_nc_u64 s[0:1], s[0:1], s[10:11]
	s_add_co_i32 s7, s15, 3
	s_wait_alu 0xfffe
	s_mov_b32 s4, s5
	s_branch .LBB142_6
.LBB142_5:                              ;   in Loop: Header=BB142_6 Depth=1
	s_add_co_i32 s4, s4, 8
	s_add_co_i32 s7, s7, -8
	s_wait_alu 0xfffe
	s_cmp_ge_i32 s4, s15
	s_cbranch_scc1 .LBB142_13
.LBB142_6:                              ; =>This Loop Header: Depth=1
                                        ;     Child Loop BB142_8 Depth 2
                                        ;     Child Loop BB142_11 Depth 2
	s_wait_alu 0xfffe
	s_mul_u64 s[10:11], s[4:5], 22
	s_cmp_gt_u32 s7, 3
	s_wait_alu 0xfffe
	s_add_nc_u64 s[10:11], s[0:1], s[10:11]
	s_wait_alu 0xfffe
	v_mad_co_u64_u32 v[21:22], null, v46, 22, s[10:11]
	v_mad_co_u64_u32 v[39:40], null, v65, 22, s[10:11]
	s_delay_alu instid0(VALU_DEP_2) | instskip(SKIP_3) | instid1(VALU_DEP_4)
	v_mad_co_i64_i32 v[23:24], null, v49, 22, v[21:22]
	v_mad_co_i64_i32 v[25:26], null, v50, 22, v[21:22]
	;; [unrolled: 1-line block ×4, first 2 shown]
	v_add_co_u32 v31, vcc_lo, v23, v48
	s_wait_alu 0xfffd
	v_add_co_ci_u32_e64 v32, null, 0, v24, vcc_lo
	v_add_co_u32 v33, vcc_lo, v25, v48
	s_wait_alu 0xfffd
	v_add_co_ci_u32_e64 v34, null, 0, v26, vcc_lo
	;; [unrolled: 3-line block ×4, first 2 shown]
	s_clause 0x7
	global_load_b32 v42, v[31:32], off offset:6
	global_load_b32 v149, v[33:34], off offset:6
	;; [unrolled: 1-line block ×8, first 2 shown]
	v_mad_co_i64_i32 v[25:26], null, v67, 22, v[39:40]
	v_mad_co_i64_i32 v[27:28], null, v68, 22, v[39:40]
	;; [unrolled: 1-line block ×6, first 2 shown]
	s_clause 0x3
	global_load_u16 v156, v[25:26], off
	global_load_u16 v157, v[27:28], off
	;; [unrolled: 1-line block ×4, first 2 shown]
	v_mad_co_i64_i32 v[25:26], null, v56, 22, v[21:22]
	v_mad_co_i64_i32 v[35:36], null, v55, 22, v[21:22]
	v_add_co_u32 v27, vcc_lo, v23, v48
	s_wait_alu 0xfffd
	v_add_co_ci_u32_e64 v28, null, 0, v24, vcc_lo
	v_add_co_u32 v29, vcc_lo, v33, v48
	s_wait_alu 0xfffd
	v_add_co_ci_u32_e64 v30, null, 0, v34, vcc_lo
	s_clause 0x5
	global_load_b32 v160, v[25:26], off offset:2
	global_load_b32 v161, v[35:36], off offset:2
	;; [unrolled: 1-line block ×6, first 2 shown]
	v_add_co_u32 v23, vcc_lo, v35, v48
	s_wait_alu 0xfffd
	v_add_co_ci_u32_e64 v24, null, 0, v36, vcc_lo
	v_add_co_u32 v25, vcc_lo, v25, v48
	s_wait_alu 0xfffd
	v_add_co_ci_u32_e64 v26, null, 0, v26, vcc_lo
	s_clause 0x1
	global_load_b32 v166, v[23:24], off offset:6
	global_load_b32 v167, v[25:26], off offset:6
	v_mad_co_i64_i32 v[28:29], null, v57, 22, v[21:22]
	v_mad_co_i64_i32 v[30:31], null, v58, 22, v[21:22]
	;; [unrolled: 1-line block ×4, first 2 shown]
	s_delay_alu instid0(VALU_DEP_4)
	v_add_co_u32 v23, vcc_lo, v28, v48
	s_wait_alu 0xfffd
	v_add_co_ci_u32_e64 v24, null, 0, v29, vcc_lo
	v_add_co_u32 v25, vcc_lo, v30, v48
	s_wait_alu 0xfffd
	v_add_co_ci_u32_e64 v26, null, 0, v31, vcc_lo
	;; [unrolled: 3-line block ×4, first 2 shown]
	s_clause 0x7
	global_load_b32 v168, v[23:24], off offset:6
	global_load_b32 v169, v[25:26], off offset:6
	;; [unrolled: 1-line block ×8, first 2 shown]
	v_mad_co_i64_i32 v[40:41], null, v62, 22, v[21:22]
	s_wait_loadcnt 0x1b
	v_and_b32_e32 v32, 0xf0f0f0f, v42
	v_lshrrev_b32_e32 v33, 4, v42
	s_wait_loadcnt 0x1a
	v_and_b32_e32 v35, 0xf0f0f0f, v149
	v_lshrrev_b32_e32 v36, 4, v149
	s_wait_loadcnt 0x19
	v_and_b32_e32 v38, 0xf0f0f0f, v150
	s_wait_loadcnt 0x16
	v_ashrrev_i32_e32 v37, v48, v153
	s_wait_loadcnt 0x15
	v_ashrrev_i32_e32 v34, v48, v154
	;; [unrolled: 2-line block ×3, first 2 shown]
	v_lshrrev_b32_e32 v39, 4, v150
	v_ashrrev_i32_e32 v42, v48, v152
	v_and_b32_e32 v149, 0xf0f0f0f, v151
	v_lshrrev_b32_e32 v150, 4, v151
	v_lshlrev_b32_e32 v172, 4, v34
	v_lshlrev_b32_e32 v173, 11, v34
	;; [unrolled: 1-line block ×4, first 2 shown]
	v_lshrrev_b32_e32 v176, 12, v34
	s_wait_loadcnt 0x13
	v_cvt_f32_f16_e64 v28, v156
	s_wait_loadcnt 0x12
	v_cvt_f32_f16_e64 v29, v157
	;; [unrolled: 2-line block ×4, first 2 shown]
	v_lshlrev_b32_e32 v157, 4, v31
	v_lshlrev_b32_e32 v158, 11, v31
	;; [unrolled: 1-line block ×3, first 2 shown]
	v_lshrrev_b32_e32 v177, 5, v34
	v_lshlrev_b32_e32 v178, 2, v34
	v_lshlrev_b32_e32 v34, 9, v34
	v_lshlrev_b32_e32 v179, 4, v37
	v_lshlrev_b32_e32 v180, 11, v37
	v_and_b32_e32 v33, 0xf0f0f0f, v33
	s_wait_loadcnt 0xd
	v_ashrrev_i32_e32 v154, v48, v162
	s_wait_loadcnt 0xc
	v_ashrrev_i32_e32 v151, v48, v163
	s_wait_loadcnt 0xb
	v_and_b32_e32 v152, 0xf0f0f0f, v164
	v_lshrrev_b32_e32 v153, 4, v164
	v_lshlrev_b32_e32 v162, 25, v31
	v_lshrrev_b32_e32 v163, 12, v31
	v_lshrrev_b32_e32 v164, 5, v31
	s_wait_loadcnt 0xa
	v_and_b32_e32 v155, 0xf0f0f0f, v165
	v_lshrrev_b32_e32 v156, 4, v165
	v_lshlrev_b32_e32 v165, 2, v31
	v_lshlrev_b32_e32 v31, 9, v31
	;; [unrolled: 1-line block ×4, first 2 shown]
	v_lshrrev_b32_e32 v183, 12, v37
	v_lshrrev_b32_e32 v184, 5, v37
	v_lshlrev_b32_e32 v185, 2, v37
	v_lshlrev_b32_e32 v37, 9, v37
	;; [unrolled: 1-line block ×6, first 2 shown]
	v_lshrrev_b32_e32 v190, 12, v42
	v_lshrrev_b32_e32 v191, 5, v42
	v_lshlrev_b32_e32 v192, 2, v42
	v_lshlrev_b32_e32 v42, 9, v42
	;; [unrolled: 1-line block ×4, first 2 shown]
	v_and_b32_e32 v157, 16, v157
	v_and_b32_e32 v158, 0x1000, v158
	v_and_b32_e32 v159, 0x100000, v159
	v_and_b32_e32 v162, 0x10000000, v162
	v_and_b32_e32 v163, 16, v163
	v_and_b32_e32 v164, 0x1000, v164
	v_and_b32_e32 v165, 0x100000, v165
	v_and_b32_e32 v31, 0x10000000, v31
	v_and_b32_e32 v172, 16, v172
	v_and_b32_e32 v173, 0x1000, v173
	v_and_b32_e32 v36, 0xf0f0f0f, v36
	v_and_b32_e32 v176, 16, v176
	v_and_b32_e32 v177, 0x1000, v177
	v_and_b32_e32 v178, 0x100000, v178
	v_and_b32_e32 v34, 0x10000000, v34
	v_and_b32_e32 v179, 16, v179
	v_and_b32_e32 v180, 0x1000, v180
	v_and_b32_e32 v39, 0xf0f0f0f, v39
	v_and_b32_e32 v150, 0xf0f0f0f, v150
	v_and_b32_e32 v183, 16, v183
	v_and_b32_e32 v184, 0x1000, v184
	v_and_b32_e32 v185, 0x100000, v185
	v_and_b32_e32 v37, 0x10000000, v37
	v_and_b32_e32 v186, 16, v186
	v_and_b32_e32 v187, 0x1000, v187
	v_and_b32_e32 v190, 16, v190
	v_and_b32_e32 v191, 0x1000, v191
	v_and_b32_e32 v192, 0x100000, v192
	v_and_b32_e32 v42, 0x10000000, v42
	v_and_b32_e32 v193, 16, v193
	v_and_b32_e32 v194, 0x1000, v194
	v_or3_b32 v157, v157, v32, v158
	v_or3_b32 v32, v32, v159, v162
	v_or3_b32 v158, v163, v33, v164
	v_or3_b32 v31, v33, v165, v31
	v_or3_b32 v33, v172, v35, v173
	v_and_b32_e32 v174, 0x100000, v174
	v_and_b32_e32 v175, 0x10000000, v175
	v_or3_b32 v159, v176, v36, v177
	v_or3_b32 v34, v36, v178, v34
	;; [unrolled: 1-line block ×3, first 2 shown]
	v_lshlrev_b32_e32 v195, 18, v151
	v_lshlrev_b32_e32 v196, 25, v151
	v_lshrrev_b32_e32 v197, 12, v151
	v_lshrrev_b32_e32 v198, 5, v151
	v_lshlrev_b32_e32 v199, 2, v151
	v_lshlrev_b32_e32 v151, 9, v151
	v_and_b32_e32 v181, 0x100000, v181
	v_and_b32_e32 v182, 0x10000000, v182
	v_or3_b32 v162, v183, v39, v184
	v_or3_b32 v37, v39, v185, v37
	;; [unrolled: 1-line block ×6, first 2 shown]
	v_lshrrev_b32_e32 v32, 16, v32
	v_and_b32_e32 v165, 0x1f00, v157
	v_lshlrev_b16 v157, 8, v157
	v_and_b32_e32 v172, 0x1f00, v158
	v_lshlrev_b16 v158, 8, v158
	;; [unrolled: 2-line block ×3, first 2 shown]
	v_or3_b32 v35, v35, v174, v175
	v_and_b32_e32 v175, 0x1f00, v36
	v_lshlrev_b16 v36, 8, v36
	v_and_b32_e32 v153, 0xf0f0f0f, v153
	v_and_b32_e32 v188, 0x100000, v188
	;; [unrolled: 1-line block ×9, first 2 shown]
	v_or3_b32 v38, v38, v181, v182
	v_and_b32_e32 v177, 0x1f00, v39
	v_lshlrev_b16 v39, 8, v39
	v_and_b32_e32 v179, 0x1f00, v150
	v_lshlrev_b16 v150, 8, v150
	v_add_nc_u16 v165, 0xf000, v165
	v_add_nc_u16 v157, 0xf000, v157
	v_and_b32_e32 v182, 0x1f00, v32
	v_lshlrev_b16 v32, 8, v32
	v_add_nc_u16 v158, 0xf000, v158
	v_add_nc_u16 v33, 0xf000, v33
	;; [unrolled: 1-line block ×3, first 2 shown]
	v_or3_b32 v149, v149, v188, v189
	v_or3_b32 v152, v152, v195, v196
	;; [unrolled: 1-line block ×4, first 2 shown]
	v_lshrrev_b32_e32 v31, 16, v31
	v_add_nc_u16 v39, 0xf000, v39
	v_add_nc_u16 v150, 0xf000, v150
	v_perm_b32 v157, v157, v165, 0xc0c0105
	v_add_nc_u16 v165, 0xf000, v182
	v_add_nc_u16 v32, 0xf000, v32
	v_lshrrev_b16 v158, 8, v158
	v_lshrrev_b32_e32 v35, 16, v35
	v_lshrrev_b32_e32 v34, 16, v34
	v_and_b32_e32 v174, 0x1f00, v159
	v_lshlrev_b16 v159, 8, v159
	v_lshrrev_b16 v33, 8, v33
	v_lshrrev_b32_e32 v38, 16, v38
	v_lshrrev_b32_e32 v37, 16, v37
	v_and_b32_e32 v176, 0x1f00, v162
	v_lshlrev_b16 v162, 8, v162
	;; [unrolled: 5-line block ×3, first 2 shown]
	v_lshrrev_b32_e32 v152, 16, v152
	v_lshrrev_b32_e32 v151, 16, v151
	v_and_b32_e32 v180, 0x1f00, v164
	v_lshlrev_b16 v164, 8, v164
	v_and_b32_e32 v183, 0x1f00, v31
	v_lshlrev_b16 v31, 8, v31
	v_lshrrev_b16 v39, 8, v39
	v_lshrrev_b16 v150, 8, v150
	v_perm_b32 v32, v32, v165, 0xc0c0105
	v_or_b32_e32 v158, v172, v158
	v_and_b32_e32 v184, 0x1f00, v35
	v_lshlrev_b16 v35, 8, v35
	v_add_nc_u16 v174, 0xf000, v174
	v_add_nc_u16 v159, 0xf000, v159
	v_and_b32_e32 v185, 0x1f00, v34
	v_lshlrev_b16 v34, 8, v34
	v_or_b32_e32 v33, v173, v33
	v_and_b32_e32 v186, 0x1f00, v38
	v_lshlrev_b16 v38, 8, v38
	v_add_nc_u16 v176, 0xf000, v176
	v_add_nc_u16 v162, 0xf000, v162
	v_and_b32_e32 v187, 0x1f00, v37
	v_lshlrev_b16 v37, 8, v37
	;; [unrolled: 7-line block ×3, first 2 shown]
	v_and_b32_e32 v190, 0x1f00, v152
	v_lshlrev_b16 v152, 8, v152
	v_add_nc_u16 v180, 0xf000, v180
	v_add_nc_u16 v164, 0xf000, v164
	v_and_b32_e32 v191, 0x1f00, v151
	v_lshlrev_b16 v151, 8, v151
	v_add_nc_u16 v182, 0xf000, v183
	v_add_nc_u16 v31, 0xf000, v31
	v_or_b32_e32 v39, v177, v39
	v_or_b32_e32 v150, v179, v150
	v_lshl_or_b32 v32, v32, 16, v157
	v_add_nc_u16 v157, 0xf000, v158
	v_add_nc_u16 v183, 0xf000, v184
	v_add_nc_u16 v35, 0xf000, v35
	v_perm_b32 v159, v159, v174, 0xc0c0105
	v_add_nc_u16 v174, 0xf000, v185
	v_add_nc_u16 v34, 0xf000, v34
	v_add_nc_u16 v33, 0xf000, v33
	v_add_nc_u16 v184, 0xf000, v186
	v_add_nc_u16 v38, 0xf000, v38
	v_perm_b32 v162, v162, v176, 0xc0c0105
	v_add_nc_u16 v176, 0xf000, v187
	v_add_nc_u16 v37, 0xf000, v37
	;; [unrolled: 6-line block ×3, first 2 shown]
	v_add_nc_u16 v186, 0xf000, v190
	v_add_nc_u16 v152, 0xf000, v152
	v_perm_b32 v164, v164, v180, 0xc0c0105
	v_add_nc_u16 v180, 0xf000, v191
	v_add_nc_u16 v151, 0xf000, v151
	v_perm_b32 v31, v31, v182, 0xc0c0105
	v_add_nc_u16 v39, 0xf000, v39
	v_add_nc_u16 v150, 0xf000, v150
	v_and_b32_e32 v157, 0xffff, v157
	v_perm_b32 v35, v35, v183, 0xc0c0105
	v_perm_b32 v34, v34, v174, 0xc0c0105
	v_and_b32_e32 v33, 0xffff, v33
	v_perm_b32 v38, v38, v184, 0xc0c0105
	v_perm_b32 v37, v37, v176, 0xc0c0105
	;; [unrolled: 3-line block ×3, first 2 shown]
	v_perm_b32 v152, v152, v186, 0xc0c0105
	v_perm_b32 v151, v151, v180, 0xc0c0105
	v_and_b32_e32 v39, 0xffff, v39
	v_and_b32_e32 v150, 0xffff, v150
	v_lshl_or_b32 v31, v31, 16, v157
	v_lshl_or_b32 v34, v34, 16, v159
	;; [unrolled: 1-line block ×9, first 2 shown]
	ds_store_2addr_b32 v2, v32, v31 offset1:1
	ds_store_b32 v102, v28
	ds_store_2addr_b32 v3, v33, v34 offset1:1
	ds_store_b32 v103, v29
	;; [unrolled: 2-line block ×3, first 2 shown]
	ds_store_2addr_b32 v5, v36, v42 offset1:1
	ds_store_2addr_b32 v6, v38, v151 offset1:1
	v_mad_co_i64_i32 v[28:29], null, v63, 22, v[21:22]
	v_mad_co_i64_i32 v[32:33], null, v64, 22, v[21:22]
	;; [unrolled: 1-line block ×3, first 2 shown]
	v_add_co_u32 v30, vcc_lo, v40, v48
	s_wait_alu 0xfffd
	v_add_co_ci_u32_e64 v31, null, 0, v41, vcc_lo
	v_add_co_u32 v34, vcc_lo, v28, v48
	s_wait_alu 0xfffd
	v_add_co_ci_u32_e64 v35, null, 0, v29, vcc_lo
	;; [unrolled: 3-line block ×4, first 2 shown]
	s_clause 0x7
	global_load_b32 v30, v[30:31], off offset:6
	global_load_b32 v31, v[34:35], off offset:6
	;; [unrolled: 1-line block ×8, first 2 shown]
	v_lshlrev_b32_e32 v200, 4, v154
	v_lshlrev_b32_e32 v201, 11, v154
	;; [unrolled: 1-line block ×4, first 2 shown]
	v_lshrrev_b32_e32 v204, 12, v154
	v_and_b32_e32 v200, 16, v200
	v_and_b32_e32 v201, 0x1000, v201
	;; [unrolled: 1-line block ×4, first 2 shown]
	v_lshrrev_b32_e32 v205, 5, v154
	v_and_b32_e32 v156, 0xf0f0f0f, v156
	v_or3_b32 v153, v200, v155, v201
	v_lshlrev_b32_e32 v206, 2, v154
	v_or3_b32 v155, v155, v202, v203
	v_lshlrev_b32_e32 v154, 9, v154
	v_and_b32_e32 v204, 16, v204
	v_and_b32_e32 v205, 0x1000, v205
	;; [unrolled: 1-line block ×3, first 2 shown]
	v_lshrrev_b32_e32 v155, 16, v155
	v_and_b32_e32 v154, 0x10000000, v154
	v_and_b32_e32 v181, 0x1f00, v153
	v_or3_b32 v150, v204, v156, v205
	v_lshlrev_b16 v153, 8, v153
	v_and_b32_e32 v149, 0x1f00, v155
	v_lshlrev_b16 v33, 8, v155
	v_or3_b32 v151, v156, v206, v154
	v_lshlrev_b16 v152, 8, v150
	v_add_nc_u16 v181, 0xf000, v181
	v_add_nc_u16 v36, 0xf000, v149
	;; [unrolled: 1-line block ×5, first 2 shown]
	v_lshrrev_b32_e32 v37, 16, v151
	v_and_b32_e32 v38, 0x1f00, v150
	v_perm_b32 v33, v33, v36, 0xc0c0105
	v_ashrrev_i32_e32 v36, v48, v161
	v_lshrrev_b16 v32, 8, v32
	v_perm_b32 v39, v42, v181, 0xc0c0105
	v_and_b32_e32 v40, 0x1f00, v37
	v_lshlrev_b16 v37, 8, v37
	s_wait_loadcnt 0x11
	v_lshrrev_b32_e32 v41, 4, v166
	v_lshrrev_b32_e32 v42, 12, v36
	v_lshrrev_b32_e32 v149, 5, v36
	v_or_b32_e32 v32, v38, v32
	v_add_nc_u16 v38, 0xf000, v40
	v_add_nc_u16 v37, 0xf000, v37
	v_lshl_or_b32 v33, v33, 16, v39
	v_lshlrev_b32_e32 v39, 4, v36
	v_lshlrev_b32_e32 v40, 11, v36
	;; [unrolled: 1-line block ×4, first 2 shown]
	v_and_b32_e32 v41, 0xf0f0f0f, v41
	v_and_b32_e32 v42, 16, v42
	v_and_b32_e32 v149, 0x1000, v149
	v_perm_b32 v37, v37, v38, 0xc0c0105
	v_and_b32_e32 v38, 0xf0f0f0f, v166
	v_and_b32_e32 v39, 16, v39
	v_and_b32_e32 v40, 0x1000, v40
	v_and_b32_e32 v150, 0x100000, v150
	v_lshlrev_b32_e32 v152, 2, v36
	v_lshlrev_b32_e32 v36, 9, v36
	v_and_b32_e32 v151, 0x10000000, v151
	v_or3_b32 v42, v42, v41, v149
	v_or3_b32 v39, v39, v38, v40
	v_and_b32_e32 v40, 0x100000, v152
	v_and_b32_e32 v36, 0x10000000, v36
	v_or3_b32 v38, v38, v150, v151
	v_lshlrev_b16 v149, 8, v42
	v_and_b32_e32 v150, 0x1f00, v39
	v_lshlrev_b16 v39, 8, v39
	v_or3_b32 v36, v41, v40, v36
	v_lshrrev_b32_e32 v38, 16, v38
	v_add_nc_u16 v40, 0xf000, v149
	v_and_b32_e32 v42, 0x1f00, v42
	v_add_nc_u16 v32, 0xf000, v32
	v_lshrrev_b32_e32 v36, 16, v36
	v_and_b32_e32 v149, 0x1f00, v38
	v_lshrrev_b16 v40, 8, v40
	v_lshlrev_b16 v38, 8, v38
	v_add_nc_u16 v41, 0xf000, v150
	v_add_nc_u16 v39, 0xf000, v39
	v_and_b32_e32 v150, 0x1f00, v36
	v_lshlrev_b16 v36, 8, v36
	v_or_b32_e32 v40, v42, v40
	v_add_nc_u16 v42, 0xf000, v149
	v_add_nc_u16 v38, 0xf000, v38
	v_and_b32_e32 v32, 0xffff, v32
	v_add_nc_u16 v149, 0xf000, v150
	v_add_nc_u16 v36, 0xf000, v36
	;; [unrolled: 1-line block ×3, first 2 shown]
	v_perm_b32 v39, v39, v41, 0xc0c0105
	v_ashrrev_i32_e32 v41, v48, v160
	v_perm_b32 v38, v38, v42, 0xc0c0105
	v_perm_b32 v36, v36, v149, 0xc0c0105
	v_and_b32_e32 v40, 0xffff, v40
	v_lshl_or_b32 v32, v37, 16, v32
	v_lshlrev_b32_e32 v37, 4, v41
	v_lshl_or_b32 v38, v38, 16, v39
	v_lshlrev_b32_e32 v39, 11, v41
	s_wait_loadcnt 0x10
	v_lshrrev_b32_e32 v149, 4, v167
	v_lshrrev_b32_e32 v150, 12, v41
	;; [unrolled: 1-line block ×3, first 2 shown]
	v_lshl_or_b32 v36, v36, 16, v40
	v_and_b32_e32 v40, 0xf0f0f0f, v167
	v_and_b32_e32 v37, 16, v37
	;; [unrolled: 1-line block ×6, first 2 shown]
	v_lshlrev_b32_e32 v42, 18, v41
	v_lshlrev_b32_e32 v152, 25, v41
	;; [unrolled: 1-line block ×4, first 2 shown]
	v_or3_b32 v37, v37, v40, v39
	v_or3_b32 v39, v150, v149, v151
	v_and_b32_e32 v42, 0x100000, v42
	v_and_b32_e32 v152, 0x10000000, v152
	;; [unrolled: 1-line block ×4, first 2 shown]
	v_lshlrev_b16 v151, 8, v39
	v_and_b32_e32 v39, 0x1f00, v39
	v_or3_b32 v40, v40, v42, v152
	v_and_b32_e32 v42, 0x1f00, v37
	v_or3_b32 v41, v149, v150, v41
	v_add_nc_u16 v149, 0xf000, v151
	v_lshlrev_b16 v37, 8, v37
	v_lshrrev_b32_e32 v40, 16, v40
	v_add_nc_u16 v42, 0xf000, v42
	v_lshrrev_b32_e32 v41, 16, v41
	v_lshrrev_b16 v149, 8, v149
	v_add_nc_u16 v37, 0xf000, v37
	v_and_b32_e32 v150, 0x1f00, v40
	v_lshlrev_b16 v40, 8, v40
	v_and_b32_e32 v151, 0x1f00, v41
	v_lshlrev_b16 v41, 8, v41
	v_or_b32_e32 v39, v39, v149
	v_add_nc_u16 v150, 0xf000, v150
	v_add_nc_u16 v40, 0xf000, v40
	;; [unrolled: 1-line block ×5, first 2 shown]
	s_wait_loadcnt 0x8
	v_ashrrev_i32_e32 v151, v48, v171
	v_perm_b32 v37, v37, v42, 0xc0c0105
	v_perm_b32 v40, v40, v150, 0xc0c0105
	;; [unrolled: 1-line block ×3, first 2 shown]
	v_and_b32_e32 v39, 0xffff, v39
	v_lshlrev_b32_e32 v42, 4, v151
	v_lshlrev_b32_e32 v149, 11, v151
	;; [unrolled: 1-line block ×4, first 2 shown]
	v_lshl_or_b32 v37, v40, 16, v37
	v_lshl_or_b32 v39, v41, 16, v39
	v_and_b32_e32 v150, 0xf0f0f0f, v168
	v_and_b32_e32 v42, 16, v42
	;; [unrolled: 1-line block ×5, first 2 shown]
	ds_store_2addr_b32 v7, v33, v32 offset1:1
	ds_store_2addr_b32 v8, v38, v36 offset1:1
	;; [unrolled: 1-line block ×3, first 2 shown]
	v_lshrrev_b32_e32 v36, 4, v168
	v_lshrrev_b32_e32 v37, 12, v151
	;; [unrolled: 1-line block ×3, first 2 shown]
	v_or3_b32 v42, v42, v150, v149
	v_or3_b32 v32, v150, v40, v41
	v_lshlrev_b32_e32 v39, 2, v151
	v_lshlrev_b32_e32 v40, 9, v151
	v_and_b32_e32 v36, 0xf0f0f0f, v36
	v_and_b32_e32 v37, 16, v37
	;; [unrolled: 1-line block ×6, first 2 shown]
	v_lshlrev_b16 v41, 8, v42
	v_lshrrev_b32_e32 v32, 16, v32
	v_or3_b32 v37, v37, v36, v38
	v_add_nc_u16 v33, 0xf000, v33
	v_or3_b32 v36, v36, v39, v40
	v_add_nc_u16 v38, 0xf000, v41
	v_and_b32_e32 v39, 0x1f00, v32
	v_lshlrev_b16 v40, 8, v37
	v_lshlrev_b16 v32, 8, v32
	v_lshrrev_b32_e32 v36, 16, v36
	v_perm_b32 v33, v38, v33, 0xc0c0105
	v_add_nc_u16 v38, 0xf000, v39
	v_add_nc_u16 v39, 0xf000, v40
	;; [unrolled: 1-line block ×3, first 2 shown]
	v_and_b32_e32 v40, 0x1f00, v36
	v_ashrrev_i32_e32 v41, v48, v170
	v_and_b32_e32 v37, 0x1f00, v37
	v_lshrrev_b16 v39, 8, v39
	v_perm_b32 v32, v32, v38, 0xc0c0105
	v_add_nc_u16 v38, 0xf000, v40
	v_lshlrev_b32_e32 v40, 4, v41
	v_lshlrev_b16 v36, 8, v36
	v_or_b32_e32 v37, v37, v39
	v_lshlrev_b32_e32 v39, 11, v41
	v_lshlrev_b32_e32 v149, 18, v41
	;; [unrolled: 1-line block ×3, first 2 shown]
	v_and_b32_e32 v42, 0xf0f0f0f, v169
	v_and_b32_e32 v40, 16, v40
	;; [unrolled: 1-line block ×3, first 2 shown]
	v_add_nc_u16 v36, 0xf000, v36
	v_add_nc_u16 v37, 0xf000, v37
	v_and_b32_e32 v149, 0x100000, v149
	v_and_b32_e32 v150, 0x10000000, v150
	v_or3_b32 v39, v40, v42, v39
	v_lshl_or_b32 v32, v32, 16, v33
	v_perm_b32 v33, v36, v38, 0xc0c0105
	v_and_b32_e32 v36, 0xffff, v37
	v_or3_b32 v37, v42, v149, v150
	v_lshrrev_b32_e32 v40, 4, v169
	v_lshrrev_b32_e32 v42, 12, v41
	;; [unrolled: 1-line block ×3, first 2 shown]
	v_lshlrev_b32_e32 v150, 2, v41
	v_lshlrev_b32_e32 v41, 9, v41
	v_and_b32_e32 v40, 0xf0f0f0f, v40
	v_and_b32_e32 v42, 16, v42
	;; [unrolled: 1-line block ×6, first 2 shown]
	v_lshlrev_b16 v39, 8, v39
	v_lshrrev_b32_e32 v37, 16, v37
	v_or3_b32 v42, v42, v40, v149
	v_or3_b32 v40, v40, v150, v41
	v_add_nc_u16 v38, 0xf000, v38
	v_add_nc_u16 v39, 0xf000, v39
	v_and_b32_e32 v41, 0x1f00, v37
	v_lshl_or_b32 v33, v33, 16, v36
	v_lshrrev_b32_e32 v36, 16, v40
	v_lshlrev_b16 v149, 8, v42
	v_perm_b32 v38, v39, v38, 0xc0c0105
	v_add_nc_u16 v39, 0xf000, v41
	v_lshlrev_b16 v37, 8, v37
	v_and_b32_e32 v41, 0x1f00, v36
	v_lshlrev_b16 v36, 8, v36
	v_add_nc_u16 v40, 0xf000, v149
	v_ashrrev_i32_e32 v27, v48, v27
	v_and_b32_e32 v42, 0x1f00, v42
	v_add_nc_u16 v41, 0xf000, v41
	v_add_nc_u16 v36, 0xf000, v36
	v_lshrrev_b16 v40, 8, v40
	v_add_nc_u16 v37, 0xf000, v37
	v_lshrrev_b32_e32 v149, 12, v27
	v_lshrrev_b32_e32 v150, 5, v27
	v_perm_b32 v36, v36, v41, 0xc0c0105
	v_and_b32_e32 v41, 0xf0f0f0f, v26
	v_lshrrev_b32_e32 v26, 4, v26
	v_or_b32_e32 v40, v42, v40
	v_perm_b32 v37, v37, v39, 0xc0c0105
	v_lshlrev_b32_e32 v39, 4, v27
	v_lshlrev_b32_e32 v42, 11, v27
	;; [unrolled: 1-line block ×4, first 2 shown]
	v_and_b32_e32 v26, 0xf0f0f0f, v26
	v_and_b32_e32 v149, 16, v149
	;; [unrolled: 1-line block ×6, first 2 shown]
	v_lshlrev_b32_e32 v153, 2, v27
	v_lshlrev_b32_e32 v27, 9, v27
	v_and_b32_e32 v152, 0x10000000, v152
	v_or3_b32 v149, v149, v26, v150
	v_or3_b32 v39, v39, v41, v42
	v_and_b32_e32 v42, 0x100000, v153
	v_and_b32_e32 v27, 0x10000000, v27
	v_or3_b32 v41, v41, v151, v152
	v_lshlrev_b16 v150, 8, v149
	v_and_b32_e32 v151, 0x1f00, v39
	v_and_b32_e32 v149, 0x1f00, v149
	v_or3_b32 v26, v26, v42, v27
	v_lshrrev_b32_e32 v27, 16, v41
	v_add_nc_u16 v41, 0xf000, v150
	v_lshlrev_b16 v39, 8, v39
	v_add_nc_u16 v42, 0xf000, v151
	v_lshrrev_b32_e32 v26, 16, v26
	v_and_b32_e32 v150, 0x1f00, v27
	v_lshrrev_b16 v41, 8, v41
	v_lshlrev_b16 v27, 8, v27
	v_add_nc_u16 v40, 0xf000, v40
	v_and_b32_e32 v151, 0x1f00, v26
	v_lshlrev_b16 v26, 8, v26
	v_or_b32_e32 v41, v149, v41
	v_add_nc_u16 v39, 0xf000, v39
	v_add_nc_u16 v149, 0xf000, v150
	;; [unrolled: 1-line block ×6, first 2 shown]
	v_and_b32_e32 v40, 0xffff, v40
	v_ashrrev_i32_e32 v25, v48, v25
	v_perm_b32 v39, v39, v42, 0xc0c0105
	v_perm_b32 v27, v27, v149, 0xc0c0105
	v_perm_b32 v26, v26, v150, 0xc0c0105
	v_and_b32_e32 v41, 0xffff, v41
	v_lshl_or_b32 v37, v37, 16, v38
	v_lshl_or_b32 v36, v36, 16, v40
	ds_store_2addr_b32 v10, v32, v33 offset1:1
	v_lshlrev_b32_e32 v32, 4, v25
	v_lshlrev_b32_e32 v33, 11, v25
	v_lshl_or_b32 v27, v27, 16, v39
	v_lshl_or_b32 v26, v26, 16, v41
	ds_store_2addr_b32 v11, v37, v36 offset1:1
	ds_store_2addr_b32 v12, v27, v26 offset1:1
	v_and_b32_e32 v26, 0xf0f0f0f, v24
	v_and_b32_e32 v27, 16, v32
	v_and_b32_e32 v32, 0x1000, v33
	v_lshrrev_b32_e32 v24, 4, v24
	v_lshrrev_b32_e32 v33, 12, v25
	;; [unrolled: 1-line block ×3, first 2 shown]
	v_lshlrev_b32_e32 v37, 18, v25
	v_lshlrev_b32_e32 v38, 25, v25
	v_and_b32_e32 v24, 0xf0f0f0f, v24
	v_and_b32_e32 v33, 16, v33
	;; [unrolled: 1-line block ×4, first 2 shown]
	v_lshlrev_b32_e32 v39, 2, v25
	v_lshlrev_b32_e32 v25, 9, v25
	v_and_b32_e32 v38, 0x10000000, v38
	v_or3_b32 v33, v33, v24, v36
	v_or3_b32 v27, v27, v26, v32
	v_and_b32_e32 v32, 0x100000, v39
	v_and_b32_e32 v25, 0x10000000, v25
	v_or3_b32 v26, v26, v37, v38
	v_lshlrev_b16 v36, 8, v33
	v_and_b32_e32 v37, 0x1f00, v27
	v_lshlrev_b16 v27, 8, v27
	v_or3_b32 v24, v24, v32, v25
	v_lshrrev_b32_e32 v25, 16, v26
	v_add_nc_u16 v26, 0xf000, v36
	v_and_b32_e32 v33, 0x1f00, v33
	v_add_nc_u16 v32, 0xf000, v37
	v_lshrrev_b32_e32 v24, 16, v24
	v_and_b32_e32 v36, 0x1f00, v25
	v_lshrrev_b16 v26, 8, v26
	v_lshlrev_b16 v25, 8, v25
	v_add_nc_u16 v27, 0xf000, v27
	v_and_b32_e32 v37, 0x1f00, v24
	v_lshlrev_b16 v24, 8, v24
	v_or_b32_e32 v26, v33, v26
	v_add_nc_u16 v33, 0xf000, v36
	v_add_nc_u16 v25, 0xf000, v25
	s_wait_loadcnt 0x0
	v_ashrrev_i32_e32 v29, v48, v29
	v_add_nc_u16 v36, 0xf000, v37
	v_add_nc_u16 v24, 0xf000, v24
	;; [unrolled: 1-line block ×3, first 2 shown]
	v_perm_b32 v27, v27, v32, 0xc0c0105
	v_perm_b32 v25, v25, v33, 0xc0c0105
	v_lshlrev_b32_e32 v32, 18, v29
	v_lshlrev_b32_e32 v33, 25, v29
	v_perm_b32 v24, v24, v36, 0xc0c0105
	v_and_b32_e32 v26, 0xffff, v26
	v_and_b32_e32 v36, 0xf0f0f0f, v30
	v_lshlrev_b32_e32 v37, 4, v29
	v_lshlrev_b32_e32 v38, 11, v29
	v_and_b32_e32 v32, 0x100000, v32
	v_and_b32_e32 v33, 0x10000000, v33
	v_lshl_or_b32 v25, v25, 16, v27
	v_lshl_or_b32 v24, v24, 16, v26
	v_and_b32_e32 v26, 16, v37
	v_and_b32_e32 v27, 0x1000, v38
	v_or3_b32 v32, v36, v32, v33
	v_lshrrev_b32_e32 v30, 4, v30
	v_lshrrev_b32_e32 v33, 12, v29
	;; [unrolled: 1-line block ×3, first 2 shown]
	v_or3_b32 v26, v26, v36, v27
	v_lshrrev_b32_e32 v27, 16, v32
	v_and_b32_e32 v30, 0xf0f0f0f, v30
	v_and_b32_e32 v32, 16, v33
	;; [unrolled: 1-line block ×3, first 2 shown]
	v_lshlrev_b32_e32 v36, 2, v29
	v_lshlrev_b32_e32 v29, 9, v29
	v_and_b32_e32 v37, 0x1f00, v26
	ds_store_2addr_b32 v13, v25, v24 offset1:1
	v_or3_b32 v32, v32, v30, v33
	v_and_b32_e32 v33, 0x100000, v36
	v_and_b32_e32 v29, 0x10000000, v29
	v_add_nc_u16 v36, 0xf000, v37
	v_lshlrev_b16 v26, 8, v26
	v_lshlrev_b16 v37, 8, v32
	v_and_b32_e32 v25, 0x1f00, v27
	v_or3_b32 v24, v30, v33, v29
	v_lshlrev_b16 v27, 8, v27
	v_and_b32_e32 v30, 0x1f00, v32
	v_add_nc_u16 v29, 0xf000, v37
	v_add_nc_u16 v26, 0xf000, v26
	v_lshrrev_b32_e32 v24, 16, v24
	v_add_nc_u16 v25, 0xf000, v25
	v_add_nc_u16 v27, 0xf000, v27
	v_lshrrev_b16 v29, 8, v29
	v_ashrrev_i32_e32 v28, v48, v28
	v_and_b32_e32 v32, 0x1f00, v24
	v_lshlrev_b16 v24, 8, v24
	v_perm_b32 v26, v26, v36, 0xc0c0105
	v_or_b32_e32 v29, v30, v29
	v_perm_b32 v25, v27, v25, 0xc0c0105
	v_add_nc_u16 v27, 0xf000, v32
	v_lshlrev_b32_e32 v30, 4, v28
	v_add_nc_u16 v24, 0xf000, v24
	v_add_nc_u16 v29, 0xf000, v29
	v_lshlrev_b32_e32 v32, 11, v28
	v_lshlrev_b32_e32 v36, 18, v28
	;; [unrolled: 1-line block ×3, first 2 shown]
	v_and_b32_e32 v33, 0xf0f0f0f, v31
	v_and_b32_e32 v30, 16, v30
	;; [unrolled: 1-line block ×3, first 2 shown]
	v_perm_b32 v24, v24, v27, 0xc0c0105
	v_and_b32_e32 v27, 0xffff, v29
	v_and_b32_e32 v29, 0x100000, v36
	;; [unrolled: 1-line block ×3, first 2 shown]
	v_or3_b32 v30, v30, v33, v32
	v_lshl_or_b32 v25, v25, 16, v26
	v_lshl_or_b32 v24, v24, 16, v27
	v_lshrrev_b32_e32 v26, 4, v31
	v_or3_b32 v27, v33, v29, v36
	v_lshlrev_b32_e32 v31, 2, v28
	v_lshlrev_b32_e32 v32, 9, v28
	v_lshrrev_b32_e32 v33, 12, v28
	v_lshrrev_b32_e32 v28, 5, v28
	v_and_b32_e32 v26, 0xf0f0f0f, v26
	v_and_b32_e32 v31, 0x100000, v31
	;; [unrolled: 1-line block ×3, first 2 shown]
	v_lshrrev_b32_e32 v27, 16, v27
	v_and_b32_e32 v33, 16, v33
	v_and_b32_e32 v28, 0x1000, v28
	;; [unrolled: 1-line block ×3, first 2 shown]
	v_or3_b32 v31, v26, v31, v32
	v_lshlrev_b16 v30, 8, v30
	v_and_b32_e32 v32, 0x1f00, v27
	v_or3_b32 v26, v33, v26, v28
	v_add_nc_u16 v29, 0xf000, v29
	v_lshlrev_b16 v27, 8, v27
	v_lshrrev_b32_e32 v28, 16, v31
	v_add_nc_u16 v30, 0xf000, v30
	v_add_nc_u16 v31, 0xf000, v32
	v_lshlrev_b16 v32, 8, v26
	v_add_nc_u16 v27, 0xf000, v27
	v_and_b32_e32 v33, 0x1f00, v28
	v_perm_b32 v29, v30, v29, 0xc0c0105
	v_ashrrev_i32_e32 v22, v48, v22
	v_add_nc_u16 v30, 0xf000, v32
	v_perm_b32 v27, v27, v31, 0xc0c0105
	v_add_nc_u16 v31, 0xf000, v33
	v_lshlrev_b16 v28, 8, v28
	v_lshlrev_b32_e32 v32, 4, v22
	v_and_b32_e32 v26, 0x1f00, v26
	v_lshrrev_b16 v30, 8, v30
	v_lshlrev_b32_e32 v33, 11, v22
	v_lshlrev_b32_e32 v37, 18, v22
	;; [unrolled: 1-line block ×3, first 2 shown]
	v_and_b32_e32 v36, 0xf0f0f0f, v34
	v_and_b32_e32 v32, 16, v32
	;; [unrolled: 1-line block ×3, first 2 shown]
	v_add_nc_u16 v28, 0xf000, v28
	v_or_b32_e32 v26, v26, v30
	v_and_b32_e32 v30, 0x100000, v37
	v_and_b32_e32 v37, 0x10000000, v38
	v_or3_b32 v32, v32, v36, v33
	v_lshl_or_b32 v27, v27, 16, v29
	v_perm_b32 v28, v28, v31, 0xc0c0105
	v_lshrrev_b32_e32 v31, 4, v34
	v_or3_b32 v29, v36, v30, v37
	v_lshrrev_b32_e32 v33, 12, v22
	v_lshrrev_b32_e32 v34, 5, v22
	v_lshlrev_b32_e32 v36, 2, v22
	v_lshlrev_b32_e32 v22, 9, v22
	v_and_b32_e32 v31, 0xf0f0f0f, v31
	v_and_b32_e32 v33, 16, v33
	;; [unrolled: 1-line block ×6, first 2 shown]
	v_lshlrev_b16 v32, 8, v32
	v_lshrrev_b32_e32 v29, 16, v29
	v_or3_b32 v33, v33, v31, v34
	v_or3_b32 v22, v31, v36, v22
	v_add_nc_u16 v30, 0xf000, v30
	v_add_nc_u16 v31, 0xf000, v32
	v_and_b32_e32 v32, 0x1f00, v29
	v_lshlrev_b16 v34, 8, v33
	v_lshrrev_b32_e32 v22, 16, v22
	v_lshlrev_b16 v29, 8, v29
	v_perm_b32 v30, v31, v30, 0xc0c0105
	v_add_nc_u16 v31, 0xf000, v32
	v_add_nc_u16 v32, 0xf000, v34
	v_and_b32_e32 v34, 0x1f00, v22
	v_lshlrev_b16 v22, 8, v22
	v_ashrrev_i32_e32 v21, v48, v21
	v_and_b32_e32 v33, 0x1f00, v33
	v_lshrrev_b16 v32, 8, v32
	v_add_nc_u16 v34, 0xf000, v34
	v_add_nc_u16 v22, 0xf000, v22
	v_add_nc_u16 v29, 0xf000, v29
	v_lshrrev_b32_e32 v36, 12, v21
	v_lshrrev_b32_e32 v37, 5, v21
	v_or_b32_e32 v32, v33, v32
	v_perm_b32 v22, v22, v34, 0xc0c0105
	v_and_b32_e32 v34, 0xf0f0f0f, v35
	v_lshrrev_b32_e32 v35, 4, v35
	v_perm_b32 v29, v29, v31, 0xc0c0105
	v_lshlrev_b32_e32 v31, 4, v21
	v_lshlrev_b32_e32 v33, 11, v21
	;; [unrolled: 1-line block ×4, first 2 shown]
	v_and_b32_e32 v35, 0xf0f0f0f, v35
	v_and_b32_e32 v36, 16, v36
	;; [unrolled: 1-line block ×6, first 2 shown]
	v_lshlrev_b32_e32 v40, 2, v21
	v_lshlrev_b32_e32 v21, 9, v21
	v_and_b32_e32 v39, 0x10000000, v39
	v_or3_b32 v36, v36, v35, v37
	v_or3_b32 v31, v31, v34, v33
	v_and_b32_e32 v33, 0x100000, v40
	v_and_b32_e32 v21, 0x10000000, v21
	v_or3_b32 v34, v34, v38, v39
	v_lshlrev_b16 v37, 8, v36
	v_and_b32_e32 v38, 0x1f00, v31
	v_and_b32_e32 v36, 0x1f00, v36
	v_or3_b32 v21, v35, v33, v21
	v_lshrrev_b32_e32 v33, 16, v34
	v_add_nc_u16 v34, 0xf000, v37
	v_lshlrev_b16 v31, 8, v31
	v_add_nc_u16 v35, 0xf000, v38
	v_lshrrev_b32_e32 v21, 16, v21
	v_and_b32_e32 v37, 0x1f00, v33
	v_lshrrev_b16 v34, 8, v34
	v_lshlrev_b16 v33, 8, v33
	v_add_nc_u16 v26, 0xf000, v26
	v_and_b32_e32 v38, 0x1f00, v21
	v_lshlrev_b16 v21, 8, v21
	v_or_b32_e32 v34, v36, v34
	v_add_nc_u16 v31, 0xf000, v31
	v_add_nc_u16 v36, 0xf000, v37
	;; [unrolled: 1-line block ×7, first 2 shown]
	v_and_b32_e32 v26, 0xffff, v26
	v_perm_b32 v31, v31, v35, 0xc0c0105
	v_perm_b32 v33, v33, v36, 0xc0c0105
	;; [unrolled: 1-line block ×3, first 2 shown]
	v_and_b32_e32 v34, 0xffff, v34
	v_and_b32_e32 v32, 0xffff, v32
	v_lshl_or_b32 v26, v28, 16, v26
	v_lshl_or_b32 v28, v29, 16, v30
	;; [unrolled: 1-line block ×5, first 2 shown]
	ds_store_2addr_b32 v14, v25, v24 offset1:1
	ds_store_2addr_b32 v15, v27, v26 offset1:1
	;; [unrolled: 1-line block ×4, first 2 shown]
	ds_store_b32 v107, v23
	s_cbranch_scc0 .LBB142_5
; %bb.7:                                ;   in Loop: Header=BB142_6 Depth=1
	v_add_nc_u32_e32 v29, s4, v61
	v_add_nc_u32_e32 v151, s4, v18
	s_mov_b32 s10, 0
	s_delay_alu instid0(VALU_DEP_2)
	v_add_nc_u32_e32 v31, v29, v78
	v_add_nc_u32_e32 v21, v29, v71
	;; [unrolled: 1-line block ×8, first 2 shown]
	v_mad_co_u64_u32 v[29:30], null, v151, 36, s[2:3]
	v_mad_co_i64_i32 v[31:32], null, v31, 36, v[19:20]
	v_mad_co_i64_i32 v[21:22], null, v21, 36, v[19:20]
	;; [unrolled: 1-line block ×8, first 2 shown]
	s_clause 0x8
	global_load_b32 v29, v[29:30], off
	global_load_b32 v30, v[31:32], off offset:4
	global_load_b32 v21, v[21:22], off offset:4
	;; [unrolled: 1-line block ×8, first 2 shown]
	s_wait_loadcnt 0x8
	v_cvt_f32_f16_e32 v28, v29
	s_wait_loadcnt 0x7
	ds_store_b32 v121, v30
	s_wait_loadcnt 0x6
	ds_store_b32 v108, v21
	;; [unrolled: 2-line block ×8, first 2 shown]
	ds_store_b32 v0, v28
	s_wait_dscnt 0x0
	s_barrier_signal -1
	s_barrier_wait -1
	global_inv scope:SCOPE_SE
.LBB142_8:                              ;   Parent Loop BB142_6 Depth=1
                                        ; =>  This Inner Loop Header: Depth=2
	s_wait_alu 0xfffe
	s_lshl_b32 s16, s10, 3
	s_wait_alu 0xfffe
	s_add_co_i32 s11, s16, 0x8200
	v_add_nc_u32_e32 v195, s16, v97
	s_wait_alu 0xfffe
	v_lshl_add_u32 v149, v81, 2, s11
	v_lshl_add_u32 v150, v83, 2, s11
	;; [unrolled: 1-line block ×5, first 2 shown]
	ds_load_2addr_b32 v[21:22], v149 offset0:3 offset1:4
	ds_load_2addr_b32 v[159:160], v150 offset0:1 offset1:2
	;; [unrolled: 1-line block ×4, first 2 shown]
	v_lshl_add_u32 v154, v89, 2, s11
	v_add_nc_u32_e32 v194, s16, v96
	v_add_nc_u32_e32 v196, s16, v98
	v_lshl_add_u32 v156, v93, 2, s11
	v_add_nc_u32_e32 v193, s16, v95
	s_add_co_i32 s16, s10, 0xa200
	ds_load_2addr_b32 v[163:164], v153 offset0:1 offset1:2
	ds_load_2addr_b32 v[167:168], v155 offset0:1 offset1:2
	;; [unrolled: 1-line block ×3, first 2 shown]
	s_wait_dscnt 0x6
	v_lshlrev_b32_e32 v23, 16, v22
	v_lshlrev_b32_e32 v24, 8, v22
	v_perm_b32 v22, v22, v22, 0xc0c0003
	s_delay_alu instid0(VALU_DEP_2)
	v_perm_b32 v27, v24, v23, 0x7030c0c
	s_wait_dscnt 0x3
	v_lshlrev_b32_e32 v23, 16, v157
	v_lshlrev_b32_e32 v24, 8, v157
	s_wait_dscnt 0x2
	v_lshlrev_b32_e32 v37, 8, v163
	v_or_b32_e32 v22, v27, v22
	v_perm_b32 v27, v157, v157, 0xc0c0003
	v_perm_b32 v30, v24, v23, 0x7030c0c
	ds_load_2addr_b32 v[23:24], v150 offset0:3 offset1:4
	v_or_b32_e32 v157, v30, v27
	v_perm_b32 v27, v159, v159, 0xc0c0003
	s_wait_dscnt 0x0
	v_lshlrev_b32_e32 v25, 16, v24
	v_lshlrev_b32_e32 v26, 8, v24
	v_perm_b32 v24, v24, v24, 0xc0c0003
	s_delay_alu instid0(VALU_DEP_2) | instskip(SKIP_2) | instid1(VALU_DEP_3)
	v_perm_b32 v31, v26, v25, 0x7030c0c
	v_lshlrev_b32_e32 v25, 16, v159
	v_lshlrev_b32_e32 v26, 8, v159
	v_or_b32_e32 v24, v31, v24
	s_delay_alu instid0(VALU_DEP_2)
	v_perm_b32 v32, v26, v25, 0x7030c0c
	ds_load_2addr_b32 v[25:26], v152 offset0:3 offset1:4
	v_or_b32_e32 v159, v32, v27
	ds_load_2addr_b32 v[31:32], v195 offset1:1
	s_wait_dscnt 0x1
	v_lshlrev_b32_e32 v28, 16, v26
	v_lshlrev_b32_e32 v29, 8, v26
	v_perm_b32 v26, v26, v26, 0xc0c0003
	s_delay_alu instid0(VALU_DEP_2) | instskip(SKIP_2) | instid1(VALU_DEP_3)
	v_perm_b32 v33, v29, v28, 0x7030c0c
	v_lshlrev_b32_e32 v28, 16, v161
	v_lshlrev_b32_e32 v29, 8, v161
	v_or_b32_e32 v30, v33, v26
	v_perm_b32 v26, v161, v161, 0xc0c0003
	s_delay_alu instid0(VALU_DEP_3)
	v_perm_b32 v34, v29, v28, 0x7030c0c
	ds_load_2addr_b32 v[28:29], v153 offset0:3 offset1:4
	v_or_b32_e32 v161, v34, v26
	ds_load_2addr_b32 v[33:34], v194 offset1:1
	s_wait_dscnt 0x1
	v_lshlrev_b32_e32 v35, 16, v29
	v_lshlrev_b32_e32 v36, 8, v29
	v_perm_b32 v26, v29, v29, 0xc0c0003
	s_delay_alu instid0(VALU_DEP_2) | instskip(SKIP_1) | instid1(VALU_DEP_2)
	v_perm_b32 v35, v36, v35, 0x7030c0c
	v_lshlrev_b32_e32 v36, 16, v163
	v_or_b32_e32 v29, v35, v26
	s_delay_alu instid0(VALU_DEP_2) | instskip(SKIP_2) | instid1(VALU_DEP_1)
	v_perm_b32 v36, v37, v36, 0x7030c0c
	ds_load_2addr_b32 v[37:38], v154 offset0:3 offset1:4
	v_perm_b32 v26, v163, v163, 0xc0c0003
	v_or_b32_e32 v163, v36, v26
	ds_load_2addr_b32 v[35:36], v196 offset1:1
	s_wait_dscnt 0x1
	v_lshlrev_b32_e32 v39, 16, v38
	v_lshlrev_b32_e32 v40, 8, v38
	v_perm_b32 v26, v38, v38, 0xc0c0003
	s_delay_alu instid0(VALU_DEP_2) | instskip(SKIP_2) | instid1(VALU_DEP_3)
	v_perm_b32 v171, v40, v39, 0x7030c0c
	v_lshlrev_b32_e32 v39, 16, v165
	v_lshlrev_b32_e32 v40, 8, v165
	v_or_b32_e32 v38, v171, v26
	v_perm_b32 v26, v165, v165, 0xc0c0003
	s_delay_alu instid0(VALU_DEP_3) | instskip(SKIP_3) | instid1(VALU_DEP_1)
	v_perm_b32 v172, v40, v39, 0x7030c0c
	ds_load_2addr_b32 v[39:40], v155 offset0:3 offset1:4
	v_or_b32_e32 v165, v172, v26
	v_perm_b32 v172, v32, v32, 0x2010003
	v_dot4_i32_iu8 v180, v24, v172, 0 neg_lo:[1,1,0]
	v_dot4_i32_iu8 v183, v30, v172, 0 neg_lo:[1,1,0]
	;; [unrolled: 1-line block ×4, first 2 shown]
	s_wait_dscnt 0x0
	v_lshlrev_b32_e32 v41, 16, v40
	v_lshlrev_b32_e32 v42, 8, v40
	v_perm_b32 v26, v40, v40, 0xc0c0003
	s_delay_alu instid0(VALU_DEP_2) | instskip(SKIP_2) | instid1(VALU_DEP_3)
	v_perm_b32 v173, v42, v41, 0x7030c0c
	v_lshlrev_b32_e32 v41, 16, v167
	v_lshlrev_b32_e32 v42, 8, v167
	v_or_b32_e32 v40, v173, v26
	v_perm_b32 v26, v167, v167, 0xc0c0003
	s_delay_alu instid0(VALU_DEP_3)
	v_perm_b32 v174, v42, v41, 0x7030c0c
	ds_load_2addr_b32 v[41:42], v156 offset0:3 offset1:4
	v_perm_b32 v173, v34, v34, 0x2010003
	v_dot4_i32_iu8 v198, v40, v172, 0 neg_lo:[1,1,0]
	v_or_b32_e32 v167, v174, v26
	v_perm_b32 v174, v36, v36, 0x2010003
	s_delay_alu instid0(VALU_DEP_4)
	v_dot4_i32_iu8 v182, v30, v173, 0 neg_lo:[1,1,0]
	v_dot4_i32_iu8 v186, v29, v173, 0 neg_lo:[1,1,0]
	;; [unrolled: 1-line block ×7, first 2 shown]
	s_wait_dscnt 0x0
	v_lshlrev_b32_e32 v169, 16, v42
	v_lshlrev_b32_e32 v170, 8, v42
	v_perm_b32 v26, v42, v42, 0xc0c0003
	s_delay_alu instid0(VALU_DEP_2) | instskip(SKIP_2) | instid1(VALU_DEP_1)
	v_perm_b32 v175, v170, v169, 0x7030c0c
	ds_load_2addr_b32 v[169:170], v156 offset0:1 offset1:2
	v_or_b32_e32 v42, v175, v26
	v_dot4_i32_iu8 v201, v42, v172, 0 neg_lo:[1,1,0]
	v_dot4_i32_iu8 v200, v42, v173, 0 neg_lo:[1,1,0]
	s_wait_dscnt 0x0
	v_lshlrev_b32_e32 v176, 16, v169
	v_lshlrev_b32_e32 v177, 8, v169
	v_perm_b32 v26, v169, v169, 0xc0c0003
	s_delay_alu instid0(VALU_DEP_2) | instskip(SKIP_1) | instid1(VALU_DEP_2)
	v_perm_b32 v176, v177, v176, 0x7030c0c
	v_dot4_i32_iu8 v177, v22, v172, 0 neg_lo:[1,1,0]
	v_or_b32_e32 v169, v176, v26
	ds_load_2addr_b32 v[26:27], v193 offset1:1
	v_dot4_i32_iu8 v176, v22, v173, 0 neg_lo:[1,1,0]
	s_wait_dscnt 0x0
	v_perm_b32 v171, v27, v27, 0x2010003
	s_delay_alu instid0(VALU_DEP_1)
	v_dot4_i32_iu8 v175, v22, v171, 0 neg_lo:[1,1,0]
	v_dot4_i32_iu8 v178, v24, v171, 0 neg_lo:[1,1,0]
	;; [unrolled: 1-line block ×7, first 2 shown]
	ds_load_2addr_b32 v[29:30], v193 offset0:2 offset1:3
	ds_load_2addr_b32 v[171:172], v194 offset0:2 offset1:3
	v_dot4_i32_iu8 v22, v22, v174, 0 neg_lo:[1,1,0]
	v_dot4_i32_iu8 v24, v24, v174, 0 neg_lo:[1,1,0]
	;; [unrolled: 1-line block ×5, first 2 shown]
	ds_load_2addr_b32 v[173:174], v195 offset0:2 offset1:3
	s_wait_dscnt 0x2
	v_perm_b32 v202, v29, v29, 0x2010003
	s_wait_dscnt 0x1
	v_perm_b32 v204, v171, v171, 0x2010003
	v_perm_b32 v224, v172, v172, 0x2010003
	s_delay_alu instid0(VALU_DEP_3) | instskip(NEXT) | instid1(VALU_DEP_3)
	v_dot4_i32_iu8 v203, v157, v202, v175 neg_lo:[1,1,0]
	v_dot4_i32_iu8 v205, v157, v204, v176 neg_lo:[1,1,0]
	ds_load_2addr_b32 v[175:176], v196 offset0:2 offset1:3
	s_wait_dscnt 0x1
	v_perm_b32 v206, v173, v173, 0x2010003
	v_dot4_i32_iu8 v215, v165, v202, v189 neg_lo:[1,1,0]
	v_dot4_i32_iu8 v216, v165, v204, v190 neg_lo:[1,1,0]
	;; [unrolled: 1-line block ×13, first 2 shown]
	s_wait_dscnt 0x0
	v_perm_b32 v177, v175, v175, 0x2010003
	v_perm_b32 v223, v176, v176, 0x2010003
	s_delay_alu instid0(VALU_DEP_2)
	v_dot4_i32_iu8 v38, v165, v177, v38 neg_lo:[1,1,0]
	v_dot4_i32_iu8 v165, v167, v202, v192 neg_lo:[1,1,0]
	;; [unrolled: 1-line block ×7, first 2 shown]
	v_lshl_add_u32 v169, v79, 2, s11
	v_dot4_i32_iu8 v22, v157, v177, v22 neg_lo:[1,1,0]
	v_dot4_i32_iu8 v157, v159, v202, v178 neg_lo:[1,1,0]
	;; [unrolled: 1-line block ×6, first 2 shown]
	ds_load_2addr_b32 v[177:178], v169 offset0:3 offset1:4
	s_add_co_i32 s11, s10, 0xb280
	s_wait_dscnt 0x0
	v_lshlrev_b32_e32 v201, 8, v178
	v_lshlrev_b32_e32 v202, 24, v178
	;; [unrolled: 1-line block ×3, first 2 shown]
	s_delay_alu instid0(VALU_DEP_3) | instskip(NEXT) | instid1(VALU_DEP_2)
	v_perm_b32 v179, v178, v201, 0x7030c0c
	v_perm_b32 v180, v204, v202, 0xc0c0703
	s_delay_alu instid0(VALU_DEP_1)
	v_or_b32_e32 v185, v179, v180
	ds_load_2addr_b32 v[179:180], v169 offset0:1 offset1:2
	s_wait_dscnt 0x0
	v_lshlrev_b32_e32 v206, 8, v179
	v_lshlrev_b32_e32 v218, 24, v179
	;; [unrolled: 1-line block ×3, first 2 shown]
	s_delay_alu instid0(VALU_DEP_3) | instskip(NEXT) | instid1(VALU_DEP_2)
	v_perm_b32 v181, v179, v206, 0x7030c0c
	v_perm_b32 v182, v219, v218, 0xc0c0703
	s_delay_alu instid0(VALU_DEP_1)
	v_or_b32_e32 v186, v181, v182
	ds_load_2addr_b32 v[181:182], v169 offset0:5 offset1:6
	s_wait_dscnt 0x0
	v_lshlrev_b32_e32 v220, 8, v181
	v_lshlrev_b32_e32 v221, 24, v181
	;; [unrolled: 1-line block ×3, first 2 shown]
	v_perm_b32 v179, v181, v179, 0x7030c0c
	s_delay_alu instid0(VALU_DEP_4) | instskip(SKIP_1) | instid1(VALU_DEP_4)
	v_perm_b32 v183, v181, v220, 0x7030c0c
	v_lshlrev_b32_e32 v181, 16, v180
	v_perm_b32 v184, v222, v221, 0xc0c0703
	s_delay_alu instid0(VALU_DEP_1) | instskip(SKIP_3) | instid1(VALU_DEP_1)
	v_or_b32_e32 v187, v183, v184
	ds_load_2addr_b32 v[183:184], v169 offset1:7
	s_wait_dscnt 0x0
	v_dot4_i32_iu8 v169, v183, v31, 0 neg_lo:[1,1,0]
	v_dot4_i32_iu8 v32, v185, v32, v169 neg_lo:[1,1,0]
	v_perm_b32 v169, v174, v174, 0x2010003
	s_delay_alu instid0(VALU_DEP_2) | instskip(SKIP_1) | instid1(VALU_DEP_2)
	v_dot4_i32_iu8 v32, v186, v173, v32 neg_lo:[1,1,0]
	v_dot4_i32_iu8 v173, v183, v35, 0 neg_lo:[1,1,0]
	;; [unrolled: 1-line block ×3, first 2 shown]
	s_delay_alu instid0(VALU_DEP_2) | instskip(SKIP_1) | instid1(VALU_DEP_2)
	v_dot4_i32_iu8 v36, v185, v36, v173 neg_lo:[1,1,0]
	v_dot4_i32_iu8 v173, v183, v33, 0 neg_lo:[1,1,0]
	;; [unrolled: 1-line block ×3, first 2 shown]
	s_delay_alu instid0(VALU_DEP_2) | instskip(NEXT) | instid1(VALU_DEP_2)
	v_dot4_i32_iu8 v34, v185, v34, v173 neg_lo:[1,1,0]
	v_dot4_i32_iu8 v36, v187, v176, v36 neg_lo:[1,1,0]
	s_delay_alu instid0(VALU_DEP_2) | instskip(NEXT) | instid1(VALU_DEP_1)
	v_dot4_i32_iu8 v34, v186, v171, v34 neg_lo:[1,1,0]
	v_dot4_i32_iu8 v34, v187, v172, v34 neg_lo:[1,1,0]
	ds_load_2addr_b32 v[171:172], v149 offset0:5 offset1:6
	s_wait_dscnt 0x0
	v_lshlrev_b32_e32 v173, 16, v171
	v_lshlrev_b32_e32 v174, 8, v171
	v_perm_b32 v171, v171, v171, 0xc0c0003
	s_delay_alu instid0(VALU_DEP_2) | instskip(SKIP_3) | instid1(VALU_DEP_2)
	v_perm_b32 v225, v174, v173, 0x7030c0c
	ds_load_2addr_b32 v[173:174], v150 offset0:5 offset1:6
	v_or_b32_e32 v171, v225, v171
	v_perm_b32 v225, v30, v30, 0x2010003
	v_dot4_i32_iu8 v205, v171, v224, v205 neg_lo:[1,1,0]
	s_delay_alu instid0(VALU_DEP_2)
	v_dot4_i32_iu8 v203, v171, v225, v203 neg_lo:[1,1,0]
	v_dot4_i32_iu8 v207, v171, v169, v207 neg_lo:[1,1,0]
	v_dot4_i32_iu8 v22, v171, v223, v22 neg_lo:[1,1,0]
	s_wait_dscnt 0x0
	v_lshlrev_b32_e32 v175, 16, v173
	v_lshlrev_b32_e32 v176, 8, v173
	v_perm_b32 v173, v173, v173, 0xc0c0003
	s_delay_alu instid0(VALU_DEP_2) | instskip(SKIP_3) | instid1(VALU_DEP_2)
	v_perm_b32 v226, v176, v175, 0x7030c0c
	ds_load_2addr_b32 v[175:176], v152 offset0:5 offset1:6
	v_or_b32_e32 v173, v226, v173
	v_lshlrev_b32_e32 v226, 8, v168
	v_dot4_i32_iu8 v171, v173, v225, v157 neg_lo:[1,1,0]
	v_dot4_i32_iu8 v208, v173, v224, v208 neg_lo:[1,1,0]
	;; [unrolled: 1-line block ×4, first 2 shown]
	v_lshlrev_b32_e32 v157, 16, v158
	s_wait_dscnt 0x0
	v_lshlrev_b32_e32 v185, 16, v175
	v_lshlrev_b32_e32 v186, 8, v175
	v_perm_b32 v175, v175, v175, 0xc0c0003
	s_delay_alu instid0(VALU_DEP_2) | instskip(SKIP_3) | instid1(VALU_DEP_2)
	v_perm_b32 v227, v186, v185, 0x7030c0c
	ds_load_2addr_b32 v[185:186], v153 offset0:5 offset1:6
	v_or_b32_e32 v175, v227, v175
	v_lshlrev_b32_e32 v227, 16, v170
	v_dot4_i32_iu8 v173, v175, v225, v159 neg_lo:[1,1,0]
	v_dot4_i32_iu8 v210, v175, v224, v210 neg_lo:[1,1,0]
	;; [unrolled: 1-line block ×4, first 2 shown]
	v_lshlrev_b32_e32 v159, 8, v158
	v_lshlrev_b32_e32 v161, 16, v160
	v_perm_b32 v158, v158, v158, 0xc0c0003
	s_delay_alu instid0(VALU_DEP_3) | instskip(SKIP_4) | instid1(VALU_DEP_2)
	v_perm_b32 v157, v159, v157, 0x7030c0c
	s_wait_dscnt 0x0
	v_lshlrev_b32_e32 v187, 16, v185
	v_lshlrev_b32_e32 v188, 8, v185
	v_perm_b32 v185, v185, v185, 0xc0c0003
	v_perm_b32 v228, v188, v187, 0x7030c0c
	ds_load_2addr_b32 v[187:188], v154 offset0:5 offset1:6
	v_or_b32_e32 v185, v228, v185
	v_lshlrev_b32_e32 v228, 8, v170
	v_perm_b32 v170, v170, v170, 0xc0c0003
	s_delay_alu instid0(VALU_DEP_3)
	v_dot4_i32_iu8 v212, v185, v225, v212 neg_lo:[1,1,0]
	v_dot4_i32_iu8 v213, v185, v224, v213 neg_lo:[1,1,0]
	;; [unrolled: 1-line block ×4, first 2 shown]
	v_lshlrev_b32_e32 v163, 8, v160
	v_perm_b32 v160, v160, v160, 0xc0c0003
	s_delay_alu instid0(VALU_DEP_2) | instskip(SKIP_4) | instid1(VALU_DEP_2)
	v_perm_b32 v159, v163, v161, 0x7030c0c
	s_wait_dscnt 0x0
	v_lshlrev_b32_e32 v189, 16, v187
	v_lshlrev_b32_e32 v190, 8, v187
	v_perm_b32 v187, v187, v187, 0xc0c0003
	v_perm_b32 v229, v190, v189, 0x7030c0c
	ds_load_2addr_b32 v[189:190], v155 offset0:5 offset1:6
	v_or_b32_e32 v187, v229, v187
	s_delay_alu instid0(VALU_DEP_1)
	v_dot4_i32_iu8 v215, v187, v225, v215 neg_lo:[1,1,0]
	v_dot4_i32_iu8 v216, v187, v224, v216 neg_lo:[1,1,0]
	;; [unrolled: 1-line block ×4, first 2 shown]
	s_wait_dscnt 0x0
	v_lshlrev_b32_e32 v191, 16, v189
	v_lshlrev_b32_e32 v192, 8, v189
	v_perm_b32 v189, v189, v189, 0xc0c0003
	s_delay_alu instid0(VALU_DEP_2) | instskip(SKIP_2) | instid1(VALU_DEP_1)
	v_perm_b32 v230, v192, v191, 0x7030c0c
	ds_load_2addr_b32 v[191:192], v156 offset0:5 offset1:6
	v_or_b32_e32 v189, v230, v189
	v_dot4_i32_iu8 v165, v189, v225, v165 neg_lo:[1,1,0]
	v_dot4_i32_iu8 v187, v189, v224, v197 neg_lo:[1,1,0]
	;; [unrolled: 1-line block ×4, first 2 shown]
	v_lshlrev_b32_e32 v198, 8, v162
	s_wait_dscnt 0x0
	v_lshlrev_b32_e32 v231, 16, v191
	v_lshlrev_b32_e32 v232, 8, v191
	v_perm_b32 v191, v191, v191, 0xc0c0003
	v_lshlrev_b32_e32 v229, 16, v192
	v_lshlrev_b32_e32 v230, 8, v192
	v_perm_b32 v192, v192, v192, 0xc0c0003
	v_perm_b32 v231, v232, v231, 0x7030c0c
	s_delay_alu instid0(VALU_DEP_1) | instskip(NEXT) | instid1(VALU_DEP_1)
	v_or_b32_e32 v191, v231, v191
	v_dot4_i32_iu8 v167, v191, v225, v167 neg_lo:[1,1,0]
	v_dot4_i32_iu8 v189, v191, v224, v199 neg_lo:[1,1,0]
	;; [unrolled: 1-line block ×4, first 2 shown]
	v_lshlrev_b32_e32 v191, 16, v162
	v_lshlrev_b32_e32 v199, 16, v164
	;; [unrolled: 1-line block ×5, first 2 shown]
	v_perm_b32 v162, v162, v162, 0xc0c0003
	v_perm_b32 v164, v164, v164, 0xc0c0003
	v_lshlrev_b32_e32 v225, 16, v168
	v_perm_b32 v161, v198, v191, 0x7030c0c
	v_perm_b32 v163, v200, v199, 0x7030c0c
	v_perm_b32 v191, v224, v223, 0x7030c0c
	v_or_b32_e32 v200, v157, v158
	v_or_b32_e32 v223, v159, v160
	ds_load_2addr_b32 v[157:158], v193 offset0:4 offset1:5
	ds_load_2addr_b32 v[159:160], v194 offset0:4 offset1:5
	v_perm_b32 v198, v226, v225, 0x7030c0c
	v_or_b32_e32 v224, v161, v162
	v_or_b32_e32 v225, v163, v164
	ds_load_2addr_b32 v[161:162], v195 offset0:4 offset1:5
	ds_load_2addr_b32 v[163:164], v196 offset0:4 offset1:5
	v_perm_b32 v166, v166, v166, 0xc0c0003
	v_perm_b32 v199, v228, v227, 0x7030c0c
	;; [unrolled: 1-line block ×3, first 2 shown]
	v_lshlrev_b32_e32 v227, 16, v190
	v_lshlrev_b32_e32 v228, 8, v190
	v_or_b32_e32 v166, v191, v166
	v_or_b32_e32 v170, v199, v170
	;; [unrolled: 1-line block ×3, first 2 shown]
	v_perm_b32 v190, v190, v190, 0xc0c0003
	s_wait_dscnt 0x3
	v_perm_b32 v191, v157, v157, 0x2010003
	s_wait_dscnt 0x2
	v_perm_b32 v199, v159, v159, 0x2010003
	s_delay_alu instid0(VALU_DEP_2) | instskip(NEXT) | instid1(VALU_DEP_2)
	v_dot4_i32_iu8 v198, v200, v191, v203 neg_lo:[1,1,0]
	v_dot4_i32_iu8 v203, v200, v199, v205 neg_lo:[1,1,0]
	s_wait_dscnt 0x1
	v_perm_b32 v205, v161, v161, 0x2010003
	s_wait_dscnt 0x0
	v_perm_b32 v226, v163, v163, 0x2010003
	v_dot4_i32_iu8 v165, v168, v191, v165 neg_lo:[1,1,0]
	v_dot4_i32_iu8 v167, v170, v191, v167 neg_lo:[1,1,0]
	;; [unrolled: 1-line block ×22, first 2 shown]
	v_lshlrev_b32_e32 v170, 8, v180
	v_lshlrev_b32_e32 v189, 24, v180
	v_dot4_i32_iu8 v173, v224, v191, v173 neg_lo:[1,1,0]
	v_perm_b32 v191, v182, v180, 0xc0c0703
	v_lshlrev_b32_e32 v197, 8, v182
	v_perm_b32 v180, v180, v170, 0x7030c0c
	v_lshlrev_b32_e32 v199, 16, v182
	v_lshlrev_b32_e32 v205, 24, v182
	v_perm_b32 v217, v181, v189, 0xc0c0703
	v_perm_b32 v182, v182, v197, 0x7030c0c
	v_dot4_i32_iu8 v24, v223, v226, v24 neg_lo:[1,1,0]
	v_dot4_i32_iu8 v175, v224, v226, v175 neg_lo:[1,1,0]
	;; [unrolled: 1-line block ×3, first 2 shown]
	v_or_b32_e32 v180, v180, v217
	v_perm_b32 v217, v199, v205, 0xc0c0703
	v_lshlrev_b32_e32 v223, 16, v186
	v_lshlrev_b32_e32 v224, 8, v186
	;; [unrolled: 1-line block ×3, first 2 shown]
	v_dot4_i32_iu8 v32, v180, v161, v32 neg_lo:[1,1,0]
	v_or_b32_e32 v182, v182, v217
	v_dot4_i32_iu8 v36, v180, v163, v36 neg_lo:[1,1,0]
	v_dot4_i32_iu8 v34, v180, v159, v34 neg_lo:[1,1,0]
	v_perm_b32 v161, v162, v162, 0x2010003
	v_perm_b32 v159, v160, v160, 0x2010003
	v_dot4_i32_iu8 v32, v182, v162, v32 neg_lo:[1,1,0]
	v_dot4_i32_iu8 v162, v182, v164, v36 neg_lo:[1,1,0]
	v_perm_b32 v36, v164, v164, 0x2010003
	v_dot4_i32_iu8 v34, v182, v160, v34 neg_lo:[1,1,0]
	v_lshlrev_b32_e32 v160, 16, v172
	v_lshlrev_b32_e32 v163, 8, v172
	v_perm_b32 v164, v172, v172, 0xc0c0003
	v_lshlrev_b32_e32 v172, 16, v174
	v_lshlrev_b32_e32 v180, 8, v174
	;; [unrolled: 1-line block ×5, first 2 shown]
	v_perm_b32 v174, v174, v174, 0xc0c0003
	v_perm_b32 v176, v176, v176, 0xc0c0003
	;; [unrolled: 1-line block ×11, first 2 shown]
	v_or_b32_e32 v160, v160, v164
	v_or_b32_e32 v163, v163, v174
	;; [unrolled: 1-line block ×7, first 2 shown]
	v_perm_b32 v182, v158, v158, 0x2010003
	v_dot4_i32_iu8 v188, v160, v159, v203 neg_lo:[1,1,0]
	v_dot4_i32_iu8 v190, v160, v161, v207 neg_lo:[1,1,0]
	;; [unrolled: 1-line block ×28, first 2 shown]
	v_lshlrev_b32_e32 v22, 16, v21
	v_lshlrev_b32_e32 v24, 8, v21
	;; [unrolled: 1-line block ×12, first 2 shown]
	v_perm_b32 v21, v21, v21, 0xc0c0003
	v_perm_b32 v23, v23, v23, 0xc0c0003
	v_perm_b32 v25, v25, v25, 0xc0c0003
	v_perm_b32 v28, v28, v28, 0xc0c0003
	v_perm_b32 v37, v37, v37, 0xc0c0003
	v_perm_b32 v39, v39, v39, 0xc0c0003
	v_perm_b32 v22, v24, v22, 0x7030c0c
	v_perm_b32 v24, v38, v36, 0x7030c0c
	v_perm_b32 v36, v169, v168, 0x7030c0c
	v_perm_b32 v38, v180, v176, 0x7030c0c
	v_perm_b32 v168, v211, v182, 0x7030c0c
	v_perm_b32 v169, v213, v212, 0x7030c0c
	v_or_b32_e32 v180, v22, v21
	v_or_b32_e32 v182, v24, v23
	;; [unrolled: 1-line block ×6, first 2 shown]
	ds_load_2addr_b32 v[21:22], v193 offset0:6 offset1:7
	ds_load_2addr_b32 v[23:24], v194 offset0:6 offset1:7
	;; [unrolled: 1-line block ×4, first 2 shown]
	v_lshlrev_b32_e32 v214, 16, v41
	v_lshlrev_b32_e32 v215, 8, v41
	v_perm_b32 v41, v41, v41, 0xc0c0003
	v_perm_b32 v170, v197, v170, 0xc0c0703
	s_delay_alu instid0(VALU_DEP_3) | instskip(NEXT) | instid1(VALU_DEP_1)
	v_perm_b32 v176, v215, v214, 0x7030c0c
	v_or_b32_e32 v41, v176, v41
	s_wait_dscnt 0x3
	v_perm_b32 v176, v21, v21, 0x2010003
	s_wait_dscnt 0x2
	v_perm_b32 v193, v23, v23, 0x2010003
	;; [unrolled: 2-line block ×4, first 2 shown]
	v_dot4_i32_iu8 v186, v180, v176, v186 neg_lo:[1,1,0]
	v_dot4_i32_iu8 v188, v180, v193, v188 neg_lo:[1,1,0]
	;; [unrolled: 1-line block ×3, first 2 shown]
	s_delay_alu instid0(VALU_DEP_4)
	v_dot4_i32_iu8 v160, v180, v195, v160 neg_lo:[1,1,0]
	v_dot4_i32_iu8 v171, v182, v176, v171 neg_lo:[1,1,0]
	;; [unrolled: 1-line block ×22, first 2 shown]
	v_lshlrev_b32_e32 v176, 8, v177
	v_lshlrev_b32_e32 v187, 16, v177
	;; [unrolled: 1-line block ×3, first 2 shown]
	v_dot4_i32_iu8 v169, v169, v195, v40 neg_lo:[1,1,0]
	v_dot4_i32_iu8 v161, v41, v194, v161 neg_lo:[1,1,0]
	;; [unrolled: 1-line block ×3, first 2 shown]
	v_perm_b32 v40, v177, v176, 0x7030c0c
	v_perm_b32 v41, v187, v193, 0xc0c0703
	v_lshlrev_b32_e32 v194, 8, v184
	v_lshlrev_b32_e32 v195, 16, v184
	;; [unrolled: 1-line block ×3, first 2 shown]
	v_perm_b32 v208, v37, v37, 0x2010003
	v_or_b32_e32 v40, v40, v41
	v_perm_b32 v41, v184, v194, 0x7030c0c
	v_perm_b32 v209, v39, v39, 0x2010003
	;; [unrolled: 1-line block ×3, first 2 shown]
	s_delay_alu instid0(VALU_DEP_4) | instskip(NEXT) | instid1(VALU_DEP_2)
	v_dot4_i32_iu8 v23, v40, v23, v34 neg_lo:[1,1,0]
	v_or_b32_e32 v41, v41, v207
	v_perm_b32 v207, v24, v24, 0x2010003
	s_delay_alu instid0(VALU_DEP_2) | instskip(SKIP_1) | instid1(VALU_DEP_1)
	v_dot4_i32_iu8 v34, v41, v24, v23 neg_lo:[1,1,0]
	v_dot4_i32_iu8 v23, v40, v36, v32 neg_lo:[1,1,0]
	v_dot4_i32_iu8 v32, v41, v37, v23 neg_lo:[1,1,0]
	v_dot4_i32_iu8 v23, v40, v38, v162 neg_lo:[1,1,0]
	s_delay_alu instid0(VALU_DEP_1)
	v_dot4_i32_iu8 v162, v41, v39, v23 neg_lo:[1,1,0]
	ds_load_2addr_b32 v[23:24], v149 offset1:7
	s_wait_dscnt 0x0
	v_lshlrev_b32_e32 v36, 16, v24
	v_lshlrev_b32_e32 v37, 8, v24
	v_perm_b32 v24, v24, v24, 0xc0c0003
	s_delay_alu instid0(VALU_DEP_2) | instskip(SKIP_2) | instid1(VALU_DEP_1)
	v_perm_b32 v210, v37, v36, 0x7030c0c
	ds_load_2addr_b32 v[36:37], v150 offset1:7
	v_or_b32_e32 v24, v210, v24
	v_dot4_i32_iu8 v188, v24, v207, v188 neg_lo:[1,1,0]
	v_dot4_i32_iu8 v190, v24, v208, v190 neg_lo:[1,1,0]
	s_wait_dscnt 0x0
	v_lshlrev_b32_e32 v38, 16, v37
	v_lshlrev_b32_e32 v39, 8, v37
	v_perm_b32 v37, v37, v37, 0xc0c0003
	s_delay_alu instid0(VALU_DEP_2)
	v_perm_b32 v211, v39, v38, 0x7030c0c
	ds_load_2addr_b32 v[38:39], v152 offset1:7
	v_or_b32_e32 v37, v211, v37
	s_wait_dscnt 0x0
	v_lshlrev_b32_e32 v40, 16, v39
	v_lshlrev_b32_e32 v41, 8, v39
	v_perm_b32 v39, v39, v39, 0xc0c0003
	s_delay_alu instid0(VALU_DEP_2) | instskip(SKIP_2) | instid1(VALU_DEP_1)
	v_perm_b32 v212, v41, v40, 0x7030c0c
	ds_load_2addr_b32 v[40:41], v153 offset1:7
	v_or_b32_e32 v39, v212, v39
	v_dot4_i32_iu8 v25, v39, v209, v25 neg_lo:[1,1,0]
	s_delay_alu instid0(VALU_DEP_1) | instskip(SKIP_4) | instid1(VALU_DEP_2)
	v_dot4_i32_iu8 v25, v38, v35, v25 neg_lo:[1,1,0]
	s_wait_dscnt 0x0
	v_lshlrev_b32_e32 v149, 16, v41
	v_lshlrev_b32_e32 v150, 8, v41
	v_perm_b32 v41, v41, v41, 0xc0c0003
	v_perm_b32 v213, v150, v149, 0x7030c0c
	ds_load_2addr_b32 v[149:150], v154 offset1:7
	v_or_b32_e32 v41, v213, v41
	s_delay_alu instid0(VALU_DEP_1) | instskip(NEXT) | instid1(VALU_DEP_1)
	v_dot4_i32_iu8 v28, v41, v209, v28 neg_lo:[1,1,0]
	v_dot4_i32_iu8 v28, v40, v35, v28 neg_lo:[1,1,0]
	s_wait_dscnt 0x0
	v_lshlrev_b32_e32 v152, 16, v150
	v_lshlrev_b32_e32 v153, 8, v150
	v_perm_b32 v150, v150, v150, 0xc0c0003
	s_delay_alu instid0(VALU_DEP_2)
	v_perm_b32 v214, v153, v152, 0x7030c0c
	ds_load_2addr_b32 v[152:153], v155 offset1:7
	v_or_b32_e32 v150, v214, v150
	s_wait_dscnt 0x0
	v_lshlrev_b32_e32 v154, 16, v153
	v_lshlrev_b32_e32 v155, 8, v153
	v_perm_b32 v153, v153, v153, 0xc0c0003
	s_delay_alu instid0(VALU_DEP_2) | instskip(SKIP_2) | instid1(VALU_DEP_1)
	v_perm_b32 v215, v155, v154, 0x7030c0c
	ds_load_2addr_b32 v[154:155], v156 offset1:7
	v_or_b32_e32 v153, v215, v153
	v_dot4_i32_iu8 v166, v153, v207, v166 neg_lo:[1,1,0]
	s_delay_alu instid0(VALU_DEP_1) | instskip(SKIP_4) | instid1(VALU_DEP_2)
	v_dot4_i32_iu8 v166, v152, v33, v166 neg_lo:[1,1,0]
	s_wait_dscnt 0x0
	v_lshlrev_b32_e32 v156, 16, v155
	v_lshlrev_b32_e32 v216, 8, v155
	v_perm_b32 v155, v155, v155, 0xc0c0003
	v_perm_b32 v156, v216, v156, 0x7030c0c
	s_delay_alu instid0(VALU_DEP_1) | instskip(SKIP_1) | instid1(VALU_DEP_2)
	v_or_b32_e32 v155, v156, v155
	v_perm_b32 v156, v22, v22, 0x2010003
	v_dot4_i32_iu8 v159, v155, v207, v159 neg_lo:[1,1,0]
	s_delay_alu instid0(VALU_DEP_2)
	v_dot4_i32_iu8 v186, v24, v156, v186 neg_lo:[1,1,0]
	v_dot4_i32_iu8 v24, v24, v209, v160 neg_lo:[1,1,0]
	;; [unrolled: 1-line block ×37, first 2 shown]
	v_perm_b32 v150, v184, v177, 0x7030c0c
	v_perm_b32 v175, v158, v157, 0xc0c0703
	;; [unrolled: 1-line block ×3, first 2 shown]
	v_dot4_i32_iu8 v40, v26, v149, v41 neg_lo:[1,1,0]
	v_dot4_i32_iu8 v41, v149, v33, v172 neg_lo:[1,1,0]
	;; [unrolled: 1-line block ×10, first 2 shown]
	v_perm_b32 v149, v26, v178, 0xc0c0703
	v_perm_b32 v154, v183, v27, 0xc0c0703
	v_or_b32_e32 v175, v177, v175
	v_perm_b32 v177, v30, v29, 0x7030c0c
	v_or_b32_e32 v150, v150, v191
	v_or_b32_e32 v149, v179, v149
	v_perm_b32 v153, v183, v27, 0xc0c0501
	v_perm_b32 v156, v183, v27, 0xc0c0400
	v_or_b32_e32 v154, v177, v154
	v_perm_b32 v27, v183, v27, 0xc0c0602
	v_perm_b32 v159, v26, v204, 0xc0c0503
	;; [unrolled: 1-line block ×4, first 2 shown]
	v_dot4_i32_iu8 v149, v149, v154, 0 neg_lo:[1,1,0]
	v_perm_b32 v154, v22, v21, 0x6020c0c
	v_cvt_f32_i32_e32 v23, v23
	s_delay_alu instid0(VALU_DEP_3) | instskip(SKIP_2) | instid1(VALU_DEP_2)
	v_dot4_i32_iu8 v149, v150, v175, v149 neg_lo:[1,1,0]
	v_perm_b32 v150, v158, v157, 0xc0c0602
	v_perm_b32 v175, v30, v29, 0x6020c0c
	v_or_b32_e32 v150, v154, v150
	v_perm_b32 v154, v220, v206, 0x7030c0c
	s_delay_alu instid0(VALU_DEP_3) | instskip(SKIP_1) | instid1(VALU_DEP_3)
	v_or_b32_e32 v27, v175, v27
	v_perm_b32 v175, v194, v176, 0x7030c0c
	v_or_b32_e32 v26, v154, v26
	s_delay_alu instid0(VALU_DEP_2) | instskip(SKIP_1) | instid1(VALU_DEP_3)
	v_or_b32_e32 v154, v175, v170
	v_perm_b32 v170, v195, v187, 0x7030c0c
	v_dot4_i32_iu8 v26, v26, v27, 0 neg_lo:[1,1,0]
	v_perm_b32 v27, v158, v157, 0xc0c0501
	s_delay_alu instid0(VALU_DEP_2)
	v_dot4_i32_iu8 v26, v154, v150, v26 neg_lo:[1,1,0]
	v_perm_b32 v150, v22, v21, 0x5010c0c
	v_perm_b32 v154, v30, v29, 0x5010c0c
	;; [unrolled: 1-line block ×5, first 2 shown]
	v_or_b32_e32 v27, v150, v27
	v_perm_b32 v150, v222, v219, 0x7030c0c
	v_or_b32_e32 v153, v154, v153
	v_perm_b32 v154, v199, v181, 0xc0c0703
	;; [unrolled: 2-line block ×3, first 2 shown]
	v_or_b32_e32 v150, v150, v159
	v_or_b32_e32 v29, v29, v161
	;; [unrolled: 1-line block ×3, first 2 shown]
	s_delay_alu instid0(VALU_DEP_3) | instskip(NEXT) | instid1(VALU_DEP_3)
	v_dot4_i32_iu8 v150, v150, v153, 0 neg_lo:[1,1,0]
	v_dot4_i32_iu8 v22, v29, v22, 0 neg_lo:[1,1,0]
	s_delay_alu instid0(VALU_DEP_2) | instskip(SKIP_1) | instid1(VALU_DEP_1)
	v_dot4_i32_iu8 v27, v154, v27, v150 neg_lo:[1,1,0]
	v_perm_b32 v150, v158, v157, 0xc0c0400
	v_or_b32_e32 v21, v21, v150
	v_perm_b32 v150, v203, v193, 0x7030c0c
	s_delay_alu instid0(VALU_DEP_1) | instskip(SKIP_1) | instid1(VALU_DEP_2)
	v_or_b32_e32 v30, v150, v30
	v_lshlrev_b32_e32 v150, 2, v1
	v_dot4_i32_iu8 v21, v30, v21, v22 neg_lo:[1,1,0]
	v_add_nc_u32_e32 v22, v27, v149
	v_lshlrev_b32_e32 v149, 2, v46
	s_delay_alu instid0(VALU_DEP_2) | instskip(SKIP_2) | instid1(VALU_DEP_3)
	v_add3_u32 v21, v21, v26, v22
	s_wait_alu 0xfffe
	v_add_nc_u32_e32 v22, s11, v80
	v_add3_u32 v26, s16, v149, v150
	s_delay_alu instid0(VALU_DEP_3) | instskip(SKIP_4) | instid1(VALU_DEP_1)
	v_cvt_f32_i32_e32 v21, v21
	ds_load_b32 v22, v22
	ds_load_b32 v26, v26
	s_wait_dscnt 0x0
	v_mul_f32_e32 v27, v22, v26
	v_fmac_f32_e32 v47, v27, v21
	v_add3_u32 v21, s16, v123, v125
	v_cvt_f32_i32_e32 v27, v34
	ds_load_b32 v21, v21
	s_wait_dscnt 0x0
	v_mul_f32_e32 v29, v22, v21
	s_delay_alu instid0(VALU_DEP_1)
	v_fmac_f32_e32 v140, v29, v27
	v_add3_u32 v27, s16, v127, v129
	v_cvt_f32_i32_e32 v29, v32
	ds_load_b32 v27, v27
	s_wait_dscnt 0x0
	v_mul_f32_e32 v30, v22, v27
	s_delay_alu instid0(VALU_DEP_1)
	;; [unrolled: 7-line block ×3, first 2 shown]
	v_fmac_f32_e32 v148, v22, v30
	v_add_nc_u32_e32 v22, s11, v82
	v_cvt_f32_i32_e32 v30, v155
	ds_load_b32 v22, v22
	s_wait_dscnt 0x0
	v_mul_f32_e32 v32, v26, v22
	s_delay_alu instid0(VALU_DEP_1) | instskip(SKIP_2) | instid1(VALU_DEP_1)
	v_fmac_f32_e32 v126, v32, v30
	v_cvt_f32_i32_e32 v30, v167
	v_mul_f32_e32 v32, v21, v22
	v_fmac_f32_e32 v137, v32, v30
	v_mul_f32_e32 v32, v27, v22
	v_mul_f32_e32 v22, v29, v22
	v_cvt_f32_i32_e32 v30, v169
	s_delay_alu instid0(VALU_DEP_2) | instskip(SKIP_1) | instid1(VALU_DEP_3)
	v_dual_fmac_f32 v147, v22, v23 :: v_dual_add_nc_u32 v22, s11, v84
	v_cvt_f32_i32_e32 v23, v24
	v_fmac_f32_e32 v143, v32, v30
	ds_load_b32 v22, v22
	s_wait_dscnt 0x0
	v_mul_f32_e32 v24, v26, v22
	s_delay_alu instid0(VALU_DEP_1) | instskip(SKIP_2) | instid1(VALU_DEP_1)
	v_fmac_f32_e32 v120, v24, v23
	v_cvt_f32_i32_e32 v23, v160
	v_mul_f32_e32 v24, v21, v22
	v_fmac_f32_e32 v134, v24, v23
	v_cvt_f32_i32_e32 v23, v171
	v_mul_f32_e32 v24, v27, v22
	s_delay_alu instid0(VALU_DEP_1) | instskip(SKIP_1) | instid1(VALU_DEP_1)
	v_dual_mul_f32 v22, v29, v22 :: v_dual_fmac_f32 v141, v24, v23
	v_cvt_f32_i32_e32 v23, v36
	v_fmac_f32_e32 v146, v22, v23
	v_add_nc_u32_e32 v22, s11, v86
	v_cvt_f32_i32_e32 v23, v37
	ds_load_b32 v22, v22
	s_wait_dscnt 0x0
	v_mul_f32_e32 v24, v26, v22
	s_delay_alu instid0(VALU_DEP_1) | instskip(SKIP_2) | instid1(VALU_DEP_1)
	v_fmac_f32_e32 v114, v24, v23
	v_cvt_f32_i32_e32 v23, v163
	v_mul_f32_e32 v24, v21, v22
	v_fmac_f32_e32 v128, v24, v23
	v_cvt_f32_i32_e32 v23, v173
	v_mul_f32_e32 v24, v27, v22
	v_mul_f32_e32 v22, v29, v22
	s_delay_alu instid0(VALU_DEP_2) | instskip(SKIP_1) | instid1(VALU_DEP_1)
	v_fmac_f32_e32 v138, v24, v23
	v_cvt_f32_i32_e32 v23, v25
	v_fmac_f32_e32 v144, v22, v23
	v_add_nc_u32_e32 v22, s11, v88
	v_cvt_f32_i32_e32 v23, v38
	ds_load_b32 v22, v22
	s_wait_dscnt 0x0
	v_mul_f32_e32 v24, v26, v22
	s_delay_alu instid0(VALU_DEP_1) | instskip(SKIP_2) | instid1(VALU_DEP_1)
	v_fmac_f32_e32 v109, v24, v23
	v_cvt_f32_i32_e32 v23, v39
	v_mul_f32_e32 v24, v21, v22
	v_fmac_f32_e32 v122, v24, v23
	v_cvt_f32_i32_e32 v23, v164
	v_mul_f32_e32 v24, v27, v22
	s_delay_alu instid0(VALU_DEP_1) | instskip(SKIP_1) | instid1(VALU_DEP_1)
	v_dual_mul_f32 v22, v29, v22 :: v_dual_fmac_f32 v135, v24, v23
	v_cvt_f32_i32_e32 v23, v28
	v_fmac_f32_e32 v142, v22, v23
	v_add_nc_u32_e32 v22, s11, v90
	v_cvt_f32_i32_e32 v23, v40
	ds_load_b32 v22, v22
	s_wait_dscnt 0x0
	v_mul_f32_e32 v24, v26, v22
	s_delay_alu instid0(VALU_DEP_1) | instskip(SKIP_2) | instid1(VALU_DEP_1)
	v_fmac_f32_e32 v104, v24, v23
	v_cvt_f32_i32_e32 v23, v41
	v_mul_f32_e32 v24, v21, v22
	v_fmac_f32_e32 v116, v24, v23
	v_cvt_f32_i32_e32 v23, v172
	v_mul_f32_e32 v24, v27, v22
	v_mul_f32_e32 v22, v29, v22
	s_delay_alu instid0(VALU_DEP_2) | instskip(SKIP_1) | instid1(VALU_DEP_1)
	v_fmac_f32_e32 v130, v24, v23
	v_cvt_f32_i32_e32 v23, v174
	v_dual_fmac_f32 v139, v22, v23 :: v_dual_add_nc_u32 v22, s11, v92
	v_cvt_f32_i32_e32 v23, v165
	ds_load_b32 v22, v22
	s_wait_dscnt 0x0
	v_mul_f32_e32 v24, v26, v22
	s_delay_alu instid0(VALU_DEP_1) | instskip(SKIP_2) | instid1(VALU_DEP_1)
	v_fmac_f32_e32 v101, v24, v23
	v_cvt_f32_i32_e32 v23, v166
	v_mul_f32_e32 v24, v21, v22
	v_fmac_f32_e32 v111, v24, v23
	v_cvt_f32_i32_e32 v23, v168
	v_mul_f32_e32 v24, v27, v22
	v_mul_f32_e32 v22, v29, v22
	s_delay_alu instid0(VALU_DEP_2) | instskip(SKIP_2) | instid1(VALU_DEP_2)
	v_fmac_f32_e32 v124, v24, v23
	v_cvt_f32_i32_e32 v23, v152
	v_cvt_f32_i32_e32 v24, v42
	v_fmac_f32_e32 v136, v22, v23
	v_add_nc_u32_e32 v22, s11, v94
	s_add_co_i32 s11, s10, 4
	s_cmp_lt_u32 s10, 12
	s_wait_alu 0xfffe
	s_mov_b32 s10, s11
	ds_load_b32 v22, v22
	s_wait_dscnt 0x0
	v_mul_f32_e32 v23, v26, v22
	s_delay_alu instid0(VALU_DEP_1) | instskip(SKIP_1) | instid1(VALU_DEP_1)
	v_dual_mul_f32 v21, v21, v22 :: v_dual_fmac_f32 v100, v23, v24
	v_cvt_f32_i32_e32 v23, v33
	v_dual_fmac_f32 v106, v21, v23 :: v_dual_mul_f32 v21, v27, v22
	v_cvt_f32_i32_e32 v23, v31
	s_delay_alu instid0(VALU_DEP_1) | instskip(SKIP_2) | instid1(VALU_DEP_1)
	v_fmac_f32_e32 v118, v21, v23
	v_mul_f32_e32 v21, v29, v22
	v_cvt_f32_i32_e32 v22, v35
	v_fmac_f32_e32 v132, v21, v22
	s_cbranch_scc1 .LBB142_8
; %bb.9:                                ;   in Loop: Header=BB142_6 Depth=1
	s_and_b32 s10, s7, -4
	s_wait_loadcnt 0x0
	s_wait_alu 0xfffe
	s_cmp_eq_u32 s10, 4
	s_barrier_signal -1
	s_barrier_wait -1
	global_inv scope:SCOPE_SE
	s_cbranch_scc1 .LBB142_5
; %bb.10:                               ;   in Loop: Header=BB142_6 Depth=1
	v_add_nc_u32_e32 v29, s4, v99
	v_add_nc_u32_e32 v30, 4, v151
	s_mov_b32 s10, 16
	s_delay_alu instid0(VALU_DEP_2)
	v_add_nc_u32_e32 v31, v29, v78
	v_add_nc_u32_e32 v21, v29, v71
	;; [unrolled: 1-line block ×8, first 2 shown]
	v_mad_co_u64_u32 v[29:30], null, v30, 36, s[2:3]
	v_mad_co_i64_i32 v[31:32], null, v31, 36, v[19:20]
	v_mad_co_i64_i32 v[21:22], null, v21, 36, v[19:20]
	;; [unrolled: 1-line block ×8, first 2 shown]
	s_clause 0x8
	global_load_b32 v29, v[29:30], off
	global_load_b32 v30, v[31:32], off offset:4
	global_load_b32 v21, v[21:22], off offset:4
	;; [unrolled: 1-line block ×8, first 2 shown]
	s_wait_loadcnt 0x8
	v_cvt_f32_f16_e32 v28, v29
	s_wait_loadcnt 0x7
	ds_store_b32 v121, v30
	s_wait_loadcnt 0x6
	ds_store_b32 v108, v21
	;; [unrolled: 2-line block ×8, first 2 shown]
	ds_store_b32 v0, v28
	s_wait_dscnt 0x0
	s_barrier_signal -1
	s_barrier_wait -1
	global_inv scope:SCOPE_SE
.LBB142_11:                             ;   Parent Loop BB142_6 Depth=1
                                        ; =>  This Inner Loop Header: Depth=2
	s_wait_alu 0xfffe
	s_lshl_b32 s11, s10, 3
	s_wait_alu 0xfffe
	s_and_b32 s16, s11, 0x60
	v_add_nc_u32_e32 v195, s11, v96
	s_wait_alu 0xfffe
	s_or_b32 s16, s16, 0x8200
	v_add_nc_u32_e32 v196, s11, v97
	s_wait_alu 0xfffe
	v_lshl_add_u32 v151, v81, 2, s16
	v_lshl_add_u32 v152, v83, 2, s16
	;; [unrolled: 1-line block ×5, first 2 shown]
	ds_load_2addr_b32 v[21:22], v151 offset0:3 offset1:4
	ds_load_2addr_b32 v[160:161], v152 offset0:1 offset1:2
	;; [unrolled: 1-line block ×4, first 2 shown]
	v_lshl_add_u32 v155, v89, 2, s16
	v_add_nc_u32_e32 v197, s11, v98
	v_lshl_add_u32 v157, v93, 2, s16
	v_add_nc_u32_e32 v194, s11, v95
	s_and_b32 s11, s10, 12
	ds_load_2addr_b32 v[164:165], v154 offset0:1 offset1:2
	ds_load_2addr_b32 v[168:169], v156 offset0:1 offset1:2
	s_wait_alu 0xfffe
	s_or_b32 s11, s11, 0xb280
	ds_load_2addr_b32 v[166:167], v155 offset0:1 offset1:2
	s_wait_dscnt 0x6
	v_lshlrev_b32_e32 v23, 16, v22
	v_lshlrev_b32_e32 v24, 8, v22
	v_perm_b32 v22, v22, v22, 0xc0c0003
	s_delay_alu instid0(VALU_DEP_2)
	v_perm_b32 v27, v24, v23, 0x7030c0c
	s_wait_dscnt 0x3
	v_lshlrev_b32_e32 v23, 16, v158
	v_lshlrev_b32_e32 v24, 8, v158
	s_wait_dscnt 0x2
	v_lshlrev_b32_e32 v37, 8, v164
	v_or_b32_e32 v22, v27, v22
	v_perm_b32 v27, v158, v158, 0xc0c0003
	v_perm_b32 v30, v24, v23, 0x7030c0c
	ds_load_2addr_b32 v[23:24], v152 offset0:3 offset1:4
	v_or_b32_e32 v158, v30, v27
	v_perm_b32 v27, v160, v160, 0xc0c0003
	s_wait_dscnt 0x0
	v_lshlrev_b32_e32 v25, 16, v24
	v_lshlrev_b32_e32 v26, 8, v24
	v_perm_b32 v24, v24, v24, 0xc0c0003
	s_delay_alu instid0(VALU_DEP_2) | instskip(SKIP_2) | instid1(VALU_DEP_3)
	v_perm_b32 v31, v26, v25, 0x7030c0c
	v_lshlrev_b32_e32 v25, 16, v160
	v_lshlrev_b32_e32 v26, 8, v160
	v_or_b32_e32 v24, v31, v24
	s_delay_alu instid0(VALU_DEP_2)
	v_perm_b32 v32, v26, v25, 0x7030c0c
	ds_load_2addr_b32 v[25:26], v153 offset0:3 offset1:4
	v_or_b32_e32 v160, v32, v27
	ds_load_2addr_b32 v[31:32], v195 offset1:1
	s_wait_dscnt 0x1
	v_lshlrev_b32_e32 v28, 16, v26
	v_lshlrev_b32_e32 v29, 8, v26
	v_perm_b32 v26, v26, v26, 0xc0c0003
	s_delay_alu instid0(VALU_DEP_2) | instskip(SKIP_2) | instid1(VALU_DEP_3)
	v_perm_b32 v33, v29, v28, 0x7030c0c
	v_lshlrev_b32_e32 v28, 16, v162
	v_lshlrev_b32_e32 v29, 8, v162
	v_or_b32_e32 v30, v33, v26
	v_perm_b32 v26, v162, v162, 0xc0c0003
	s_delay_alu instid0(VALU_DEP_3)
	v_perm_b32 v34, v29, v28, 0x7030c0c
	ds_load_2addr_b32 v[28:29], v154 offset0:3 offset1:4
	v_or_b32_e32 v162, v34, v26
	ds_load_2addr_b32 v[33:34], v196 offset1:1
	s_wait_dscnt 0x1
	v_lshlrev_b32_e32 v35, 16, v29
	v_lshlrev_b32_e32 v36, 8, v29
	v_perm_b32 v26, v29, v29, 0xc0c0003
	s_delay_alu instid0(VALU_DEP_2) | instskip(SKIP_1) | instid1(VALU_DEP_2)
	v_perm_b32 v35, v36, v35, 0x7030c0c
	v_lshlrev_b32_e32 v36, 16, v164
	v_or_b32_e32 v29, v35, v26
	s_delay_alu instid0(VALU_DEP_2) | instskip(SKIP_2) | instid1(VALU_DEP_1)
	v_perm_b32 v36, v37, v36, 0x7030c0c
	ds_load_2addr_b32 v[37:38], v155 offset0:3 offset1:4
	v_perm_b32 v26, v164, v164, 0xc0c0003
	v_or_b32_e32 v164, v36, v26
	ds_load_2addr_b32 v[35:36], v197 offset1:1
	s_wait_dscnt 0x1
	v_lshlrev_b32_e32 v39, 16, v38
	v_lshlrev_b32_e32 v40, 8, v38
	v_perm_b32 v26, v38, v38, 0xc0c0003
	s_delay_alu instid0(VALU_DEP_2) | instskip(SKIP_2) | instid1(VALU_DEP_3)
	v_perm_b32 v172, v40, v39, 0x7030c0c
	v_lshlrev_b32_e32 v39, 16, v166
	v_lshlrev_b32_e32 v40, 8, v166
	v_or_b32_e32 v38, v172, v26
	v_perm_b32 v26, v166, v166, 0xc0c0003
	s_delay_alu instid0(VALU_DEP_3) | instskip(SKIP_3) | instid1(VALU_DEP_1)
	v_perm_b32 v173, v40, v39, 0x7030c0c
	ds_load_2addr_b32 v[39:40], v156 offset0:3 offset1:4
	v_or_b32_e32 v166, v173, v26
	v_perm_b32 v173, v32, v32, 0x2010003
	v_dot4_i32_iu8 v180, v24, v173, 0 neg_lo:[1,1,0]
	v_dot4_i32_iu8 v183, v30, v173, 0 neg_lo:[1,1,0]
	;; [unrolled: 1-line block ×4, first 2 shown]
	s_wait_dscnt 0x0
	v_lshlrev_b32_e32 v41, 16, v40
	v_lshlrev_b32_e32 v42, 8, v40
	v_perm_b32 v26, v40, v40, 0xc0c0003
	s_delay_alu instid0(VALU_DEP_2) | instskip(SKIP_2) | instid1(VALU_DEP_3)
	v_perm_b32 v174, v42, v41, 0x7030c0c
	v_lshlrev_b32_e32 v41, 16, v168
	v_lshlrev_b32_e32 v42, 8, v168
	v_or_b32_e32 v40, v174, v26
	v_perm_b32 v26, v168, v168, 0xc0c0003
	s_delay_alu instid0(VALU_DEP_3)
	v_perm_b32 v175, v42, v41, 0x7030c0c
	ds_load_2addr_b32 v[41:42], v157 offset0:3 offset1:4
	v_perm_b32 v174, v34, v34, 0x2010003
	v_dot4_i32_iu8 v198, v40, v173, 0 neg_lo:[1,1,0]
	v_or_b32_e32 v168, v175, v26
	v_perm_b32 v175, v36, v36, 0x2010003
	s_delay_alu instid0(VALU_DEP_4)
	v_dot4_i32_iu8 v184, v30, v174, 0 neg_lo:[1,1,0]
	v_dot4_i32_iu8 v188, v29, v174, 0 neg_lo:[1,1,0]
	;; [unrolled: 1-line block ×7, first 2 shown]
	s_wait_dscnt 0x0
	v_lshlrev_b32_e32 v170, 16, v42
	v_lshlrev_b32_e32 v171, 8, v42
	v_perm_b32 v26, v42, v42, 0xc0c0003
	s_delay_alu instid0(VALU_DEP_2) | instskip(SKIP_2) | instid1(VALU_DEP_1)
	v_perm_b32 v176, v171, v170, 0x7030c0c
	ds_load_2addr_b32 v[170:171], v157 offset0:1 offset1:2
	v_or_b32_e32 v42, v176, v26
	v_dot4_i32_iu8 v201, v42, v173, 0 neg_lo:[1,1,0]
	v_dot4_i32_iu8 v202, v42, v174, 0 neg_lo:[1,1,0]
	s_wait_dscnt 0x0
	v_lshlrev_b32_e32 v177, 16, v170
	v_lshlrev_b32_e32 v178, 8, v170
	v_perm_b32 v26, v170, v170, 0xc0c0003
	s_delay_alu instid0(VALU_DEP_2) | instskip(SKIP_1) | instid1(VALU_DEP_2)
	v_perm_b32 v177, v178, v177, 0x7030c0c
	v_dot4_i32_iu8 v178, v22, v174, 0 neg_lo:[1,1,0]
	v_or_b32_e32 v170, v177, v26
	ds_load_2addr_b32 v[26:27], v194 offset1:1
	v_dot4_i32_iu8 v177, v22, v173, 0 neg_lo:[1,1,0]
	s_wait_dscnt 0x0
	v_perm_b32 v172, v27, v27, 0x2010003
	s_delay_alu instid0(VALU_DEP_1)
	v_dot4_i32_iu8 v176, v22, v172, 0 neg_lo:[1,1,0]
	v_dot4_i32_iu8 v179, v24, v172, 0 neg_lo:[1,1,0]
	;; [unrolled: 1-line block ×7, first 2 shown]
	ds_load_2addr_b32 v[29:30], v194 offset0:2 offset1:3
	ds_load_2addr_b32 v[172:173], v195 offset0:2 offset1:3
	v_dot4_i32_iu8 v22, v22, v175, 0 neg_lo:[1,1,0]
	v_dot4_i32_iu8 v24, v24, v175, 0 neg_lo:[1,1,0]
	;; [unrolled: 1-line block ×5, first 2 shown]
	ds_load_2addr_b32 v[174:175], v196 offset0:2 offset1:3
	s_wait_dscnt 0x2
	v_perm_b32 v203, v29, v29, 0x2010003
	s_wait_dscnt 0x1
	v_perm_b32 v205, v172, v172, 0x2010003
	s_delay_alu instid0(VALU_DEP_2) | instskip(NEXT) | instid1(VALU_DEP_2)
	v_dot4_i32_iu8 v204, v158, v203, v176 neg_lo:[1,1,0]
	v_dot4_i32_iu8 v206, v158, v205, v177 neg_lo:[1,1,0]
	ds_load_2addr_b32 v[176:177], v197 offset0:2 offset1:3
	s_wait_dscnt 0x1
	v_perm_b32 v207, v174, v174, 0x2010003
	v_dot4_i32_iu8 v216, v166, v203, v190 neg_lo:[1,1,0]
	v_dot4_i32_iu8 v217, v166, v205, v191 neg_lo:[1,1,0]
	;; [unrolled: 1-line block ×13, first 2 shown]
	v_perm_b32 v224, v175, v175, 0x2010003
	s_wait_dscnt 0x0
	v_perm_b32 v178, v176, v176, 0x2010003
	v_perm_b32 v225, v177, v177, 0x2010003
	s_delay_alu instid0(VALU_DEP_2)
	v_dot4_i32_iu8 v38, v166, v178, v38 neg_lo:[1,1,0]
	v_dot4_i32_iu8 v166, v168, v203, v193 neg_lo:[1,1,0]
	;; [unrolled: 1-line block ×7, first 2 shown]
	v_lshl_add_u32 v170, v79, 2, s16
	v_dot4_i32_iu8 v22, v158, v178, v22 neg_lo:[1,1,0]
	v_dot4_i32_iu8 v158, v160, v203, v179 neg_lo:[1,1,0]
	;; [unrolled: 1-line block ×6, first 2 shown]
	ds_load_2addr_b32 v[178:179], v170 offset0:3 offset1:4
	s_add_co_i32 s16, s10, 0xa200
	s_wait_dscnt 0x0
	v_lshlrev_b32_e32 v202, 8, v179
	v_lshlrev_b32_e32 v203, 24, v179
	;; [unrolled: 1-line block ×3, first 2 shown]
	s_delay_alu instid0(VALU_DEP_3) | instskip(NEXT) | instid1(VALU_DEP_2)
	v_perm_b32 v180, v179, v202, 0x7030c0c
	v_perm_b32 v181, v205, v203, 0xc0c0703
	s_delay_alu instid0(VALU_DEP_1)
	v_or_b32_e32 v186, v180, v181
	ds_load_2addr_b32 v[180:181], v170 offset0:1 offset1:2
	s_wait_dscnt 0x0
	v_lshlrev_b32_e32 v207, 8, v180
	v_lshlrev_b32_e32 v219, 24, v180
	;; [unrolled: 1-line block ×3, first 2 shown]
	s_delay_alu instid0(VALU_DEP_3) | instskip(NEXT) | instid1(VALU_DEP_2)
	v_perm_b32 v182, v180, v207, 0x7030c0c
	v_perm_b32 v183, v220, v219, 0xc0c0703
	s_delay_alu instid0(VALU_DEP_1)
	v_or_b32_e32 v187, v182, v183
	ds_load_2addr_b32 v[182:183], v170 offset0:5 offset1:6
	s_wait_dscnt 0x0
	v_lshlrev_b32_e32 v221, 8, v182
	v_lshlrev_b32_e32 v222, 24, v182
	;; [unrolled: 1-line block ×3, first 2 shown]
	v_perm_b32 v180, v182, v180, 0x7030c0c
	s_delay_alu instid0(VALU_DEP_4) | instskip(SKIP_1) | instid1(VALU_DEP_4)
	v_perm_b32 v184, v182, v221, 0x7030c0c
	v_lshlrev_b32_e32 v182, 16, v181
	v_perm_b32 v185, v223, v222, 0xc0c0703
	s_delay_alu instid0(VALU_DEP_1) | instskip(SKIP_3) | instid1(VALU_DEP_1)
	v_or_b32_e32 v188, v184, v185
	ds_load_2addr_b32 v[184:185], v170 offset1:7
	s_wait_dscnt 0x0
	v_dot4_i32_iu8 v170, v184, v31, 0 neg_lo:[1,1,0]
	v_dot4_i32_iu8 v32, v186, v32, v170 neg_lo:[1,1,0]
	v_perm_b32 v170, v173, v173, 0x2010003
	s_delay_alu instid0(VALU_DEP_2) | instskip(SKIP_1) | instid1(VALU_DEP_2)
	v_dot4_i32_iu8 v32, v187, v172, v32 neg_lo:[1,1,0]
	v_dot4_i32_iu8 v172, v184, v33, 0 neg_lo:[1,1,0]
	;; [unrolled: 1-line block ×3, first 2 shown]
	s_delay_alu instid0(VALU_DEP_2) | instskip(SKIP_1) | instid1(VALU_DEP_2)
	v_dot4_i32_iu8 v34, v186, v34, v172 neg_lo:[1,1,0]
	v_dot4_i32_iu8 v172, v184, v35, 0 neg_lo:[1,1,0]
	;; [unrolled: 1-line block ×3, first 2 shown]
	s_delay_alu instid0(VALU_DEP_2) | instskip(SKIP_3) | instid1(VALU_DEP_1)
	v_dot4_i32_iu8 v36, v186, v36, v172 neg_lo:[1,1,0]
	ds_load_2addr_b32 v[172:173], v151 offset0:5 offset1:6
	v_dot4_i32_iu8 v34, v188, v175, v34 neg_lo:[1,1,0]
	v_dot4_i32_iu8 v36, v187, v176, v36 neg_lo:[1,1,0]
	;; [unrolled: 1-line block ×3, first 2 shown]
	s_wait_dscnt 0x0
	v_lshlrev_b32_e32 v174, 16, v172
	v_lshlrev_b32_e32 v175, 8, v172
	v_perm_b32 v172, v172, v172, 0xc0c0003
	s_delay_alu instid0(VALU_DEP_2) | instskip(SKIP_3) | instid1(VALU_DEP_2)
	v_perm_b32 v226, v175, v174, 0x7030c0c
	ds_load_2addr_b32 v[174:175], v152 offset0:5 offset1:6
	v_or_b32_e32 v172, v226, v172
	v_perm_b32 v226, v30, v30, 0x2010003
	v_dot4_i32_iu8 v206, v172, v170, v206 neg_lo:[1,1,0]
	s_delay_alu instid0(VALU_DEP_2)
	v_dot4_i32_iu8 v204, v172, v226, v204 neg_lo:[1,1,0]
	v_dot4_i32_iu8 v208, v172, v224, v208 neg_lo:[1,1,0]
	;; [unrolled: 1-line block ×3, first 2 shown]
	s_wait_dscnt 0x0
	v_lshlrev_b32_e32 v176, 16, v174
	v_lshlrev_b32_e32 v177, 8, v174
	v_perm_b32 v174, v174, v174, 0xc0c0003
	s_delay_alu instid0(VALU_DEP_2) | instskip(SKIP_3) | instid1(VALU_DEP_2)
	v_perm_b32 v227, v177, v176, 0x7030c0c
	ds_load_2addr_b32 v[176:177], v153 offset0:5 offset1:6
	v_or_b32_e32 v174, v227, v174
	v_lshlrev_b32_e32 v227, 8, v169
	v_dot4_i32_iu8 v172, v174, v226, v158 neg_lo:[1,1,0]
	v_dot4_i32_iu8 v209, v174, v170, v209 neg_lo:[1,1,0]
	;; [unrolled: 1-line block ×4, first 2 shown]
	v_lshlrev_b32_e32 v158, 16, v159
	s_wait_dscnt 0x0
	v_lshlrev_b32_e32 v186, 16, v176
	v_lshlrev_b32_e32 v187, 8, v176
	v_perm_b32 v176, v176, v176, 0xc0c0003
	s_delay_alu instid0(VALU_DEP_2) | instskip(SKIP_3) | instid1(VALU_DEP_2)
	v_perm_b32 v228, v187, v186, 0x7030c0c
	ds_load_2addr_b32 v[186:187], v154 offset0:5 offset1:6
	v_or_b32_e32 v176, v228, v176
	v_lshlrev_b32_e32 v228, 16, v171
	v_dot4_i32_iu8 v174, v176, v226, v160 neg_lo:[1,1,0]
	v_dot4_i32_iu8 v211, v176, v170, v211 neg_lo:[1,1,0]
	;; [unrolled: 1-line block ×4, first 2 shown]
	v_lshlrev_b32_e32 v160, 8, v159
	v_lshlrev_b32_e32 v162, 16, v161
	v_perm_b32 v159, v159, v159, 0xc0c0003
	s_delay_alu instid0(VALU_DEP_3) | instskip(SKIP_4) | instid1(VALU_DEP_2)
	v_perm_b32 v158, v160, v158, 0x7030c0c
	s_wait_dscnt 0x0
	v_lshlrev_b32_e32 v188, 16, v186
	v_lshlrev_b32_e32 v189, 8, v186
	v_perm_b32 v186, v186, v186, 0xc0c0003
	v_perm_b32 v229, v189, v188, 0x7030c0c
	ds_load_2addr_b32 v[188:189], v155 offset0:5 offset1:6
	v_or_b32_e32 v186, v229, v186
	v_lshlrev_b32_e32 v229, 8, v171
	v_perm_b32 v171, v171, v171, 0xc0c0003
	s_delay_alu instid0(VALU_DEP_3)
	v_dot4_i32_iu8 v213, v186, v226, v213 neg_lo:[1,1,0]
	v_dot4_i32_iu8 v214, v186, v170, v214 neg_lo:[1,1,0]
	;; [unrolled: 1-line block ×4, first 2 shown]
	v_lshlrev_b32_e32 v164, 8, v161
	v_perm_b32 v161, v161, v161, 0xc0c0003
	s_delay_alu instid0(VALU_DEP_2) | instskip(SKIP_4) | instid1(VALU_DEP_2)
	v_perm_b32 v160, v164, v162, 0x7030c0c
	s_wait_dscnt 0x0
	v_lshlrev_b32_e32 v190, 16, v188
	v_lshlrev_b32_e32 v191, 8, v188
	v_perm_b32 v188, v188, v188, 0xc0c0003
	v_perm_b32 v230, v191, v190, 0x7030c0c
	ds_load_2addr_b32 v[190:191], v156 offset0:5 offset1:6
	v_or_b32_e32 v188, v230, v188
	s_delay_alu instid0(VALU_DEP_1)
	v_dot4_i32_iu8 v216, v188, v226, v216 neg_lo:[1,1,0]
	v_dot4_i32_iu8 v217, v188, v170, v217 neg_lo:[1,1,0]
	;; [unrolled: 1-line block ×4, first 2 shown]
	s_wait_dscnt 0x0
	v_lshlrev_b32_e32 v192, 16, v190
	v_lshlrev_b32_e32 v193, 8, v190
	v_perm_b32 v190, v190, v190, 0xc0c0003
	s_delay_alu instid0(VALU_DEP_2) | instskip(SKIP_2) | instid1(VALU_DEP_1)
	v_perm_b32 v231, v193, v192, 0x7030c0c
	ds_load_2addr_b32 v[192:193], v157 offset0:5 offset1:6
	v_or_b32_e32 v190, v231, v190
	v_dot4_i32_iu8 v166, v190, v226, v166 neg_lo:[1,1,0]
	v_dot4_i32_iu8 v188, v190, v170, v198 neg_lo:[1,1,0]
	;; [unrolled: 1-line block ×4, first 2 shown]
	v_lshlrev_b32_e32 v199, 8, v163
	s_wait_dscnt 0x0
	v_lshlrev_b32_e32 v232, 16, v192
	v_lshlrev_b32_e32 v233, 8, v192
	v_perm_b32 v192, v192, v192, 0xc0c0003
	v_lshlrev_b32_e32 v230, 16, v193
	v_lshlrev_b32_e32 v231, 8, v193
	v_perm_b32 v193, v193, v193, 0xc0c0003
	v_perm_b32 v232, v233, v232, 0x7030c0c
	s_delay_alu instid0(VALU_DEP_1) | instskip(NEXT) | instid1(VALU_DEP_1)
	v_or_b32_e32 v192, v232, v192
	v_dot4_i32_iu8 v168, v192, v226, v168 neg_lo:[1,1,0]
	v_dot4_i32_iu8 v170, v192, v170, v200 neg_lo:[1,1,0]
	;; [unrolled: 1-line block ×4, first 2 shown]
	v_lshlrev_b32_e32 v192, 16, v163
	v_lshlrev_b32_e32 v200, 16, v165
	;; [unrolled: 1-line block ×5, first 2 shown]
	v_perm_b32 v163, v163, v163, 0xc0c0003
	v_perm_b32 v165, v165, v165, 0xc0c0003
	v_lshlrev_b32_e32 v226, 16, v169
	v_perm_b32 v162, v199, v192, 0x7030c0c
	v_perm_b32 v164, v201, v200, 0x7030c0c
	;; [unrolled: 1-line block ×3, first 2 shown]
	v_or_b32_e32 v201, v158, v159
	v_or_b32_e32 v224, v160, v161
	ds_load_2addr_b32 v[158:159], v194 offset0:4 offset1:5
	ds_load_2addr_b32 v[160:161], v195 offset0:4 offset1:5
	v_perm_b32 v199, v227, v226, 0x7030c0c
	v_or_b32_e32 v225, v162, v163
	v_or_b32_e32 v226, v164, v165
	ds_load_2addr_b32 v[162:163], v196 offset0:4 offset1:5
	ds_load_2addr_b32 v[164:165], v197 offset0:4 offset1:5
	v_perm_b32 v167, v167, v167, 0xc0c0003
	v_perm_b32 v200, v229, v228, 0x7030c0c
	v_perm_b32 v169, v169, v169, 0xc0c0003
	v_lshlrev_b32_e32 v228, 16, v191
	v_lshlrev_b32_e32 v229, 8, v191
	v_or_b32_e32 v167, v192, v167
	v_or_b32_e32 v171, v200, v171
	;; [unrolled: 1-line block ×3, first 2 shown]
	v_perm_b32 v191, v191, v191, 0xc0c0003
	s_wait_dscnt 0x3
	v_perm_b32 v192, v158, v158, 0x2010003
	s_wait_dscnt 0x2
	v_perm_b32 v200, v160, v160, 0x2010003
	s_delay_alu instid0(VALU_DEP_2) | instskip(NEXT) | instid1(VALU_DEP_2)
	v_dot4_i32_iu8 v199, v201, v192, v204 neg_lo:[1,1,0]
	v_dot4_i32_iu8 v204, v201, v200, v206 neg_lo:[1,1,0]
	s_wait_dscnt 0x1
	v_perm_b32 v206, v162, v162, 0x2010003
	s_wait_dscnt 0x0
	v_perm_b32 v227, v164, v164, 0x2010003
	v_dot4_i32_iu8 v166, v169, v192, v166 neg_lo:[1,1,0]
	v_dot4_i32_iu8 v168, v171, v192, v168 neg_lo:[1,1,0]
	;; [unrolled: 1-line block ×22, first 2 shown]
	v_lshlrev_b32_e32 v171, 8, v181
	v_lshlrev_b32_e32 v190, 24, v181
	v_dot4_i32_iu8 v174, v225, v192, v174 neg_lo:[1,1,0]
	v_perm_b32 v192, v183, v181, 0xc0c0703
	v_lshlrev_b32_e32 v198, 8, v183
	v_perm_b32 v181, v181, v171, 0x7030c0c
	v_lshlrev_b32_e32 v200, 16, v183
	v_lshlrev_b32_e32 v206, 24, v183
	v_perm_b32 v218, v182, v190, 0xc0c0703
	v_perm_b32 v183, v183, v198, 0x7030c0c
	v_dot4_i32_iu8 v24, v224, v227, v24 neg_lo:[1,1,0]
	v_dot4_i32_iu8 v176, v225, v227, v176 neg_lo:[1,1,0]
	;; [unrolled: 1-line block ×3, first 2 shown]
	v_or_b32_e32 v181, v181, v218
	v_perm_b32 v218, v200, v206, 0xc0c0703
	v_lshlrev_b32_e32 v224, 16, v187
	v_lshlrev_b32_e32 v225, 8, v187
	;; [unrolled: 1-line block ×3, first 2 shown]
	v_dot4_i32_iu8 v32, v181, v160, v32 neg_lo:[1,1,0]
	v_or_b32_e32 v183, v183, v218
	v_dot4_i32_iu8 v34, v181, v162, v34 neg_lo:[1,1,0]
	v_dot4_i32_iu8 v36, v181, v164, v36 neg_lo:[1,1,0]
	v_perm_b32 v160, v161, v161, 0x2010003
	v_lshlrev_b32_e32 v164, 8, v173
	v_dot4_i32_iu8 v32, v183, v161, v32 neg_lo:[1,1,0]
	v_dot4_i32_iu8 v34, v183, v163, v34 neg_lo:[1,1,0]
	v_perm_b32 v161, v163, v163, 0x2010003
	v_dot4_i32_iu8 v162, v183, v165, v36 neg_lo:[1,1,0]
	v_perm_b32 v36, v165, v165, 0x2010003
	v_lshlrev_b32_e32 v163, 16, v173
	v_perm_b32 v165, v173, v173, 0xc0c0003
	v_lshlrev_b32_e32 v173, 16, v175
	v_lshlrev_b32_e32 v181, 8, v175
	;; [unrolled: 1-line block ×5, first 2 shown]
	v_perm_b32 v175, v175, v175, 0xc0c0003
	v_perm_b32 v177, v177, v177, 0xc0c0003
	;; [unrolled: 1-line block ×11, first 2 shown]
	v_or_b32_e32 v163, v163, v165
	v_or_b32_e32 v164, v164, v175
	;; [unrolled: 1-line block ×7, first 2 shown]
	v_perm_b32 v183, v159, v159, 0x2010003
	v_dot4_i32_iu8 v189, v163, v160, v204 neg_lo:[1,1,0]
	v_dot4_i32_iu8 v191, v163, v161, v208 neg_lo:[1,1,0]
	v_dot4_i32_iu8 v193, v164, v160, v201 neg_lo:[1,1,0]
	v_dot4_i32_iu8 v201, v165, v160, v210 neg_lo:[1,1,0]
	v_dot4_i32_iu8 v187, v163, v183, v199 neg_lo:[1,1,0]
	v_dot4_i32_iu8 v163, v163, v36, v22 neg_lo:[1,1,0]
	v_dot4_i32_iu8 v172, v164, v183, v172 neg_lo:[1,1,0]
	v_dot4_i32_iu8 v199, v164, v161, v209 neg_lo:[1,1,0]
	v_dot4_i32_iu8 v164, v164, v36, v24 neg_lo:[1,1,0]
	v_dot4_i32_iu8 v174, v165, v183, v174 neg_lo:[1,1,0]
	v_dot4_i32_iu8 v204, v165, v161, v211 neg_lo:[1,1,0]
	v_dot4_i32_iu8 v165, v165, v36, v176 neg_lo:[1,1,0]
	v_dot4_i32_iu8 v176, v173, v183, v212 neg_lo:[1,1,0]
	v_dot4_i32_iu8 v208, v173, v160, v213 neg_lo:[1,1,0]
	v_dot4_i32_iu8 v209, v173, v161, v214 neg_lo:[1,1,0]
	v_dot4_i32_iu8 v173, v173, v36, v186 neg_lo:[1,1,0]
	v_dot4_i32_iu8 v186, v175, v183, v215 neg_lo:[1,1,0]
	v_dot4_i32_iu8 v210, v175, v160, v216 neg_lo:[1,1,0]
	v_dot4_i32_iu8 v211, v175, v161, v217 neg_lo:[1,1,0]
	v_dot4_i32_iu8 v175, v175, v36, v38 neg_lo:[1,1,0]
	v_dot4_i32_iu8 v166, v177, v183, v166 neg_lo:[1,1,0]
	v_dot4_i32_iu8 v167, v177, v160, v167 neg_lo:[1,1,0]
	v_dot4_i32_iu8 v188, v177, v161, v188 neg_lo:[1,1,0]
	v_dot4_i32_iu8 v40, v177, v36, v40 neg_lo:[1,1,0]
	v_dot4_i32_iu8 v168, v181, v183, v168 neg_lo:[1,1,0]
	v_dot4_i32_iu8 v160, v181, v160, v169 neg_lo:[1,1,0]
	v_dot4_i32_iu8 v161, v181, v161, v170 neg_lo:[1,1,0]
	v_dot4_i32_iu8 v42, v181, v36, v42 neg_lo:[1,1,0]
	v_lshlrev_b32_e32 v22, 16, v21
	v_lshlrev_b32_e32 v24, 8, v21
	;; [unrolled: 1-line block ×12, first 2 shown]
	v_perm_b32 v21, v21, v21, 0xc0c0003
	v_perm_b32 v23, v23, v23, 0xc0c0003
	;; [unrolled: 1-line block ×12, first 2 shown]
	v_or_b32_e32 v181, v22, v21
	v_or_b32_e32 v183, v24, v23
	;; [unrolled: 1-line block ×6, first 2 shown]
	ds_load_2addr_b32 v[21:22], v194 offset0:6 offset1:7
	ds_load_2addr_b32 v[23:24], v195 offset0:6 offset1:7
	;; [unrolled: 1-line block ×4, first 2 shown]
	v_lshlrev_b32_e32 v215, 16, v41
	v_lshlrev_b32_e32 v216, 8, v41
	v_perm_b32 v41, v41, v41, 0xc0c0003
	v_perm_b32 v171, v198, v171, 0xc0c0703
	s_delay_alu instid0(VALU_DEP_3) | instskip(NEXT) | instid1(VALU_DEP_1)
	v_perm_b32 v177, v216, v215, 0x7030c0c
	v_or_b32_e32 v41, v177, v41
	s_wait_dscnt 0x3
	v_perm_b32 v177, v21, v21, 0x2010003
	s_wait_dscnt 0x2
	v_perm_b32 v194, v23, v23, 0x2010003
	;; [unrolled: 2-line block ×4, first 2 shown]
	v_dot4_i32_iu8 v187, v181, v177, v187 neg_lo:[1,1,0]
	v_dot4_i32_iu8 v189, v181, v194, v189 neg_lo:[1,1,0]
	;; [unrolled: 1-line block ×3, first 2 shown]
	s_delay_alu instid0(VALU_DEP_4)
	v_dot4_i32_iu8 v163, v181, v196, v163 neg_lo:[1,1,0]
	v_dot4_i32_iu8 v172, v183, v177, v172 neg_lo:[1,1,0]
	;; [unrolled: 1-line block ×22, first 2 shown]
	v_lshlrev_b32_e32 v177, 8, v178
	v_lshlrev_b32_e32 v188, 16, v178
	v_lshlrev_b32_e32 v194, 24, v178
	v_dot4_i32_iu8 v170, v170, v196, v40 neg_lo:[1,1,0]
	v_dot4_i32_iu8 v161, v41, v195, v161 neg_lo:[1,1,0]
	v_dot4_i32_iu8 v42, v41, v196, v42 neg_lo:[1,1,0]
	v_perm_b32 v40, v178, v177, 0x7030c0c
	v_perm_b32 v41, v188, v194, 0xc0c0703
	v_lshlrev_b32_e32 v195, 8, v185
	v_lshlrev_b32_e32 v196, 16, v185
	;; [unrolled: 1-line block ×3, first 2 shown]
	v_perm_b32 v209, v37, v37, 0x2010003
	v_or_b32_e32 v40, v40, v41
	v_perm_b32 v41, v185, v195, 0x7030c0c
	v_perm_b32 v210, v39, v39, 0x2010003
	;; [unrolled: 1-line block ×3, first 2 shown]
	s_delay_alu instid0(VALU_DEP_4) | instskip(NEXT) | instid1(VALU_DEP_2)
	v_dot4_i32_iu8 v23, v40, v23, v32 neg_lo:[1,1,0]
	v_or_b32_e32 v41, v41, v208
	v_perm_b32 v208, v24, v24, 0x2010003
	s_delay_alu instid0(VALU_DEP_2) | instskip(SKIP_1) | instid1(VALU_DEP_1)
	v_dot4_i32_iu8 v32, v41, v24, v23 neg_lo:[1,1,0]
	v_dot4_i32_iu8 v23, v40, v36, v34 neg_lo:[1,1,0]
	;; [unrolled: 1-line block ×4, first 2 shown]
	s_delay_alu instid0(VALU_DEP_1)
	v_dot4_i32_iu8 v162, v41, v39, v23 neg_lo:[1,1,0]
	ds_load_2addr_b32 v[23:24], v151 offset1:7
	s_wait_dscnt 0x0
	v_lshlrev_b32_e32 v36, 16, v24
	v_lshlrev_b32_e32 v37, 8, v24
	v_perm_b32 v24, v24, v24, 0xc0c0003
	s_delay_alu instid0(VALU_DEP_2) | instskip(SKIP_2) | instid1(VALU_DEP_1)
	v_perm_b32 v211, v37, v36, 0x7030c0c
	ds_load_2addr_b32 v[36:37], v152 offset1:7
	v_or_b32_e32 v24, v211, v24
	v_dot4_i32_iu8 v189, v24, v208, v189 neg_lo:[1,1,0]
	v_dot4_i32_iu8 v191, v24, v209, v191 neg_lo:[1,1,0]
	s_wait_dscnt 0x0
	v_lshlrev_b32_e32 v38, 16, v37
	v_lshlrev_b32_e32 v39, 8, v37
	v_perm_b32 v37, v37, v37, 0xc0c0003
	s_delay_alu instid0(VALU_DEP_2)
	v_perm_b32 v212, v39, v38, 0x7030c0c
	ds_load_2addr_b32 v[38:39], v153 offset1:7
	v_or_b32_e32 v37, v212, v37
	s_wait_dscnt 0x0
	v_lshlrev_b32_e32 v40, 16, v39
	v_lshlrev_b32_e32 v41, 8, v39
	v_perm_b32 v39, v39, v39, 0xc0c0003
	s_delay_alu instid0(VALU_DEP_2) | instskip(SKIP_2) | instid1(VALU_DEP_1)
	v_perm_b32 v213, v41, v40, 0x7030c0c
	ds_load_2addr_b32 v[40:41], v154 offset1:7
	v_or_b32_e32 v39, v213, v39
	v_dot4_i32_iu8 v25, v39, v210, v25 neg_lo:[1,1,0]
	s_delay_alu instid0(VALU_DEP_1) | instskip(SKIP_4) | instid1(VALU_DEP_2)
	v_dot4_i32_iu8 v25, v38, v35, v25 neg_lo:[1,1,0]
	s_wait_dscnt 0x0
	v_lshlrev_b32_e32 v151, 16, v41
	v_lshlrev_b32_e32 v152, 8, v41
	v_perm_b32 v41, v41, v41, 0xc0c0003
	v_perm_b32 v214, v152, v151, 0x7030c0c
	ds_load_2addr_b32 v[151:152], v155 offset1:7
	v_or_b32_e32 v41, v214, v41
	s_delay_alu instid0(VALU_DEP_1) | instskip(NEXT) | instid1(VALU_DEP_1)
	v_dot4_i32_iu8 v28, v41, v210, v28 neg_lo:[1,1,0]
	v_dot4_i32_iu8 v28, v40, v35, v28 neg_lo:[1,1,0]
	s_wait_dscnt 0x0
	v_lshlrev_b32_e32 v153, 16, v152
	v_lshlrev_b32_e32 v154, 8, v152
	v_perm_b32 v152, v152, v152, 0xc0c0003
	s_delay_alu instid0(VALU_DEP_2)
	v_perm_b32 v215, v154, v153, 0x7030c0c
	ds_load_2addr_b32 v[153:154], v156 offset1:7
	v_or_b32_e32 v152, v215, v152
	s_wait_dscnt 0x0
	v_lshlrev_b32_e32 v155, 16, v154
	v_lshlrev_b32_e32 v156, 8, v154
	v_perm_b32 v154, v154, v154, 0xc0c0003
	s_delay_alu instid0(VALU_DEP_2) | instskip(SKIP_2) | instid1(VALU_DEP_1)
	v_perm_b32 v216, v156, v155, 0x7030c0c
	ds_load_2addr_b32 v[155:156], v157 offset1:7
	v_or_b32_e32 v154, v216, v154
	v_dot4_i32_iu8 v167, v154, v208, v167 neg_lo:[1,1,0]
	s_wait_dscnt 0x0
	v_lshlrev_b32_e32 v157, 16, v156
	v_lshlrev_b32_e32 v217, 8, v156
	v_perm_b32 v156, v156, v156, 0xc0c0003
	s_delay_alu instid0(VALU_DEP_2) | instskip(NEXT) | instid1(VALU_DEP_1)
	v_perm_b32 v157, v217, v157, 0x7030c0c
	v_or_b32_e32 v156, v157, v156
	v_perm_b32 v157, v22, v22, 0x2010003
	s_delay_alu instid0(VALU_DEP_2) | instskip(NEXT) | instid1(VALU_DEP_2)
	v_dot4_i32_iu8 v160, v156, v208, v160 neg_lo:[1,1,0]
	v_dot4_i32_iu8 v187, v24, v157, v187 neg_lo:[1,1,0]
	;; [unrolled: 1-line block ×49, first 2 shown]
	v_perm_b32 v155, v185, v178, 0x7030c0c
	v_perm_b32 v176, v159, v158, 0xc0c0703
	;; [unrolled: 1-line block ×5, first 2 shown]
	v_or_b32_e32 v155, v155, v192
	v_perm_b32 v157, v184, v27, 0xc0c0501
	v_or_b32_e32 v176, v178, v176
	v_perm_b32 v178, v30, v29, 0x7030c0c
	;; [unrolled: 2-line block ×3, first 2 shown]
	v_perm_b32 v27, v184, v27, 0xc0c0602
	v_perm_b32 v169, v26, v205, 0xc0c0503
	v_or_b32_e32 v160, v178, v160
	v_perm_b32 v175, v26, v203, 0xc0c0403
	v_perm_b32 v26, v26, v202, 0xc0c0603
	v_cvt_f32_i32_e32 v23, v23
	v_cvt_f32_i32_e32 v24, v24
	v_dot4_i32_iu8 v154, v154, v160, 0 neg_lo:[1,1,0]
	v_perm_b32 v160, v22, v21, 0x6020c0c
	s_delay_alu instid0(VALU_DEP_2) | instskip(SKIP_2) | instid1(VALU_DEP_2)
	v_dot4_i32_iu8 v154, v155, v176, v154 neg_lo:[1,1,0]
	v_perm_b32 v155, v159, v158, 0xc0c0602
	v_perm_b32 v176, v30, v29, 0x6020c0c
	v_or_b32_e32 v155, v160, v155
	v_perm_b32 v160, v221, v207, 0x7030c0c
	s_delay_alu instid0(VALU_DEP_3) | instskip(SKIP_1) | instid1(VALU_DEP_3)
	v_or_b32_e32 v27, v176, v27
	v_perm_b32 v176, v195, v177, 0x7030c0c
	v_or_b32_e32 v26, v160, v26
	s_delay_alu instid0(VALU_DEP_2) | instskip(SKIP_1) | instid1(VALU_DEP_3)
	v_or_b32_e32 v160, v176, v171
	v_perm_b32 v171, v196, v188, 0x7030c0c
	v_dot4_i32_iu8 v26, v26, v27, 0 neg_lo:[1,1,0]
	v_perm_b32 v27, v159, v158, 0xc0c0501
	s_delay_alu instid0(VALU_DEP_2)
	v_dot4_i32_iu8 v26, v160, v155, v26 neg_lo:[1,1,0]
	v_perm_b32 v155, v22, v21, 0x5010c0c
	v_perm_b32 v160, v30, v29, 0x5010c0c
	v_perm_b32 v21, v22, v21, 0x4000c0c
	v_perm_b32 v22, v30, v29, 0x4000c0c
	v_perm_b32 v29, v222, v219, 0x7030c0c
	v_or_b32_e32 v27, v155, v27
	v_perm_b32 v155, v223, v220, 0x7030c0c
	v_or_b32_e32 v157, v160, v157
	v_perm_b32 v160, v200, v182, 0xc0c0703
	;; [unrolled: 2-line block ×3, first 2 shown]
	v_or_b32_e32 v155, v155, v169
	v_or_b32_e32 v29, v29, v175
	;; [unrolled: 1-line block ×3, first 2 shown]
	s_delay_alu instid0(VALU_DEP_3) | instskip(NEXT) | instid1(VALU_DEP_3)
	v_dot4_i32_iu8 v155, v155, v157, 0 neg_lo:[1,1,0]
	v_dot4_i32_iu8 v22, v29, v22, 0 neg_lo:[1,1,0]
	s_delay_alu instid0(VALU_DEP_2) | instskip(SKIP_1) | instid1(VALU_DEP_1)
	v_dot4_i32_iu8 v27, v160, v27, v155 neg_lo:[1,1,0]
	v_perm_b32 v155, v159, v158, 0xc0c0400
	v_or_b32_e32 v21, v21, v155
	v_perm_b32 v155, v204, v194, 0x7030c0c
	s_delay_alu instid0(VALU_DEP_1) | instskip(NEXT) | instid1(VALU_DEP_1)
	v_or_b32_e32 v30, v155, v30
	v_dot4_i32_iu8 v21, v30, v21, v22 neg_lo:[1,1,0]
	v_add_nc_u32_e32 v22, v27, v154
	s_delay_alu instid0(VALU_DEP_1) | instskip(SKIP_3) | instid1(VALU_DEP_3)
	v_add3_u32 v21, v21, v26, v22
	s_wait_alu 0xfffe
	v_add3_u32 v22, s16, v149, v150
	v_add_nc_u32_e32 v26, s11, v80
	v_cvt_f32_i32_e32 v21, v21
	ds_load_b32 v22, v22
	ds_load_b32 v26, v26
	s_wait_dscnt 0x0
	v_mul_f32_e32 v27, v26, v22
	s_delay_alu instid0(VALU_DEP_1)
	v_fmac_f32_e32 v47, v27, v21
	v_add3_u32 v21, s16, v123, v125
	v_cvt_f32_i32_e32 v27, v32
	ds_load_b32 v21, v21
	s_wait_dscnt 0x0
	v_mul_f32_e32 v29, v26, v21
	s_delay_alu instid0(VALU_DEP_1)
	v_fmac_f32_e32 v140, v29, v27
	v_add3_u32 v27, s16, v127, v129
	v_cvt_f32_i32_e32 v29, v34
	;; [unrolled: 7-line block ×3, first 2 shown]
	ds_load_b32 v29, v29
	s_wait_dscnt 0x0
	v_mul_f32_e32 v26, v26, v29
	s_delay_alu instid0(VALU_DEP_1)
	v_fmac_f32_e32 v148, v26, v30
	v_add_nc_u32_e32 v26, s11, v82
	v_cvt_f32_i32_e32 v30, v156
	ds_load_b32 v26, v26
	s_wait_dscnt 0x0
	v_mul_f32_e32 v32, v22, v26
	s_delay_alu instid0(VALU_DEP_1) | instskip(SKIP_2) | instid1(VALU_DEP_1)
	v_fmac_f32_e32 v126, v32, v30
	v_cvt_f32_i32_e32 v30, v168
	v_mul_f32_e32 v32, v21, v26
	v_fmac_f32_e32 v137, v32, v30
	v_mul_f32_e32 v32, v27, v26
	v_mul_f32_e32 v26, v29, v26
	v_cvt_f32_i32_e32 v30, v170
	s_delay_alu instid0(VALU_DEP_2) | instskip(SKIP_1) | instid1(VALU_DEP_3)
	v_fmac_f32_e32 v147, v26, v23
	v_add_nc_u32_e32 v23, s11, v84
	v_fmac_f32_e32 v143, v32, v30
	ds_load_b32 v23, v23
	s_wait_dscnt 0x0
	v_mul_f32_e32 v26, v22, v23
	s_delay_alu instid0(VALU_DEP_1) | instskip(SKIP_2) | instid1(VALU_DEP_1)
	v_fmac_f32_e32 v120, v26, v24
	v_cvt_f32_i32_e32 v24, v163
	v_mul_f32_e32 v26, v21, v23
	v_fmac_f32_e32 v134, v26, v24
	v_cvt_f32_i32_e32 v24, v172
	v_mul_f32_e32 v26, v27, v23
	v_mul_f32_e32 v23, v29, v23
	s_delay_alu instid0(VALU_DEP_2) | instskip(SKIP_1) | instid1(VALU_DEP_1)
	v_fmac_f32_e32 v141, v26, v24
	v_cvt_f32_i32_e32 v24, v36
	v_dual_fmac_f32 v146, v23, v24 :: v_dual_add_nc_u32 v23, s11, v86
	v_cvt_f32_i32_e32 v24, v37
	ds_load_b32 v23, v23
	s_wait_dscnt 0x0
	v_mul_f32_e32 v26, v22, v23
	s_delay_alu instid0(VALU_DEP_1) | instskip(SKIP_2) | instid1(VALU_DEP_1)
	v_fmac_f32_e32 v114, v26, v24
	v_cvt_f32_i32_e32 v24, v164
	v_mul_f32_e32 v26, v21, v23
	v_fmac_f32_e32 v128, v26, v24
	v_cvt_f32_i32_e32 v24, v174
	v_mul_f32_e32 v26, v27, v23
	s_delay_alu instid0(VALU_DEP_1) | instskip(SKIP_1) | instid1(VALU_DEP_1)
	v_dual_mul_f32 v23, v29, v23 :: v_dual_fmac_f32 v138, v26, v24
	v_cvt_f32_i32_e32 v24, v25
	v_fmac_f32_e32 v144, v23, v24
	v_add_nc_u32_e32 v23, s11, v88
	v_cvt_f32_i32_e32 v24, v38
	ds_load_b32 v23, v23
	s_wait_dscnt 0x0
	v_mul_f32_e32 v25, v22, v23
	s_delay_alu instid0(VALU_DEP_1) | instskip(SKIP_2) | instid1(VALU_DEP_1)
	v_fmac_f32_e32 v109, v25, v24
	v_cvt_f32_i32_e32 v24, v39
	v_mul_f32_e32 v25, v21, v23
	v_fmac_f32_e32 v122, v25, v24
	v_cvt_f32_i32_e32 v24, v165
	v_mul_f32_e32 v25, v27, v23
	v_mul_f32_e32 v23, v29, v23
	s_delay_alu instid0(VALU_DEP_2) | instskip(SKIP_1) | instid1(VALU_DEP_1)
	v_fmac_f32_e32 v135, v25, v24
	v_cvt_f32_i32_e32 v24, v28
	v_dual_fmac_f32 v142, v23, v24 :: v_dual_add_nc_u32 v23, s11, v90
	v_cvt_f32_i32_e32 v24, v40
	ds_load_b32 v23, v23
	s_wait_dscnt 0x0
	v_mul_f32_e32 v25, v22, v23
	s_delay_alu instid0(VALU_DEP_1) | instskip(SKIP_2) | instid1(VALU_DEP_1)
	v_fmac_f32_e32 v104, v25, v24
	v_cvt_f32_i32_e32 v24, v41
	v_mul_f32_e32 v25, v21, v23
	v_fmac_f32_e32 v116, v25, v24
	v_cvt_f32_i32_e32 v24, v173
	v_mul_f32_e32 v25, v27, v23
	v_mul_f32_e32 v23, v29, v23
	s_delay_alu instid0(VALU_DEP_2) | instskip(SKIP_1) | instid1(VALU_DEP_1)
	v_fmac_f32_e32 v130, v25, v24
	v_cvt_f32_i32_e32 v24, v151
	v_fmac_f32_e32 v139, v23, v24
	v_add_nc_u32_e32 v23, s11, v92
	v_cvt_f32_i32_e32 v24, v152
	ds_load_b32 v23, v23
	s_wait_dscnt 0x0
	v_mul_f32_e32 v25, v22, v23
	s_delay_alu instid0(VALU_DEP_1) | instskip(SKIP_2) | instid1(VALU_DEP_1)
	v_fmac_f32_e32 v101, v25, v24
	v_cvt_f32_i32_e32 v24, v166
	v_mul_f32_e32 v25, v21, v23
	v_fmac_f32_e32 v111, v25, v24
	v_cvt_f32_i32_e32 v24, v167
	v_mul_f32_e32 v25, v27, v23
	v_mul_f32_e32 v23, v29, v23
	s_delay_alu instid0(VALU_DEP_2) | instskip(SKIP_1) | instid1(VALU_DEP_1)
	v_fmac_f32_e32 v124, v25, v24
	v_cvt_f32_i32_e32 v24, v153
	v_dual_fmac_f32 v136, v23, v24 :: v_dual_add_nc_u32 v23, s11, v94
	v_cvt_f32_i32_e32 v24, v42
	s_add_co_i32 s11, s10, 4
	s_cmp_lt_u32 s10, 28
	s_wait_alu 0xfffe
	s_mov_b32 s10, s11
	ds_load_b32 v23, v23
	s_wait_dscnt 0x0
	v_mul_f32_e32 v22, v22, v23
	s_delay_alu instid0(VALU_DEP_1) | instskip(SKIP_1) | instid1(VALU_DEP_1)
	v_dual_mul_f32 v21, v21, v23 :: v_dual_fmac_f32 v100, v22, v24
	v_cvt_f32_i32_e32 v22, v31
	v_dual_fmac_f32 v106, v21, v22 :: v_dual_mul_f32 v21, v27, v23
	v_cvt_f32_i32_e32 v22, v33
	s_delay_alu instid0(VALU_DEP_1) | instskip(SKIP_2) | instid1(VALU_DEP_1)
	v_fmac_f32_e32 v118, v21, v22
	v_mul_f32_e32 v21, v29, v23
	v_cvt_f32_i32_e32 v22, v35
	v_fmac_f32_e32 v132, v21, v22
	s_cbranch_scc1 .LBB142_11
; %bb.12:                               ;   in Loop: Header=BB142_6 Depth=1
	s_wait_loadcnt 0x0
	s_barrier_signal -1
	s_barrier_wait -1
	global_inv scope:SCOPE_SE
	s_branch .LBB142_5
.LBB142_13:
	v_cvt_f16_f32_e32 v12, v47
	v_cvt_f16_f32_e64 v13, v140
	v_cvt_f16_f32_e64 v14, v145
	v_cvt_f16_f32_e64 v33, v148
	v_cvt_f16_f32_e32 v32, v126
	v_cvt_f16_f32_e64 v31, v137
	v_cvt_f16_f32_e64 v30, v143
	v_cvt_f16_f32_e64 v29, v147
	;; [unrolled: 4-line block ×4, first 2 shown]
	v_cvt_f16_f32_e32 v20, v109
	v_cvt_f16_f32_e32 v19, v122
	v_cvt_f16_f32_e64 v18, v135
	v_cvt_f16_f32_e64 v17, v142
	v_cvt_f16_f32_e32 v16, v104
	v_cvt_f16_f32_e32 v15, v116
	v_cvt_f16_f32_e64 v11, v130
	v_cvt_f16_f32_e64 v10, v139
	v_cvt_f16_f32_e32 v9, v101
	v_cvt_f16_f32_e32 v8, v111
	;; [unrolled: 1-line block ×3, first 2 shown]
	v_cvt_f16_f32_e64 v5, v136
	v_cvt_f16_f32_e32 v4, v100
	v_cvt_f16_f32_e32 v3, v106
	;; [unrolled: 1-line block ×3, first 2 shown]
	v_cvt_f16_f32_e64 v1, v132
	v_mov_b32_e32 v6, v43
	v_mov_b32_e32 v34, v44
.LBB142_14:
	s_mov_b32 s0, exec_lo
	v_cmpx_gt_u32_e64 s6, v45
	s_cbranch_execz .LBB142_65
; %bb.15:
	s_delay_alu instid0(VALU_DEP_2) | instskip(SKIP_1) | instid1(VALU_DEP_2)
	v_add_nc_u32_e32 v0, s14, v34
	v_mul_lo_u32 v34, v45, s12
	v_cmp_gt_u32_e32 vcc_lo, s12, v0
	s_and_saveexec_b32 s1, vcc_lo
	s_cbranch_execz .LBB142_17
; %bb.16:
	s_delay_alu instid0(VALU_DEP_2) | instskip(NEXT) | instid1(VALU_DEP_1)
	v_dual_mov_b32 v36, 0 :: v_dual_add_nc_u32 v35, v0, v34
	v_lshlrev_b64_e32 v[35:36], 1, v[35:36]
	s_wait_kmcnt 0x0
	s_delay_alu instid0(VALU_DEP_1) | instskip(NEXT) | instid1(VALU_DEP_1)
	v_add_co_u32 v35, s0, s8, v35
	v_add_co_ci_u32_e64 v36, null, s9, v36, s0
	global_store_b16 v[35:36], v12, off
.LBB142_17:
	s_or_b32 exec_lo, exec_lo, s1
	v_add_nc_u32_e32 v12, 32, v0
	s_delay_alu instid0(VALU_DEP_1)
	v_cmp_gt_u32_e64 s0, s12, v12
	s_and_saveexec_b32 s2, s0
	s_cbranch_execz .LBB142_19
; %bb.18:
	v_dual_mov_b32 v36, 0 :: v_dual_add_nc_u32 v35, v12, v34
	s_delay_alu instid0(VALU_DEP_1) | instskip(SKIP_1) | instid1(VALU_DEP_1)
	v_lshlrev_b64_e32 v[35:36], 1, v[35:36]
	s_wait_kmcnt 0x0
	v_add_co_u32 v35, s1, s8, v35
	s_wait_alu 0xf1ff
	s_delay_alu instid0(VALU_DEP_2)
	v_add_co_ci_u32_e64 v36, null, s9, v36, s1
	global_store_b16 v[35:36], v13, off
.LBB142_19:
	s_wait_alu 0xfffe
	s_or_b32 exec_lo, exec_lo, s2
	v_add_nc_u32_e32 v13, 64, v0
	s_delay_alu instid0(VALU_DEP_1)
	v_cmp_gt_u32_e64 s1, s12, v13
	s_and_saveexec_b32 s3, s1
	s_cbranch_execz .LBB142_21
; %bb.20:
	v_dual_mov_b32 v36, 0 :: v_dual_add_nc_u32 v35, v13, v34
	s_delay_alu instid0(VALU_DEP_1) | instskip(SKIP_1) | instid1(VALU_DEP_1)
	v_lshlrev_b64_e32 v[35:36], 1, v[35:36]
	s_wait_kmcnt 0x0
	v_add_co_u32 v35, s2, s8, v35
	s_wait_alu 0xf1ff
	s_delay_alu instid0(VALU_DEP_2)
	v_add_co_ci_u32_e64 v36, null, s9, v36, s2
	global_store_b16 v[35:36], v14, off
.LBB142_21:
	s_wait_alu 0xfffe
	;; [unrolled: 18-line block ×3, first 2 shown]
	s_or_b32 exec_lo, exec_lo, s4
	v_add3_u32 v33, v6, s13, 8
	s_delay_alu instid0(VALU_DEP_1)
	v_cmp_gt_u32_e64 s3, s6, v33
	s_and_b32 exec_lo, exec_lo, s3
	s_cbranch_execz .LBB142_65
; %bb.24:
	v_mul_lo_u32 v33, v33, s12
	s_and_saveexec_b32 s4, vcc_lo
	s_cbranch_execnz .LBB142_66
; %bb.25:
	s_wait_alu 0xfffe
	s_or_b32 exec_lo, exec_lo, s4
	s_and_saveexec_b32 s4, s0
	s_cbranch_execnz .LBB142_67
.LBB142_26:
	s_wait_alu 0xfffe
	s_or_b32 exec_lo, exec_lo, s4
	s_and_saveexec_b32 s4, s1
	s_cbranch_execnz .LBB142_68
.LBB142_27:
	s_wait_alu 0xfffe
	s_or_b32 exec_lo, exec_lo, s4
	s_and_saveexec_b32 s4, s2
	s_cbranch_execz .LBB142_29
.LBB142_28:
	v_dual_mov_b32 v31, 0 :: v_dual_add_nc_u32 v30, v33, v14
	s_delay_alu instid0(VALU_DEP_1) | instskip(SKIP_1) | instid1(VALU_DEP_1)
	v_lshlrev_b64_e32 v[30:31], 1, v[30:31]
	s_wait_kmcnt 0x0
	v_add_co_u32 v30, s3, s8, v30
	s_wait_alu 0xf1ff
	s_delay_alu instid0(VALU_DEP_2)
	v_add_co_ci_u32_e64 v31, null, s9, v31, s3
	global_store_b16 v[30:31], v29, off
.LBB142_29:
	s_wait_alu 0xfffe
	s_or_b32 exec_lo, exec_lo, s4
	v_add3_u32 v29, v6, s13, 16
	s_delay_alu instid0(VALU_DEP_1)
	v_cmp_gt_u32_e64 s3, s6, v29
	s_and_b32 exec_lo, exec_lo, s3
	s_cbranch_execz .LBB142_65
; %bb.30:
	v_mul_lo_u32 v29, v29, s12
	s_and_saveexec_b32 s4, vcc_lo
	s_cbranch_execnz .LBB142_69
; %bb.31:
	s_wait_alu 0xfffe
	s_or_b32 exec_lo, exec_lo, s4
	s_and_saveexec_b32 s4, s0
	s_cbranch_execnz .LBB142_70
.LBB142_32:
	s_wait_alu 0xfffe
	s_or_b32 exec_lo, exec_lo, s4
	s_and_saveexec_b32 s4, s1
	s_cbranch_execnz .LBB142_71
.LBB142_33:
	s_wait_alu 0xfffe
	s_or_b32 exec_lo, exec_lo, s4
	s_and_saveexec_b32 s4, s2
	s_cbranch_execz .LBB142_35
.LBB142_34:
	v_dual_mov_b32 v27, 0 :: v_dual_add_nc_u32 v26, v29, v14
	s_delay_alu instid0(VALU_DEP_1) | instskip(SKIP_1) | instid1(VALU_DEP_1)
	v_lshlrev_b64_e32 v[26:27], 1, v[26:27]
	s_wait_kmcnt 0x0
	v_add_co_u32 v26, s3, s8, v26
	s_wait_alu 0xf1ff
	s_delay_alu instid0(VALU_DEP_2)
	v_add_co_ci_u32_e64 v27, null, s9, v27, s3
	global_store_b16 v[26:27], v25, off
.LBB142_35:
	s_wait_alu 0xfffe
	s_or_b32 exec_lo, exec_lo, s4
	v_add3_u32 v25, v6, s13, 24
	s_delay_alu instid0(VALU_DEP_1)
	v_cmp_gt_u32_e64 s3, s6, v25
	s_and_b32 exec_lo, exec_lo, s3
	s_cbranch_execz .LBB142_65
; %bb.36:
	v_mul_lo_u32 v25, v25, s12
	s_and_saveexec_b32 s4, vcc_lo
	s_cbranch_execnz .LBB142_72
; %bb.37:
	s_wait_alu 0xfffe
	s_or_b32 exec_lo, exec_lo, s4
	s_and_saveexec_b32 s4, s0
	s_cbranch_execnz .LBB142_73
.LBB142_38:
	s_wait_alu 0xfffe
	s_or_b32 exec_lo, exec_lo, s4
	s_and_saveexec_b32 s4, s1
	s_cbranch_execnz .LBB142_74
.LBB142_39:
	s_wait_alu 0xfffe
	s_or_b32 exec_lo, exec_lo, s4
	s_and_saveexec_b32 s4, s2
	s_cbranch_execz .LBB142_41
.LBB142_40:
	v_dual_mov_b32 v23, 0 :: v_dual_add_nc_u32 v22, v25, v14
	s_delay_alu instid0(VALU_DEP_1) | instskip(SKIP_1) | instid1(VALU_DEP_1)
	v_lshlrev_b64_e32 v[22:23], 1, v[22:23]
	s_wait_kmcnt 0x0
	v_add_co_u32 v22, s3, s8, v22
	s_wait_alu 0xf1ff
	s_delay_alu instid0(VALU_DEP_2)
	v_add_co_ci_u32_e64 v23, null, s9, v23, s3
	global_store_b16 v[22:23], v21, off
.LBB142_41:
	s_wait_alu 0xfffe
	s_or_b32 exec_lo, exec_lo, s4
	v_add3_u32 v21, v6, s13, 32
	s_delay_alu instid0(VALU_DEP_1)
	v_cmp_gt_u32_e64 s3, s6, v21
	s_and_b32 exec_lo, exec_lo, s3
	s_cbranch_execz .LBB142_65
; %bb.42:
	v_mul_lo_u32 v21, v21, s12
	s_and_saveexec_b32 s4, vcc_lo
	s_cbranch_execnz .LBB142_75
; %bb.43:
	s_wait_alu 0xfffe
	s_or_b32 exec_lo, exec_lo, s4
	s_and_saveexec_b32 s4, s0
	s_cbranch_execnz .LBB142_76
.LBB142_44:
	s_wait_alu 0xfffe
	s_or_b32 exec_lo, exec_lo, s4
	s_and_saveexec_b32 s4, s1
	s_cbranch_execnz .LBB142_77
.LBB142_45:
	s_wait_alu 0xfffe
	s_or_b32 exec_lo, exec_lo, s4
	s_and_saveexec_b32 s4, s2
	s_cbranch_execz .LBB142_47
.LBB142_46:
	v_dual_mov_b32 v19, 0 :: v_dual_add_nc_u32 v18, v21, v14
	s_delay_alu instid0(VALU_DEP_1) | instskip(SKIP_1) | instid1(VALU_DEP_1)
	v_lshlrev_b64_e32 v[18:19], 1, v[18:19]
	s_wait_kmcnt 0x0
	v_add_co_u32 v18, s3, s8, v18
	s_wait_alu 0xf1ff
	s_delay_alu instid0(VALU_DEP_2)
	v_add_co_ci_u32_e64 v19, null, s9, v19, s3
	global_store_b16 v[18:19], v17, off
.LBB142_47:
	s_wait_alu 0xfffe
	s_or_b32 exec_lo, exec_lo, s4
	v_add3_u32 v17, v6, s13, 40
	s_delay_alu instid0(VALU_DEP_1)
	v_cmp_gt_u32_e64 s3, s6, v17
	s_and_b32 exec_lo, exec_lo, s3
	s_cbranch_execz .LBB142_65
; %bb.48:
	v_mul_lo_u32 v17, v17, s12
	s_and_saveexec_b32 s4, vcc_lo
	s_cbranch_execnz .LBB142_78
; %bb.49:
	s_wait_alu 0xfffe
	s_or_b32 exec_lo, exec_lo, s4
	s_and_saveexec_b32 s4, s0
	s_cbranch_execnz .LBB142_79
.LBB142_50:
	s_wait_alu 0xfffe
	s_or_b32 exec_lo, exec_lo, s4
	s_and_saveexec_b32 s4, s1
	s_cbranch_execnz .LBB142_80
.LBB142_51:
	s_wait_alu 0xfffe
	s_or_b32 exec_lo, exec_lo, s4
	s_and_saveexec_b32 s4, s2
	s_cbranch_execz .LBB142_53
.LBB142_52:
	v_dual_mov_b32 v16, 0 :: v_dual_add_nc_u32 v15, v17, v14
	s_delay_alu instid0(VALU_DEP_1) | instskip(SKIP_1) | instid1(VALU_DEP_1)
	v_lshlrev_b64_e32 v[15:16], 1, v[15:16]
	s_wait_kmcnt 0x0
	v_add_co_u32 v15, s3, s8, v15
	s_wait_alu 0xf1ff
	s_delay_alu instid0(VALU_DEP_2)
	v_add_co_ci_u32_e64 v16, null, s9, v16, s3
	global_store_b16 v[15:16], v10, off
.LBB142_53:
	s_wait_alu 0xfffe
	s_or_b32 exec_lo, exec_lo, s4
	v_add3_u32 v10, v6, s13, 48
	s_delay_alu instid0(VALU_DEP_1)
	v_cmp_gt_u32_e64 s3, s6, v10
	s_and_b32 exec_lo, exec_lo, s3
	s_cbranch_execz .LBB142_65
; %bb.54:
	v_mul_lo_u32 v10, v10, s12
	s_and_saveexec_b32 s4, vcc_lo
	s_cbranch_execnz .LBB142_81
; %bb.55:
	s_wait_alu 0xfffe
	s_or_b32 exec_lo, exec_lo, s4
	s_and_saveexec_b32 s4, s0
	s_cbranch_execnz .LBB142_82
.LBB142_56:
	s_wait_alu 0xfffe
	s_or_b32 exec_lo, exec_lo, s4
	s_and_saveexec_b32 s4, s1
	s_cbranch_execnz .LBB142_83
.LBB142_57:
	s_wait_alu 0xfffe
	s_or_b32 exec_lo, exec_lo, s4
	s_and_saveexec_b32 s4, s2
	s_cbranch_execz .LBB142_59
.LBB142_58:
	v_dual_mov_b32 v8, 0 :: v_dual_add_nc_u32 v7, v10, v14
	s_delay_alu instid0(VALU_DEP_1) | instskip(SKIP_1) | instid1(VALU_DEP_1)
	v_lshlrev_b64_e32 v[7:8], 1, v[7:8]
	s_wait_kmcnt 0x0
	v_add_co_u32 v7, s3, s8, v7
	s_wait_alu 0xf1ff
	s_delay_alu instid0(VALU_DEP_2)
	v_add_co_ci_u32_e64 v8, null, s9, v8, s3
	global_store_b16 v[7:8], v5, off
.LBB142_59:
	s_wait_alu 0xfffe
	s_or_b32 exec_lo, exec_lo, s4
	v_add3_u32 v5, v6, s13, 56
	s_delay_alu instid0(VALU_DEP_1)
	v_cmp_gt_u32_e64 s3, s6, v5
	s_and_b32 exec_lo, exec_lo, s3
	s_cbranch_execz .LBB142_65
; %bb.60:
	v_mul_lo_u32 v5, v5, s12
	s_and_saveexec_b32 s3, vcc_lo
	s_cbranch_execnz .LBB142_84
; %bb.61:
	s_wait_alu 0xfffe
	s_or_b32 exec_lo, exec_lo, s3
	s_and_saveexec_b32 s3, s0
	s_cbranch_execnz .LBB142_85
.LBB142_62:
	s_wait_alu 0xfffe
	s_or_b32 exec_lo, exec_lo, s3
	s_and_saveexec_b32 s0, s1
	s_cbranch_execnz .LBB142_86
.LBB142_63:
	s_wait_alu 0xfffe
	s_or_b32 exec_lo, exec_lo, s0
	s_delay_alu instid0(SALU_CYCLE_1)
	s_and_b32 exec_lo, exec_lo, s2
	s_cbranch_execz .LBB142_65
.LBB142_64:
	v_dual_mov_b32 v3, 0 :: v_dual_add_nc_u32 v2, v5, v14
	s_delay_alu instid0(VALU_DEP_1) | instskip(SKIP_1) | instid1(VALU_DEP_1)
	v_lshlrev_b64_e32 v[2:3], 1, v[2:3]
	s_wait_kmcnt 0x0
	v_add_co_u32 v2, vcc_lo, s8, v2
	s_wait_alu 0xfffd
	s_delay_alu instid0(VALU_DEP_2)
	v_add_co_ci_u32_e64 v3, null, s9, v3, vcc_lo
	global_store_b16 v[2:3], v1, off
.LBB142_65:
	s_nop 0
	s_sendmsg sendmsg(MSG_DEALLOC_VGPRS)
	s_endpgm
.LBB142_66:
	s_delay_alu instid0(VALU_DEP_1) | instskip(NEXT) | instid1(VALU_DEP_1)
	v_dual_mov_b32 v35, 0 :: v_dual_add_nc_u32 v34, v33, v0
	v_lshlrev_b64_e32 v[34:35], 1, v[34:35]
	s_wait_kmcnt 0x0
	s_delay_alu instid0(VALU_DEP_1) | instskip(SKIP_1) | instid1(VALU_DEP_2)
	v_add_co_u32 v34, s3, s8, v34
	s_wait_alu 0xf1ff
	v_add_co_ci_u32_e64 v35, null, s9, v35, s3
	global_store_b16 v[34:35], v32, off
	s_wait_alu 0xfffe
	s_or_b32 exec_lo, exec_lo, s4
	s_and_saveexec_b32 s4, s0
	s_cbranch_execz .LBB142_26
.LBB142_67:
	s_delay_alu instid0(VALU_DEP_1) | instskip(NEXT) | instid1(VALU_DEP_1)
	v_dual_mov_b32 v35, 0 :: v_dual_add_nc_u32 v34, v33, v12
	v_lshlrev_b64_e32 v[34:35], 1, v[34:35]
	s_wait_kmcnt 0x0
	s_delay_alu instid0(VALU_DEP_1) | instskip(SKIP_1) | instid1(VALU_DEP_2)
	v_add_co_u32 v34, s3, s8, v34
	s_wait_alu 0xf1ff
	v_add_co_ci_u32_e64 v35, null, s9, v35, s3
	global_store_b16 v[34:35], v31, off
	s_wait_alu 0xfffe
	s_or_b32 exec_lo, exec_lo, s4
	s_and_saveexec_b32 s4, s1
	s_cbranch_execz .LBB142_27
.LBB142_68:
	v_dual_mov_b32 v32, 0 :: v_dual_add_nc_u32 v31, v33, v13
	s_delay_alu instid0(VALU_DEP_1) | instskip(SKIP_1) | instid1(VALU_DEP_1)
	v_lshlrev_b64_e32 v[31:32], 1, v[31:32]
	s_wait_kmcnt 0x0
	v_add_co_u32 v31, s3, s8, v31
	s_wait_alu 0xf1ff
	s_delay_alu instid0(VALU_DEP_2)
	v_add_co_ci_u32_e64 v32, null, s9, v32, s3
	global_store_b16 v[31:32], v30, off
	s_wait_alu 0xfffe
	s_or_b32 exec_lo, exec_lo, s4
	s_and_saveexec_b32 s4, s2
	s_cbranch_execnz .LBB142_28
	s_branch .LBB142_29
.LBB142_69:
	s_delay_alu instid0(VALU_DEP_1) | instskip(NEXT) | instid1(VALU_DEP_1)
	v_dual_mov_b32 v31, 0 :: v_dual_add_nc_u32 v30, v29, v0
	v_lshlrev_b64_e32 v[30:31], 1, v[30:31]
	s_wait_kmcnt 0x0
	s_delay_alu instid0(VALU_DEP_1) | instskip(SKIP_1) | instid1(VALU_DEP_2)
	v_add_co_u32 v30, s3, s8, v30
	s_wait_alu 0xf1ff
	v_add_co_ci_u32_e64 v31, null, s9, v31, s3
	global_store_b16 v[30:31], v28, off
	s_wait_alu 0xfffe
	s_or_b32 exec_lo, exec_lo, s4
	s_and_saveexec_b32 s4, s0
	s_cbranch_execz .LBB142_32
.LBB142_70:
	s_delay_alu instid0(VALU_DEP_1) | instskip(NEXT) | instid1(VALU_DEP_1)
	v_dual_mov_b32 v31, 0 :: v_dual_add_nc_u32 v30, v29, v12
	v_lshlrev_b64_e32 v[30:31], 1, v[30:31]
	s_wait_kmcnt 0x0
	s_delay_alu instid0(VALU_DEP_1) | instskip(SKIP_1) | instid1(VALU_DEP_2)
	v_add_co_u32 v30, s3, s8, v30
	s_wait_alu 0xf1ff
	v_add_co_ci_u32_e64 v31, null, s9, v31, s3
	global_store_b16 v[30:31], v27, off
	s_wait_alu 0xfffe
	s_or_b32 exec_lo, exec_lo, s4
	s_and_saveexec_b32 s4, s1
	s_cbranch_execz .LBB142_33
.LBB142_71:
	v_dual_mov_b32 v28, 0 :: v_dual_add_nc_u32 v27, v29, v13
	s_delay_alu instid0(VALU_DEP_1) | instskip(SKIP_1) | instid1(VALU_DEP_1)
	v_lshlrev_b64_e32 v[27:28], 1, v[27:28]
	s_wait_kmcnt 0x0
	v_add_co_u32 v27, s3, s8, v27
	s_wait_alu 0xf1ff
	s_delay_alu instid0(VALU_DEP_2)
	v_add_co_ci_u32_e64 v28, null, s9, v28, s3
	global_store_b16 v[27:28], v26, off
	s_wait_alu 0xfffe
	s_or_b32 exec_lo, exec_lo, s4
	s_and_saveexec_b32 s4, s2
	s_cbranch_execnz .LBB142_34
	s_branch .LBB142_35
.LBB142_72:
	s_delay_alu instid0(VALU_DEP_1) | instskip(NEXT) | instid1(VALU_DEP_1)
	v_dual_mov_b32 v27, 0 :: v_dual_add_nc_u32 v26, v25, v0
	v_lshlrev_b64_e32 v[26:27], 1, v[26:27]
	s_wait_kmcnt 0x0
	s_delay_alu instid0(VALU_DEP_1) | instskip(SKIP_1) | instid1(VALU_DEP_2)
	v_add_co_u32 v26, s3, s8, v26
	s_wait_alu 0xf1ff
	v_add_co_ci_u32_e64 v27, null, s9, v27, s3
	global_store_b16 v[26:27], v24, off
	s_wait_alu 0xfffe
	s_or_b32 exec_lo, exec_lo, s4
	s_and_saveexec_b32 s4, s0
	s_cbranch_execz .LBB142_38
.LBB142_73:
	s_delay_alu instid0(VALU_DEP_1) | instskip(NEXT) | instid1(VALU_DEP_1)
	v_dual_mov_b32 v27, 0 :: v_dual_add_nc_u32 v26, v25, v12
	v_lshlrev_b64_e32 v[26:27], 1, v[26:27]
	s_wait_kmcnt 0x0
	s_delay_alu instid0(VALU_DEP_1) | instskip(SKIP_1) | instid1(VALU_DEP_2)
	v_add_co_u32 v26, s3, s8, v26
	s_wait_alu 0xf1ff
	v_add_co_ci_u32_e64 v27, null, s9, v27, s3
	global_store_b16 v[26:27], v23, off
	s_wait_alu 0xfffe
	s_or_b32 exec_lo, exec_lo, s4
	s_and_saveexec_b32 s4, s1
	s_cbranch_execz .LBB142_39
.LBB142_74:
	v_dual_mov_b32 v24, 0 :: v_dual_add_nc_u32 v23, v25, v13
	s_delay_alu instid0(VALU_DEP_1) | instskip(SKIP_1) | instid1(VALU_DEP_1)
	v_lshlrev_b64_e32 v[23:24], 1, v[23:24]
	s_wait_kmcnt 0x0
	v_add_co_u32 v23, s3, s8, v23
	s_wait_alu 0xf1ff
	s_delay_alu instid0(VALU_DEP_2)
	v_add_co_ci_u32_e64 v24, null, s9, v24, s3
	global_store_b16 v[23:24], v22, off
	s_wait_alu 0xfffe
	s_or_b32 exec_lo, exec_lo, s4
	s_and_saveexec_b32 s4, s2
	s_cbranch_execnz .LBB142_40
	s_branch .LBB142_41
.LBB142_75:
	s_delay_alu instid0(VALU_DEP_1) | instskip(NEXT) | instid1(VALU_DEP_1)
	v_dual_mov_b32 v23, 0 :: v_dual_add_nc_u32 v22, v21, v0
	v_lshlrev_b64_e32 v[22:23], 1, v[22:23]
	s_wait_kmcnt 0x0
	s_delay_alu instid0(VALU_DEP_1) | instskip(SKIP_1) | instid1(VALU_DEP_2)
	v_add_co_u32 v22, s3, s8, v22
	s_wait_alu 0xf1ff
	v_add_co_ci_u32_e64 v23, null, s9, v23, s3
	global_store_b16 v[22:23], v20, off
	s_wait_alu 0xfffe
	s_or_b32 exec_lo, exec_lo, s4
	s_and_saveexec_b32 s4, s0
	s_cbranch_execz .LBB142_44
.LBB142_76:
	s_delay_alu instid0(VALU_DEP_1) | instskip(NEXT) | instid1(VALU_DEP_1)
	v_dual_mov_b32 v23, 0 :: v_dual_add_nc_u32 v22, v21, v12
	v_lshlrev_b64_e32 v[22:23], 1, v[22:23]
	s_wait_kmcnt 0x0
	s_delay_alu instid0(VALU_DEP_1) | instskip(SKIP_1) | instid1(VALU_DEP_2)
	v_add_co_u32 v22, s3, s8, v22
	s_wait_alu 0xf1ff
	v_add_co_ci_u32_e64 v23, null, s9, v23, s3
	global_store_b16 v[22:23], v19, off
	s_wait_alu 0xfffe
	s_or_b32 exec_lo, exec_lo, s4
	s_and_saveexec_b32 s4, s1
	s_cbranch_execz .LBB142_45
.LBB142_77:
	v_dual_mov_b32 v20, 0 :: v_dual_add_nc_u32 v19, v21, v13
	s_delay_alu instid0(VALU_DEP_1) | instskip(SKIP_1) | instid1(VALU_DEP_1)
	v_lshlrev_b64_e32 v[19:20], 1, v[19:20]
	s_wait_kmcnt 0x0
	v_add_co_u32 v19, s3, s8, v19
	s_wait_alu 0xf1ff
	s_delay_alu instid0(VALU_DEP_2)
	v_add_co_ci_u32_e64 v20, null, s9, v20, s3
	global_store_b16 v[19:20], v18, off
	s_wait_alu 0xfffe
	s_or_b32 exec_lo, exec_lo, s4
	s_and_saveexec_b32 s4, s2
	s_cbranch_execnz .LBB142_46
	s_branch .LBB142_47
.LBB142_78:
	s_delay_alu instid0(VALU_DEP_1) | instskip(NEXT) | instid1(VALU_DEP_1)
	v_dual_mov_b32 v19, 0 :: v_dual_add_nc_u32 v18, v17, v0
	v_lshlrev_b64_e32 v[18:19], 1, v[18:19]
	s_wait_kmcnt 0x0
	s_delay_alu instid0(VALU_DEP_1) | instskip(SKIP_1) | instid1(VALU_DEP_2)
	v_add_co_u32 v18, s3, s8, v18
	s_wait_alu 0xf1ff
	v_add_co_ci_u32_e64 v19, null, s9, v19, s3
	global_store_b16 v[18:19], v16, off
	s_wait_alu 0xfffe
	s_or_b32 exec_lo, exec_lo, s4
	s_and_saveexec_b32 s4, s0
	s_cbranch_execz .LBB142_50
.LBB142_79:
	s_delay_alu instid0(VALU_DEP_1) | instskip(NEXT) | instid1(VALU_DEP_1)
	v_dual_mov_b32 v19, 0 :: v_dual_add_nc_u32 v18, v17, v12
	v_lshlrev_b64_e32 v[18:19], 1, v[18:19]
	s_wait_kmcnt 0x0
	s_delay_alu instid0(VALU_DEP_1) | instskip(SKIP_1) | instid1(VALU_DEP_2)
	v_add_co_u32 v18, s3, s8, v18
	s_wait_alu 0xf1ff
	v_add_co_ci_u32_e64 v19, null, s9, v19, s3
	global_store_b16 v[18:19], v15, off
	s_wait_alu 0xfffe
	s_or_b32 exec_lo, exec_lo, s4
	s_and_saveexec_b32 s4, s1
	s_cbranch_execz .LBB142_51
.LBB142_80:
	v_dual_mov_b32 v16, 0 :: v_dual_add_nc_u32 v15, v17, v13
	s_delay_alu instid0(VALU_DEP_1) | instskip(SKIP_1) | instid1(VALU_DEP_1)
	v_lshlrev_b64_e32 v[15:16], 1, v[15:16]
	s_wait_kmcnt 0x0
	v_add_co_u32 v15, s3, s8, v15
	s_wait_alu 0xf1ff
	s_delay_alu instid0(VALU_DEP_2)
	v_add_co_ci_u32_e64 v16, null, s9, v16, s3
	global_store_b16 v[15:16], v11, off
	s_wait_alu 0xfffe
	s_or_b32 exec_lo, exec_lo, s4
	s_and_saveexec_b32 s4, s2
	s_cbranch_execnz .LBB142_52
	s_branch .LBB142_53
.LBB142_81:
	s_delay_alu instid0(VALU_DEP_1) | instskip(NEXT) | instid1(VALU_DEP_1)
	v_dual_mov_b32 v16, 0 :: v_dual_add_nc_u32 v15, v10, v0
	v_lshlrev_b64_e32 v[15:16], 1, v[15:16]
	s_wait_kmcnt 0x0
	s_delay_alu instid0(VALU_DEP_1) | instskip(SKIP_1) | instid1(VALU_DEP_2)
	v_add_co_u32 v15, s3, s8, v15
	s_wait_alu 0xf1ff
	v_add_co_ci_u32_e64 v16, null, s9, v16, s3
	global_store_b16 v[15:16], v9, off
	s_wait_alu 0xfffe
	s_or_b32 exec_lo, exec_lo, s4
	s_and_saveexec_b32 s4, s0
	s_cbranch_execz .LBB142_56
.LBB142_82:
	s_delay_alu instid0(VALU_DEP_1) | instskip(NEXT) | instid1(VALU_DEP_1)
	v_dual_mov_b32 v16, 0 :: v_dual_add_nc_u32 v15, v10, v12
	v_lshlrev_b64_e32 v[15:16], 1, v[15:16]
	s_wait_kmcnt 0x0
	s_delay_alu instid0(VALU_DEP_1) | instskip(SKIP_1) | instid1(VALU_DEP_2)
	v_add_co_u32 v15, s3, s8, v15
	s_wait_alu 0xf1ff
	v_add_co_ci_u32_e64 v16, null, s9, v16, s3
	global_store_b16 v[15:16], v8, off
	s_wait_alu 0xfffe
	s_or_b32 exec_lo, exec_lo, s4
	s_and_saveexec_b32 s4, s1
	s_cbranch_execz .LBB142_57
.LBB142_83:
	v_dual_mov_b32 v9, 0 :: v_dual_add_nc_u32 v8, v10, v13
	s_delay_alu instid0(VALU_DEP_1) | instskip(SKIP_1) | instid1(VALU_DEP_1)
	v_lshlrev_b64_e32 v[8:9], 1, v[8:9]
	s_wait_kmcnt 0x0
	v_add_co_u32 v8, s3, s8, v8
	s_wait_alu 0xf1ff
	s_delay_alu instid0(VALU_DEP_2)
	v_add_co_ci_u32_e64 v9, null, s9, v9, s3
	global_store_b16 v[8:9], v7, off
	s_wait_alu 0xfffe
	s_or_b32 exec_lo, exec_lo, s4
	s_and_saveexec_b32 s4, s2
	s_cbranch_execnz .LBB142_58
	s_branch .LBB142_59
.LBB142_84:
	s_delay_alu instid0(VALU_DEP_1) | instskip(NEXT) | instid1(VALU_DEP_1)
	v_dual_mov_b32 v7, 0 :: v_dual_add_nc_u32 v6, v5, v0
	v_lshlrev_b64_e32 v[6:7], 1, v[6:7]
	s_wait_kmcnt 0x0
	s_delay_alu instid0(VALU_DEP_1) | instskip(SKIP_1) | instid1(VALU_DEP_2)
	v_add_co_u32 v6, vcc_lo, s8, v6
	s_wait_alu 0xfffd
	v_add_co_ci_u32_e64 v7, null, s9, v7, vcc_lo
	global_store_b16 v[6:7], v4, off
	s_wait_alu 0xfffe
	s_or_b32 exec_lo, exec_lo, s3
	s_and_saveexec_b32 s3, s0
	s_cbranch_execz .LBB142_62
.LBB142_85:
	s_delay_alu instid0(VALU_DEP_1) | instskip(NEXT) | instid1(VALU_DEP_1)
	v_dual_mov_b32 v7, 0 :: v_dual_add_nc_u32 v6, v5, v12
	v_lshlrev_b64_e32 v[6:7], 1, v[6:7]
	s_wait_kmcnt 0x0
	s_delay_alu instid0(VALU_DEP_1) | instskip(SKIP_1) | instid1(VALU_DEP_2)
	v_add_co_u32 v6, vcc_lo, s8, v6
	s_wait_alu 0xfffd
	v_add_co_ci_u32_e64 v7, null, s9, v7, vcc_lo
	global_store_b16 v[6:7], v3, off
	s_wait_alu 0xfffe
	s_or_b32 exec_lo, exec_lo, s3
	s_and_saveexec_b32 s0, s1
	s_cbranch_execz .LBB142_63
.LBB142_86:
	v_dual_mov_b32 v4, 0 :: v_dual_add_nc_u32 v3, v5, v13
	s_delay_alu instid0(VALU_DEP_1) | instskip(SKIP_1) | instid1(VALU_DEP_1)
	v_lshlrev_b64_e32 v[3:4], 1, v[3:4]
	s_wait_kmcnt 0x0
	v_add_co_u32 v3, vcc_lo, s8, v3
	s_wait_alu 0xfffd
	s_delay_alu instid0(VALU_DEP_2) | instskip(SKIP_3) | instid1(SALU_CYCLE_1)
	v_add_co_ci_u32_e64 v4, null, s9, v4, vcc_lo
	global_store_b16 v[3:4], v2, off
	s_wait_alu 0xfffe
	s_or_b32 exec_lo, exec_lo, s0
	s_and_b32 exec_lo, exec_lo, s2
	s_cbranch_execnz .LBB142_64
	s_branch .LBB142_65
	.section	.rodata,"a",@progbits
	.p2align	6, 0x0
	.amdhsa_kernel _ZL12mul_mat_q5_0IN3c104HalfELb1EEvPKvS3_PT_iiiii
		.amdhsa_group_segment_fixed_size 46720
		.amdhsa_private_segment_fixed_size 0
		.amdhsa_kernarg_size 44
		.amdhsa_user_sgpr_count 2
		.amdhsa_user_sgpr_dispatch_ptr 0
		.amdhsa_user_sgpr_queue_ptr 0
		.amdhsa_user_sgpr_kernarg_segment_ptr 1
		.amdhsa_user_sgpr_dispatch_id 0
		.amdhsa_user_sgpr_private_segment_size 0
		.amdhsa_wavefront_size32 1
		.amdhsa_uses_dynamic_stack 0
		.amdhsa_enable_private_segment 0
		.amdhsa_system_sgpr_workgroup_id_x 1
		.amdhsa_system_sgpr_workgroup_id_y 1
		.amdhsa_system_sgpr_workgroup_id_z 0
		.amdhsa_system_sgpr_workgroup_info 0
		.amdhsa_system_vgpr_workitem_id 1
		.amdhsa_next_free_vgpr 241
		.amdhsa_next_free_sgpr 17
		.amdhsa_reserve_vcc 1
		.amdhsa_float_round_mode_32 0
		.amdhsa_float_round_mode_16_64 0
		.amdhsa_float_denorm_mode_32 3
		.amdhsa_float_denorm_mode_16_64 3
		.amdhsa_fp16_overflow 0
		.amdhsa_workgroup_processor_mode 1
		.amdhsa_memory_ordered 1
		.amdhsa_forward_progress 1
		.amdhsa_inst_pref_size 205
		.amdhsa_round_robin_scheduling 0
		.amdhsa_exception_fp_ieee_invalid_op 0
		.amdhsa_exception_fp_denorm_src 0
		.amdhsa_exception_fp_ieee_div_zero 0
		.amdhsa_exception_fp_ieee_overflow 0
		.amdhsa_exception_fp_ieee_underflow 0
		.amdhsa_exception_fp_ieee_inexact 0
		.amdhsa_exception_int_div_zero 0
	.end_amdhsa_kernel
	.section	.text._ZL12mul_mat_q5_0IN3c104HalfELb1EEvPKvS3_PT_iiiii,"axG",@progbits,_ZL12mul_mat_q5_0IN3c104HalfELb1EEvPKvS3_PT_iiiii,comdat
.Lfunc_end142:
	.size	_ZL12mul_mat_q5_0IN3c104HalfELb1EEvPKvS3_PT_iiiii, .Lfunc_end142-_ZL12mul_mat_q5_0IN3c104HalfELb1EEvPKvS3_PT_iiiii
                                        ; -- End function
	.set _ZL12mul_mat_q5_0IN3c104HalfELb1EEvPKvS3_PT_iiiii.num_vgpr, 234
	.set _ZL12mul_mat_q5_0IN3c104HalfELb1EEvPKvS3_PT_iiiii.num_agpr, 0
	.set _ZL12mul_mat_q5_0IN3c104HalfELb1EEvPKvS3_PT_iiiii.numbered_sgpr, 17
	.set _ZL12mul_mat_q5_0IN3c104HalfELb1EEvPKvS3_PT_iiiii.num_named_barrier, 0
	.set _ZL12mul_mat_q5_0IN3c104HalfELb1EEvPKvS3_PT_iiiii.private_seg_size, 0
	.set _ZL12mul_mat_q5_0IN3c104HalfELb1EEvPKvS3_PT_iiiii.uses_vcc, 1
	.set _ZL12mul_mat_q5_0IN3c104HalfELb1EEvPKvS3_PT_iiiii.uses_flat_scratch, 0
	.set _ZL12mul_mat_q5_0IN3c104HalfELb1EEvPKvS3_PT_iiiii.has_dyn_sized_stack, 0
	.set _ZL12mul_mat_q5_0IN3c104HalfELb1EEvPKvS3_PT_iiiii.has_recursion, 0
	.set _ZL12mul_mat_q5_0IN3c104HalfELb1EEvPKvS3_PT_iiiii.has_indirect_call, 0
	.section	.AMDGPU.csdata,"",@progbits
; Kernel info:
; codeLenInByte = 26180
; TotalNumSgprs: 19
; NumVgprs: 234
; ScratchSize: 0
; MemoryBound: 0
; FloatMode: 240
; IeeeMode: 1
; LDSByteSize: 46720 bytes/workgroup (compile time only)
; SGPRBlocks: 0
; VGPRBlocks: 30
; NumSGPRsForWavesPerEU: 19
; NumVGPRsForWavesPerEU: 241
; Occupancy: 4
; WaveLimiterHint : 0
; COMPUTE_PGM_RSRC2:SCRATCH_EN: 0
; COMPUTE_PGM_RSRC2:USER_SGPR: 2
; COMPUTE_PGM_RSRC2:TRAP_HANDLER: 0
; COMPUTE_PGM_RSRC2:TGID_X_EN: 1
; COMPUTE_PGM_RSRC2:TGID_Y_EN: 1
; COMPUTE_PGM_RSRC2:TGID_Z_EN: 0
; COMPUTE_PGM_RSRC2:TIDIG_COMP_CNT: 1
	.section	.text._ZL12mul_mat_q5_1IN3c104HalfELb0EEvPKvS3_PT_iiiii,"axG",@progbits,_ZL12mul_mat_q5_1IN3c104HalfELb0EEvPKvS3_PT_iiiii,comdat
	.globl	_ZL12mul_mat_q5_1IN3c104HalfELb0EEvPKvS3_PT_iiiii ; -- Begin function _ZL12mul_mat_q5_1IN3c104HalfELb0EEvPKvS3_PT_iiiii
	.p2align	8
	.type	_ZL12mul_mat_q5_1IN3c104HalfELb0EEvPKvS3_PT_iiiii,@function
_ZL12mul_mat_q5_1IN3c104HalfELb0EEvPKvS3_PT_iiiii: ; @_ZL12mul_mat_q5_1IN3c104HalfELb0EEvPKvS3_PT_iiiii
; %bb.0:
	s_clause 0x1
	s_load_b32 s10, s[0:1], 0x18
	s_load_b96 s[4:6], s[0:1], 0x20
	v_bfe_u32 v25, v0, 10, 10
	v_and_b32_e32 v26, 0x3ff, v0
	s_lshl_b32 s7, ttmp7, 6
	s_wait_kmcnt 0x0
	s_cmp_gt_i32 s10, 31
	s_cbranch_scc1 .LBB143_2
; %bb.1:
	v_bfe_u32 v6, v0, 10, 10
	v_and_b32_e32 v37, 0x3ff, v0
	s_mov_b32 s2, 0
	s_delay_alu instid0(VALU_DEP_2)
	v_add_nc_u32_e32 v27, s7, v6
	s_branch .LBB143_3
.LBB143_2:
	s_mov_b32 s2, -1
                                        ; implicit-def: $vgpr6
                                        ; implicit-def: $vgpr37
                                        ; implicit-def: $vgpr27
.LBB143_3:
	s_load_b64 s[8:9], s[0:1], 0x10
	v_dual_mov_b32 v1, 0 :: v_dual_mov_b32 v10, 0
	v_dual_mov_b32 v5, 0 :: v_dual_mov_b32 v28, 0
	;; [unrolled: 1-line block ×16, first 2 shown]
	s_and_not1_b32 vcc_lo, exec_lo, s2
	s_lshl_b32 s14, ttmp9, 7
	s_cbranch_vccnz .LBB143_14
; %bb.4:
	v_add_nc_u32_e32 v27, s7, v25
	s_ashr_i32 s11, s10, 31
	v_bfe_u32 v34, v0, 2, 8
	s_lshr_b32 s11, s11, 27
	v_bfe_u32 v55, v0, 3, 7
	v_dual_mov_b32 v138, 0 :: v_dual_add_nc_u32 v5, 8, v27
	v_add_nc_u32_e32 v7, 16, v27
	v_dual_mov_b32 v144, 0 :: v_dual_add_nc_u32 v9, 24, v27
	v_dual_mov_b32 v142, 0 :: v_dual_add_nc_u32 v11, 32, v27
	;; [unrolled: 1-line block ×4, first 2 shown]
	s_add_co_i32 s10, s10, s11
	s_add_co_i32 s11, s4, -1
	v_cvt_f64_u32_e32 v[3:4], v27
	v_cvt_f64_i32_e32 v[1:2], s11
	v_cvt_f64_u32_e32 v[5:6], v5
	v_cvt_f64_u32_e32 v[7:8], v7
	;; [unrolled: 1-line block ×6, first 2 shown]
	v_dual_mov_b32 v140, 0 :: v_dual_add_nc_u32 v17, 56, v27
	s_ashr_i32 s15, s10, 5
	v_mov_b32_e32 v146, 0
	v_mul_lo_u32 v28, s15, v25
	s_delay_alu instid0(VALU_DEP_3)
	v_cvt_f64_u32_e32 v[17:18], v17
	s_lshl_b32 s16, s15, 3
	v_and_b32_e32 v19, 3, v0
	v_dual_mov_b32 v35, 0 :: v_dual_add_nc_u32 v80, 0x60, v26
	s_ashr_i32 s12, s5, 31
	v_dual_mov_b32 v121, 0 :: v_dual_lshlrev_b32 v20, 3, v26
	v_add_nc_u32_e32 v29, s16, v28
	s_lshr_b32 s12, s12, 27
	v_lshlrev_b32_e32 v38, 2, v19
	v_and_b32_e32 v59, 7, v0
	v_and_b32_e32 v0, 31, v0
	v_add_nc_u32_e32 v30, s16, v29
	v_lshlrev_b32_e32 v115, 3, v80
	s_add_co_i32 s5, s5, s12
	v_lshlrev_b32_e32 v69, 2, v59
	s_ashr_i32 s5, s5, 5
	v_add_nc_u32_e32 v31, s16, v30
	v_lshl_or_b32 v101, v0, 2, 0x8200
	v_dual_mov_b32 v115, 0 :: v_dual_lshlrev_b32 v134, 2, v115
	s_delay_alu instid0(VALU_DEP_3)
	v_dual_mov_b32 v127, 0 :: v_dual_add_nc_u32 v32, s16, v31
	v_add_nc_u32_e32 v21, 8, v25
	v_add_nc_u32_e32 v22, 16, v25
	v_min_num_f64_e32 v[3:4], v[3:4], v[1:2]
	v_min_num_f64_e32 v[5:6], v[5:6], v[1:2]
	;; [unrolled: 1-line block ×7, first 2 shown]
	v_add_nc_u32_e32 v33, s16, v32
	v_add_nc_u32_e32 v23, 24, v25
	v_dual_mov_b32 v141, 0 :: v_dual_add_nc_u32 v24, 32, v25
	v_add_nc_u32_e32 v89, 40, v25
	v_min_num_f64_e32 v[1:2], v[17:18], v[1:2]
	v_lshl_add_u32 v18, v25, 2, v55
	v_add_nc_u32_e32 v37, s16, v33
	v_add_nc_u32_e32 v91, 48, v25
	v_add_nc_u32_e32 v17, 56, v25
	s_delay_alu instid0(VALU_DEP_4)
	v_dual_mov_b32 v147, 0 :: v_dual_and_b32 v66, 0x7fc, v18
	v_mul_lo_u32 v65, s15, v18
	v_add_nc_u32_e32 v40, s16, v37
	s_load_b128 s[0:3], s[0:1], 0x0
	s_and_not1_b32 s10, s10, 31
	s_mul_i32 s12, s15, s14
	v_mad_u32_u24 v36, 0x104, v25, v20
	s_ashr_i32 s13, s12, 31
	v_lshrrev_b32_e32 v117, 2, v80
	v_mov_b32_e32 v133, 0
	s_mul_u64 s[12:13], s[12:13], 24
	v_mov_b32_e32 v143, 0
	s_movk_i32 s17, 0x6180
	v_add_nc_u32_e32 v39, 0x820, v36
	v_add_nc_u32_e32 v41, 0x1040, v36
	;; [unrolled: 1-line block ×3, first 2 shown]
	v_dual_mov_b32 v135, 0 :: v_dual_add_nc_u32 v44, 0x2080, v36
	v_dual_mov_b32 v129, 0 :: v_dual_add_nc_u32 v46, 0x28a0, v36
	v_cvt_i32_f64_e32 v3, v[3:4]
	v_cvt_i32_f64_e32 v5, v[5:6]
	;; [unrolled: 1-line block ×7, first 2 shown]
	v_add_nc_u32_e32 v6, 32, v18
	v_add_nc_u32_e32 v14, 64, v18
	;; [unrolled: 1-line block ×3, first 2 shown]
	v_dual_mov_b32 v137, 0 :: v_dual_lshlrev_b32 v8, 5, v18
	v_cvt_i32_f64_e32 v2, v[1:2]
	v_lshl_add_u32 v1, v25, 3, v34
	v_and_b32_e32 v11, 0xffc, v6
	v_and_b32_e32 v16, 0xffc, v14
	;; [unrolled: 1-line block ×3, first 2 shown]
	v_add3_u32 v4, v66, v69, 0xa200
	v_and_b32_e32 v1, 63, v1
	v_add3_u32 v11, v11, v69, 0xa200
	v_add3_u32 v16, v16, v69, 0xa200
	;; [unrolled: 1-line block ×3, first 2 shown]
	v_lshlrev_b32_e32 v69, 2, v26
	v_or_b32_e32 v70, s7, v1
	v_lshl_or_b32 v71, v1, 4, v38
	s_wait_alu 0xfffe
	v_add_nc_u32_e32 v66, s10, v65
	v_lshlrev_b32_e32 v6, 5, v6
	v_and_b32_e32 v99, 28, v69
	v_min_i32_e32 v70, s11, v70
	v_add_nc_u32_e32 v69, 0xb280, v71
	v_add_nc_u32_e32 v67, s10, v66
	v_lshlrev_b32_e32 v14, 5, v14
	v_lshlrev_b32_e32 v15, 5, v15
	v_mad_co_u64_u32 v[0:1], null, v70, s5, v[19:20]
	v_add_nc_u32_e32 v1, 32, v26
	v_lshlrev_b32_e32 v19, 7, v17
	s_wait_kmcnt 0x0
	s_add_nc_u64 s[0:1], s[0:1], s[12:13]
	v_mul_lo_u32 v70, s5, v3
	v_lshlrev_b32_e32 v3, 7, v25
	v_lshlrev_b32_e32 v105, 3, v1
	v_mul_lo_u32 v71, s5, v5
	v_lshlrev_b32_e32 v5, 7, v21
	v_mul_lo_u32 v72, s5, v7
	v_mul_lo_u32 v73, s5, v9
	v_lshlrev_b32_e32 v9, 7, v23
	v_mul_lo_u32 v74, s5, v10
	v_lshlrev_b32_e32 v10, 7, v24
	;; [unrolled: 2-line block ×4, first 2 shown]
	v_dual_mov_b32 v105, 0 :: v_dual_lshlrev_b32 v126, 2, v105
	v_lshlrev_b32_e32 v7, 7, v22
	v_add_nc_u32_e32 v106, v101, v3
	v_add_nc_u32_e32 v108, v101, v5
	;; [unrolled: 1-line block ×7, first 2 shown]
	v_dual_mov_b32 v101, 0 :: v_dual_add_nc_u32 v118, v101, v19
	v_add_nc_u32_e32 v43, s16, v40
	v_lshrrev_b32_e32 v107, 2, v1
	v_mul_lo_u32 v77, s5, v2
	v_add_nc_u32_e32 v2, 64, v26
	s_movk_i32 s12, 0x2080
	v_add_nc_u32_e32 v45, s16, v43
	v_dual_mov_b32 v107, 0 :: v_dual_lshlrev_b32 v124, 2, v107
	s_delay_alu instid0(VALU_DEP_3) | instskip(SKIP_1) | instid1(VALU_DEP_4)
	v_lshlrev_b32_e32 v110, 3, v2
	v_lshrrev_b32_e32 v112, 2, v2
	v_add_nc_u32_e32 v47, s16, v45
	s_movk_i32 s13, 0x4100
	v_lshrrev_b32_e32 v98, 3, v1
	v_add_co_u32 v1, s5, s2, v99
	s_delay_alu instid0(VALU_DEP_3) | instskip(SKIP_3) | instid1(VALU_DEP_4)
	v_add_nc_u32_e32 v49, s16, v47
	v_dual_mov_b32 v123, 0 :: v_dual_add_nc_u32 v48, 0x30c0, v36
	v_add_nc_u32_e32 v50, 0x38e0, v36
	v_add_nc_u32_e32 v51, 0x4100, v36
	;; [unrolled: 1-line block ×4, first 2 shown]
	v_dual_mov_b32 v139, 0 :: v_dual_add_nc_u32 v54, 0x5140, v36
	v_dual_mov_b32 v131, 0 :: v_dual_add_nc_u32 v56, 0x5960, v36
	s_delay_alu instid0(VALU_DEP_4) | instskip(SKIP_3) | instid1(VALU_DEP_4)
	v_add_nc_u32_e32 v57, s16, v52
	v_dual_mov_b32 v125, 0 :: v_dual_add_nc_u32 v58, 0x6180, v36
	v_add_nc_u32_e32 v61, 0x69a0, v36
	v_dual_mov_b32 v149, 0 :: v_dual_add_nc_u32 v62, 0x71c0, v36
	v_dual_mov_b32 v119, 0 :: v_dual_add_nc_u32 v60, s16, v57
	;; [unrolled: 1-line block ×3, first 2 shown]
	v_add_nc_u32_e32 v68, s10, v67
	s_delay_alu instid0(VALU_DEP_3)
	v_add_nc_u32_e32 v63, s16, v60
	v_lshlrev_b32_e32 v78, 5, v25
	v_lshlrev_b32_e32 v79, 4, v25
	;; [unrolled: 1-line block ×16, first 2 shown]
	v_mul_u32_u24_e32 v94, 0x104, v26
	v_mad_u32_u24 v95, 0x104, v26, s12
	v_mad_u32_u24 v96, 0x104, v26, s13
	;; [unrolled: 1-line block ×3, first 2 shown]
	s_wait_alu 0xf1ff
	v_add_co_ci_u32_e64 v2, null, s3, 0, s5
	v_add_nc_u32_e32 v100, v4, v8
	v_add_nc_u32_e32 v102, v11, v6
	v_add_nc_u32_e32 v103, v16, v14
	v_add_nc_u32_e32 v104, v18, v15
	v_lshlrev_b32_e32 v120, 2, v34
	v_lshlrev_b32_e32 v122, 2, v20
	v_lshlrev_b32_e32 v128, 2, v112
	v_lshlrev_b32_e32 v130, 2, v110
	v_lshlrev_b32_e32 v132, 2, v117
	v_dual_mov_b32 v110, 0 :: v_dual_mov_b32 v99, 0
	v_dual_mov_b32 v117, 0 :: v_dual_mov_b32 v112, 0
	s_mov_b32 s11, 0
	s_add_co_i32 s5, s15, 3
	s_wait_alu 0xfffe
	s_mov_b32 s10, s11
	s_branch .LBB143_6
.LBB143_5:                              ;   in Loop: Header=BB143_6 Depth=1
	s_add_co_i32 s10, s10, 8
	s_add_co_i32 s5, s5, -8
	s_wait_alu 0xfffe
	s_cmp_ge_i32 s10, s15
	s_cbranch_scc1 .LBB143_13
.LBB143_6:                              ; =>This Loop Header: Depth=1
                                        ;     Child Loop BB143_8 Depth 2
                                        ;     Child Loop BB143_11 Depth 2
	s_wait_alu 0xfffe
	s_mul_u64 s[12:13], s[10:11], 24
	s_cmp_gt_u32 s5, 3
	s_wait_alu 0xfffe
	s_add_nc_u64 s[12:13], s[0:1], s[12:13]
	s_wait_alu 0xfffe
	v_mad_co_u64_u32 v[3:4], null, v34, 24, s[12:13]
	s_delay_alu instid0(VALU_DEP_1) | instskip(SKIP_3) | instid1(VALU_DEP_4)
	v_mad_co_u64_u32 v[5:6], null, v28, 24, v[3:4]
	v_mad_co_u64_u32 v[7:8], null, v29, 24, v[3:4]
	;; [unrolled: 1-line block ×4, first 2 shown]
	v_add_co_u32 v13, vcc_lo, v5, v38
	v_mad_co_u64_u32 v[19:20], null, v32, 24, v[3:4]
	s_wait_alu 0xfffd
	v_add_co_ci_u32_e64 v14, null, 0, v6, vcc_lo
	v_add_co_u32 v15, vcc_lo, v7, v38
	v_mad_co_u64_u32 v[23:24], null, v33, 24, v[3:4]
	s_wait_alu 0xfffd
	v_add_co_ci_u32_e64 v16, null, 0, v8, vcc_lo
	;; [unrolled: 4-line block ×4, first 2 shown]
	v_add_co_u32 v150, vcc_lo, v19, v38
	s_wait_alu 0xfffd
	v_add_co_ci_u32_e64 v151, null, 0, v20, vcc_lo
	v_add_co_u32 v156, vcc_lo, v23, v38
	s_wait_alu 0xfffd
	v_add_co_ci_u32_e64 v157, null, 0, v24, vcc_lo
	;; [unrolled: 3-line block ×4, first 2 shown]
	s_clause 0xf
	global_load_b32 v162, v[13:14], off offset:8
	global_load_b32 v163, v[15:16], off offset:8
	;; [unrolled: 1-line block ×16, first 2 shown]
	v_mad_co_u64_u32 v[5:6], null, v43, 24, v[3:4]
	v_mad_co_u64_u32 v[7:8], null, v45, 24, v[3:4]
	;; [unrolled: 1-line block ×4, first 2 shown]
	s_delay_alu instid0(VALU_DEP_4)
	v_add_co_u32 v13, vcc_lo, v5, v38
	s_wait_alu 0xfffd
	v_add_co_ci_u32_e64 v14, null, 0, v6, vcc_lo
	v_add_co_u32 v15, vcc_lo, v7, v38
	s_wait_alu 0xfffd
	v_add_co_ci_u32_e64 v16, null, 0, v8, vcc_lo
	s_clause 0x5
	global_load_b32 v20, v[11:12], off offset:4
	global_load_b32 v24, v[9:10], off offset:4
	;; [unrolled: 1-line block ×6, first 2 shown]
	v_add_co_u32 v5, vcc_lo, v9, v38
	s_wait_alu 0xfffd
	v_add_co_ci_u32_e64 v6, null, 0, v10, vcc_lo
	v_mad_co_u64_u32 v[9:10], null, v63, 24, v[3:4]
	v_mad_co_u64_u32 v[7:8], null, v57, 24, v[3:4]
	global_load_b32 v160, v[5:6], off offset:8
	v_add_co_u32 v5, vcc_lo, v11, v38
	s_wait_alu 0xfffd
	v_add_co_ci_u32_e64 v6, null, 0, v12, vcc_lo
	v_mad_co_u64_u32 v[11:12], null, v59, 24, s[12:13]
	global_load_b32 v161, v[5:6], off offset:8
	v_mad_co_u64_u32 v[5:6], null, v52, 24, v[3:4]
	v_mad_co_u64_u32 v[3:4], null, v60, 24, v[3:4]
	;; [unrolled: 1-line block ×3, first 2 shown]
	s_delay_alu instid0(VALU_DEP_3) | instskip(SKIP_1) | instid1(VALU_DEP_4)
	v_add_co_u32 v13, vcc_lo, v5, v38
	s_wait_alu 0xfffd
	v_add_co_ci_u32_e64 v14, null, 0, v6, vcc_lo
	s_clause 0x4
	global_load_b32 v166, v[9:10], off offset:4
	global_load_b32 v167, v[3:4], off offset:4
	global_load_b32 v168, v[7:8], off offset:4
	global_load_b32 v169, v[5:6], off offset:4
	global_load_b32 v170, v[13:14], off offset:8
	v_add_co_u32 v7, vcc_lo, v7, v38
	s_wait_alu 0xfffd
	v_add_co_ci_u32_e64 v8, null, 0, v8, vcc_lo
	v_add_co_u32 v3, vcc_lo, v3, v38
	v_mad_co_u64_u32 v[5:6], null, v65, 24, v[11:12]
	s_wait_alu 0xfffd
	v_add_co_ci_u32_e64 v4, null, 0, v4, vcc_lo
	v_add_co_u32 v9, vcc_lo, v9, v38
	v_mad_co_u64_u32 v[13:14], null, v66, 24, v[11:12]
	s_wait_alu 0xfffd
	v_add_co_ci_u32_e64 v10, null, 0, v10, vcc_lo
	v_mad_co_u64_u32 v[11:12], null, v68, 24, v[11:12]
	s_clause 0x6
	global_load_b32 v7, v[7:8], off offset:8
	global_load_b32 v3, v[3:4], off offset:8
	;; [unrolled: 1-line block ×3, first 2 shown]
	global_load_b32 v5, v[5:6], off
	global_load_b32 v6, v[13:14], off
	;; [unrolled: 1-line block ×4, first 2 shown]
	s_wait_loadcnt 0x23
	v_lshrrev_b32_e32 v12, 4, v162
	s_wait_loadcnt 0x22
	v_lshrrev_b32_e32 v15, 4, v163
	v_and_b32_e32 v11, 0xf0f0f0f, v162
	s_wait_loadcnt 0x20
	v_and_b32_e32 v162, 0xf0f0f0f, v18
	s_wait_loadcnt 0x1f
	v_ashrrev_i32_e32 v21, v38, v21
	s_wait_loadcnt 0x1e
	v_ashrrev_i32_e32 v16, v38, v22
	;; [unrolled: 2-line block ×4, first 2 shown]
	v_and_b32_e32 v22, 0xf0f0f0f, v17
	v_lshrrev_b32_e32 v17, 4, v17
	v_lshlrev_b32_e32 v188, 4, v16
	v_lshlrev_b32_e32 v181, 4, v13
	s_wait_loadcnt 0x17
	v_ashrrev_i32_e32 v154, v38, v154
	s_wait_loadcnt 0x16
	v_ashrrev_i32_e32 v152, v38, v152
	s_wait_loadcnt 0x15
	v_ashrrev_i32_e32 v23, v38, v23
	s_wait_loadcnt 0x14
	v_ashrrev_i32_e32 v19, v38, v19
	v_lshlrev_b32_e32 v174, 4, v10
	v_lshlrev_b32_e32 v175, 11, v10
	v_lshrrev_b32_e32 v178, 12, v10
	v_lshrrev_b32_e32 v179, 5, v10
	v_lshlrev_b32_e32 v182, 11, v13
	v_lshrrev_b32_e32 v185, 12, v13
	v_lshrrev_b32_e32 v186, 5, v13
	;; [unrolled: 3-line block ×3, first 2 shown]
	v_lshrrev_b32_e32 v18, 4, v18
	v_lshlrev_b32_e32 v195, 4, v21
	v_lshlrev_b32_e32 v196, 11, v21
	v_lshrrev_b32_e32 v199, 12, v21
	v_lshrrev_b32_e32 v200, 5, v21
	v_and_b32_e32 v14, 0xf0f0f0f, v163
	v_and_b32_e32 v163, 0xf0f0f0f, v150
	v_lshrrev_b32_e32 v150, 4, v150
	v_lshlrev_b32_e32 v202, 4, v19
	v_lshlrev_b32_e32 v203, 11, v19
	v_lshrrev_b32_e32 v206, 12, v19
	v_lshrrev_b32_e32 v207, 5, v19
	v_and_b32_e32 v164, 0xf0f0f0f, v151
	v_lshrrev_b32_e32 v151, 4, v151
	v_and_b32_e32 v165, 0xf0f0f0f, v156
	;; [unrolled: 2-line block ×3, first 2 shown]
	v_lshrrev_b32_e32 v157, 4, v157
	v_lshlrev_b32_e32 v176, 18, v10
	v_lshlrev_b32_e32 v177, 25, v10
	v_and_b32_e32 v12, 0xf0f0f0f, v12
	v_lshlrev_b32_e32 v180, 2, v10
	v_lshlrev_b32_e32 v10, 9, v10
	;; [unrolled: 1-line block ×4, first 2 shown]
	v_lshrrev_b32_e32 v213, 12, v23
	v_lshrrev_b32_e32 v214, 5, v23
	v_lshlrev_b32_e32 v216, 4, v152
	v_lshlrev_b32_e32 v217, 11, v152
	v_lshrrev_b32_e32 v220, 12, v152
	v_lshrrev_b32_e32 v221, 5, v152
	v_lshlrev_b32_e32 v223, 4, v154
	v_lshlrev_b32_e32 v224, 11, v154
	v_lshrrev_b32_e32 v227, 12, v154
	v_lshrrev_b32_e32 v228, 5, v154
	v_and_b32_e32 v174, 16, v174
	v_and_b32_e32 v175, 0x1000, v175
	v_and_b32_e32 v178, 16, v178
	v_and_b32_e32 v179, 0x1000, v179
	v_lshlrev_b32_e32 v183, 18, v13
	v_lshlrev_b32_e32 v184, 25, v13
	v_and_b32_e32 v15, 0xf0f0f0f, v15
	v_lshlrev_b32_e32 v187, 2, v13
	v_lshlrev_b32_e32 v13, 9, v13
	v_and_b32_e32 v181, 16, v181
	v_and_b32_e32 v182, 0x1000, v182
	v_and_b32_e32 v185, 16, v185
	v_and_b32_e32 v186, 0x1000, v186
	v_lshlrev_b32_e32 v190, 18, v16
	v_lshlrev_b32_e32 v191, 25, v16
	v_and_b32_e32 v17, 0xf0f0f0f, v17
	v_lshlrev_b32_e32 v194, 2, v16
	v_lshlrev_b32_e32 v16, 9, v16
	;; [unrolled: 9-line block ×5, first 2 shown]
	v_lshlrev_b32_e32 v218, 18, v152
	v_lshlrev_b32_e32 v219, 25, v152
	v_and_b32_e32 v156, 0xf0f0f0f, v156
	v_lshlrev_b32_e32 v222, 2, v152
	v_lshlrev_b32_e32 v152, 9, v152
	;; [unrolled: 1-line block ×4, first 2 shown]
	v_and_b32_e32 v157, 0xf0f0f0f, v157
	v_lshlrev_b32_e32 v229, 2, v154
	v_lshlrev_b32_e32 v154, 9, v154
	v_and_b32_e32 v176, 0x100000, v176
	v_and_b32_e32 v177, 0x10000000, v177
	;; [unrolled: 1-line block ×16, first 2 shown]
	v_or3_b32 v11, v174, v11, v175
	v_or3_b32 v12, v178, v12, v179
	v_and_b32_e32 v183, 0x100000, v183
	v_and_b32_e32 v184, 0x10000000, v184
	v_and_b32_e32 v187, 0x100000, v187
	v_and_b32_e32 v13, 0x10000000, v13
	v_or3_b32 v14, v181, v14, v182
	v_or3_b32 v15, v185, v15, v186
	v_and_b32_e32 v190, 0x100000, v190
	v_and_b32_e32 v191, 0x10000000, v191
	v_and_b32_e32 v194, 0x100000, v194
	v_and_b32_e32 v16, 0x10000000, v16
	;; [unrolled: 6-line block ×4, first 2 shown]
	v_or3_b32 v163, v202, v163, v203
	v_or3_b32 v150, v206, v150, v207
	s_wait_loadcnt 0x10
	v_ashrrev_i32_e32 v155, v38, v155
	v_ashrrev_i32_e32 v153, v38, v153
	v_and_b32_e32 v211, 0x100000, v211
	v_and_b32_e32 v212, 0x10000000, v212
	;; [unrolled: 1-line block ×12, first 2 shown]
	v_or3_b32 v164, v209, v164, v210
	v_or3_b32 v151, v213, v151, v214
	;; [unrolled: 1-line block ×16, first 2 shown]
	s_wait_loadcnt 0xf
	v_and_b32_e32 v172, 0xf0f0f0f, v158
	v_lshrrev_b32_e32 v158, 4, v158
	v_lshlrev_b32_e32 v230, 4, v155
	v_lshlrev_b32_e32 v231, 11, v155
	v_lshrrev_b32_e32 v234, 12, v155
	v_lshrrev_b32_e32 v235, 5, v155
	v_or3_b32 v21, v164, v211, v212
	v_or3_b32 v22, v151, v215, v23
	;; [unrolled: 1-line block ×6, first 2 shown]
	ds_store_2addr_b32 v36, v11, v10 offset1:1
	ds_store_2addr_b32 v39, v12, v13 offset1:1
	;; [unrolled: 1-line block ×8, first 2 shown]
	s_wait_loadcnt 0xe
	v_lshrrev_b32_e32 v14, 4, v159
	v_lshrrev_b32_e32 v15, 12, v153
	;; [unrolled: 1-line block ×3, first 2 shown]
	v_lshlrev_b32_e32 v232, 18, v155
	v_lshlrev_b32_e32 v233, 25, v155
	v_and_b32_e32 v158, 0xf0f0f0f, v158
	v_lshlrev_b32_e32 v236, 2, v155
	v_lshlrev_b32_e32 v155, 9, v155
	;; [unrolled: 1-line block ×4, first 2 shown]
	v_and_b32_e32 v230, 16, v230
	v_and_b32_e32 v231, 0x1000, v231
	;; [unrolled: 1-line block ×7, first 2 shown]
	v_ashrrev_i32_e32 v18, v38, v24
	v_and_b32_e32 v173, 0xf0f0f0f, v159
	v_and_b32_e32 v232, 0x100000, v232
	v_and_b32_e32 v233, 0x10000000, v233
	v_and_b32_e32 v236, 0x100000, v236
	v_and_b32_e32 v155, 0x10000000, v155
	v_and_b32_e32 v237, 16, v237
	v_and_b32_e32 v238, 0x1000, v238
	v_or3_b32 v172, v230, v172, v231
	v_or3_b32 v158, v234, v158, v235
	v_lshlrev_b32_e32 v12, 18, v153
	v_lshlrev_b32_e32 v17, 25, v153
	;; [unrolled: 1-line block ×4, first 2 shown]
	v_or3_b32 v14, v15, v14, v16
	v_lshlrev_b32_e32 v15, 4, v18
	v_lshlrev_b32_e32 v16, 11, v18
	v_or3_b32 v10, v172, v232, v233
	v_or3_b32 v11, v158, v236, v155
	;; [unrolled: 1-line block ×3, first 2 shown]
	v_and_b32_e32 v12, 0x100000, v12
	v_and_b32_e32 v17, 0x10000000, v17
	;; [unrolled: 1-line block ×4, first 2 shown]
	s_wait_loadcnt 0xd
	v_and_b32_e32 v22, 0xf0f0f0f, v160
	v_and_b32_e32 v15, 16, v15
	;; [unrolled: 1-line block ×3, first 2 shown]
	ds_store_2addr_b32 v51, v10, v11 offset1:1
	v_or3_b32 v10, v13, v12, v17
	v_or3_b32 v11, v14, v19, v21
	v_lshrrev_b32_e32 v14, 4, v160
	v_or3_b32 v13, v15, v22, v16
	v_lshrrev_b32_e32 v15, 12, v18
	v_lshrrev_b32_e32 v16, 5, v18
	v_ashrrev_i32_e32 v19, v38, v20
	v_and_b32_e32 v14, 0xf0f0f0f, v14
	v_lshlrev_b32_e32 v12, 18, v18
	v_and_b32_e32 v15, 16, v15
	v_and_b32_e32 v16, 0x1000, v16
	v_lshlrev_b32_e32 v17, 25, v18
	v_lshlrev_b32_e32 v20, 2, v18
	;; [unrolled: 1-line block ×3, first 2 shown]
	v_and_b32_e32 v12, 0x100000, v12
	v_or3_b32 v14, v15, v14, v16
	v_lshlrev_b32_e32 v15, 4, v19
	v_lshlrev_b32_e32 v16, 11, v19
	v_and_b32_e32 v17, 0x10000000, v17
	v_and_b32_e32 v20, 0x100000, v20
	;; [unrolled: 1-line block ×3, first 2 shown]
	s_wait_loadcnt 0xc
	v_and_b32_e32 v21, 0xf0f0f0f, v161
	v_and_b32_e32 v15, 16, v15
	;; [unrolled: 1-line block ×3, first 2 shown]
	ds_store_2addr_b32 v53, v10, v11 offset1:1
	v_or3_b32 v10, v13, v12, v17
	v_or3_b32 v11, v14, v20, v18
	v_lshrrev_b32_e32 v14, 4, v161
	v_or3_b32 v13, v15, v21, v16
	v_lshrrev_b32_e32 v15, 12, v19
	v_lshrrev_b32_e32 v16, 5, v19
	s_wait_loadcnt 0x8
	v_ashrrev_i32_e32 v18, v38, v169
	v_and_b32_e32 v14, 0xf0f0f0f, v14
	v_lshlrev_b32_e32 v12, 18, v19
	v_and_b32_e32 v15, 16, v15
	v_and_b32_e32 v16, 0x1000, v16
	v_lshlrev_b32_e32 v17, 25, v19
	v_lshlrev_b32_e32 v20, 2, v19
	;; [unrolled: 1-line block ×3, first 2 shown]
	v_and_b32_e32 v12, 0x100000, v12
	v_or3_b32 v14, v15, v14, v16
	v_lshlrev_b32_e32 v15, 4, v18
	v_lshlrev_b32_e32 v16, 11, v18
	v_and_b32_e32 v17, 0x10000000, v17
	v_and_b32_e32 v20, 0x100000, v20
	;; [unrolled: 1-line block ×3, first 2 shown]
	s_wait_loadcnt 0x7
	v_and_b32_e32 v21, 0xf0f0f0f, v170
	v_and_b32_e32 v15, 16, v15
	;; [unrolled: 1-line block ×3, first 2 shown]
	ds_store_2addr_b32 v54, v10, v11 offset1:1
	v_or3_b32 v10, v13, v12, v17
	v_or3_b32 v11, v14, v20, v19
	v_lshrrev_b32_e32 v14, 4, v170
	v_or3_b32 v13, v15, v21, v16
	v_lshrrev_b32_e32 v15, 12, v18
	v_lshrrev_b32_e32 v16, 5, v18
	v_ashrrev_i32_e32 v19, v38, v168
	v_and_b32_e32 v14, 0xf0f0f0f, v14
	v_lshlrev_b32_e32 v12, 18, v18
	v_and_b32_e32 v15, 16, v15
	v_and_b32_e32 v16, 0x1000, v16
	v_lshlrev_b32_e32 v17, 25, v18
	v_lshlrev_b32_e32 v20, 2, v18
	;; [unrolled: 1-line block ×3, first 2 shown]
	v_and_b32_e32 v12, 0x100000, v12
	v_or3_b32 v14, v15, v14, v16
	v_lshlrev_b32_e32 v15, 4, v19
	v_lshlrev_b32_e32 v16, 11, v19
	v_and_b32_e32 v17, 0x10000000, v17
	v_and_b32_e32 v20, 0x100000, v20
	v_and_b32_e32 v18, 0x10000000, v18
	s_wait_loadcnt 0x6
	v_and_b32_e32 v21, 0xf0f0f0f, v7
	v_and_b32_e32 v15, 16, v15
	;; [unrolled: 1-line block ×3, first 2 shown]
	v_lshlrev_b32_e32 v22, 18, v19
	v_lshlrev_b32_e32 v23, 25, v19
	v_or3_b32 v12, v13, v12, v17
	v_or3_b32 v13, v14, v20, v18
	;; [unrolled: 1-line block ×3, first 2 shown]
	v_and_b32_e32 v15, 0x100000, v22
	v_and_b32_e32 v16, 0x10000000, v23
	v_lshrrev_b32_e32 v17, 12, v19
	v_lshrrev_b32_e32 v18, 5, v19
	v_ashrrev_i32_e32 v20, v38, v167
	v_lshrrev_b32_e32 v7, 4, v7
	v_or3_b32 v14, v14, v15, v16
	v_and_b32_e32 v15, 16, v17
	v_and_b32_e32 v16, 0x1000, v18
	v_lshlrev_b32_e32 v17, 4, v20
	v_lshlrev_b32_e32 v18, 11, v20
	s_wait_loadcnt 0x5
	v_and_b32_e32 v22, 0xf0f0f0f, v3
	v_and_b32_e32 v7, 0xf0f0f0f, v7
	v_lshlrev_b32_e32 v21, 2, v19
	v_and_b32_e32 v17, 16, v17
	v_and_b32_e32 v18, 0x1000, v18
	v_lshlrev_b32_e32 v19, 9, v19
	v_or3_b32 v7, v15, v7, v16
	v_and_b32_e32 v15, 0x100000, v21
	v_lshrrev_b32_e32 v3, 4, v3
	v_or3_b32 v17, v17, v22, v18
	v_ashrrev_i32_e32 v22, v38, v166
	v_and_b32_e32 v16, 0x10000000, v19
	v_lshrrev_b32_e32 v19, 12, v20
	v_lshrrev_b32_e32 v21, 5, v20
	v_and_b32_e32 v3, 0xf0f0f0f, v3
	v_lshlrev_b32_e32 v24, 4, v22
	v_lshlrev_b32_e32 v150, 11, v22
	v_and_b32_e32 v19, 16, v19
	v_and_b32_e32 v21, 0x1000, v21
	s_wait_loadcnt 0x4
	v_and_b32_e32 v152, 0xf0f0f0f, v4
	v_and_b32_e32 v24, 16, v24
	;; [unrolled: 1-line block ×3, first 2 shown]
	v_lshlrev_b32_e32 v23, 18, v20
	v_lshlrev_b32_e32 v151, 2, v20
	v_or3_b32 v3, v19, v3, v21
	v_lshrrev_b32_e32 v4, 4, v4
	v_or3_b32 v21, v24, v152, v150
	v_lshrrev_b32_e32 v24, 12, v22
	v_lshrrev_b32_e32 v150, 5, v22
	v_and_b32_e32 v18, 0x100000, v23
	v_lshlrev_b32_e32 v23, 25, v20
	v_lshlrev_b32_e32 v20, 9, v20
	v_and_b32_e32 v19, 0x100000, v151
	v_lshlrev_b32_e32 v151, 18, v22
	v_lshlrev_b32_e32 v152, 25, v22
	v_and_b32_e32 v4, 0xf0f0f0f, v4
	v_and_b32_e32 v24, 16, v24
	;; [unrolled: 1-line block ×3, first 2 shown]
	v_lshlrev_b32_e32 v153, 2, v22
	v_lshlrev_b32_e32 v22, 9, v22
	v_and_b32_e32 v23, 0x10000000, v23
	v_and_b32_e32 v20, 0x10000000, v20
	;; [unrolled: 1-line block ×4, first 2 shown]
	v_or3_b32 v4, v24, v4, v150
	v_and_b32_e32 v24, 0x100000, v153
	v_and_b32_e32 v22, 0x10000000, v22
	v_or3_b32 v7, v7, v15, v16
	v_or3_b32 v15, v17, v18, v23
	;; [unrolled: 1-line block ×5, first 2 shown]
	ds_store_2addr_b32 v56, v10, v11 offset1:1
	ds_store_2addr_b32 v58, v12, v13 offset1:1
	;; [unrolled: 1-line block ×5, first 2 shown]
	s_wait_loadcnt 0x3
	ds_store_b32 v100, v5
	s_wait_loadcnt 0x2
	ds_store_b32 v102, v6
	;; [unrolled: 2-line block ×4, first 2 shown]
	s_cbranch_scc0 .LBB143_5
; %bb.7:                                ;   in Loop: Header=BB143_6 Depth=1
	v_add_nc_u32_e32 v11, s10, v55
	v_add_nc_u32_e32 v150, s10, v0
	s_mov_b32 s12, 0
	s_delay_alu instid0(VALU_DEP_2)
	v_add_nc_u32_e32 v12, v11, v77
	v_add_nc_u32_e32 v3, v11, v70
	;; [unrolled: 1-line block ×8, first 2 shown]
	v_mad_co_i64_i32 v[11:12], null, v12, 36, v[1:2]
	v_mad_co_i64_i32 v[3:4], null, v3, 36, v[1:2]
	;; [unrolled: 1-line block ×8, first 2 shown]
	v_mad_co_u64_u32 v[19:20], null, v150, 36, s[2:3]
	s_clause 0x8
	global_load_b32 v11, v[11:12], off offset:4
	global_load_b32 v3, v[3:4], off offset:4
	;; [unrolled: 1-line block ×8, first 2 shown]
	global_load_b32 v10, v[19:20], off
	s_wait_loadcnt 0x8
	ds_store_b32 v118, v11
	s_wait_loadcnt 0x7
	ds_store_b32 v106, v3
	;; [unrolled: 2-line block ×9, first 2 shown]
	s_wait_dscnt 0x0
	s_barrier_signal -1
	s_barrier_wait -1
	global_inv scope:SCOPE_SE
.LBB143_8:                              ;   Parent Loop BB143_6 Depth=1
                                        ; =>  This Inner Loop Header: Depth=2
	s_wait_alu 0xfffe
	s_lshl_b32 s16, s12, 3
	s_wait_alu 0xfffe
	s_add_co_i32 s13, s16, 0x8200
	v_add_nc_u32_e32 v195, s16, v95
	s_wait_alu 0xfffe
	v_lshl_add_u32 v151, v80, 2, s13
	v_lshl_add_u32 v152, v82, 2, s13
	;; [unrolled: 1-line block ×5, first 2 shown]
	ds_load_2addr_b32 v[3:4], v151 offset0:3 offset1:4
	ds_load_2addr_b32 v[160:161], v152 offset0:1 offset1:2
	;; [unrolled: 1-line block ×4, first 2 shown]
	v_lshl_add_u32 v155, v88, 2, s13
	v_add_nc_u32_e32 v196, s16, v96
	v_add_nc_u32_e32 v197, s16, v97
	v_lshl_add_u32 v157, v92, 2, s13
	v_add_nc_u32_e32 v194, s16, v94
	s_add_co_i32 s16, s12, 0xb280
	ds_load_2addr_b32 v[164:165], v154 offset0:1 offset1:2
	ds_load_2addr_b32 v[168:169], v156 offset0:1 offset1:2
	;; [unrolled: 1-line block ×3, first 2 shown]
	s_wait_dscnt 0x6
	v_lshlrev_b32_e32 v5, 16, v4
	v_lshlrev_b32_e32 v6, 8, v4
	v_perm_b32 v4, v4, v4, 0xc0c0003
	s_delay_alu instid0(VALU_DEP_2)
	v_perm_b32 v9, v6, v5, 0x7030c0c
	s_wait_dscnt 0x3
	v_lshlrev_b32_e32 v5, 16, v158
	v_lshlrev_b32_e32 v6, 8, v158
	s_wait_dscnt 0x2
	v_lshlrev_b32_e32 v19, 8, v164
	v_or_b32_e32 v4, v9, v4
	v_perm_b32 v9, v158, v158, 0xc0c0003
	v_perm_b32 v12, v6, v5, 0x7030c0c
	ds_load_2addr_b32 v[5:6], v152 offset0:3 offset1:4
	v_or_b32_e32 v158, v12, v9
	v_perm_b32 v9, v160, v160, 0xc0c0003
	s_wait_dscnt 0x0
	v_lshlrev_b32_e32 v7, 16, v6
	v_lshlrev_b32_e32 v8, 8, v6
	v_perm_b32 v6, v6, v6, 0xc0c0003
	s_delay_alu instid0(VALU_DEP_2) | instskip(SKIP_2) | instid1(VALU_DEP_3)
	v_perm_b32 v13, v8, v7, 0x7030c0c
	v_lshlrev_b32_e32 v7, 16, v160
	v_lshlrev_b32_e32 v8, 8, v160
	v_or_b32_e32 v6, v13, v6
	s_delay_alu instid0(VALU_DEP_2)
	v_perm_b32 v14, v8, v7, 0x7030c0c
	ds_load_2addr_b32 v[7:8], v153 offset0:3 offset1:4
	v_or_b32_e32 v160, v14, v9
	ds_load_2addr_b32 v[13:14], v195 offset1:1
	s_wait_dscnt 0x1
	v_lshlrev_b32_e32 v10, 16, v8
	v_lshlrev_b32_e32 v11, 8, v8
	v_perm_b32 v8, v8, v8, 0xc0c0003
	s_delay_alu instid0(VALU_DEP_2) | instskip(SKIP_2) | instid1(VALU_DEP_3)
	v_perm_b32 v15, v11, v10, 0x7030c0c
	v_lshlrev_b32_e32 v10, 16, v162
	v_lshlrev_b32_e32 v11, 8, v162
	v_or_b32_e32 v12, v15, v8
	v_perm_b32 v8, v162, v162, 0xc0c0003
	s_delay_alu instid0(VALU_DEP_3)
	v_perm_b32 v16, v11, v10, 0x7030c0c
	ds_load_2addr_b32 v[10:11], v154 offset0:3 offset1:4
	v_or_b32_e32 v162, v16, v8
	ds_load_2addr_b32 v[15:16], v196 offset1:1
	s_wait_dscnt 0x1
	v_lshlrev_b32_e32 v17, 16, v11
	v_lshlrev_b32_e32 v18, 8, v11
	v_perm_b32 v8, v11, v11, 0xc0c0003
	s_delay_alu instid0(VALU_DEP_2) | instskip(SKIP_1) | instid1(VALU_DEP_2)
	v_perm_b32 v17, v18, v17, 0x7030c0c
	v_lshlrev_b32_e32 v18, 16, v164
	v_or_b32_e32 v11, v17, v8
	s_delay_alu instid0(VALU_DEP_2) | instskip(SKIP_2) | instid1(VALU_DEP_1)
	v_perm_b32 v18, v19, v18, 0x7030c0c
	ds_load_2addr_b32 v[19:20], v155 offset0:3 offset1:4
	v_perm_b32 v8, v164, v164, 0xc0c0003
	v_or_b32_e32 v164, v18, v8
	ds_load_2addr_b32 v[17:18], v197 offset1:1
	s_wait_dscnt 0x1
	v_lshlrev_b32_e32 v21, 16, v20
	v_lshlrev_b32_e32 v22, 8, v20
	v_perm_b32 v8, v20, v20, 0xc0c0003
	s_delay_alu instid0(VALU_DEP_2) | instskip(SKIP_2) | instid1(VALU_DEP_3)
	v_perm_b32 v172, v22, v21, 0x7030c0c
	v_lshlrev_b32_e32 v21, 16, v166
	v_lshlrev_b32_e32 v22, 8, v166
	v_or_b32_e32 v20, v172, v8
	v_perm_b32 v8, v166, v166, 0xc0c0003
	s_delay_alu instid0(VALU_DEP_3) | instskip(SKIP_3) | instid1(VALU_DEP_1)
	v_perm_b32 v173, v22, v21, 0x7030c0c
	ds_load_2addr_b32 v[21:22], v156 offset0:3 offset1:4
	v_or_b32_e32 v166, v173, v8
	v_perm_b32 v173, v14, v14, 0x2010003
	v_dot4_i32_iu8 v180, v6, v173, 0 neg_lo:[1,1,0]
	v_dot4_i32_iu8 v183, v12, v173, 0 neg_lo:[1,1,0]
	;; [unrolled: 1-line block ×4, first 2 shown]
	s_wait_dscnt 0x0
	v_lshlrev_b32_e32 v23, 16, v22
	v_lshlrev_b32_e32 v24, 8, v22
	v_perm_b32 v8, v22, v22, 0xc0c0003
	s_delay_alu instid0(VALU_DEP_2) | instskip(SKIP_2) | instid1(VALU_DEP_3)
	v_perm_b32 v174, v24, v23, 0x7030c0c
	v_lshlrev_b32_e32 v23, 16, v168
	v_lshlrev_b32_e32 v24, 8, v168
	v_or_b32_e32 v22, v174, v8
	v_perm_b32 v8, v168, v168, 0xc0c0003
	s_delay_alu instid0(VALU_DEP_3)
	v_perm_b32 v175, v24, v23, 0x7030c0c
	ds_load_2addr_b32 v[23:24], v157 offset0:3 offset1:4
	v_perm_b32 v174, v16, v16, 0x2010003
	v_dot4_i32_iu8 v198, v22, v173, 0 neg_lo:[1,1,0]
	v_or_b32_e32 v168, v175, v8
	v_perm_b32 v175, v18, v18, 0x2010003
	s_delay_alu instid0(VALU_DEP_4)
	v_dot4_i32_iu8 v184, v12, v174, 0 neg_lo:[1,1,0]
	v_dot4_i32_iu8 v188, v11, v174, 0 neg_lo:[1,1,0]
	;; [unrolled: 1-line block ×7, first 2 shown]
	s_wait_dscnt 0x0
	v_lshlrev_b32_e32 v170, 16, v24
	v_lshlrev_b32_e32 v171, 8, v24
	v_perm_b32 v8, v24, v24, 0xc0c0003
	s_delay_alu instid0(VALU_DEP_2) | instskip(SKIP_2) | instid1(VALU_DEP_1)
	v_perm_b32 v176, v171, v170, 0x7030c0c
	ds_load_2addr_b32 v[170:171], v157 offset0:1 offset1:2
	v_or_b32_e32 v24, v176, v8
	v_dot4_i32_iu8 v201, v24, v173, 0 neg_lo:[1,1,0]
	v_dot4_i32_iu8 v202, v24, v174, 0 neg_lo:[1,1,0]
	s_wait_dscnt 0x0
	v_lshlrev_b32_e32 v177, 16, v170
	v_lshlrev_b32_e32 v178, 8, v170
	v_perm_b32 v8, v170, v170, 0xc0c0003
	s_delay_alu instid0(VALU_DEP_2) | instskip(SKIP_1) | instid1(VALU_DEP_2)
	v_perm_b32 v177, v178, v177, 0x7030c0c
	v_dot4_i32_iu8 v178, v4, v174, 0 neg_lo:[1,1,0]
	v_or_b32_e32 v170, v177, v8
	ds_load_2addr_b32 v[8:9], v194 offset1:1
	v_dot4_i32_iu8 v177, v4, v173, 0 neg_lo:[1,1,0]
	s_wait_dscnt 0x0
	v_perm_b32 v172, v9, v9, 0x2010003
	s_delay_alu instid0(VALU_DEP_1)
	v_dot4_i32_iu8 v176, v4, v172, 0 neg_lo:[1,1,0]
	v_dot4_i32_iu8 v179, v6, v172, 0 neg_lo:[1,1,0]
	;; [unrolled: 1-line block ×7, first 2 shown]
	ds_load_2addr_b32 v[11:12], v194 offset0:2 offset1:3
	ds_load_2addr_b32 v[172:173], v195 offset0:2 offset1:3
	v_dot4_i32_iu8 v4, v4, v175, 0 neg_lo:[1,1,0]
	v_dot4_i32_iu8 v6, v6, v175, 0 neg_lo:[1,1,0]
	;; [unrolled: 1-line block ×5, first 2 shown]
	ds_load_2addr_b32 v[174:175], v196 offset0:2 offset1:3
	s_wait_dscnt 0x2
	v_perm_b32 v203, v11, v11, 0x2010003
	s_wait_dscnt 0x1
	v_perm_b32 v205, v172, v172, 0x2010003
	s_delay_alu instid0(VALU_DEP_2) | instskip(NEXT) | instid1(VALU_DEP_2)
	v_dot4_i32_iu8 v204, v158, v203, v176 neg_lo:[1,1,0]
	v_dot4_i32_iu8 v206, v158, v205, v177 neg_lo:[1,1,0]
	ds_load_2addr_b32 v[176:177], v197 offset0:2 offset1:3
	s_wait_dscnt 0x1
	v_perm_b32 v207, v174, v174, 0x2010003
	v_dot4_i32_iu8 v216, v166, v203, v190 neg_lo:[1,1,0]
	v_dot4_i32_iu8 v217, v166, v205, v191 neg_lo:[1,1,0]
	;; [unrolled: 1-line block ×13, first 2 shown]
	v_perm_b32 v224, v175, v175, 0x2010003
	s_wait_dscnt 0x0
	v_perm_b32 v178, v176, v176, 0x2010003
	v_perm_b32 v225, v177, v177, 0x2010003
	s_delay_alu instid0(VALU_DEP_2)
	v_dot4_i32_iu8 v20, v166, v178, v20 neg_lo:[1,1,0]
	v_dot4_i32_iu8 v166, v168, v203, v193 neg_lo:[1,1,0]
	;; [unrolled: 1-line block ×7, first 2 shown]
	v_lshl_add_u32 v170, v78, 2, s13
	v_dot4_i32_iu8 v4, v158, v178, v4 neg_lo:[1,1,0]
	v_dot4_i32_iu8 v158, v160, v203, v179 neg_lo:[1,1,0]
	;; [unrolled: 1-line block ×6, first 2 shown]
	ds_load_2addr_b32 v[178:179], v170 offset0:3 offset1:4
	s_add_co_i32 s13, s12, 0xa200
	s_wait_dscnt 0x0
	v_lshlrev_b32_e32 v202, 8, v179
	v_lshlrev_b32_e32 v203, 24, v179
	;; [unrolled: 1-line block ×3, first 2 shown]
	s_delay_alu instid0(VALU_DEP_3) | instskip(NEXT) | instid1(VALU_DEP_2)
	v_perm_b32 v180, v179, v202, 0x7030c0c
	v_perm_b32 v181, v205, v203, 0xc0c0703
	s_delay_alu instid0(VALU_DEP_1)
	v_or_b32_e32 v186, v180, v181
	ds_load_2addr_b32 v[180:181], v170 offset0:1 offset1:2
	s_wait_dscnt 0x0
	v_lshlrev_b32_e32 v207, 8, v180
	v_lshlrev_b32_e32 v219, 24, v180
	;; [unrolled: 1-line block ×3, first 2 shown]
	s_delay_alu instid0(VALU_DEP_3) | instskip(NEXT) | instid1(VALU_DEP_2)
	v_perm_b32 v182, v180, v207, 0x7030c0c
	v_perm_b32 v183, v220, v219, 0xc0c0703
	s_delay_alu instid0(VALU_DEP_1)
	v_or_b32_e32 v187, v182, v183
	ds_load_2addr_b32 v[182:183], v170 offset0:5 offset1:6
	s_wait_dscnt 0x0
	v_lshlrev_b32_e32 v221, 8, v182
	v_lshlrev_b32_e32 v222, 24, v182
	;; [unrolled: 1-line block ×3, first 2 shown]
	v_perm_b32 v180, v182, v180, 0x7030c0c
	s_delay_alu instid0(VALU_DEP_4) | instskip(SKIP_1) | instid1(VALU_DEP_4)
	v_perm_b32 v184, v182, v221, 0x7030c0c
	v_lshlrev_b32_e32 v182, 16, v181
	v_perm_b32 v185, v223, v222, 0xc0c0703
	s_delay_alu instid0(VALU_DEP_1) | instskip(SKIP_3) | instid1(VALU_DEP_1)
	v_or_b32_e32 v188, v184, v185
	ds_load_2addr_b32 v[184:185], v170 offset1:7
	s_wait_dscnt 0x0
	v_dot4_i32_iu8 v170, v184, v13, 0 neg_lo:[1,1,0]
	v_dot4_i32_iu8 v14, v186, v14, v170 neg_lo:[1,1,0]
	v_perm_b32 v170, v173, v173, 0x2010003
	s_delay_alu instid0(VALU_DEP_2) | instskip(SKIP_1) | instid1(VALU_DEP_2)
	v_dot4_i32_iu8 v14, v187, v172, v14 neg_lo:[1,1,0]
	v_dot4_i32_iu8 v172, v184, v15, 0 neg_lo:[1,1,0]
	;; [unrolled: 1-line block ×3, first 2 shown]
	s_delay_alu instid0(VALU_DEP_2) | instskip(SKIP_1) | instid1(VALU_DEP_2)
	v_dot4_i32_iu8 v16, v186, v16, v172 neg_lo:[1,1,0]
	v_dot4_i32_iu8 v172, v184, v17, 0 neg_lo:[1,1,0]
	;; [unrolled: 1-line block ×3, first 2 shown]
	s_delay_alu instid0(VALU_DEP_2) | instskip(SKIP_3) | instid1(VALU_DEP_1)
	v_dot4_i32_iu8 v18, v186, v18, v172 neg_lo:[1,1,0]
	ds_load_2addr_b32 v[172:173], v151 offset0:5 offset1:6
	v_dot4_i32_iu8 v16, v188, v175, v16 neg_lo:[1,1,0]
	v_dot4_i32_iu8 v18, v187, v176, v18 neg_lo:[1,1,0]
	;; [unrolled: 1-line block ×3, first 2 shown]
	s_wait_dscnt 0x0
	v_lshlrev_b32_e32 v174, 16, v172
	v_lshlrev_b32_e32 v175, 8, v172
	v_perm_b32 v172, v172, v172, 0xc0c0003
	s_delay_alu instid0(VALU_DEP_2) | instskip(SKIP_3) | instid1(VALU_DEP_2)
	v_perm_b32 v226, v175, v174, 0x7030c0c
	ds_load_2addr_b32 v[174:175], v152 offset0:5 offset1:6
	v_or_b32_e32 v172, v226, v172
	v_perm_b32 v226, v12, v12, 0x2010003
	v_dot4_i32_iu8 v206, v172, v170, v206 neg_lo:[1,1,0]
	s_delay_alu instid0(VALU_DEP_2)
	v_dot4_i32_iu8 v204, v172, v226, v204 neg_lo:[1,1,0]
	v_dot4_i32_iu8 v208, v172, v224, v208 neg_lo:[1,1,0]
	;; [unrolled: 1-line block ×3, first 2 shown]
	s_wait_dscnt 0x0
	v_lshlrev_b32_e32 v176, 16, v174
	v_lshlrev_b32_e32 v177, 8, v174
	v_perm_b32 v174, v174, v174, 0xc0c0003
	s_delay_alu instid0(VALU_DEP_2) | instskip(SKIP_3) | instid1(VALU_DEP_2)
	v_perm_b32 v227, v177, v176, 0x7030c0c
	ds_load_2addr_b32 v[176:177], v153 offset0:5 offset1:6
	v_or_b32_e32 v174, v227, v174
	v_lshlrev_b32_e32 v227, 8, v169
	v_dot4_i32_iu8 v172, v174, v226, v158 neg_lo:[1,1,0]
	v_dot4_i32_iu8 v209, v174, v170, v209 neg_lo:[1,1,0]
	;; [unrolled: 1-line block ×4, first 2 shown]
	v_lshlrev_b32_e32 v158, 16, v159
	s_wait_dscnt 0x0
	v_lshlrev_b32_e32 v186, 16, v176
	v_lshlrev_b32_e32 v187, 8, v176
	v_perm_b32 v176, v176, v176, 0xc0c0003
	s_delay_alu instid0(VALU_DEP_2) | instskip(SKIP_3) | instid1(VALU_DEP_2)
	v_perm_b32 v228, v187, v186, 0x7030c0c
	ds_load_2addr_b32 v[186:187], v154 offset0:5 offset1:6
	v_or_b32_e32 v176, v228, v176
	v_lshlrev_b32_e32 v228, 16, v171
	v_dot4_i32_iu8 v174, v176, v226, v160 neg_lo:[1,1,0]
	v_dot4_i32_iu8 v211, v176, v170, v211 neg_lo:[1,1,0]
	;; [unrolled: 1-line block ×4, first 2 shown]
	v_lshlrev_b32_e32 v160, 8, v159
	v_lshlrev_b32_e32 v162, 16, v161
	v_perm_b32 v159, v159, v159, 0xc0c0003
	s_delay_alu instid0(VALU_DEP_3) | instskip(SKIP_4) | instid1(VALU_DEP_2)
	v_perm_b32 v158, v160, v158, 0x7030c0c
	s_wait_dscnt 0x0
	v_lshlrev_b32_e32 v188, 16, v186
	v_lshlrev_b32_e32 v189, 8, v186
	v_perm_b32 v186, v186, v186, 0xc0c0003
	v_perm_b32 v229, v189, v188, 0x7030c0c
	ds_load_2addr_b32 v[188:189], v155 offset0:5 offset1:6
	v_or_b32_e32 v186, v229, v186
	v_lshlrev_b32_e32 v229, 8, v171
	v_perm_b32 v171, v171, v171, 0xc0c0003
	s_delay_alu instid0(VALU_DEP_3)
	v_dot4_i32_iu8 v213, v186, v226, v213 neg_lo:[1,1,0]
	v_dot4_i32_iu8 v214, v186, v170, v214 neg_lo:[1,1,0]
	;; [unrolled: 1-line block ×4, first 2 shown]
	v_lshlrev_b32_e32 v164, 8, v161
	v_perm_b32 v161, v161, v161, 0xc0c0003
	s_delay_alu instid0(VALU_DEP_2) | instskip(SKIP_4) | instid1(VALU_DEP_2)
	v_perm_b32 v160, v164, v162, 0x7030c0c
	s_wait_dscnt 0x0
	v_lshlrev_b32_e32 v190, 16, v188
	v_lshlrev_b32_e32 v191, 8, v188
	v_perm_b32 v188, v188, v188, 0xc0c0003
	v_perm_b32 v230, v191, v190, 0x7030c0c
	ds_load_2addr_b32 v[190:191], v156 offset0:5 offset1:6
	v_or_b32_e32 v188, v230, v188
	s_delay_alu instid0(VALU_DEP_1)
	v_dot4_i32_iu8 v216, v188, v226, v216 neg_lo:[1,1,0]
	v_dot4_i32_iu8 v217, v188, v170, v217 neg_lo:[1,1,0]
	;; [unrolled: 1-line block ×4, first 2 shown]
	s_wait_dscnt 0x0
	v_lshlrev_b32_e32 v192, 16, v190
	v_lshlrev_b32_e32 v193, 8, v190
	v_perm_b32 v190, v190, v190, 0xc0c0003
	s_delay_alu instid0(VALU_DEP_2) | instskip(SKIP_2) | instid1(VALU_DEP_1)
	v_perm_b32 v231, v193, v192, 0x7030c0c
	ds_load_2addr_b32 v[192:193], v157 offset0:5 offset1:6
	v_or_b32_e32 v190, v231, v190
	v_dot4_i32_iu8 v166, v190, v226, v166 neg_lo:[1,1,0]
	v_dot4_i32_iu8 v188, v190, v170, v198 neg_lo:[1,1,0]
	;; [unrolled: 1-line block ×4, first 2 shown]
	v_lshlrev_b32_e32 v199, 8, v163
	s_wait_dscnt 0x0
	v_lshlrev_b32_e32 v232, 16, v192
	v_lshlrev_b32_e32 v233, 8, v192
	v_perm_b32 v192, v192, v192, 0xc0c0003
	v_lshlrev_b32_e32 v230, 16, v193
	v_lshlrev_b32_e32 v231, 8, v193
	v_perm_b32 v193, v193, v193, 0xc0c0003
	v_perm_b32 v232, v233, v232, 0x7030c0c
	s_delay_alu instid0(VALU_DEP_1) | instskip(NEXT) | instid1(VALU_DEP_1)
	v_or_b32_e32 v192, v232, v192
	v_dot4_i32_iu8 v168, v192, v226, v168 neg_lo:[1,1,0]
	v_dot4_i32_iu8 v170, v192, v170, v200 neg_lo:[1,1,0]
	;; [unrolled: 1-line block ×4, first 2 shown]
	v_lshlrev_b32_e32 v192, 16, v163
	v_lshlrev_b32_e32 v200, 16, v165
	;; [unrolled: 1-line block ×5, first 2 shown]
	v_perm_b32 v163, v163, v163, 0xc0c0003
	v_perm_b32 v165, v165, v165, 0xc0c0003
	v_lshlrev_b32_e32 v226, 16, v169
	v_perm_b32 v162, v199, v192, 0x7030c0c
	v_perm_b32 v164, v201, v200, 0x7030c0c
	;; [unrolled: 1-line block ×3, first 2 shown]
	v_or_b32_e32 v201, v158, v159
	v_or_b32_e32 v224, v160, v161
	ds_load_2addr_b32 v[158:159], v194 offset0:4 offset1:5
	ds_load_2addr_b32 v[160:161], v195 offset0:4 offset1:5
	v_perm_b32 v199, v227, v226, 0x7030c0c
	v_or_b32_e32 v225, v162, v163
	v_or_b32_e32 v226, v164, v165
	ds_load_2addr_b32 v[162:163], v196 offset0:4 offset1:5
	ds_load_2addr_b32 v[164:165], v197 offset0:4 offset1:5
	v_perm_b32 v167, v167, v167, 0xc0c0003
	v_perm_b32 v200, v229, v228, 0x7030c0c
	;; [unrolled: 1-line block ×3, first 2 shown]
	v_lshlrev_b32_e32 v228, 16, v191
	v_lshlrev_b32_e32 v229, 8, v191
	v_or_b32_e32 v167, v192, v167
	v_or_b32_e32 v171, v200, v171
	;; [unrolled: 1-line block ×3, first 2 shown]
	v_perm_b32 v191, v191, v191, 0xc0c0003
	s_wait_dscnt 0x3
	v_perm_b32 v192, v158, v158, 0x2010003
	s_wait_dscnt 0x2
	v_perm_b32 v200, v160, v160, 0x2010003
	s_delay_alu instid0(VALU_DEP_2) | instskip(NEXT) | instid1(VALU_DEP_2)
	v_dot4_i32_iu8 v199, v201, v192, v204 neg_lo:[1,1,0]
	v_dot4_i32_iu8 v204, v201, v200, v206 neg_lo:[1,1,0]
	s_wait_dscnt 0x1
	v_perm_b32 v206, v162, v162, 0x2010003
	s_wait_dscnt 0x0
	v_perm_b32 v227, v164, v164, 0x2010003
	v_dot4_i32_iu8 v166, v169, v192, v166 neg_lo:[1,1,0]
	v_dot4_i32_iu8 v168, v171, v192, v168 neg_lo:[1,1,0]
	;; [unrolled: 1-line block ×22, first 2 shown]
	v_lshlrev_b32_e32 v171, 8, v181
	v_lshlrev_b32_e32 v190, 24, v181
	v_dot4_i32_iu8 v174, v225, v192, v174 neg_lo:[1,1,0]
	v_perm_b32 v192, v183, v181, 0xc0c0703
	v_lshlrev_b32_e32 v198, 8, v183
	v_perm_b32 v181, v181, v171, 0x7030c0c
	v_lshlrev_b32_e32 v200, 16, v183
	v_lshlrev_b32_e32 v206, 24, v183
	v_perm_b32 v218, v182, v190, 0xc0c0703
	v_perm_b32 v183, v183, v198, 0x7030c0c
	v_dot4_i32_iu8 v6, v224, v227, v6 neg_lo:[1,1,0]
	v_dot4_i32_iu8 v176, v225, v227, v176 neg_lo:[1,1,0]
	;; [unrolled: 1-line block ×3, first 2 shown]
	v_or_b32_e32 v181, v181, v218
	v_perm_b32 v218, v200, v206, 0xc0c0703
	v_lshlrev_b32_e32 v224, 16, v187
	v_lshlrev_b32_e32 v225, 8, v187
	;; [unrolled: 1-line block ×3, first 2 shown]
	v_dot4_i32_iu8 v14, v181, v160, v14 neg_lo:[1,1,0]
	v_or_b32_e32 v183, v183, v218
	v_dot4_i32_iu8 v16, v181, v162, v16 neg_lo:[1,1,0]
	v_dot4_i32_iu8 v18, v181, v164, v18 neg_lo:[1,1,0]
	v_perm_b32 v160, v161, v161, 0x2010003
	v_lshlrev_b32_e32 v164, 8, v173
	v_dot4_i32_iu8 v14, v183, v161, v14 neg_lo:[1,1,0]
	v_dot4_i32_iu8 v16, v183, v163, v16 neg_lo:[1,1,0]
	v_perm_b32 v161, v163, v163, 0x2010003
	v_dot4_i32_iu8 v162, v183, v165, v18 neg_lo:[1,1,0]
	v_perm_b32 v18, v165, v165, 0x2010003
	v_lshlrev_b32_e32 v163, 16, v173
	v_perm_b32 v165, v173, v173, 0xc0c0003
	v_lshlrev_b32_e32 v173, 16, v175
	v_lshlrev_b32_e32 v181, 8, v175
	;; [unrolled: 1-line block ×5, first 2 shown]
	v_perm_b32 v175, v175, v175, 0xc0c0003
	v_perm_b32 v177, v177, v177, 0xc0c0003
	;; [unrolled: 1-line block ×11, first 2 shown]
	v_or_b32_e32 v163, v163, v165
	v_or_b32_e32 v164, v164, v175
	;; [unrolled: 1-line block ×7, first 2 shown]
	v_perm_b32 v183, v159, v159, 0x2010003
	v_dot4_i32_iu8 v189, v163, v160, v204 neg_lo:[1,1,0]
	v_dot4_i32_iu8 v191, v163, v161, v208 neg_lo:[1,1,0]
	;; [unrolled: 1-line block ×28, first 2 shown]
	v_lshlrev_b32_e32 v4, 16, v3
	v_lshlrev_b32_e32 v6, 8, v3
	;; [unrolled: 1-line block ×12, first 2 shown]
	v_perm_b32 v3, v3, v3, 0xc0c0003
	v_perm_b32 v5, v5, v5, 0xc0c0003
	;; [unrolled: 1-line block ×12, first 2 shown]
	v_or_b32_e32 v181, v4, v3
	v_or_b32_e32 v183, v6, v5
	;; [unrolled: 1-line block ×6, first 2 shown]
	ds_load_2addr_b32 v[3:4], v194 offset0:6 offset1:7
	ds_load_2addr_b32 v[5:6], v195 offset0:6 offset1:7
	;; [unrolled: 1-line block ×4, first 2 shown]
	v_lshlrev_b32_e32 v215, 16, v23
	v_lshlrev_b32_e32 v216, 8, v23
	v_perm_b32 v23, v23, v23, 0xc0c0003
	v_perm_b32 v171, v198, v171, 0xc0c0703
	s_delay_alu instid0(VALU_DEP_3) | instskip(NEXT) | instid1(VALU_DEP_1)
	v_perm_b32 v177, v216, v215, 0x7030c0c
	v_or_b32_e32 v23, v177, v23
	s_wait_dscnt 0x3
	v_perm_b32 v177, v3, v3, 0x2010003
	s_wait_dscnt 0x2
	v_perm_b32 v194, v5, v5, 0x2010003
	;; [unrolled: 2-line block ×4, first 2 shown]
	v_dot4_i32_iu8 v187, v181, v177, v187 neg_lo:[1,1,0]
	v_dot4_i32_iu8 v189, v181, v194, v189 neg_lo:[1,1,0]
	v_dot4_i32_iu8 v191, v181, v195, v191 neg_lo:[1,1,0]
	s_delay_alu instid0(VALU_DEP_4)
	v_dot4_i32_iu8 v163, v181, v196, v163 neg_lo:[1,1,0]
	v_dot4_i32_iu8 v172, v183, v177, v172 neg_lo:[1,1,0]
	;; [unrolled: 1-line block ×22, first 2 shown]
	v_lshlrev_b32_e32 v177, 8, v178
	v_lshlrev_b32_e32 v188, 16, v178
	;; [unrolled: 1-line block ×3, first 2 shown]
	v_dot4_i32_iu8 v170, v170, v196, v22 neg_lo:[1,1,0]
	v_dot4_i32_iu8 v161, v23, v195, v161 neg_lo:[1,1,0]
	;; [unrolled: 1-line block ×3, first 2 shown]
	v_perm_b32 v22, v178, v177, 0x7030c0c
	v_perm_b32 v23, v188, v194, 0xc0c0703
	v_lshlrev_b32_e32 v195, 8, v185
	v_lshlrev_b32_e32 v196, 16, v185
	;; [unrolled: 1-line block ×3, first 2 shown]
	v_perm_b32 v209, v19, v19, 0x2010003
	v_or_b32_e32 v22, v22, v23
	v_perm_b32 v23, v185, v195, 0x7030c0c
	v_perm_b32 v210, v21, v21, 0x2010003
	;; [unrolled: 1-line block ×3, first 2 shown]
	s_delay_alu instid0(VALU_DEP_4) | instskip(NEXT) | instid1(VALU_DEP_2)
	v_dot4_i32_iu8 v5, v22, v5, v14 neg_lo:[1,1,0]
	v_or_b32_e32 v23, v23, v208
	v_perm_b32 v208, v6, v6, 0x2010003
	s_delay_alu instid0(VALU_DEP_2) | instskip(SKIP_1) | instid1(VALU_DEP_1)
	v_dot4_i32_iu8 v14, v23, v6, v5 neg_lo:[1,1,0]
	v_dot4_i32_iu8 v5, v22, v18, v16 neg_lo:[1,1,0]
	;; [unrolled: 1-line block ×4, first 2 shown]
	s_delay_alu instid0(VALU_DEP_1)
	v_dot4_i32_iu8 v162, v23, v21, v5 neg_lo:[1,1,0]
	ds_load_2addr_b32 v[5:6], v151 offset1:7
	s_wait_dscnt 0x0
	v_lshlrev_b32_e32 v18, 16, v6
	v_lshlrev_b32_e32 v19, 8, v6
	v_perm_b32 v6, v6, v6, 0xc0c0003
	s_delay_alu instid0(VALU_DEP_2) | instskip(SKIP_2) | instid1(VALU_DEP_1)
	v_perm_b32 v211, v19, v18, 0x7030c0c
	ds_load_2addr_b32 v[18:19], v152 offset1:7
	v_or_b32_e32 v6, v211, v6
	v_dot4_i32_iu8 v189, v6, v208, v189 neg_lo:[1,1,0]
	v_dot4_i32_iu8 v191, v6, v209, v191 neg_lo:[1,1,0]
	s_wait_dscnt 0x0
	v_lshlrev_b32_e32 v20, 16, v19
	v_lshlrev_b32_e32 v21, 8, v19
	v_perm_b32 v19, v19, v19, 0xc0c0003
	s_delay_alu instid0(VALU_DEP_2)
	v_perm_b32 v212, v21, v20, 0x7030c0c
	ds_load_2addr_b32 v[20:21], v153 offset1:7
	v_or_b32_e32 v19, v212, v19
	s_wait_dscnt 0x0
	v_lshlrev_b32_e32 v22, 16, v21
	v_lshlrev_b32_e32 v23, 8, v21
	v_perm_b32 v21, v21, v21, 0xc0c0003
	s_delay_alu instid0(VALU_DEP_2) | instskip(SKIP_2) | instid1(VALU_DEP_1)
	v_perm_b32 v213, v23, v22, 0x7030c0c
	ds_load_2addr_b32 v[22:23], v154 offset1:7
	v_or_b32_e32 v21, v213, v21
	v_dot4_i32_iu8 v7, v21, v210, v7 neg_lo:[1,1,0]
	s_delay_alu instid0(VALU_DEP_1) | instskip(NEXT) | instid1(VALU_DEP_1)
	v_dot4_i32_iu8 v7, v20, v17, v7 neg_lo:[1,1,0]
	v_cvt_f32_i32_e32 v7, v7
	s_wait_dscnt 0x0
	v_lshlrev_b32_e32 v151, 16, v23
	v_lshlrev_b32_e32 v152, 8, v23
	v_perm_b32 v23, v23, v23, 0xc0c0003
	s_delay_alu instid0(VALU_DEP_2) | instskip(SKIP_2) | instid1(VALU_DEP_1)
	v_perm_b32 v214, v152, v151, 0x7030c0c
	ds_load_2addr_b32 v[151:152], v155 offset1:7
	v_or_b32_e32 v23, v214, v23
	v_dot4_i32_iu8 v10, v23, v210, v10 neg_lo:[1,1,0]
	s_delay_alu instid0(VALU_DEP_1) | instskip(NEXT) | instid1(VALU_DEP_1)
	v_dot4_i32_iu8 v10, v22, v17, v10 neg_lo:[1,1,0]
	v_cvt_f32_i32_e32 v10, v10
	s_wait_dscnt 0x0
	v_lshlrev_b32_e32 v153, 16, v152
	v_lshlrev_b32_e32 v154, 8, v152
	v_perm_b32 v152, v152, v152, 0xc0c0003
	s_delay_alu instid0(VALU_DEP_2)
	v_perm_b32 v215, v154, v153, 0x7030c0c
	ds_load_2addr_b32 v[153:154], v156 offset1:7
	v_or_b32_e32 v152, v215, v152
	s_wait_dscnt 0x0
	v_lshlrev_b32_e32 v155, 16, v154
	v_lshlrev_b32_e32 v156, 8, v154
	v_perm_b32 v154, v154, v154, 0xc0c0003
	s_delay_alu instid0(VALU_DEP_2) | instskip(SKIP_2) | instid1(VALU_DEP_1)
	v_perm_b32 v216, v156, v155, 0x7030c0c
	ds_load_2addr_b32 v[155:156], v157 offset1:7
	v_or_b32_e32 v154, v216, v154
	v_dot4_i32_iu8 v167, v154, v208, v167 neg_lo:[1,1,0]
	s_wait_dscnt 0x0
	v_lshlrev_b32_e32 v157, 16, v156
	v_lshlrev_b32_e32 v217, 8, v156
	v_perm_b32 v156, v156, v156, 0xc0c0003
	s_delay_alu instid0(VALU_DEP_2) | instskip(NEXT) | instid1(VALU_DEP_1)
	v_perm_b32 v157, v217, v157, 0x7030c0c
	v_or_b32_e32 v156, v157, v156
	v_perm_b32 v157, v4, v4, 0x2010003
	s_delay_alu instid0(VALU_DEP_2) | instskip(NEXT) | instid1(VALU_DEP_2)
	v_dot4_i32_iu8 v160, v156, v208, v160 neg_lo:[1,1,0]
	v_dot4_i32_iu8 v187, v6, v157, v187 neg_lo:[1,1,0]
	;; [unrolled: 1-line block ×49, first 2 shown]
	v_perm_b32 v155, v185, v178, 0x7030c0c
	v_perm_b32 v176, v159, v158, 0xc0c0703
	;; [unrolled: 1-line block ×5, first 2 shown]
	v_or_b32_e32 v155, v155, v192
	v_perm_b32 v157, v184, v9, 0xc0c0501
	v_or_b32_e32 v176, v178, v176
	v_perm_b32 v178, v12, v11, 0x7030c0c
	;; [unrolled: 2-line block ×3, first 2 shown]
	v_perm_b32 v9, v184, v9, 0xc0c0602
	v_perm_b32 v169, v8, v205, 0xc0c0503
	v_or_b32_e32 v160, v178, v160
	v_perm_b32 v175, v8, v203, 0xc0c0403
	v_perm_b32 v8, v8, v202, 0xc0c0603
	v_cvt_f32_i32_e32 v13, v13
	v_cvt_f32_i32_e32 v5, v5
	v_dot4_i32_iu8 v154, v154, v160, 0 neg_lo:[1,1,0]
	v_perm_b32 v160, v4, v3, 0x6020c0c
	v_cvt_f32_i32_e32 v18, v18
	v_cvt_f32_i32_e32 v151, v151
	;; [unrolled: 1-line block ×3, first 2 shown]
	v_dot4_i32_iu8 v154, v155, v176, v154 neg_lo:[1,1,0]
	v_perm_b32 v155, v159, v158, 0xc0c0602
	v_perm_b32 v176, v12, v11, 0x6020c0c
	v_cvt_f32_i32_e32 v19, v19
	v_cvt_f32_i32_e32 v20, v20
	;; [unrolled: 1-line block ×3, first 2 shown]
	v_or_b32_e32 v155, v160, v155
	v_perm_b32 v160, v221, v207, 0x7030c0c
	v_or_b32_e32 v9, v176, v9
	v_perm_b32 v176, v195, v177, 0x7030c0c
	v_cvt_f32_i32_e32 v22, v22
	v_cvt_f32_i32_e32 v23, v23
	v_or_b32_e32 v8, v160, v8
	v_cvt_f32_i32_e32 v152, v152
	v_or_b32_e32 v160, v176, v171
	v_perm_b32 v171, v196, v188, 0x7030c0c
	v_cvt_f32_i32_e32 v153, v153
	v_dot4_i32_iu8 v8, v8, v9, 0 neg_lo:[1,1,0]
	v_perm_b32 v9, v159, v158, 0xc0c0501
	v_cvt_f32_i32_e32 v24, v24
	s_delay_alu instid0(VALU_DEP_3)
	v_dot4_i32_iu8 v8, v160, v155, v8 neg_lo:[1,1,0]
	v_perm_b32 v155, v4, v3, 0x5010c0c
	v_perm_b32 v160, v12, v11, 0x5010c0c
	;; [unrolled: 1-line block ×5, first 2 shown]
	v_or_b32_e32 v9, v155, v9
	v_perm_b32 v155, v223, v220, 0x7030c0c
	v_or_b32_e32 v157, v160, v157
	v_perm_b32 v160, v200, v182, 0xc0c0703
	;; [unrolled: 2-line block ×3, first 2 shown]
	v_or_b32_e32 v155, v155, v169
	v_or_b32_e32 v11, v11, v175
	;; [unrolled: 1-line block ×3, first 2 shown]
	s_wait_alu 0xfffe
	v_add_nc_u32_e32 v161, s16, v93
	v_dot4_i32_iu8 v155, v155, v157, 0 neg_lo:[1,1,0]
	v_dot4_i32_iu8 v4, v11, v4, 0 neg_lo:[1,1,0]
	v_add3_u32 v11, s13, v132, v134
	v_add_nc_u32_e32 v157, s16, v85
	ds_load_b32 v161, v161
	v_dot4_i32_iu8 v9, v160, v9, v155 neg_lo:[1,1,0]
	v_perm_b32 v155, v159, v158, 0xc0c0400
	ds_load_b32 v11, v11
	ds_load_b32 v157, v157
	v_add_nc_u32_e32 v158, s16, v87
	v_add_nc_u32_e32 v159, s16, v89
	v_or_b32_e32 v3, v3, v155
	v_perm_b32 v155, v204, v194, 0x7030c0c
	v_add_nc_u32_e32 v160, s16, v91
	ds_load_b32 v158, v158
	ds_load_b32 v159, v159
	v_or_b32_e32 v12, v155, v12
	v_add_nc_u32_e32 v155, s16, v83
	ds_load_b32 v160, v160
	v_dot4_i32_iu8 v3, v12, v3, v4 neg_lo:[1,1,0]
	v_add_nc_u32_e32 v4, v9, v154
	v_add3_u32 v9, s13, v128, v130
	v_add_nc_u32_e32 v12, s16, v79
	v_add_nc_u32_e32 v154, s16, v81
	ds_load_b32 v155, v155
	v_add3_u32 v3, v3, v8, v4
	v_add3_u32 v4, s13, v120, v122
	;; [unrolled: 1-line block ×3, first 2 shown]
	ds_load_b32 v9, v9
	ds_load_b32 v12, v12
	;; [unrolled: 1-line block ×5, first 2 shown]
	v_cvt_f32_i32_e32 v3, v3
	s_add_co_i32 s13, s12, 4
	s_cmp_lt_u32 s12, 12
	s_wait_alu 0xfffe
	s_mov_b32 s12, s13
	s_wait_dscnt 0x4
	v_pk_mul_f16 v181, v9, v155
	s_wait_dscnt 0x3
	v_pk_mul_f16 v175, v12, v9
	;; [unrolled: 2-line block ×5, first 2 shown]
	v_pk_mul_f16 v12, v12, v11
	v_pk_mul_f16 v177, v8, v154
	;; [unrolled: 1-line block ×3, first 2 shown]
	v_fma_mix_f32 v3, v169, v3, v169 op_sel:[0,0,1] op_sel_hi:[1,0,1]
	v_pk_mul_f16 v183, v8, v157
	v_pk_mul_f16 v186, v8, v158
	v_pk_mul_f16 v189, v8, v159
	v_pk_mul_f16 v192, v8, v160
	v_pk_mul_f16 v8, v8, v161
	v_add_f32_e32 v35, v35, v3
	v_cvt_f32_i32_e32 v3, v14
	v_cvt_f32_i32_e32 v14, v16
	;; [unrolled: 1-line block ×3, first 2 shown]
	v_pk_mul_f16 v176, v4, v154
	v_pk_mul_f16 v154, v11, v154
	;; [unrolled: 1-line block ×15, first 2 shown]
	v_fma_mix_f32 v3, v171, v3, v171 op_sel:[0,0,1] op_sel_hi:[1,0,1]
	v_fma_mix_f32 v14, v175, v14, v175 op_sel:[0,0,1] op_sel_hi:[1,0,1]
	;; [unrolled: 1-line block ×4, first 2 shown]
	v_cvt_f32_i32_e32 v13, v15
	v_pk_mul_f16 v191, v4, v160
	v_pk_mul_f16 v160, v11, v160
	;; [unrolled: 1-line block ×4, first 2 shown]
	v_dual_add_f32 v141, v141, v3 :: v_dual_add_f32 v146, v146, v14
	v_add_f32_e32 v149, v149, v12
	v_cvt_f32_i32_e32 v3, v156
	v_cvt_f32_i32_e32 v12, v168
	;; [unrolled: 1-line block ×3, first 2 shown]
	v_fma_mix_f32 v5, v154, v5, v154 op_sel:[0,0,1] op_sel_hi:[1,0,1]
	v_cvt_f32_i32_e32 v16, v163
	v_cvt_f32_i32_e32 v154, v172
	v_fma_mix_f32 v18, v155, v18, v155 op_sel:[0,0,1] op_sel_hi:[1,0,1]
	v_cvt_f32_i32_e32 v155, v164
	v_cvt_f32_i32_e32 v156, v174
	v_fma_mix_f32 v7, v157, v7, v157 op_sel:[0,0,1] op_sel_hi:[1,0,1]
	v_cvt_f32_i32_e32 v157, v165
	v_fma_mix_f32 v10, v158, v10, v158 op_sel:[0,0,1] op_sel_hi:[1,0,1]
	;; [unrolled: 2-line block ×3, first 2 shown]
	v_cvt_f32_i32_e32 v159, v166
	v_cvt_f32_i32_e32 v161, v167
	v_fma_mix_f32 v9, v9, v13, v9 op_sel:[0,0,1] op_sel_hi:[1,0,1]
	v_cvt_f32_i32_e32 v13, v17
	v_fma_mix_f32 v3, v176, v3, v176 op_sel:[0,0,1] op_sel_hi:[1,0,1]
	v_fma_mix_f32 v12, v177, v12, v177 op_sel:[0,0,1] op_sel_hi:[1,0,1]
	;; [unrolled: 1-line block ×21, first 2 shown]
	v_dual_add_f32 v127, v127, v3 :: v_dual_add_f32 v138, v138, v12
	v_add_f32_e32 v144, v144, v14
	v_dual_add_f32 v148, v148, v5 :: v_dual_add_f32 v121, v121, v6
	v_dual_add_f32 v135, v135, v16 :: v_dual_add_f32 v142, v142, v154
	v_add_f32_e32 v147, v147, v18
	v_add_f32_e32 v115, v115, v19
	;; [unrolled: 1-line block ×4, first 2 shown]
	v_dual_add_f32 v145, v145, v7 :: v_dual_add_f32 v110, v110, v20
	v_add_f32_e32 v123, v123, v21
	v_dual_add_f32 v136, v136, v157 :: v_dual_add_f32 v143, v143, v10
	v_add_f32_e32 v105, v105, v22
	v_add_f32_e32 v117, v117, v23
	v_dual_add_f32 v131, v131, v158 :: v_dual_add_f32 v140, v140, v151
	v_dual_add_f32 v101, v101, v152 :: v_dual_add_f32 v112, v112, v159
	v_add_f32_e32 v125, v125, v161
	v_add_f32_e32 v137, v137, v153
	;; [unrolled: 1-line block ×6, first 2 shown]
	s_cbranch_scc1 .LBB143_8
; %bb.9:                                ;   in Loop: Header=BB143_6 Depth=1
	s_and_b32 s12, s5, -4
	s_wait_loadcnt 0x0
	s_wait_alu 0xfffe
	s_cmp_eq_u32 s12, 4
	s_barrier_signal -1
	s_barrier_wait -1
	global_inv scope:SCOPE_SE
	s_cbranch_scc1 .LBB143_5
; %bb.10:                               ;   in Loop: Header=BB143_6 Depth=1
	v_add_nc_u32_e32 v13, s10, v98
	v_add_nc_u32_e32 v19, 4, v150
	s_mov_b32 s12, 16
	s_delay_alu instid0(VALU_DEP_2)
	v_add_nc_u32_e32 v14, v13, v77
	v_add_nc_u32_e32 v3, v13, v70
	;; [unrolled: 1-line block ×8, first 2 shown]
	v_mad_co_i64_i32 v[13:14], null, v14, 36, v[1:2]
	v_mad_co_i64_i32 v[3:4], null, v3, 36, v[1:2]
	;; [unrolled: 1-line block ×8, first 2 shown]
	v_mad_co_u64_u32 v[19:20], null, v19, 36, s[2:3]
	s_clause 0x8
	global_load_b32 v13, v[13:14], off offset:4
	global_load_b32 v3, v[3:4], off offset:4
	;; [unrolled: 1-line block ×8, first 2 shown]
	global_load_b32 v10, v[19:20], off
	s_wait_loadcnt 0x8
	ds_store_b32 v118, v13
	s_wait_loadcnt 0x7
	ds_store_b32 v106, v3
	;; [unrolled: 2-line block ×9, first 2 shown]
	s_wait_dscnt 0x0
	s_barrier_signal -1
	s_barrier_wait -1
	global_inv scope:SCOPE_SE
.LBB143_11:                             ;   Parent Loop BB143_6 Depth=1
                                        ; =>  This Inner Loop Header: Depth=2
	s_wait_alu 0xfffe
	s_lshl_b32 s13, s12, 3
	s_wait_alu 0xfffe
	s_and_b32 s16, s13, 0x60
	v_add_nc_u32_e32 v194, s13, v95
	s_wait_alu 0xfffe
	s_or_b32 s16, s16, 0x8200
	v_add_nc_u32_e32 v195, s13, v96
	s_wait_alu 0xfffe
	v_lshl_add_u32 v150, v80, 2, s16
	v_lshl_add_u32 v151, v82, 2, s16
	;; [unrolled: 1-line block ×5, first 2 shown]
	ds_load_2addr_b32 v[3:4], v150 offset0:3 offset1:4
	ds_load_2addr_b32 v[159:160], v151 offset0:1 offset1:2
	;; [unrolled: 1-line block ×4, first 2 shown]
	v_lshl_add_u32 v154, v88, 2, s16
	v_add_nc_u32_e32 v196, s13, v97
	v_lshl_add_u32 v156, v92, 2, s16
	v_add_nc_u32_e32 v193, s13, v94
	s_and_b32 s13, s12, 12
	ds_load_2addr_b32 v[163:164], v153 offset0:1 offset1:2
	ds_load_2addr_b32 v[167:168], v155 offset0:1 offset1:2
	s_wait_alu 0xfffe
	s_or_b32 s13, s13, 0xb280
	ds_load_2addr_b32 v[165:166], v154 offset0:1 offset1:2
	s_wait_dscnt 0x6
	v_lshlrev_b32_e32 v5, 16, v4
	v_lshlrev_b32_e32 v6, 8, v4
	v_perm_b32 v4, v4, v4, 0xc0c0003
	s_delay_alu instid0(VALU_DEP_2)
	v_perm_b32 v9, v6, v5, 0x7030c0c
	s_wait_dscnt 0x3
	v_lshlrev_b32_e32 v5, 16, v157
	v_lshlrev_b32_e32 v6, 8, v157
	s_wait_dscnt 0x2
	v_lshlrev_b32_e32 v19, 8, v163
	v_or_b32_e32 v4, v9, v4
	v_perm_b32 v9, v157, v157, 0xc0c0003
	v_perm_b32 v12, v6, v5, 0x7030c0c
	ds_load_2addr_b32 v[5:6], v151 offset0:3 offset1:4
	v_or_b32_e32 v157, v12, v9
	v_perm_b32 v9, v159, v159, 0xc0c0003
	s_wait_dscnt 0x0
	v_lshlrev_b32_e32 v7, 16, v6
	v_lshlrev_b32_e32 v8, 8, v6
	v_perm_b32 v6, v6, v6, 0xc0c0003
	s_delay_alu instid0(VALU_DEP_2) | instskip(SKIP_2) | instid1(VALU_DEP_3)
	v_perm_b32 v13, v8, v7, 0x7030c0c
	v_lshlrev_b32_e32 v7, 16, v159
	v_lshlrev_b32_e32 v8, 8, v159
	v_or_b32_e32 v6, v13, v6
	s_delay_alu instid0(VALU_DEP_2)
	v_perm_b32 v14, v8, v7, 0x7030c0c
	ds_load_2addr_b32 v[7:8], v152 offset0:3 offset1:4
	v_or_b32_e32 v159, v14, v9
	ds_load_2addr_b32 v[13:14], v194 offset1:1
	s_wait_dscnt 0x1
	v_lshlrev_b32_e32 v10, 16, v8
	v_lshlrev_b32_e32 v11, 8, v8
	v_perm_b32 v8, v8, v8, 0xc0c0003
	s_delay_alu instid0(VALU_DEP_2) | instskip(SKIP_2) | instid1(VALU_DEP_3)
	v_perm_b32 v15, v11, v10, 0x7030c0c
	v_lshlrev_b32_e32 v10, 16, v161
	v_lshlrev_b32_e32 v11, 8, v161
	v_or_b32_e32 v12, v15, v8
	v_perm_b32 v8, v161, v161, 0xc0c0003
	s_delay_alu instid0(VALU_DEP_3)
	v_perm_b32 v16, v11, v10, 0x7030c0c
	ds_load_2addr_b32 v[10:11], v153 offset0:3 offset1:4
	v_or_b32_e32 v161, v16, v8
	ds_load_2addr_b32 v[15:16], v195 offset1:1
	s_wait_dscnt 0x1
	v_lshlrev_b32_e32 v17, 16, v11
	v_lshlrev_b32_e32 v18, 8, v11
	v_perm_b32 v8, v11, v11, 0xc0c0003
	s_delay_alu instid0(VALU_DEP_2) | instskip(SKIP_1) | instid1(VALU_DEP_2)
	v_perm_b32 v17, v18, v17, 0x7030c0c
	v_lshlrev_b32_e32 v18, 16, v163
	v_or_b32_e32 v11, v17, v8
	s_delay_alu instid0(VALU_DEP_2) | instskip(SKIP_2) | instid1(VALU_DEP_1)
	v_perm_b32 v18, v19, v18, 0x7030c0c
	ds_load_2addr_b32 v[19:20], v154 offset0:3 offset1:4
	v_perm_b32 v8, v163, v163, 0xc0c0003
	v_or_b32_e32 v163, v18, v8
	ds_load_2addr_b32 v[17:18], v196 offset1:1
	s_wait_dscnt 0x1
	v_lshlrev_b32_e32 v21, 16, v20
	v_lshlrev_b32_e32 v22, 8, v20
	v_perm_b32 v8, v20, v20, 0xc0c0003
	s_delay_alu instid0(VALU_DEP_2) | instskip(SKIP_2) | instid1(VALU_DEP_3)
	v_perm_b32 v171, v22, v21, 0x7030c0c
	v_lshlrev_b32_e32 v21, 16, v165
	v_lshlrev_b32_e32 v22, 8, v165
	v_or_b32_e32 v20, v171, v8
	v_perm_b32 v8, v165, v165, 0xc0c0003
	s_delay_alu instid0(VALU_DEP_3) | instskip(SKIP_3) | instid1(VALU_DEP_1)
	v_perm_b32 v172, v22, v21, 0x7030c0c
	ds_load_2addr_b32 v[21:22], v155 offset0:3 offset1:4
	v_or_b32_e32 v165, v172, v8
	v_perm_b32 v172, v14, v14, 0x2010003
	v_dot4_i32_iu8 v179, v6, v172, 0 neg_lo:[1,1,0]
	v_dot4_i32_iu8 v182, v12, v172, 0 neg_lo:[1,1,0]
	;; [unrolled: 1-line block ×4, first 2 shown]
	s_wait_dscnt 0x0
	v_lshlrev_b32_e32 v23, 16, v22
	v_lshlrev_b32_e32 v24, 8, v22
	v_perm_b32 v8, v22, v22, 0xc0c0003
	s_delay_alu instid0(VALU_DEP_2) | instskip(SKIP_2) | instid1(VALU_DEP_3)
	v_perm_b32 v173, v24, v23, 0x7030c0c
	v_lshlrev_b32_e32 v23, 16, v167
	v_lshlrev_b32_e32 v24, 8, v167
	v_or_b32_e32 v22, v173, v8
	v_perm_b32 v8, v167, v167, 0xc0c0003
	s_delay_alu instid0(VALU_DEP_3)
	v_perm_b32 v174, v24, v23, 0x7030c0c
	ds_load_2addr_b32 v[23:24], v156 offset0:3 offset1:4
	v_perm_b32 v173, v16, v16, 0x2010003
	v_dot4_i32_iu8 v197, v22, v172, 0 neg_lo:[1,1,0]
	v_or_b32_e32 v167, v174, v8
	v_perm_b32 v174, v18, v18, 0x2010003
	s_delay_alu instid0(VALU_DEP_4)
	v_dot4_i32_iu8 v183, v12, v173, 0 neg_lo:[1,1,0]
	v_dot4_i32_iu8 v187, v11, v173, 0 neg_lo:[1,1,0]
	;; [unrolled: 1-line block ×7, first 2 shown]
	s_wait_dscnt 0x0
	v_lshlrev_b32_e32 v169, 16, v24
	v_lshlrev_b32_e32 v170, 8, v24
	v_perm_b32 v8, v24, v24, 0xc0c0003
	s_delay_alu instid0(VALU_DEP_2) | instskip(SKIP_2) | instid1(VALU_DEP_1)
	v_perm_b32 v175, v170, v169, 0x7030c0c
	ds_load_2addr_b32 v[169:170], v156 offset0:1 offset1:2
	v_or_b32_e32 v24, v175, v8
	v_dot4_i32_iu8 v200, v24, v172, 0 neg_lo:[1,1,0]
	v_dot4_i32_iu8 v201, v24, v173, 0 neg_lo:[1,1,0]
	s_wait_dscnt 0x0
	v_lshlrev_b32_e32 v176, 16, v169
	v_lshlrev_b32_e32 v177, 8, v169
	v_perm_b32 v8, v169, v169, 0xc0c0003
	s_delay_alu instid0(VALU_DEP_2) | instskip(SKIP_1) | instid1(VALU_DEP_2)
	v_perm_b32 v176, v177, v176, 0x7030c0c
	v_dot4_i32_iu8 v177, v4, v173, 0 neg_lo:[1,1,0]
	v_or_b32_e32 v169, v176, v8
	ds_load_2addr_b32 v[8:9], v193 offset1:1
	v_dot4_i32_iu8 v176, v4, v172, 0 neg_lo:[1,1,0]
	s_wait_dscnt 0x0
	v_perm_b32 v171, v9, v9, 0x2010003
	s_delay_alu instid0(VALU_DEP_1)
	v_dot4_i32_iu8 v175, v4, v171, 0 neg_lo:[1,1,0]
	v_dot4_i32_iu8 v178, v6, v171, 0 neg_lo:[1,1,0]
	;; [unrolled: 1-line block ×7, first 2 shown]
	ds_load_2addr_b32 v[11:12], v193 offset0:2 offset1:3
	ds_load_2addr_b32 v[171:172], v194 offset0:2 offset1:3
	v_dot4_i32_iu8 v4, v4, v174, 0 neg_lo:[1,1,0]
	v_dot4_i32_iu8 v6, v6, v174, 0 neg_lo:[1,1,0]
	;; [unrolled: 1-line block ×5, first 2 shown]
	ds_load_2addr_b32 v[173:174], v195 offset0:2 offset1:3
	s_wait_dscnt 0x2
	v_perm_b32 v202, v11, v11, 0x2010003
	s_wait_dscnt 0x1
	v_perm_b32 v204, v171, v171, 0x2010003
	s_delay_alu instid0(VALU_DEP_2) | instskip(NEXT) | instid1(VALU_DEP_2)
	v_dot4_i32_iu8 v203, v157, v202, v175 neg_lo:[1,1,0]
	v_dot4_i32_iu8 v205, v157, v204, v176 neg_lo:[1,1,0]
	ds_load_2addr_b32 v[175:176], v196 offset0:2 offset1:3
	s_wait_dscnt 0x1
	v_perm_b32 v206, v173, v173, 0x2010003
	v_dot4_i32_iu8 v215, v165, v202, v189 neg_lo:[1,1,0]
	v_dot4_i32_iu8 v216, v165, v204, v190 neg_lo:[1,1,0]
	;; [unrolled: 1-line block ×13, first 2 shown]
	v_perm_b32 v223, v174, v174, 0x2010003
	s_wait_dscnt 0x0
	v_perm_b32 v177, v175, v175, 0x2010003
	v_perm_b32 v224, v176, v176, 0x2010003
	s_delay_alu instid0(VALU_DEP_2)
	v_dot4_i32_iu8 v20, v165, v177, v20 neg_lo:[1,1,0]
	v_dot4_i32_iu8 v165, v167, v202, v192 neg_lo:[1,1,0]
	;; [unrolled: 1-line block ×7, first 2 shown]
	v_lshl_add_u32 v169, v78, 2, s16
	v_dot4_i32_iu8 v4, v157, v177, v4 neg_lo:[1,1,0]
	v_dot4_i32_iu8 v157, v159, v202, v178 neg_lo:[1,1,0]
	;; [unrolled: 1-line block ×6, first 2 shown]
	ds_load_2addr_b32 v[177:178], v169 offset0:3 offset1:4
	s_add_co_i32 s16, s12, 0xa200
	s_wait_dscnt 0x0
	v_lshlrev_b32_e32 v201, 8, v178
	v_lshlrev_b32_e32 v202, 24, v178
	;; [unrolled: 1-line block ×3, first 2 shown]
	s_delay_alu instid0(VALU_DEP_3) | instskip(NEXT) | instid1(VALU_DEP_2)
	v_perm_b32 v179, v178, v201, 0x7030c0c
	v_perm_b32 v180, v204, v202, 0xc0c0703
	s_delay_alu instid0(VALU_DEP_1)
	v_or_b32_e32 v185, v179, v180
	ds_load_2addr_b32 v[179:180], v169 offset0:1 offset1:2
	s_wait_dscnt 0x0
	v_lshlrev_b32_e32 v206, 8, v179
	v_lshlrev_b32_e32 v218, 24, v179
	;; [unrolled: 1-line block ×3, first 2 shown]
	s_delay_alu instid0(VALU_DEP_3) | instskip(NEXT) | instid1(VALU_DEP_2)
	v_perm_b32 v181, v179, v206, 0x7030c0c
	v_perm_b32 v182, v219, v218, 0xc0c0703
	s_delay_alu instid0(VALU_DEP_1)
	v_or_b32_e32 v186, v181, v182
	ds_load_2addr_b32 v[181:182], v169 offset0:5 offset1:6
	s_wait_dscnt 0x0
	v_lshlrev_b32_e32 v220, 8, v181
	v_lshlrev_b32_e32 v221, 24, v181
	;; [unrolled: 1-line block ×3, first 2 shown]
	v_perm_b32 v179, v181, v179, 0x7030c0c
	s_delay_alu instid0(VALU_DEP_4) | instskip(SKIP_1) | instid1(VALU_DEP_4)
	v_perm_b32 v183, v181, v220, 0x7030c0c
	v_lshlrev_b32_e32 v181, 16, v180
	v_perm_b32 v184, v222, v221, 0xc0c0703
	s_delay_alu instid0(VALU_DEP_1) | instskip(SKIP_3) | instid1(VALU_DEP_1)
	v_or_b32_e32 v187, v183, v184
	ds_load_2addr_b32 v[183:184], v169 offset1:7
	s_wait_dscnt 0x0
	v_dot4_i32_iu8 v169, v183, v13, 0 neg_lo:[1,1,0]
	v_dot4_i32_iu8 v14, v185, v14, v169 neg_lo:[1,1,0]
	v_perm_b32 v169, v172, v172, 0x2010003
	s_delay_alu instid0(VALU_DEP_2) | instskip(SKIP_1) | instid1(VALU_DEP_2)
	v_dot4_i32_iu8 v14, v186, v171, v14 neg_lo:[1,1,0]
	v_dot4_i32_iu8 v171, v183, v15, 0 neg_lo:[1,1,0]
	;; [unrolled: 1-line block ×3, first 2 shown]
	s_delay_alu instid0(VALU_DEP_2) | instskip(SKIP_1) | instid1(VALU_DEP_2)
	v_dot4_i32_iu8 v16, v185, v16, v171 neg_lo:[1,1,0]
	v_dot4_i32_iu8 v171, v183, v17, 0 neg_lo:[1,1,0]
	;; [unrolled: 1-line block ×3, first 2 shown]
	s_delay_alu instid0(VALU_DEP_2) | instskip(SKIP_3) | instid1(VALU_DEP_1)
	v_dot4_i32_iu8 v18, v185, v18, v171 neg_lo:[1,1,0]
	ds_load_2addr_b32 v[171:172], v150 offset0:5 offset1:6
	v_dot4_i32_iu8 v16, v187, v174, v16 neg_lo:[1,1,0]
	v_dot4_i32_iu8 v18, v186, v175, v18 neg_lo:[1,1,0]
	;; [unrolled: 1-line block ×3, first 2 shown]
	s_wait_dscnt 0x0
	v_lshlrev_b32_e32 v173, 16, v171
	v_lshlrev_b32_e32 v174, 8, v171
	v_perm_b32 v171, v171, v171, 0xc0c0003
	s_delay_alu instid0(VALU_DEP_2) | instskip(SKIP_3) | instid1(VALU_DEP_2)
	v_perm_b32 v225, v174, v173, 0x7030c0c
	ds_load_2addr_b32 v[173:174], v151 offset0:5 offset1:6
	v_or_b32_e32 v171, v225, v171
	v_perm_b32 v225, v12, v12, 0x2010003
	v_dot4_i32_iu8 v205, v171, v169, v205 neg_lo:[1,1,0]
	s_delay_alu instid0(VALU_DEP_2)
	v_dot4_i32_iu8 v203, v171, v225, v203 neg_lo:[1,1,0]
	v_dot4_i32_iu8 v207, v171, v223, v207 neg_lo:[1,1,0]
	;; [unrolled: 1-line block ×3, first 2 shown]
	s_wait_dscnt 0x0
	v_lshlrev_b32_e32 v175, 16, v173
	v_lshlrev_b32_e32 v176, 8, v173
	v_perm_b32 v173, v173, v173, 0xc0c0003
	s_delay_alu instid0(VALU_DEP_2) | instskip(SKIP_3) | instid1(VALU_DEP_2)
	v_perm_b32 v226, v176, v175, 0x7030c0c
	ds_load_2addr_b32 v[175:176], v152 offset0:5 offset1:6
	v_or_b32_e32 v173, v226, v173
	v_lshlrev_b32_e32 v226, 8, v168
	v_dot4_i32_iu8 v171, v173, v225, v157 neg_lo:[1,1,0]
	v_dot4_i32_iu8 v208, v173, v169, v208 neg_lo:[1,1,0]
	;; [unrolled: 1-line block ×4, first 2 shown]
	v_lshlrev_b32_e32 v157, 16, v158
	s_wait_dscnt 0x0
	v_lshlrev_b32_e32 v185, 16, v175
	v_lshlrev_b32_e32 v186, 8, v175
	v_perm_b32 v175, v175, v175, 0xc0c0003
	s_delay_alu instid0(VALU_DEP_2) | instskip(SKIP_3) | instid1(VALU_DEP_2)
	v_perm_b32 v227, v186, v185, 0x7030c0c
	ds_load_2addr_b32 v[185:186], v153 offset0:5 offset1:6
	v_or_b32_e32 v175, v227, v175
	v_lshlrev_b32_e32 v227, 16, v170
	v_dot4_i32_iu8 v173, v175, v225, v159 neg_lo:[1,1,0]
	v_dot4_i32_iu8 v210, v175, v169, v210 neg_lo:[1,1,0]
	v_dot4_i32_iu8 v211, v175, v223, v211 neg_lo:[1,1,0]
	v_dot4_i32_iu8 v175, v175, v224, v161 neg_lo:[1,1,0]
	v_lshlrev_b32_e32 v159, 8, v158
	v_lshlrev_b32_e32 v161, 16, v160
	v_perm_b32 v158, v158, v158, 0xc0c0003
	s_delay_alu instid0(VALU_DEP_3) | instskip(SKIP_4) | instid1(VALU_DEP_2)
	v_perm_b32 v157, v159, v157, 0x7030c0c
	s_wait_dscnt 0x0
	v_lshlrev_b32_e32 v187, 16, v185
	v_lshlrev_b32_e32 v188, 8, v185
	v_perm_b32 v185, v185, v185, 0xc0c0003
	v_perm_b32 v228, v188, v187, 0x7030c0c
	ds_load_2addr_b32 v[187:188], v154 offset0:5 offset1:6
	v_or_b32_e32 v185, v228, v185
	v_lshlrev_b32_e32 v228, 8, v170
	v_perm_b32 v170, v170, v170, 0xc0c0003
	s_delay_alu instid0(VALU_DEP_3)
	v_dot4_i32_iu8 v212, v185, v225, v212 neg_lo:[1,1,0]
	v_dot4_i32_iu8 v213, v185, v169, v213 neg_lo:[1,1,0]
	;; [unrolled: 1-line block ×4, first 2 shown]
	v_lshlrev_b32_e32 v163, 8, v160
	v_perm_b32 v160, v160, v160, 0xc0c0003
	s_delay_alu instid0(VALU_DEP_2) | instskip(SKIP_4) | instid1(VALU_DEP_2)
	v_perm_b32 v159, v163, v161, 0x7030c0c
	s_wait_dscnt 0x0
	v_lshlrev_b32_e32 v189, 16, v187
	v_lshlrev_b32_e32 v190, 8, v187
	v_perm_b32 v187, v187, v187, 0xc0c0003
	v_perm_b32 v229, v190, v189, 0x7030c0c
	ds_load_2addr_b32 v[189:190], v155 offset0:5 offset1:6
	v_or_b32_e32 v187, v229, v187
	s_delay_alu instid0(VALU_DEP_1)
	v_dot4_i32_iu8 v215, v187, v225, v215 neg_lo:[1,1,0]
	v_dot4_i32_iu8 v216, v187, v169, v216 neg_lo:[1,1,0]
	;; [unrolled: 1-line block ×4, first 2 shown]
	s_wait_dscnt 0x0
	v_lshlrev_b32_e32 v191, 16, v189
	v_lshlrev_b32_e32 v192, 8, v189
	v_perm_b32 v189, v189, v189, 0xc0c0003
	s_delay_alu instid0(VALU_DEP_2) | instskip(SKIP_2) | instid1(VALU_DEP_1)
	v_perm_b32 v230, v192, v191, 0x7030c0c
	ds_load_2addr_b32 v[191:192], v156 offset0:5 offset1:6
	v_or_b32_e32 v189, v230, v189
	v_dot4_i32_iu8 v165, v189, v225, v165 neg_lo:[1,1,0]
	v_dot4_i32_iu8 v187, v189, v169, v197 neg_lo:[1,1,0]
	;; [unrolled: 1-line block ×4, first 2 shown]
	v_lshlrev_b32_e32 v198, 8, v162
	s_wait_dscnt 0x0
	v_lshlrev_b32_e32 v231, 16, v191
	v_lshlrev_b32_e32 v232, 8, v191
	v_perm_b32 v191, v191, v191, 0xc0c0003
	v_lshlrev_b32_e32 v229, 16, v192
	v_lshlrev_b32_e32 v230, 8, v192
	v_perm_b32 v192, v192, v192, 0xc0c0003
	v_perm_b32 v231, v232, v231, 0x7030c0c
	s_delay_alu instid0(VALU_DEP_1) | instskip(NEXT) | instid1(VALU_DEP_1)
	v_or_b32_e32 v191, v231, v191
	v_dot4_i32_iu8 v167, v191, v225, v167 neg_lo:[1,1,0]
	v_dot4_i32_iu8 v169, v191, v169, v199 neg_lo:[1,1,0]
	;; [unrolled: 1-line block ×4, first 2 shown]
	v_lshlrev_b32_e32 v191, 16, v162
	v_lshlrev_b32_e32 v199, 16, v164
	;; [unrolled: 1-line block ×5, first 2 shown]
	v_perm_b32 v162, v162, v162, 0xc0c0003
	v_perm_b32 v164, v164, v164, 0xc0c0003
	v_lshlrev_b32_e32 v225, 16, v168
	v_perm_b32 v161, v198, v191, 0x7030c0c
	v_perm_b32 v163, v200, v199, 0x7030c0c
	;; [unrolled: 1-line block ×3, first 2 shown]
	v_or_b32_e32 v200, v157, v158
	v_or_b32_e32 v223, v159, v160
	ds_load_2addr_b32 v[157:158], v193 offset0:4 offset1:5
	ds_load_2addr_b32 v[159:160], v194 offset0:4 offset1:5
	v_perm_b32 v198, v226, v225, 0x7030c0c
	v_or_b32_e32 v224, v161, v162
	v_or_b32_e32 v225, v163, v164
	ds_load_2addr_b32 v[161:162], v195 offset0:4 offset1:5
	ds_load_2addr_b32 v[163:164], v196 offset0:4 offset1:5
	v_perm_b32 v166, v166, v166, 0xc0c0003
	v_perm_b32 v199, v228, v227, 0x7030c0c
	;; [unrolled: 1-line block ×3, first 2 shown]
	v_lshlrev_b32_e32 v227, 16, v190
	v_lshlrev_b32_e32 v228, 8, v190
	v_or_b32_e32 v166, v191, v166
	v_or_b32_e32 v170, v199, v170
	;; [unrolled: 1-line block ×3, first 2 shown]
	v_perm_b32 v190, v190, v190, 0xc0c0003
	s_wait_dscnt 0x3
	v_perm_b32 v191, v157, v157, 0x2010003
	s_wait_dscnt 0x2
	v_perm_b32 v199, v159, v159, 0x2010003
	s_delay_alu instid0(VALU_DEP_2) | instskip(NEXT) | instid1(VALU_DEP_2)
	v_dot4_i32_iu8 v198, v200, v191, v203 neg_lo:[1,1,0]
	v_dot4_i32_iu8 v203, v200, v199, v205 neg_lo:[1,1,0]
	s_wait_dscnt 0x1
	v_perm_b32 v205, v161, v161, 0x2010003
	s_wait_dscnt 0x0
	v_perm_b32 v226, v163, v163, 0x2010003
	v_dot4_i32_iu8 v165, v168, v191, v165 neg_lo:[1,1,0]
	v_dot4_i32_iu8 v167, v170, v191, v167 neg_lo:[1,1,0]
	;; [unrolled: 1-line block ×22, first 2 shown]
	v_lshlrev_b32_e32 v170, 8, v180
	v_lshlrev_b32_e32 v189, 24, v180
	v_dot4_i32_iu8 v173, v224, v191, v173 neg_lo:[1,1,0]
	v_perm_b32 v191, v182, v180, 0xc0c0703
	v_lshlrev_b32_e32 v197, 8, v182
	v_perm_b32 v180, v180, v170, 0x7030c0c
	v_lshlrev_b32_e32 v199, 16, v182
	v_lshlrev_b32_e32 v205, 24, v182
	v_perm_b32 v217, v181, v189, 0xc0c0703
	v_perm_b32 v182, v182, v197, 0x7030c0c
	v_dot4_i32_iu8 v6, v223, v226, v6 neg_lo:[1,1,0]
	v_dot4_i32_iu8 v175, v224, v226, v175 neg_lo:[1,1,0]
	;; [unrolled: 1-line block ×3, first 2 shown]
	v_or_b32_e32 v180, v180, v217
	v_perm_b32 v217, v199, v205, 0xc0c0703
	v_lshlrev_b32_e32 v223, 16, v186
	v_lshlrev_b32_e32 v224, 8, v186
	;; [unrolled: 1-line block ×3, first 2 shown]
	v_dot4_i32_iu8 v14, v180, v159, v14 neg_lo:[1,1,0]
	v_or_b32_e32 v182, v182, v217
	v_dot4_i32_iu8 v16, v180, v161, v16 neg_lo:[1,1,0]
	v_dot4_i32_iu8 v18, v180, v163, v18 neg_lo:[1,1,0]
	v_perm_b32 v159, v160, v160, 0x2010003
	v_lshlrev_b32_e32 v163, 8, v172
	v_dot4_i32_iu8 v14, v182, v160, v14 neg_lo:[1,1,0]
	v_dot4_i32_iu8 v16, v182, v162, v16 neg_lo:[1,1,0]
	v_perm_b32 v160, v162, v162, 0x2010003
	v_dot4_i32_iu8 v161, v182, v164, v18 neg_lo:[1,1,0]
	v_perm_b32 v18, v164, v164, 0x2010003
	v_lshlrev_b32_e32 v162, 16, v172
	v_perm_b32 v164, v172, v172, 0xc0c0003
	v_lshlrev_b32_e32 v172, 16, v174
	v_lshlrev_b32_e32 v180, 8, v174
	;; [unrolled: 1-line block ×5, first 2 shown]
	v_perm_b32 v174, v174, v174, 0xc0c0003
	v_perm_b32 v176, v176, v176, 0xc0c0003
	;; [unrolled: 1-line block ×11, first 2 shown]
	v_or_b32_e32 v162, v162, v164
	v_or_b32_e32 v163, v163, v174
	;; [unrolled: 1-line block ×7, first 2 shown]
	v_perm_b32 v182, v158, v158, 0x2010003
	v_dot4_i32_iu8 v188, v162, v159, v203 neg_lo:[1,1,0]
	v_dot4_i32_iu8 v190, v162, v160, v207 neg_lo:[1,1,0]
	;; [unrolled: 1-line block ×28, first 2 shown]
	v_lshlrev_b32_e32 v4, 16, v3
	v_lshlrev_b32_e32 v6, 8, v3
	;; [unrolled: 1-line block ×12, first 2 shown]
	v_perm_b32 v3, v3, v3, 0xc0c0003
	v_perm_b32 v5, v5, v5, 0xc0c0003
	;; [unrolled: 1-line block ×12, first 2 shown]
	v_or_b32_e32 v180, v4, v3
	v_or_b32_e32 v182, v6, v5
	;; [unrolled: 1-line block ×6, first 2 shown]
	ds_load_2addr_b32 v[3:4], v193 offset0:6 offset1:7
	ds_load_2addr_b32 v[5:6], v194 offset0:6 offset1:7
	ds_load_2addr_b32 v[18:19], v195 offset0:6 offset1:7
	ds_load_2addr_b32 v[20:21], v196 offset0:6 offset1:7
	v_lshlrev_b32_e32 v214, 16, v23
	v_lshlrev_b32_e32 v215, 8, v23
	v_perm_b32 v23, v23, v23, 0xc0c0003
	v_perm_b32 v170, v197, v170, 0xc0c0703
	s_delay_alu instid0(VALU_DEP_3) | instskip(NEXT) | instid1(VALU_DEP_1)
	v_perm_b32 v176, v215, v214, 0x7030c0c
	v_or_b32_e32 v23, v176, v23
	s_wait_dscnt 0x3
	v_perm_b32 v176, v3, v3, 0x2010003
	s_wait_dscnt 0x2
	v_perm_b32 v193, v5, v5, 0x2010003
	;; [unrolled: 2-line block ×4, first 2 shown]
	v_dot4_i32_iu8 v186, v180, v176, v186 neg_lo:[1,1,0]
	v_dot4_i32_iu8 v188, v180, v193, v188 neg_lo:[1,1,0]
	;; [unrolled: 1-line block ×3, first 2 shown]
	s_delay_alu instid0(VALU_DEP_4)
	v_dot4_i32_iu8 v162, v180, v195, v162 neg_lo:[1,1,0]
	v_dot4_i32_iu8 v171, v182, v176, v171 neg_lo:[1,1,0]
	;; [unrolled: 1-line block ×22, first 2 shown]
	v_lshlrev_b32_e32 v176, 8, v177
	v_lshlrev_b32_e32 v187, 16, v177
	;; [unrolled: 1-line block ×3, first 2 shown]
	v_dot4_i32_iu8 v169, v169, v195, v22 neg_lo:[1,1,0]
	v_dot4_i32_iu8 v160, v23, v194, v160 neg_lo:[1,1,0]
	;; [unrolled: 1-line block ×3, first 2 shown]
	v_perm_b32 v22, v177, v176, 0x7030c0c
	v_perm_b32 v23, v187, v193, 0xc0c0703
	v_lshlrev_b32_e32 v194, 8, v184
	v_lshlrev_b32_e32 v195, 16, v184
	;; [unrolled: 1-line block ×3, first 2 shown]
	v_perm_b32 v208, v19, v19, 0x2010003
	v_or_b32_e32 v22, v22, v23
	v_perm_b32 v23, v184, v194, 0x7030c0c
	v_perm_b32 v209, v21, v21, 0x2010003
	;; [unrolled: 1-line block ×3, first 2 shown]
	s_delay_alu instid0(VALU_DEP_4) | instskip(NEXT) | instid1(VALU_DEP_2)
	v_dot4_i32_iu8 v5, v22, v5, v14 neg_lo:[1,1,0]
	v_or_b32_e32 v23, v23, v207
	v_perm_b32 v207, v6, v6, 0x2010003
	s_delay_alu instid0(VALU_DEP_2) | instskip(SKIP_1) | instid1(VALU_DEP_1)
	v_dot4_i32_iu8 v14, v23, v6, v5 neg_lo:[1,1,0]
	v_dot4_i32_iu8 v5, v22, v18, v16 neg_lo:[1,1,0]
	;; [unrolled: 1-line block ×4, first 2 shown]
	s_delay_alu instid0(VALU_DEP_1)
	v_dot4_i32_iu8 v161, v23, v21, v5 neg_lo:[1,1,0]
	ds_load_2addr_b32 v[5:6], v150 offset1:7
	s_wait_dscnt 0x0
	v_lshlrev_b32_e32 v18, 16, v6
	v_lshlrev_b32_e32 v19, 8, v6
	v_perm_b32 v6, v6, v6, 0xc0c0003
	s_delay_alu instid0(VALU_DEP_2) | instskip(SKIP_2) | instid1(VALU_DEP_1)
	v_perm_b32 v210, v19, v18, 0x7030c0c
	ds_load_2addr_b32 v[18:19], v151 offset1:7
	v_or_b32_e32 v6, v210, v6
	v_dot4_i32_iu8 v188, v6, v207, v188 neg_lo:[1,1,0]
	v_dot4_i32_iu8 v190, v6, v208, v190 neg_lo:[1,1,0]
	s_wait_dscnt 0x0
	v_lshlrev_b32_e32 v20, 16, v19
	v_lshlrev_b32_e32 v21, 8, v19
	v_perm_b32 v19, v19, v19, 0xc0c0003
	s_delay_alu instid0(VALU_DEP_2)
	v_perm_b32 v211, v21, v20, 0x7030c0c
	ds_load_2addr_b32 v[20:21], v152 offset1:7
	v_or_b32_e32 v19, v211, v19
	s_wait_dscnt 0x0
	v_lshlrev_b32_e32 v22, 16, v21
	v_lshlrev_b32_e32 v23, 8, v21
	v_perm_b32 v21, v21, v21, 0xc0c0003
	s_delay_alu instid0(VALU_DEP_2) | instskip(SKIP_2) | instid1(VALU_DEP_1)
	v_perm_b32 v212, v23, v22, 0x7030c0c
	ds_load_2addr_b32 v[22:23], v153 offset1:7
	v_or_b32_e32 v21, v212, v21
	v_dot4_i32_iu8 v7, v21, v209, v7 neg_lo:[1,1,0]
	s_delay_alu instid0(VALU_DEP_1) | instskip(NEXT) | instid1(VALU_DEP_1)
	v_dot4_i32_iu8 v7, v20, v17, v7 neg_lo:[1,1,0]
	v_cvt_f32_i32_e32 v7, v7
	s_wait_dscnt 0x0
	v_lshlrev_b32_e32 v150, 16, v23
	v_lshlrev_b32_e32 v151, 8, v23
	v_perm_b32 v23, v23, v23, 0xc0c0003
	s_delay_alu instid0(VALU_DEP_2) | instskip(SKIP_2) | instid1(VALU_DEP_1)
	v_perm_b32 v213, v151, v150, 0x7030c0c
	ds_load_2addr_b32 v[150:151], v154 offset1:7
	v_or_b32_e32 v23, v213, v23
	v_dot4_i32_iu8 v10, v23, v209, v10 neg_lo:[1,1,0]
	s_delay_alu instid0(VALU_DEP_1) | instskip(NEXT) | instid1(VALU_DEP_1)
	v_dot4_i32_iu8 v10, v22, v17, v10 neg_lo:[1,1,0]
	v_cvt_f32_i32_e32 v10, v10
	s_wait_dscnt 0x0
	v_lshlrev_b32_e32 v152, 16, v151
	v_lshlrev_b32_e32 v153, 8, v151
	v_perm_b32 v151, v151, v151, 0xc0c0003
	s_delay_alu instid0(VALU_DEP_2)
	v_perm_b32 v214, v153, v152, 0x7030c0c
	ds_load_2addr_b32 v[152:153], v155 offset1:7
	v_or_b32_e32 v151, v214, v151
	s_wait_dscnt 0x0
	v_lshlrev_b32_e32 v154, 16, v153
	v_lshlrev_b32_e32 v155, 8, v153
	v_perm_b32 v153, v153, v153, 0xc0c0003
	s_delay_alu instid0(VALU_DEP_2) | instskip(SKIP_2) | instid1(VALU_DEP_1)
	v_perm_b32 v215, v155, v154, 0x7030c0c
	ds_load_2addr_b32 v[154:155], v156 offset1:7
	v_or_b32_e32 v153, v215, v153
	v_dot4_i32_iu8 v166, v153, v207, v166 neg_lo:[1,1,0]
	s_wait_dscnt 0x0
	v_lshlrev_b32_e32 v156, 16, v155
	v_lshlrev_b32_e32 v216, 8, v155
	v_perm_b32 v155, v155, v155, 0xc0c0003
	s_delay_alu instid0(VALU_DEP_2) | instskip(NEXT) | instid1(VALU_DEP_1)
	v_perm_b32 v156, v216, v156, 0x7030c0c
	v_or_b32_e32 v155, v156, v155
	v_perm_b32 v156, v4, v4, 0x2010003
	s_delay_alu instid0(VALU_DEP_2) | instskip(NEXT) | instid1(VALU_DEP_2)
	v_dot4_i32_iu8 v159, v155, v207, v159 neg_lo:[1,1,0]
	v_dot4_i32_iu8 v186, v6, v156, v186 neg_lo:[1,1,0]
	;; [unrolled: 1-line block ×49, first 2 shown]
	v_perm_b32 v154, v184, v177, 0x7030c0c
	v_perm_b32 v175, v158, v157, 0xc0c0703
	;; [unrolled: 1-line block ×5, first 2 shown]
	v_or_b32_e32 v154, v154, v191
	v_perm_b32 v156, v183, v9, 0xc0c0501
	v_or_b32_e32 v175, v177, v175
	v_perm_b32 v177, v12, v11, 0x7030c0c
	;; [unrolled: 2-line block ×3, first 2 shown]
	v_perm_b32 v9, v183, v9, 0xc0c0602
	v_perm_b32 v168, v8, v204, 0xc0c0503
	v_or_b32_e32 v159, v177, v159
	v_perm_b32 v174, v8, v202, 0xc0c0403
	v_perm_b32 v8, v8, v201, 0xc0c0603
	v_cvt_f32_i32_e32 v13, v13
	v_cvt_f32_i32_e32 v5, v5
	v_dot4_i32_iu8 v153, v153, v159, 0 neg_lo:[1,1,0]
	v_perm_b32 v159, v4, v3, 0x6020c0c
	v_cvt_f32_i32_e32 v18, v18
	v_cvt_f32_i32_e32 v150, v150
	;; [unrolled: 1-line block ×3, first 2 shown]
	v_dot4_i32_iu8 v153, v154, v175, v153 neg_lo:[1,1,0]
	v_perm_b32 v154, v158, v157, 0xc0c0602
	v_perm_b32 v175, v12, v11, 0x6020c0c
	v_cvt_f32_i32_e32 v19, v19
	v_cvt_f32_i32_e32 v20, v20
	;; [unrolled: 1-line block ×3, first 2 shown]
	v_or_b32_e32 v154, v159, v154
	v_perm_b32 v159, v220, v206, 0x7030c0c
	v_or_b32_e32 v9, v175, v9
	v_perm_b32 v175, v194, v176, 0x7030c0c
	v_cvt_f32_i32_e32 v22, v22
	v_cvt_f32_i32_e32 v23, v23
	v_or_b32_e32 v8, v159, v8
	v_cvt_f32_i32_e32 v151, v151
	v_or_b32_e32 v159, v175, v170
	v_perm_b32 v170, v195, v187, 0x7030c0c
	v_cvt_f32_i32_e32 v152, v152
	v_dot4_i32_iu8 v8, v8, v9, 0 neg_lo:[1,1,0]
	v_perm_b32 v9, v158, v157, 0xc0c0501
	v_cvt_f32_i32_e32 v24, v24
	s_delay_alu instid0(VALU_DEP_3)
	v_dot4_i32_iu8 v8, v159, v154, v8 neg_lo:[1,1,0]
	v_perm_b32 v154, v4, v3, 0x5010c0c
	v_perm_b32 v159, v12, v11, 0x5010c0c
	;; [unrolled: 1-line block ×5, first 2 shown]
	v_or_b32_e32 v9, v154, v9
	v_perm_b32 v154, v222, v219, 0x7030c0c
	v_or_b32_e32 v156, v159, v156
	v_perm_b32 v159, v199, v181, 0xc0c0703
	;; [unrolled: 2-line block ×3, first 2 shown]
	v_or_b32_e32 v154, v154, v168
	v_or_b32_e32 v11, v11, v174
	;; [unrolled: 1-line block ×3, first 2 shown]
	s_wait_alu 0xfffe
	v_add_nc_u32_e32 v160, s13, v93
	v_dot4_i32_iu8 v154, v154, v156, 0 neg_lo:[1,1,0]
	v_dot4_i32_iu8 v4, v11, v4, 0 neg_lo:[1,1,0]
	v_add3_u32 v11, s16, v132, v134
	v_add_nc_u32_e32 v156, s13, v85
	ds_load_b32 v160, v160
	v_dot4_i32_iu8 v9, v159, v9, v154 neg_lo:[1,1,0]
	v_perm_b32 v154, v158, v157, 0xc0c0400
	ds_load_b32 v11, v11
	ds_load_b32 v156, v156
	v_add_nc_u32_e32 v157, s13, v87
	v_add_nc_u32_e32 v158, s13, v89
	v_or_b32_e32 v3, v3, v154
	v_perm_b32 v154, v203, v193, 0x7030c0c
	v_add_nc_u32_e32 v159, s13, v91
	ds_load_b32 v157, v157
	ds_load_b32 v158, v158
	v_or_b32_e32 v12, v154, v12
	v_add_nc_u32_e32 v154, s13, v83
	ds_load_b32 v159, v159
	v_dot4_i32_iu8 v3, v12, v3, v4 neg_lo:[1,1,0]
	v_add_nc_u32_e32 v4, v9, v153
	v_add3_u32 v9, s16, v128, v130
	v_add_nc_u32_e32 v12, s13, v79
	v_add_nc_u32_e32 v153, s13, v81
	ds_load_b32 v154, v154
	v_add3_u32 v3, v3, v8, v4
	v_add3_u32 v4, s16, v120, v122
	;; [unrolled: 1-line block ×3, first 2 shown]
	ds_load_b32 v9, v9
	ds_load_b32 v12, v12
	;; [unrolled: 1-line block ×5, first 2 shown]
	v_cvt_f32_i32_e32 v3, v3
	s_add_co_i32 s13, s12, 4
	s_cmp_lt_u32 s12, 28
	s_wait_alu 0xfffe
	s_mov_b32 s12, s13
	s_wait_dscnt 0x4
	v_pk_mul_f16 v180, v9, v154
	s_wait_dscnt 0x3
	v_pk_mul_f16 v174, v12, v9
	s_wait_dscnt 0x2
	v_pk_mul_f16 v177, v9, v153
	s_wait_dscnt 0x1
	v_pk_mul_f16 v168, v12, v4
	s_wait_dscnt 0x0
	v_pk_mul_f16 v170, v12, v8
	v_pk_mul_f16 v12, v12, v11
	v_pk_mul_f16 v176, v8, v153
	;; [unrolled: 1-line block ×3, first 2 shown]
	v_fma_mix_f32 v3, v168, v3, v168 op_sel:[0,0,1] op_sel_hi:[1,0,1]
	v_pk_mul_f16 v182, v8, v156
	v_pk_mul_f16 v185, v8, v157
	;; [unrolled: 1-line block ×5, first 2 shown]
	v_add_f32_e32 v35, v35, v3
	v_cvt_f32_i32_e32 v3, v14
	v_cvt_f32_i32_e32 v14, v16
	;; [unrolled: 1-line block ×3, first 2 shown]
	v_pk_mul_f16 v175, v4, v153
	v_pk_mul_f16 v153, v11, v153
	;; [unrolled: 1-line block ×15, first 2 shown]
	v_fma_mix_f32 v3, v170, v3, v170 op_sel:[0,0,1] op_sel_hi:[1,0,1]
	v_fma_mix_f32 v14, v174, v14, v174 op_sel:[0,0,1] op_sel_hi:[1,0,1]
	;; [unrolled: 1-line block ×4, first 2 shown]
	v_cvt_f32_i32_e32 v13, v15
	v_pk_mul_f16 v190, v4, v159
	v_pk_mul_f16 v159, v11, v159
	v_pk_mul_f16 v4, v4, v160
	v_pk_mul_f16 v11, v11, v160
	v_dual_add_f32 v141, v141, v3 :: v_dual_add_f32 v146, v146, v14
	v_add_f32_e32 v149, v149, v12
	v_cvt_f32_i32_e32 v3, v155
	v_cvt_f32_i32_e32 v12, v167
	;; [unrolled: 1-line block ×3, first 2 shown]
	v_fma_mix_f32 v5, v153, v5, v153 op_sel:[0,0,1] op_sel_hi:[1,0,1]
	v_cvt_f32_i32_e32 v16, v162
	v_cvt_f32_i32_e32 v153, v171
	v_fma_mix_f32 v18, v154, v18, v154 op_sel:[0,0,1] op_sel_hi:[1,0,1]
	v_cvt_f32_i32_e32 v154, v163
	v_cvt_f32_i32_e32 v155, v173
	v_fma_mix_f32 v7, v156, v7, v156 op_sel:[0,0,1] op_sel_hi:[1,0,1]
	v_cvt_f32_i32_e32 v156, v164
	v_fma_mix_f32 v10, v157, v10, v157 op_sel:[0,0,1] op_sel_hi:[1,0,1]
	;; [unrolled: 2-line block ×3, first 2 shown]
	v_cvt_f32_i32_e32 v158, v165
	v_cvt_f32_i32_e32 v160, v166
	v_fma_mix_f32 v9, v9, v13, v9 op_sel:[0,0,1] op_sel_hi:[1,0,1]
	v_cvt_f32_i32_e32 v13, v17
	v_fma_mix_f32 v3, v175, v3, v175 op_sel:[0,0,1] op_sel_hi:[1,0,1]
	v_fma_mix_f32 v12, v176, v12, v176 op_sel:[0,0,1] op_sel_hi:[1,0,1]
	;; [unrolled: 1-line block ×21, first 2 shown]
	v_dual_add_f32 v127, v127, v3 :: v_dual_add_f32 v138, v138, v12
	v_add_f32_e32 v144, v144, v14
	v_dual_add_f32 v148, v148, v5 :: v_dual_add_f32 v121, v121, v6
	v_dual_add_f32 v135, v135, v16 :: v_dual_add_f32 v142, v142, v153
	v_add_f32_e32 v147, v147, v18
	v_add_f32_e32 v115, v115, v19
	;; [unrolled: 1-line block ×4, first 2 shown]
	v_dual_add_f32 v145, v145, v7 :: v_dual_add_f32 v110, v110, v20
	v_dual_add_f32 v123, v123, v21 :: v_dual_add_f32 v136, v136, v156
	v_add_f32_e32 v143, v143, v10
	v_add_f32_e32 v105, v105, v22
	;; [unrolled: 1-line block ×3, first 2 shown]
	v_dual_add_f32 v131, v131, v157 :: v_dual_add_f32 v140, v140, v150
	v_dual_add_f32 v101, v101, v151 :: v_dual_add_f32 v112, v112, v158
	v_add_f32_e32 v125, v125, v160
	v_add_f32_e32 v137, v137, v152
	;; [unrolled: 1-line block ×6, first 2 shown]
	s_cbranch_scc1 .LBB143_11
; %bb.12:                               ;   in Loop: Header=BB143_6 Depth=1
	s_wait_loadcnt 0x0
	s_barrier_signal -1
	s_barrier_wait -1
	global_inv scope:SCOPE_SE
	s_branch .LBB143_5
.LBB143_13:
	v_cvt_f16_f32_e32 v12, v35
	v_cvt_f16_f32_e64 v13, v141
	v_cvt_f16_f32_e64 v14, v146
	v_cvt_f16_f32_e64 v36, v149
	v_cvt_f16_f32_e32 v35, v127
	v_cvt_f16_f32_e64 v34, v138
	v_cvt_f16_f32_e64 v33, v144
	v_cvt_f16_f32_e64 v32, v148
	;; [unrolled: 4-line block ×4, first 2 shown]
	v_cvt_f16_f32_e32 v20, v110
	v_cvt_f16_f32_e32 v19, v123
	v_cvt_f16_f32_e64 v18, v136
	v_cvt_f16_f32_e64 v17, v143
	v_cvt_f16_f32_e32 v16, v105
	v_cvt_f16_f32_e32 v15, v117
	v_cvt_f16_f32_e64 v11, v131
	v_cvt_f16_f32_e64 v10, v140
	v_cvt_f16_f32_e32 v9, v101
	v_cvt_f16_f32_e32 v8, v112
	;; [unrolled: 1-line block ×3, first 2 shown]
	v_cvt_f16_f32_e64 v5, v137
	v_cvt_f16_f32_e32 v4, v99
	v_cvt_f16_f32_e32 v3, v107
	;; [unrolled: 1-line block ×3, first 2 shown]
	v_cvt_f16_f32_e64 v1, v133
	v_dual_mov_b32 v6, v25 :: v_dual_mov_b32 v37, v26
.LBB143_14:
	s_mov_b32 s0, exec_lo
	v_cmpx_gt_u32_e64 s4, v27
	s_cbranch_execz .LBB143_65
; %bb.15:
	s_delay_alu instid0(VALU_DEP_2) | instskip(SKIP_1) | instid1(VALU_DEP_2)
	v_add_nc_u32_e32 v0, s14, v37
	v_mul_lo_u32 v25, v27, s6
	v_cmp_gt_u32_e32 vcc_lo, s6, v0
	s_and_saveexec_b32 s1, vcc_lo
	s_cbranch_execz .LBB143_17
; %bb.16:
	s_delay_alu instid0(VALU_DEP_2) | instskip(NEXT) | instid1(VALU_DEP_1)
	v_dual_mov_b32 v27, 0 :: v_dual_add_nc_u32 v26, v0, v25
	v_lshlrev_b64_e32 v[26:27], 1, v[26:27]
	s_wait_kmcnt 0x0
	s_delay_alu instid0(VALU_DEP_1) | instskip(NEXT) | instid1(VALU_DEP_1)
	v_add_co_u32 v26, s0, s8, v26
	v_add_co_ci_u32_e64 v27, null, s9, v27, s0
	global_store_b16 v[26:27], v12, off
.LBB143_17:
	s_or_b32 exec_lo, exec_lo, s1
	v_add_nc_u32_e32 v12, 32, v0
	s_delay_alu instid0(VALU_DEP_1)
	v_cmp_gt_u32_e64 s0, s6, v12
	s_and_saveexec_b32 s2, s0
	s_cbranch_execz .LBB143_19
; %bb.18:
	v_dual_mov_b32 v27, 0 :: v_dual_add_nc_u32 v26, v12, v25
	s_delay_alu instid0(VALU_DEP_1) | instskip(SKIP_1) | instid1(VALU_DEP_1)
	v_lshlrev_b64_e32 v[26:27], 1, v[26:27]
	s_wait_kmcnt 0x0
	v_add_co_u32 v26, s1, s8, v26
	s_wait_alu 0xf1ff
	s_delay_alu instid0(VALU_DEP_2)
	v_add_co_ci_u32_e64 v27, null, s9, v27, s1
	global_store_b16 v[26:27], v13, off
.LBB143_19:
	s_wait_alu 0xfffe
	s_or_b32 exec_lo, exec_lo, s2
	v_add_nc_u32_e32 v13, 64, v0
	s_delay_alu instid0(VALU_DEP_1)
	v_cmp_gt_u32_e64 s1, s6, v13
	s_and_saveexec_b32 s3, s1
	s_cbranch_execz .LBB143_21
; %bb.20:
	v_dual_mov_b32 v27, 0 :: v_dual_add_nc_u32 v26, v13, v25
	s_delay_alu instid0(VALU_DEP_1) | instskip(SKIP_1) | instid1(VALU_DEP_1)
	v_lshlrev_b64_e32 v[26:27], 1, v[26:27]
	s_wait_kmcnt 0x0
	v_add_co_u32 v26, s2, s8, v26
	s_wait_alu 0xf1ff
	s_delay_alu instid0(VALU_DEP_2)
	v_add_co_ci_u32_e64 v27, null, s9, v27, s2
	global_store_b16 v[26:27], v14, off
.LBB143_21:
	s_wait_alu 0xfffe
	;; [unrolled: 18-line block ×3, first 2 shown]
	s_or_b32 exec_lo, exec_lo, s5
	v_add3_u32 v25, v6, s7, 8
	s_delay_alu instid0(VALU_DEP_1)
	v_cmp_gt_u32_e64 s3, s4, v25
	s_and_b32 exec_lo, exec_lo, s3
	s_cbranch_execz .LBB143_65
; %bb.24:
	v_mul_lo_u32 v25, v25, s6
	s_and_saveexec_b32 s5, vcc_lo
	s_cbranch_execnz .LBB143_66
; %bb.25:
	s_wait_alu 0xfffe
	s_or_b32 exec_lo, exec_lo, s5
	s_and_saveexec_b32 s5, s0
	s_cbranch_execnz .LBB143_67
.LBB143_26:
	s_wait_alu 0xfffe
	s_or_b32 exec_lo, exec_lo, s5
	s_and_saveexec_b32 s5, s1
	s_cbranch_execnz .LBB143_68
.LBB143_27:
	s_wait_alu 0xfffe
	s_or_b32 exec_lo, exec_lo, s5
	s_and_saveexec_b32 s5, s2
	s_cbranch_execz .LBB143_29
.LBB143_28:
	v_dual_mov_b32 v26, 0 :: v_dual_add_nc_u32 v25, v25, v14
	s_delay_alu instid0(VALU_DEP_1) | instskip(SKIP_1) | instid1(VALU_DEP_1)
	v_lshlrev_b64_e32 v[25:26], 1, v[25:26]
	s_wait_kmcnt 0x0
	v_add_co_u32 v25, s3, s8, v25
	s_wait_alu 0xf1ff
	s_delay_alu instid0(VALU_DEP_2)
	v_add_co_ci_u32_e64 v26, null, s9, v26, s3
	global_store_b16 v[25:26], v32, off
.LBB143_29:
	s_wait_alu 0xfffe
	s_or_b32 exec_lo, exec_lo, s5
	v_add3_u32 v25, v6, s7, 16
	s_delay_alu instid0(VALU_DEP_1)
	v_cmp_gt_u32_e64 s3, s4, v25
	s_and_b32 exec_lo, exec_lo, s3
	s_cbranch_execz .LBB143_65
; %bb.30:
	v_mul_lo_u32 v25, v25, s6
	s_and_saveexec_b32 s5, vcc_lo
	s_cbranch_execnz .LBB143_69
; %bb.31:
	s_wait_alu 0xfffe
	s_or_b32 exec_lo, exec_lo, s5
	s_and_saveexec_b32 s5, s0
	s_cbranch_execnz .LBB143_70
.LBB143_32:
	s_wait_alu 0xfffe
	s_or_b32 exec_lo, exec_lo, s5
	s_and_saveexec_b32 s5, s1
	s_cbranch_execnz .LBB143_71
.LBB143_33:
	s_wait_alu 0xfffe
	s_or_b32 exec_lo, exec_lo, s5
	s_and_saveexec_b32 s5, s2
	s_cbranch_execz .LBB143_35
.LBB143_34:
	v_dual_mov_b32 v26, 0 :: v_dual_add_nc_u32 v25, v25, v14
	s_delay_alu instid0(VALU_DEP_1) | instskip(SKIP_1) | instid1(VALU_DEP_1)
	v_lshlrev_b64_e32 v[25:26], 1, v[25:26]
	s_wait_kmcnt 0x0
	v_add_co_u32 v25, s3, s8, v25
	s_wait_alu 0xf1ff
	s_delay_alu instid0(VALU_DEP_2)
	v_add_co_ci_u32_e64 v26, null, s9, v26, s3
	global_store_b16 v[25:26], v28, off
.LBB143_35:
	s_wait_alu 0xfffe
	s_or_b32 exec_lo, exec_lo, s5
	v_add3_u32 v25, v6, s7, 24
	s_delay_alu instid0(VALU_DEP_1)
	v_cmp_gt_u32_e64 s3, s4, v25
	s_and_b32 exec_lo, exec_lo, s3
	s_cbranch_execz .LBB143_65
; %bb.36:
	v_mul_lo_u32 v25, v25, s6
	s_and_saveexec_b32 s5, vcc_lo
	s_cbranch_execnz .LBB143_72
; %bb.37:
	s_wait_alu 0xfffe
	s_or_b32 exec_lo, exec_lo, s5
	s_and_saveexec_b32 s5, s0
	s_cbranch_execnz .LBB143_73
.LBB143_38:
	s_wait_alu 0xfffe
	s_or_b32 exec_lo, exec_lo, s5
	s_and_saveexec_b32 s5, s1
	s_cbranch_execnz .LBB143_74
.LBB143_39:
	s_wait_alu 0xfffe
	s_or_b32 exec_lo, exec_lo, s5
	s_and_saveexec_b32 s5, s2
	s_cbranch_execz .LBB143_41
.LBB143_40:
	v_dual_mov_b32 v23, 0 :: v_dual_add_nc_u32 v22, v25, v14
	s_delay_alu instid0(VALU_DEP_1) | instskip(SKIP_1) | instid1(VALU_DEP_1)
	v_lshlrev_b64_e32 v[22:23], 1, v[22:23]
	s_wait_kmcnt 0x0
	v_add_co_u32 v22, s3, s8, v22
	s_wait_alu 0xf1ff
	s_delay_alu instid0(VALU_DEP_2)
	v_add_co_ci_u32_e64 v23, null, s9, v23, s3
	global_store_b16 v[22:23], v21, off
.LBB143_41:
	s_wait_alu 0xfffe
	s_or_b32 exec_lo, exec_lo, s5
	v_add3_u32 v21, v6, s7, 32
	s_delay_alu instid0(VALU_DEP_1)
	v_cmp_gt_u32_e64 s3, s4, v21
	s_and_b32 exec_lo, exec_lo, s3
	s_cbranch_execz .LBB143_65
; %bb.42:
	v_mul_lo_u32 v21, v21, s6
	s_and_saveexec_b32 s5, vcc_lo
	s_cbranch_execnz .LBB143_75
; %bb.43:
	s_wait_alu 0xfffe
	s_or_b32 exec_lo, exec_lo, s5
	s_and_saveexec_b32 s5, s0
	s_cbranch_execnz .LBB143_76
.LBB143_44:
	s_wait_alu 0xfffe
	s_or_b32 exec_lo, exec_lo, s5
	s_and_saveexec_b32 s5, s1
	s_cbranch_execnz .LBB143_77
.LBB143_45:
	s_wait_alu 0xfffe
	s_or_b32 exec_lo, exec_lo, s5
	s_and_saveexec_b32 s5, s2
	s_cbranch_execz .LBB143_47
.LBB143_46:
	v_dual_mov_b32 v19, 0 :: v_dual_add_nc_u32 v18, v21, v14
	s_delay_alu instid0(VALU_DEP_1) | instskip(SKIP_1) | instid1(VALU_DEP_1)
	v_lshlrev_b64_e32 v[18:19], 1, v[18:19]
	s_wait_kmcnt 0x0
	v_add_co_u32 v18, s3, s8, v18
	s_wait_alu 0xf1ff
	s_delay_alu instid0(VALU_DEP_2)
	v_add_co_ci_u32_e64 v19, null, s9, v19, s3
	global_store_b16 v[18:19], v17, off
.LBB143_47:
	s_wait_alu 0xfffe
	s_or_b32 exec_lo, exec_lo, s5
	v_add3_u32 v17, v6, s7, 40
	s_delay_alu instid0(VALU_DEP_1)
	v_cmp_gt_u32_e64 s3, s4, v17
	s_and_b32 exec_lo, exec_lo, s3
	s_cbranch_execz .LBB143_65
; %bb.48:
	v_mul_lo_u32 v17, v17, s6
	s_and_saveexec_b32 s5, vcc_lo
	s_cbranch_execnz .LBB143_78
; %bb.49:
	s_wait_alu 0xfffe
	s_or_b32 exec_lo, exec_lo, s5
	s_and_saveexec_b32 s5, s0
	s_cbranch_execnz .LBB143_79
.LBB143_50:
	s_wait_alu 0xfffe
	s_or_b32 exec_lo, exec_lo, s5
	s_and_saveexec_b32 s5, s1
	s_cbranch_execnz .LBB143_80
.LBB143_51:
	s_wait_alu 0xfffe
	s_or_b32 exec_lo, exec_lo, s5
	s_and_saveexec_b32 s5, s2
	s_cbranch_execz .LBB143_53
.LBB143_52:
	v_dual_mov_b32 v16, 0 :: v_dual_add_nc_u32 v15, v17, v14
	s_delay_alu instid0(VALU_DEP_1) | instskip(SKIP_1) | instid1(VALU_DEP_1)
	v_lshlrev_b64_e32 v[15:16], 1, v[15:16]
	s_wait_kmcnt 0x0
	v_add_co_u32 v15, s3, s8, v15
	s_wait_alu 0xf1ff
	s_delay_alu instid0(VALU_DEP_2)
	v_add_co_ci_u32_e64 v16, null, s9, v16, s3
	global_store_b16 v[15:16], v10, off
.LBB143_53:
	s_wait_alu 0xfffe
	s_or_b32 exec_lo, exec_lo, s5
	v_add3_u32 v10, v6, s7, 48
	s_delay_alu instid0(VALU_DEP_1)
	v_cmp_gt_u32_e64 s3, s4, v10
	s_and_b32 exec_lo, exec_lo, s3
	s_cbranch_execz .LBB143_65
; %bb.54:
	v_mul_lo_u32 v10, v10, s6
	s_and_saveexec_b32 s5, vcc_lo
	s_cbranch_execnz .LBB143_81
; %bb.55:
	s_wait_alu 0xfffe
	s_or_b32 exec_lo, exec_lo, s5
	s_and_saveexec_b32 s5, s0
	s_cbranch_execnz .LBB143_82
.LBB143_56:
	s_wait_alu 0xfffe
	s_or_b32 exec_lo, exec_lo, s5
	s_and_saveexec_b32 s5, s1
	s_cbranch_execnz .LBB143_83
.LBB143_57:
	s_wait_alu 0xfffe
	s_or_b32 exec_lo, exec_lo, s5
	s_and_saveexec_b32 s5, s2
	s_cbranch_execz .LBB143_59
.LBB143_58:
	v_dual_mov_b32 v8, 0 :: v_dual_add_nc_u32 v7, v10, v14
	s_delay_alu instid0(VALU_DEP_1) | instskip(SKIP_1) | instid1(VALU_DEP_1)
	v_lshlrev_b64_e32 v[7:8], 1, v[7:8]
	s_wait_kmcnt 0x0
	v_add_co_u32 v7, s3, s8, v7
	s_wait_alu 0xf1ff
	s_delay_alu instid0(VALU_DEP_2)
	v_add_co_ci_u32_e64 v8, null, s9, v8, s3
	global_store_b16 v[7:8], v5, off
.LBB143_59:
	s_wait_alu 0xfffe
	s_or_b32 exec_lo, exec_lo, s5
	v_add3_u32 v5, v6, s7, 56
	s_delay_alu instid0(VALU_DEP_1)
	v_cmp_gt_u32_e64 s3, s4, v5
	s_and_b32 exec_lo, exec_lo, s3
	s_cbranch_execz .LBB143_65
; %bb.60:
	v_mul_lo_u32 v5, v5, s6
	s_and_saveexec_b32 s3, vcc_lo
	s_cbranch_execnz .LBB143_84
; %bb.61:
	s_wait_alu 0xfffe
	s_or_b32 exec_lo, exec_lo, s3
	s_and_saveexec_b32 s3, s0
	s_cbranch_execnz .LBB143_85
.LBB143_62:
	s_wait_alu 0xfffe
	s_or_b32 exec_lo, exec_lo, s3
	s_and_saveexec_b32 s0, s1
	s_cbranch_execnz .LBB143_86
.LBB143_63:
	s_wait_alu 0xfffe
	s_or_b32 exec_lo, exec_lo, s0
	s_delay_alu instid0(SALU_CYCLE_1)
	s_and_b32 exec_lo, exec_lo, s2
	s_cbranch_execz .LBB143_65
.LBB143_64:
	v_dual_mov_b32 v3, 0 :: v_dual_add_nc_u32 v2, v5, v14
	s_delay_alu instid0(VALU_DEP_1) | instskip(SKIP_1) | instid1(VALU_DEP_1)
	v_lshlrev_b64_e32 v[2:3], 1, v[2:3]
	s_wait_kmcnt 0x0
	v_add_co_u32 v2, vcc_lo, s8, v2
	s_wait_alu 0xfffd
	s_delay_alu instid0(VALU_DEP_2)
	v_add_co_ci_u32_e64 v3, null, s9, v3, vcc_lo
	global_store_b16 v[2:3], v1, off
.LBB143_65:
	s_nop 0
	s_sendmsg sendmsg(MSG_DEALLOC_VGPRS)
	s_endpgm
.LBB143_66:
	s_delay_alu instid0(VALU_DEP_1) | instskip(NEXT) | instid1(VALU_DEP_1)
	v_dual_mov_b32 v27, 0 :: v_dual_add_nc_u32 v26, v25, v0
	v_lshlrev_b64_e32 v[26:27], 1, v[26:27]
	s_wait_kmcnt 0x0
	s_delay_alu instid0(VALU_DEP_1) | instskip(SKIP_1) | instid1(VALU_DEP_2)
	v_add_co_u32 v26, s3, s8, v26
	s_wait_alu 0xf1ff
	v_add_co_ci_u32_e64 v27, null, s9, v27, s3
	global_store_b16 v[26:27], v35, off
	s_wait_alu 0xfffe
	s_or_b32 exec_lo, exec_lo, s5
	s_and_saveexec_b32 s5, s0
	s_cbranch_execz .LBB143_26
.LBB143_67:
	s_delay_alu instid0(VALU_DEP_1) | instskip(NEXT) | instid1(VALU_DEP_1)
	v_dual_mov_b32 v27, 0 :: v_dual_add_nc_u32 v26, v25, v12
	v_lshlrev_b64_e32 v[26:27], 1, v[26:27]
	s_wait_kmcnt 0x0
	s_delay_alu instid0(VALU_DEP_1) | instskip(SKIP_1) | instid1(VALU_DEP_2)
	v_add_co_u32 v26, s3, s8, v26
	s_wait_alu 0xf1ff
	v_add_co_ci_u32_e64 v27, null, s9, v27, s3
	global_store_b16 v[26:27], v34, off
	s_wait_alu 0xfffe
	s_or_b32 exec_lo, exec_lo, s5
	s_and_saveexec_b32 s5, s1
	s_cbranch_execz .LBB143_27
.LBB143_68:
	v_dual_mov_b32 v27, 0 :: v_dual_add_nc_u32 v26, v25, v13
	s_delay_alu instid0(VALU_DEP_1) | instskip(SKIP_1) | instid1(VALU_DEP_1)
	v_lshlrev_b64_e32 v[26:27], 1, v[26:27]
	s_wait_kmcnt 0x0
	v_add_co_u32 v26, s3, s8, v26
	s_wait_alu 0xf1ff
	s_delay_alu instid0(VALU_DEP_2)
	v_add_co_ci_u32_e64 v27, null, s9, v27, s3
	global_store_b16 v[26:27], v33, off
	s_wait_alu 0xfffe
	s_or_b32 exec_lo, exec_lo, s5
	s_and_saveexec_b32 s5, s2
	s_cbranch_execnz .LBB143_28
	s_branch .LBB143_29
.LBB143_69:
	s_delay_alu instid0(VALU_DEP_1) | instskip(NEXT) | instid1(VALU_DEP_1)
	v_dual_mov_b32 v27, 0 :: v_dual_add_nc_u32 v26, v25, v0
	v_lshlrev_b64_e32 v[26:27], 1, v[26:27]
	s_wait_kmcnt 0x0
	s_delay_alu instid0(VALU_DEP_1) | instskip(SKIP_1) | instid1(VALU_DEP_2)
	v_add_co_u32 v26, s3, s8, v26
	s_wait_alu 0xf1ff
	v_add_co_ci_u32_e64 v27, null, s9, v27, s3
	global_store_b16 v[26:27], v31, off
	s_wait_alu 0xfffe
	s_or_b32 exec_lo, exec_lo, s5
	s_and_saveexec_b32 s5, s0
	s_cbranch_execz .LBB143_32
.LBB143_70:
	s_delay_alu instid0(VALU_DEP_1) | instskip(NEXT) | instid1(VALU_DEP_1)
	v_dual_mov_b32 v27, 0 :: v_dual_add_nc_u32 v26, v25, v12
	v_lshlrev_b64_e32 v[26:27], 1, v[26:27]
	s_wait_kmcnt 0x0
	s_delay_alu instid0(VALU_DEP_1) | instskip(SKIP_1) | instid1(VALU_DEP_2)
	v_add_co_u32 v26, s3, s8, v26
	s_wait_alu 0xf1ff
	v_add_co_ci_u32_e64 v27, null, s9, v27, s3
	global_store_b16 v[26:27], v30, off
	s_wait_alu 0xfffe
	s_or_b32 exec_lo, exec_lo, s5
	s_and_saveexec_b32 s5, s1
	s_cbranch_execz .LBB143_33
.LBB143_71:
	v_dual_mov_b32 v27, 0 :: v_dual_add_nc_u32 v26, v25, v13
	s_delay_alu instid0(VALU_DEP_1) | instskip(SKIP_1) | instid1(VALU_DEP_1)
	v_lshlrev_b64_e32 v[26:27], 1, v[26:27]
	s_wait_kmcnt 0x0
	v_add_co_u32 v26, s3, s8, v26
	s_wait_alu 0xf1ff
	s_delay_alu instid0(VALU_DEP_2)
	v_add_co_ci_u32_e64 v27, null, s9, v27, s3
	global_store_b16 v[26:27], v29, off
	s_wait_alu 0xfffe
	s_or_b32 exec_lo, exec_lo, s5
	s_and_saveexec_b32 s5, s2
	s_cbranch_execnz .LBB143_34
	s_branch .LBB143_35
.LBB143_72:
	s_delay_alu instid0(VALU_DEP_1) | instskip(NEXT) | instid1(VALU_DEP_1)
	v_dual_mov_b32 v27, 0 :: v_dual_add_nc_u32 v26, v25, v0
	v_lshlrev_b64_e32 v[26:27], 1, v[26:27]
	s_wait_kmcnt 0x0
	s_delay_alu instid0(VALU_DEP_1) | instskip(SKIP_1) | instid1(VALU_DEP_2)
	v_add_co_u32 v26, s3, s8, v26
	s_wait_alu 0xf1ff
	v_add_co_ci_u32_e64 v27, null, s9, v27, s3
	global_store_b16 v[26:27], v24, off
	s_wait_alu 0xfffe
	s_or_b32 exec_lo, exec_lo, s5
	s_and_saveexec_b32 s5, s0
	s_cbranch_execz .LBB143_38
.LBB143_73:
	s_delay_alu instid0(VALU_DEP_1) | instskip(NEXT) | instid1(VALU_DEP_1)
	v_dual_mov_b32 v27, 0 :: v_dual_add_nc_u32 v26, v25, v12
	v_lshlrev_b64_e32 v[26:27], 1, v[26:27]
	s_wait_kmcnt 0x0
	s_delay_alu instid0(VALU_DEP_1) | instskip(SKIP_1) | instid1(VALU_DEP_2)
	v_add_co_u32 v26, s3, s8, v26
	s_wait_alu 0xf1ff
	v_add_co_ci_u32_e64 v27, null, s9, v27, s3
	global_store_b16 v[26:27], v23, off
	s_wait_alu 0xfffe
	s_or_b32 exec_lo, exec_lo, s5
	s_and_saveexec_b32 s5, s1
	s_cbranch_execz .LBB143_39
.LBB143_74:
	v_dual_mov_b32 v24, 0 :: v_dual_add_nc_u32 v23, v25, v13
	s_delay_alu instid0(VALU_DEP_1) | instskip(SKIP_1) | instid1(VALU_DEP_1)
	v_lshlrev_b64_e32 v[23:24], 1, v[23:24]
	s_wait_kmcnt 0x0
	v_add_co_u32 v23, s3, s8, v23
	s_wait_alu 0xf1ff
	s_delay_alu instid0(VALU_DEP_2)
	v_add_co_ci_u32_e64 v24, null, s9, v24, s3
	global_store_b16 v[23:24], v22, off
	s_wait_alu 0xfffe
	s_or_b32 exec_lo, exec_lo, s5
	s_and_saveexec_b32 s5, s2
	s_cbranch_execnz .LBB143_40
	s_branch .LBB143_41
.LBB143_75:
	s_delay_alu instid0(VALU_DEP_1) | instskip(NEXT) | instid1(VALU_DEP_1)
	v_dual_mov_b32 v23, 0 :: v_dual_add_nc_u32 v22, v21, v0
	v_lshlrev_b64_e32 v[22:23], 1, v[22:23]
	s_wait_kmcnt 0x0
	s_delay_alu instid0(VALU_DEP_1) | instskip(SKIP_1) | instid1(VALU_DEP_2)
	v_add_co_u32 v22, s3, s8, v22
	s_wait_alu 0xf1ff
	v_add_co_ci_u32_e64 v23, null, s9, v23, s3
	global_store_b16 v[22:23], v20, off
	s_wait_alu 0xfffe
	s_or_b32 exec_lo, exec_lo, s5
	s_and_saveexec_b32 s5, s0
	s_cbranch_execz .LBB143_44
.LBB143_76:
	s_delay_alu instid0(VALU_DEP_1) | instskip(NEXT) | instid1(VALU_DEP_1)
	v_dual_mov_b32 v23, 0 :: v_dual_add_nc_u32 v22, v21, v12
	v_lshlrev_b64_e32 v[22:23], 1, v[22:23]
	s_wait_kmcnt 0x0
	s_delay_alu instid0(VALU_DEP_1) | instskip(SKIP_1) | instid1(VALU_DEP_2)
	v_add_co_u32 v22, s3, s8, v22
	s_wait_alu 0xf1ff
	v_add_co_ci_u32_e64 v23, null, s9, v23, s3
	global_store_b16 v[22:23], v19, off
	s_wait_alu 0xfffe
	s_or_b32 exec_lo, exec_lo, s5
	s_and_saveexec_b32 s5, s1
	s_cbranch_execz .LBB143_45
.LBB143_77:
	v_dual_mov_b32 v20, 0 :: v_dual_add_nc_u32 v19, v21, v13
	s_delay_alu instid0(VALU_DEP_1) | instskip(SKIP_1) | instid1(VALU_DEP_1)
	v_lshlrev_b64_e32 v[19:20], 1, v[19:20]
	s_wait_kmcnt 0x0
	v_add_co_u32 v19, s3, s8, v19
	s_wait_alu 0xf1ff
	s_delay_alu instid0(VALU_DEP_2)
	v_add_co_ci_u32_e64 v20, null, s9, v20, s3
	global_store_b16 v[19:20], v18, off
	s_wait_alu 0xfffe
	s_or_b32 exec_lo, exec_lo, s5
	s_and_saveexec_b32 s5, s2
	s_cbranch_execnz .LBB143_46
	s_branch .LBB143_47
.LBB143_78:
	s_delay_alu instid0(VALU_DEP_1) | instskip(NEXT) | instid1(VALU_DEP_1)
	v_dual_mov_b32 v19, 0 :: v_dual_add_nc_u32 v18, v17, v0
	v_lshlrev_b64_e32 v[18:19], 1, v[18:19]
	s_wait_kmcnt 0x0
	s_delay_alu instid0(VALU_DEP_1) | instskip(SKIP_1) | instid1(VALU_DEP_2)
	v_add_co_u32 v18, s3, s8, v18
	s_wait_alu 0xf1ff
	v_add_co_ci_u32_e64 v19, null, s9, v19, s3
	global_store_b16 v[18:19], v16, off
	s_wait_alu 0xfffe
	s_or_b32 exec_lo, exec_lo, s5
	s_and_saveexec_b32 s5, s0
	s_cbranch_execz .LBB143_50
.LBB143_79:
	s_delay_alu instid0(VALU_DEP_1) | instskip(NEXT) | instid1(VALU_DEP_1)
	v_dual_mov_b32 v19, 0 :: v_dual_add_nc_u32 v18, v17, v12
	v_lshlrev_b64_e32 v[18:19], 1, v[18:19]
	s_wait_kmcnt 0x0
	s_delay_alu instid0(VALU_DEP_1) | instskip(SKIP_1) | instid1(VALU_DEP_2)
	v_add_co_u32 v18, s3, s8, v18
	s_wait_alu 0xf1ff
	v_add_co_ci_u32_e64 v19, null, s9, v19, s3
	global_store_b16 v[18:19], v15, off
	s_wait_alu 0xfffe
	s_or_b32 exec_lo, exec_lo, s5
	s_and_saveexec_b32 s5, s1
	s_cbranch_execz .LBB143_51
.LBB143_80:
	v_dual_mov_b32 v16, 0 :: v_dual_add_nc_u32 v15, v17, v13
	s_delay_alu instid0(VALU_DEP_1) | instskip(SKIP_1) | instid1(VALU_DEP_1)
	v_lshlrev_b64_e32 v[15:16], 1, v[15:16]
	s_wait_kmcnt 0x0
	v_add_co_u32 v15, s3, s8, v15
	s_wait_alu 0xf1ff
	s_delay_alu instid0(VALU_DEP_2)
	v_add_co_ci_u32_e64 v16, null, s9, v16, s3
	global_store_b16 v[15:16], v11, off
	s_wait_alu 0xfffe
	s_or_b32 exec_lo, exec_lo, s5
	s_and_saveexec_b32 s5, s2
	s_cbranch_execnz .LBB143_52
	s_branch .LBB143_53
.LBB143_81:
	s_delay_alu instid0(VALU_DEP_1) | instskip(NEXT) | instid1(VALU_DEP_1)
	v_dual_mov_b32 v16, 0 :: v_dual_add_nc_u32 v15, v10, v0
	v_lshlrev_b64_e32 v[15:16], 1, v[15:16]
	s_wait_kmcnt 0x0
	s_delay_alu instid0(VALU_DEP_1) | instskip(SKIP_1) | instid1(VALU_DEP_2)
	v_add_co_u32 v15, s3, s8, v15
	s_wait_alu 0xf1ff
	v_add_co_ci_u32_e64 v16, null, s9, v16, s3
	global_store_b16 v[15:16], v9, off
	s_wait_alu 0xfffe
	s_or_b32 exec_lo, exec_lo, s5
	s_and_saveexec_b32 s5, s0
	s_cbranch_execz .LBB143_56
.LBB143_82:
	s_delay_alu instid0(VALU_DEP_1) | instskip(NEXT) | instid1(VALU_DEP_1)
	v_dual_mov_b32 v16, 0 :: v_dual_add_nc_u32 v15, v10, v12
	v_lshlrev_b64_e32 v[15:16], 1, v[15:16]
	s_wait_kmcnt 0x0
	s_delay_alu instid0(VALU_DEP_1) | instskip(SKIP_1) | instid1(VALU_DEP_2)
	v_add_co_u32 v15, s3, s8, v15
	s_wait_alu 0xf1ff
	v_add_co_ci_u32_e64 v16, null, s9, v16, s3
	global_store_b16 v[15:16], v8, off
	s_wait_alu 0xfffe
	s_or_b32 exec_lo, exec_lo, s5
	s_and_saveexec_b32 s5, s1
	s_cbranch_execz .LBB143_57
.LBB143_83:
	v_dual_mov_b32 v9, 0 :: v_dual_add_nc_u32 v8, v10, v13
	s_delay_alu instid0(VALU_DEP_1) | instskip(SKIP_1) | instid1(VALU_DEP_1)
	v_lshlrev_b64_e32 v[8:9], 1, v[8:9]
	s_wait_kmcnt 0x0
	v_add_co_u32 v8, s3, s8, v8
	s_wait_alu 0xf1ff
	s_delay_alu instid0(VALU_DEP_2)
	v_add_co_ci_u32_e64 v9, null, s9, v9, s3
	global_store_b16 v[8:9], v7, off
	s_wait_alu 0xfffe
	s_or_b32 exec_lo, exec_lo, s5
	s_and_saveexec_b32 s5, s2
	s_cbranch_execnz .LBB143_58
	s_branch .LBB143_59
.LBB143_84:
	s_delay_alu instid0(VALU_DEP_1) | instskip(NEXT) | instid1(VALU_DEP_1)
	v_dual_mov_b32 v7, 0 :: v_dual_add_nc_u32 v6, v5, v0
	v_lshlrev_b64_e32 v[6:7], 1, v[6:7]
	s_wait_kmcnt 0x0
	s_delay_alu instid0(VALU_DEP_1) | instskip(SKIP_1) | instid1(VALU_DEP_2)
	v_add_co_u32 v6, vcc_lo, s8, v6
	s_wait_alu 0xfffd
	v_add_co_ci_u32_e64 v7, null, s9, v7, vcc_lo
	global_store_b16 v[6:7], v4, off
	s_wait_alu 0xfffe
	s_or_b32 exec_lo, exec_lo, s3
	s_and_saveexec_b32 s3, s0
	s_cbranch_execz .LBB143_62
.LBB143_85:
	s_delay_alu instid0(VALU_DEP_1) | instskip(NEXT) | instid1(VALU_DEP_1)
	v_dual_mov_b32 v7, 0 :: v_dual_add_nc_u32 v6, v5, v12
	v_lshlrev_b64_e32 v[6:7], 1, v[6:7]
	s_wait_kmcnt 0x0
	s_delay_alu instid0(VALU_DEP_1) | instskip(SKIP_1) | instid1(VALU_DEP_2)
	v_add_co_u32 v6, vcc_lo, s8, v6
	s_wait_alu 0xfffd
	v_add_co_ci_u32_e64 v7, null, s9, v7, vcc_lo
	global_store_b16 v[6:7], v3, off
	s_wait_alu 0xfffe
	s_or_b32 exec_lo, exec_lo, s3
	s_and_saveexec_b32 s0, s1
	s_cbranch_execz .LBB143_63
.LBB143_86:
	v_dual_mov_b32 v4, 0 :: v_dual_add_nc_u32 v3, v5, v13
	s_delay_alu instid0(VALU_DEP_1) | instskip(SKIP_1) | instid1(VALU_DEP_1)
	v_lshlrev_b64_e32 v[3:4], 1, v[3:4]
	s_wait_kmcnt 0x0
	v_add_co_u32 v3, vcc_lo, s8, v3
	s_wait_alu 0xfffd
	s_delay_alu instid0(VALU_DEP_2) | instskip(SKIP_3) | instid1(SALU_CYCLE_1)
	v_add_co_ci_u32_e64 v4, null, s9, v4, vcc_lo
	global_store_b16 v[3:4], v2, off
	s_wait_alu 0xfffe
	s_or_b32 exec_lo, exec_lo, s0
	s_and_b32 exec_lo, exec_lo, s2
	s_cbranch_execnz .LBB143_64
	s_branch .LBB143_65
	.section	.rodata,"a",@progbits
	.p2align	6, 0x0
	.amdhsa_kernel _ZL12mul_mat_q5_1IN3c104HalfELb0EEvPKvS3_PT_iiiii
		.amdhsa_group_segment_fixed_size 46720
		.amdhsa_private_segment_fixed_size 0
		.amdhsa_kernarg_size 44
		.amdhsa_user_sgpr_count 2
		.amdhsa_user_sgpr_dispatch_ptr 0
		.amdhsa_user_sgpr_queue_ptr 0
		.amdhsa_user_sgpr_kernarg_segment_ptr 1
		.amdhsa_user_sgpr_dispatch_id 0
		.amdhsa_user_sgpr_private_segment_size 0
		.amdhsa_wavefront_size32 1
		.amdhsa_uses_dynamic_stack 0
		.amdhsa_enable_private_segment 0
		.amdhsa_system_sgpr_workgroup_id_x 1
		.amdhsa_system_sgpr_workgroup_id_y 1
		.amdhsa_system_sgpr_workgroup_id_z 0
		.amdhsa_system_sgpr_workgroup_info 0
		.amdhsa_system_vgpr_workitem_id 1
		.amdhsa_next_free_vgpr 241
		.amdhsa_next_free_sgpr 18
		.amdhsa_reserve_vcc 1
		.amdhsa_float_round_mode_32 0
		.amdhsa_float_round_mode_16_64 0
		.amdhsa_float_denorm_mode_32 3
		.amdhsa_float_denorm_mode_16_64 3
		.amdhsa_fp16_overflow 0
		.amdhsa_workgroup_processor_mode 1
		.amdhsa_memory_ordered 1
		.amdhsa_forward_progress 1
		.amdhsa_inst_pref_size 177
		.amdhsa_round_robin_scheduling 0
		.amdhsa_exception_fp_ieee_invalid_op 0
		.amdhsa_exception_fp_denorm_src 0
		.amdhsa_exception_fp_ieee_div_zero 0
		.amdhsa_exception_fp_ieee_overflow 0
		.amdhsa_exception_fp_ieee_underflow 0
		.amdhsa_exception_fp_ieee_inexact 0
		.amdhsa_exception_int_div_zero 0
	.end_amdhsa_kernel
	.section	.text._ZL12mul_mat_q5_1IN3c104HalfELb0EEvPKvS3_PT_iiiii,"axG",@progbits,_ZL12mul_mat_q5_1IN3c104HalfELb0EEvPKvS3_PT_iiiii,comdat
.Lfunc_end143:
	.size	_ZL12mul_mat_q5_1IN3c104HalfELb0EEvPKvS3_PT_iiiii, .Lfunc_end143-_ZL12mul_mat_q5_1IN3c104HalfELb0EEvPKvS3_PT_iiiii
                                        ; -- End function
	.set _ZL12mul_mat_q5_1IN3c104HalfELb0EEvPKvS3_PT_iiiii.num_vgpr, 239
	.set _ZL12mul_mat_q5_1IN3c104HalfELb0EEvPKvS3_PT_iiiii.num_agpr, 0
	.set _ZL12mul_mat_q5_1IN3c104HalfELb0EEvPKvS3_PT_iiiii.numbered_sgpr, 18
	.set _ZL12mul_mat_q5_1IN3c104HalfELb0EEvPKvS3_PT_iiiii.num_named_barrier, 0
	.set _ZL12mul_mat_q5_1IN3c104HalfELb0EEvPKvS3_PT_iiiii.private_seg_size, 0
	.set _ZL12mul_mat_q5_1IN3c104HalfELb0EEvPKvS3_PT_iiiii.uses_vcc, 1
	.set _ZL12mul_mat_q5_1IN3c104HalfELb0EEvPKvS3_PT_iiiii.uses_flat_scratch, 0
	.set _ZL12mul_mat_q5_1IN3c104HalfELb0EEvPKvS3_PT_iiiii.has_dyn_sized_stack, 0
	.set _ZL12mul_mat_q5_1IN3c104HalfELb0EEvPKvS3_PT_iiiii.has_recursion, 0
	.set _ZL12mul_mat_q5_1IN3c104HalfELb0EEvPKvS3_PT_iiiii.has_indirect_call, 0
	.section	.AMDGPU.csdata,"",@progbits
; Kernel info:
; codeLenInByte = 22532
; TotalNumSgprs: 20
; NumVgprs: 239
; ScratchSize: 0
; MemoryBound: 0
; FloatMode: 240
; IeeeMode: 1
; LDSByteSize: 46720 bytes/workgroup (compile time only)
; SGPRBlocks: 0
; VGPRBlocks: 30
; NumSGPRsForWavesPerEU: 20
; NumVGPRsForWavesPerEU: 241
; Occupancy: 4
; WaveLimiterHint : 0
; COMPUTE_PGM_RSRC2:SCRATCH_EN: 0
; COMPUTE_PGM_RSRC2:USER_SGPR: 2
; COMPUTE_PGM_RSRC2:TRAP_HANDLER: 0
; COMPUTE_PGM_RSRC2:TGID_X_EN: 1
; COMPUTE_PGM_RSRC2:TGID_Y_EN: 1
; COMPUTE_PGM_RSRC2:TGID_Z_EN: 0
; COMPUTE_PGM_RSRC2:TIDIG_COMP_CNT: 1
	.section	.text._ZL12mul_mat_q5_1IN3c104HalfELb1EEvPKvS3_PT_iiiii,"axG",@progbits,_ZL12mul_mat_q5_1IN3c104HalfELb1EEvPKvS3_PT_iiiii,comdat
	.globl	_ZL12mul_mat_q5_1IN3c104HalfELb1EEvPKvS3_PT_iiiii ; -- Begin function _ZL12mul_mat_q5_1IN3c104HalfELb1EEvPKvS3_PT_iiiii
	.p2align	8
	.type	_ZL12mul_mat_q5_1IN3c104HalfELb1EEvPKvS3_PT_iiiii,@function
_ZL12mul_mat_q5_1IN3c104HalfELb1EEvPKvS3_PT_iiiii: ; @_ZL12mul_mat_q5_1IN3c104HalfELb1EEvPKvS3_PT_iiiii
; %bb.0:
	s_clause 0x1
	s_load_b128 s[4:7], s[0:1], 0x18
	s_load_b32 s12, s[0:1], 0x28
	v_bfe_u32 v43, v0, 10, 10
	v_and_b32_e32 v44, 0x3ff, v0
	s_lshl_b32 s13, ttmp7, 6
	s_wait_kmcnt 0x0
	s_cmp_gt_i32 s4, 31
	s_cbranch_scc1 .LBB144_2
; %bb.1:
	v_bfe_u32 v6, v0, 10, 10
	v_and_b32_e32 v34, 0x3ff, v0
	s_mov_b32 s2, 0
	s_delay_alu instid0(VALU_DEP_2)
	v_add_nc_u32_e32 v45, s13, v6
	s_branch .LBB144_3
.LBB144_2:
	s_mov_b32 s2, -1
                                        ; implicit-def: $vgpr6
                                        ; implicit-def: $vgpr34
                                        ; implicit-def: $vgpr45
.LBB144_3:
	s_load_b64 s[8:9], s[0:1], 0x10
	v_dual_mov_b32 v1, 0 :: v_dual_mov_b32 v10, 0
	v_dual_mov_b32 v5, 0 :: v_dual_mov_b32 v2, 0
	;; [unrolled: 1-line block ×15, first 2 shown]
	v_mov_b32_e32 v13, 0
	v_mov_b32_e32 v9, 0
	s_and_not1_b32 vcc_lo, exec_lo, s2
	s_lshl_b32 s14, ttmp9, 7
	s_cbranch_vccnz .LBB144_14
; %bb.4:
	s_not_b32 s16, s14
	s_ashr_i32 s10, s4, 31
	s_add_co_i32 s5, s5, s16
	s_lshr_b32 s10, s10, 27
	v_min_i32_e32 v2, s5, v43
	v_dual_mov_b32 v120, 0 :: v_dual_lshlrev_b32 v1, 3, v44
	s_add_co_i32 s4, s4, s10
	v_dual_mov_b32 v47, 0 :: v_dual_add_nc_u32 v36, 8, v43
	s_wait_alu 0xfffe
	s_ashr_i32 s15, s4, 5
	v_add_nc_u32_e32 v37, 16, v43
	v_mul_lo_u32 v49, v2, s15
	v_mad_co_u64_u32 v[2:3], null, 0x104, v2, v[1:2]
	v_add_nc_u32_e32 v38, 24, v43
	v_add_nc_u32_e32 v39, 32, v43
	v_dual_mov_b32 v137, 0 :: v_dual_add_nc_u32 v40, 40, v43
	v_min_i32_e32 v4, s5, v36
	v_add_nc_u32_e32 v41, 48, v43
	s_ashr_i32 s11, s7, 31
	v_min_i32_e32 v5, s5, v37
	v_add_nc_u32_e32 v42, 56, v43
	v_min_i32_e32 v6, s5, v38
	v_dual_mov_b32 v134, 0 :: v_dual_add_nc_u32 v45, s13, v43
	s_lshr_b32 s4, s11, 27
	v_min_i32_e32 v7, s5, v39
	v_min_i32_e32 v8, s5, v40
	s_wait_alu 0xfffe
	s_add_co_i32 s4, s7, s4
	v_mul_lo_u32 v50, v4, s15
	v_mad_co_u64_u32 v[3:4], null, 0x104, v4, v[1:2]
	v_min_i32_e32 v9, s5, v41
	s_add_co_i32 s7, s6, -1
	v_mul_lo_u32 v51, v5, s15
	v_mad_co_u64_u32 v[4:5], null, 0x104, v5, v[1:2]
	v_min_i32_e32 v10, s5, v42
	v_mul_lo_u32 v52, v6, s15
	v_mad_co_u64_u32 v[5:6], null, 0x104, v6, v[1:2]
	v_cvt_f64_i32_e32 v[17:18], s7
	v_cvt_f64_u32_e32 v[20:21], v45
	v_mul_lo_u32 v53, v7, s15
	v_mad_co_u64_u32 v[6:7], null, 0x104, v7, v[1:2]
	v_mul_lo_u32 v54, v8, s15
	v_mad_co_u64_u32 v[7:8], null, 0x104, v8, v[1:2]
	;; [unrolled: 2-line block ×4, first 2 shown]
	v_dual_mov_b32 v143, 0 :: v_dual_add_nc_u32 v10, 8, v45
	v_dual_mov_b32 v128, 0 :: v_dual_add_nc_u32 v13, 16, v45
	;; [unrolled: 1-line block ×3, first 2 shown]
	s_delay_alu instid0(VALU_DEP_3) | instskip(NEXT) | instid1(VALU_DEP_3)
	v_cvt_f64_u32_e32 v[22:23], v10
	v_cvt_f64_u32_e32 v[24:25], v13
	v_dual_mov_b32 v135, 0 :: v_dual_add_nc_u32 v10, 32, v45
	s_delay_alu instid0(VALU_DEP_4) | instskip(SKIP_4) | instid1(VALU_DEP_4)
	v_cvt_f64_u32_e32 v[26:27], v14
	v_dual_mov_b32 v122, 0 :: v_dual_add_nc_u32 v13, 40, v45
	v_dual_mov_b32 v147, 0 :: v_dual_add_nc_u32 v14, 48, v45
	;; [unrolled: 1-line block ×3, first 2 shown]
	v_cvt_f64_u32_e32 v[28:29], v10
	v_cvt_f64_u32_e32 v[30:31], v13
	s_delay_alu instid0(VALU_DEP_4) | instskip(NEXT) | instid1(VALU_DEP_4)
	v_cvt_f64_u32_e32 v[32:33], v14
	v_cvt_f64_u32_e32 v[34:35], v16
	v_add_nc_u32_e32 v81, 0x60, v44
	v_dual_mov_b32 v140, 0 :: v_dual_add_nc_u32 v11, 64, v43
	v_dual_mov_b32 v145, 0 :: v_dual_add_nc_u32 v12, 0x48, v43
	v_min_num_f64_e32 v[20:21], v[20:21], v[17:18]
	v_bfe_u32 v61, v0, 3, 7
	v_add_nc_u32_e32 v15, 0x50, v43
	v_lshlrev_b32_e32 v116, 3, v81
	v_add_nc_u32_e32 v13, 0x58, v43
	v_add_nc_u32_e32 v16, 0x60, v43
	v_min_i32_e32 v11, s5, v11
	v_add_nc_u32_e32 v62, 0x68, v43
	v_min_i32_e32 v12, s5, v12
	v_lshl_add_u32 v68, v43, 2, v61
	v_dual_mov_b32 v116, 0 :: v_dual_lshlrev_b32 v133, 2, v116
	v_min_i32_e32 v14, s5, v15
	v_min_i32_e32 v15, s5, v13
	;; [unrolled: 1-line block ×3, first 2 shown]
	v_mul_lo_u32 v57, v11, s15
	v_mad_co_u64_u32 v[10:11], null, 0x104, v11, v[1:2]
	v_min_num_f64_e32 v[22:23], v[22:23], v[17:18]
	v_min_num_f64_e32 v[24:25], v[24:25], v[17:18]
	v_min_i32_e32 v64, s5, v62
	v_mul_lo_u32 v58, v12, s15
	v_min_num_f64_e32 v[26:27], v[26:27], v[17:18]
	v_mad_co_u64_u32 v[11:12], null, 0x104, v12, v[1:2]
	v_min_i32_e32 v69, s5, v68
	v_mad_co_u64_u32 v[12:13], null, 0x104, v14, v[1:2]
	v_dual_mov_b32 v138, 0 :: v_dual_add_nc_u32 v65, 0x70, v43
	v_min_num_f64_e32 v[28:29], v[28:29], v[17:18]
	v_min_num_f64_e32 v[30:31], v[30:31], v[17:18]
	;; [unrolled: 1-line block ×4, first 2 shown]
	v_mul_lo_u32 v59, v14, s15
	v_mad_co_u64_u32 v[13:14], null, 0x104, v15, v[1:2]
	v_mul_lo_u32 v60, v15, s15
	v_mad_co_u64_u32 v[14:15], null, 0x104, v16, v[1:2]
	;; [unrolled: 2-line block ×3, first 2 shown]
	v_ashrrev_i32_e32 v16, 31, v69
	v_min_i32_e32 v66, s5, v65
	v_dual_mov_b32 v130, 0 :: v_dual_add_nc_u32 v65, 0x78, v43
	v_cvt_i32_f64_e32 v20, v[20:21]
	s_delay_alu instid0(VALU_DEP_4) | instskip(SKIP_1) | instid1(VALU_DEP_4)
	v_lshrrev_b32_e32 v16, 30, v16
	v_mul_lo_u32 v63, v64, s15
	v_min_i32_e32 v18, s5, v65
	v_mul_lo_u32 v64, v66, s15
	v_dual_mov_b32 v124, 0 :: v_dual_and_b32 v65, 7, v0
	v_add_nc_u32_e32 v67, v69, v16
	v_mad_co_u64_u32 v[16:17], null, 0x104, v66, v[1:2]
	v_mul_lo_u32 v66, v18, s15
	v_mad_co_u64_u32 v[17:18], null, 0x104, v18, v[1:2]
	v_add_nc_u32_e32 v70, 32, v68
	v_add_nc_u32_e32 v18, 64, v68
	v_lshrrev_b32_e32 v118, 2, v81
	v_bfe_u32 v46, v0, 2, 8
	v_lshlrev_b32_e32 v72, 2, v65
	v_min_i32_e32 v70, s5, v70
	v_min_i32_e32 v18, s5, v18
	v_dual_mov_b32 v118, 0 :: v_dual_lshlrev_b32 v131, 2, v118
	v_dual_mov_b32 v148, 0 :: v_dual_and_b32 v71, -4, v67
	v_cvt_i32_f64_e32 v22, v[22:23]
	v_cvt_i32_f64_e32 v24, v[24:25]
	;; [unrolled: 1-line block ×7, first 2 shown]
	v_add3_u32 v100, v71, v72, 0xa200
	v_ashrrev_i32_e32 v71, 31, v70
	v_ashrrev_i32_e32 v21, 31, v18
	v_lshl_add_u32 v31, v43, 3, v46
	v_mul_lo_u32 v67, v69, s15
	v_dual_mov_b32 v146, 0 :: v_dual_add_nc_u32 v73, 0x60, v68
	v_dual_mov_b32 v144, 0 :: v_dual_lshlrev_b32 v101, 5, v69
	v_lshrrev_b32_e32 v69, 30, v71
	v_lshrrev_b32_e32 v21, 30, v21
	v_and_b32_e32 v31, 63, v31
	v_min_i32_e32 v71, s5, v73
	v_lshlrev_b32_e32 v33, 5, v18
	v_dual_mov_b32 v142, 0 :: v_dual_add_nc_u32 v23, v70, v69
	v_dual_mov_b32 v132, 0 :: v_dual_add_nc_u32 v21, v18, v21
	v_mul_lo_u32 v69, v18, s15
	v_or_b32_e32 v18, s13, v31
	v_dual_mov_b32 v126, 0 :: v_dual_and_b32 v19, 3, v0
	v_ashrrev_i32_e32 v25, 31, v71
	s_wait_alu 0xfffe
	s_ashr_i32 s4, s4, 5
	v_min_i32_e32 v18, s7, v18
	s_load_b128 s[0:3], s[0:1], 0x0
	v_lshlrev_b32_e32 v48, 2, v19
	v_lshrrev_b32_e32 v25, 30, v25
	v_mul_lo_u32 v68, v70, s15
	v_mad_co_u64_u32 v[18:19], null, v18, s4, v[19:20]
	v_add_nc_u32_e32 v19, 32, v44
	s_delay_alu instid0(VALU_DEP_4)
	v_add_nc_u32_e32 v25, v71, v25
	v_lshlrev_b32_e32 v32, 5, v70
	v_mul_lo_u32 v70, v71, s15
	v_lshlrev_b32_e32 v35, 5, v71
	v_mul_lo_u32 v71, s4, v20
	v_add_nc_u32_e32 v20, 64, v44
	v_lshrrev_b32_e32 v109, 2, v19
	v_lshlrev_b32_e32 v34, 2, v44
	v_dual_mov_b32 v136, 0 :: v_dual_and_b32 v23, -4, v23
	v_and_b32_e32 v21, -4, v21
	v_and_b32_e32 v25, -4, v25
	v_and_b32_e32 v0, 31, v0
	v_lshlrev_b32_e32 v111, 3, v20
	v_lshrrev_b32_e32 v114, 2, v20
	v_lshlrev_b32_e32 v123, 2, v109
	v_mov_b32_e32 v109, 0
	v_lshl_or_b32 v31, v31, 4, v48
	v_and_b32_e32 v34, 28, v34
	v_add3_u32 v23, v23, v72, 0xa200
	v_add3_u32 v21, v21, v72, 0xa200
	;; [unrolled: 1-line block ×3, first 2 shown]
	v_mul_lo_u32 v72, s4, v22
	v_mul_lo_u32 v73, s4, v24
	;; [unrolled: 1-line block ×7, first 2 shown]
	s_movk_i32 s4, 0x2080
	v_lshl_or_b32 v104, v0, 2, 0x8200
	v_add_nc_u32_e32 v0, 0xb280, v31
	v_lshlrev_b32_e32 v31, 7, v43
	v_lshlrev_b32_e32 v22, 7, v36
	;; [unrolled: 1-line block ×5, first 2 shown]
	v_add_nc_u32_e32 v102, v100, v101
	v_lshlrev_b32_e32 v127, 2, v114
	v_dual_mov_b32 v114, 0 :: v_dual_lshlrev_b32 v129, 2, v111
	v_dual_mov_b32 v101, 0 :: v_dual_lshlrev_b32 v24, 7, v37
	v_lshlrev_b32_e32 v26, 7, v38
	v_dual_mov_b32 v100, 0 :: v_dual_lshlrev_b32 v29, 7, v41
	v_dual_mov_b32 v111, 0 :: v_dual_lshlrev_b32 v30, 7, v42
	s_wait_alu 0xfffe
	v_mad_u32_u24 v96, 0x104, v44, s4
	s_movk_i32 s4, 0x4100
	s_mul_i32 s10, s15, s14
	s_movk_i32 s5, 0x6180
	s_wait_alu 0xfffe
	v_mad_u32_u24 v97, 0x104, v44, s4
	v_lshrrev_b32_e32 v99, 3, v19
	s_wait_kmcnt 0x0
	v_add_co_u32 v19, s4, s2, v34
	s_ashr_i32 s11, s10, 31
	v_lshlrev_b32_e32 v79, 5, v43
	v_lshlrev_b32_e32 v80, 4, v43
	;; [unrolled: 1-line block ×14, first 2 shown]
	v_mul_u32_u24_e32 v95, 0x104, v44
	v_mad_u32_u24 v98, 0x104, v44, s5
	s_wait_alu 0xf1ff
	v_add_co_ci_u32_e64 v20, null, s3, 0, s4
	v_add_nc_u32_e32 v103, v23, v32
	v_add_nc_u32_e32 v105, v21, v33
	;; [unrolled: 1-line block ×11, first 2 shown]
	v_dual_mov_b32 v104, 0 :: v_dual_lshlrev_b32 v125, 2, v106
	v_lshlrev_b32_e32 v87, 5, v39
	v_lshlrev_b32_e32 v88, 4, v39
	v_mov_b32_e32 v106, 0
	s_mul_u64 s[10:11], s[10:11], 24
	s_mov_b32 s5, 0
	s_add_nc_u64 s[0:1], s[0:1], s[10:11]
	s_add_co_i32 s7, s15, 3
	s_wait_alu 0xfffe
	s_mov_b32 s4, s5
	s_branch .LBB144_6
.LBB144_5:                              ;   in Loop: Header=BB144_6 Depth=1
	s_add_co_i32 s4, s4, 8
	s_add_co_i32 s7, s7, -8
	s_wait_alu 0xfffe
	s_cmp_ge_i32 s4, s15
	s_cbranch_scc1 .LBB144_13
.LBB144_6:                              ; =>This Loop Header: Depth=1
                                        ;     Child Loop BB144_8 Depth 2
                                        ;     Child Loop BB144_11 Depth 2
	s_wait_alu 0xfffe
	s_mul_u64 s[10:11], s[4:5], 24
	s_cmp_gt_u32 s7, 3
	s_wait_alu 0xfffe
	s_add_nc_u64 s[10:11], s[0:1], s[10:11]
	s_wait_alu 0xfffe
	v_mad_co_u64_u32 v[21:22], null, v46, 24, s[10:11]
	s_delay_alu instid0(VALU_DEP_1) | instskip(SKIP_3) | instid1(VALU_DEP_4)
	v_mad_co_i64_i32 v[23:24], null, v49, 24, v[21:22]
	v_mad_co_i64_i32 v[25:26], null, v50, 24, v[21:22]
	;; [unrolled: 1-line block ×4, first 2 shown]
	v_add_co_u32 v31, vcc_lo, v23, v48
	v_mad_co_i64_i32 v[37:38], null, v53, 24, v[21:22]
	s_wait_alu 0xfffd
	v_add_co_ci_u32_e64 v32, null, 0, v24, vcc_lo
	v_add_co_u32 v33, vcc_lo, v25, v48
	v_mad_co_i64_i32 v[41:42], null, v54, 24, v[21:22]
	s_wait_alu 0xfffd
	v_add_co_ci_u32_e64 v34, null, 0, v26, vcc_lo
	;; [unrolled: 4-line block ×4, first 2 shown]
	v_add_co_u32 v149, vcc_lo, v37, v48
	s_wait_alu 0xfffd
	v_add_co_ci_u32_e64 v150, null, 0, v38, vcc_lo
	v_add_co_u32 v155, vcc_lo, v41, v48
	s_wait_alu 0xfffd
	v_add_co_ci_u32_e64 v156, null, 0, v42, vcc_lo
	;; [unrolled: 3-line block ×4, first 2 shown]
	s_clause 0xf
	global_load_b32 v161, v[31:32], off offset:8
	global_load_b32 v162, v[33:34], off offset:8
	;; [unrolled: 1-line block ×16, first 2 shown]
	v_mad_co_i64_i32 v[23:24], null, v57, 24, v[21:22]
	v_mad_co_i64_i32 v[25:26], null, v58, 24, v[21:22]
	;; [unrolled: 1-line block ×4, first 2 shown]
	s_delay_alu instid0(VALU_DEP_4)
	v_add_co_u32 v31, vcc_lo, v23, v48
	s_wait_alu 0xfffd
	v_add_co_ci_u32_e64 v32, null, 0, v24, vcc_lo
	v_add_co_u32 v33, vcc_lo, v25, v48
	s_wait_alu 0xfffd
	v_add_co_ci_u32_e64 v34, null, 0, v26, vcc_lo
	s_clause 0x5
	global_load_b32 v38, v[29:30], off offset:4
	global_load_b32 v42, v[27:28], off offset:4
	;; [unrolled: 1-line block ×6, first 2 shown]
	v_add_co_u32 v23, vcc_lo, v27, v48
	s_wait_alu 0xfffd
	v_add_co_ci_u32_e64 v24, null, 0, v28, vcc_lo
	v_mad_co_i64_i32 v[27:28], null, v66, 24, v[21:22]
	v_mad_co_i64_i32 v[25:26], null, v63, 24, v[21:22]
	global_load_b32 v159, v[23:24], off offset:8
	v_add_co_u32 v23, vcc_lo, v29, v48
	s_wait_alu 0xfffd
	v_add_co_ci_u32_e64 v24, null, 0, v30, vcc_lo
	v_mad_co_u64_u32 v[29:30], null, v65, 24, s[10:11]
	global_load_b32 v160, v[23:24], off offset:8
	v_mad_co_i64_i32 v[23:24], null, v62, 24, v[21:22]
	v_mad_co_i64_i32 v[21:22], null, v64, 24, v[21:22]
	;; [unrolled: 1-line block ×3, first 2 shown]
	s_delay_alu instid0(VALU_DEP_3) | instskip(SKIP_1) | instid1(VALU_DEP_4)
	v_add_co_u32 v31, vcc_lo, v23, v48
	s_wait_alu 0xfffd
	v_add_co_ci_u32_e64 v32, null, 0, v24, vcc_lo
	s_clause 0x4
	global_load_b32 v165, v[27:28], off offset:4
	global_load_b32 v166, v[21:22], off offset:4
	;; [unrolled: 1-line block ×5, first 2 shown]
	v_add_co_u32 v25, vcc_lo, v25, v48
	s_wait_alu 0xfffd
	v_add_co_ci_u32_e64 v26, null, 0, v26, vcc_lo
	v_add_co_u32 v21, vcc_lo, v21, v48
	v_mad_co_i64_i32 v[23:24], null, v67, 24, v[29:30]
	s_wait_alu 0xfffd
	v_add_co_ci_u32_e64 v22, null, 0, v22, vcc_lo
	v_add_co_u32 v27, vcc_lo, v27, v48
	v_mad_co_i64_i32 v[31:32], null, v68, 24, v[29:30]
	s_wait_alu 0xfffd
	v_add_co_ci_u32_e64 v28, null, 0, v28, vcc_lo
	v_mad_co_i64_i32 v[29:30], null, v70, 24, v[29:30]
	s_clause 0x6
	global_load_b32 v25, v[25:26], off offset:8
	global_load_b32 v21, v[21:22], off offset:8
	;; [unrolled: 1-line block ×3, first 2 shown]
	global_load_b32 v23, v[23:24], off
	global_load_b32 v24, v[31:32], off
	;; [unrolled: 1-line block ×4, first 2 shown]
	s_wait_loadcnt 0x23
	v_lshrrev_b32_e32 v30, 4, v161
	s_wait_loadcnt 0x22
	v_lshrrev_b32_e32 v33, 4, v162
	v_and_b32_e32 v29, 0xf0f0f0f, v161
	s_wait_loadcnt 0x20
	v_and_b32_e32 v161, 0xf0f0f0f, v36
	s_wait_loadcnt 0x1f
	v_ashrrev_i32_e32 v39, v48, v39
	s_wait_loadcnt 0x1e
	v_ashrrev_i32_e32 v34, v48, v40
	;; [unrolled: 2-line block ×4, first 2 shown]
	v_and_b32_e32 v40, 0xf0f0f0f, v35
	v_lshrrev_b32_e32 v35, 4, v35
	v_lshlrev_b32_e32 v187, 4, v34
	v_lshlrev_b32_e32 v180, 4, v31
	s_wait_loadcnt 0x17
	v_ashrrev_i32_e32 v153, v48, v153
	s_wait_loadcnt 0x16
	v_ashrrev_i32_e32 v151, v48, v151
	;; [unrolled: 2-line block ×4, first 2 shown]
	v_lshlrev_b32_e32 v173, 4, v28
	v_lshlrev_b32_e32 v174, 11, v28
	v_lshrrev_b32_e32 v177, 12, v28
	v_lshrrev_b32_e32 v178, 5, v28
	v_lshlrev_b32_e32 v181, 11, v31
	v_lshrrev_b32_e32 v184, 12, v31
	v_lshrrev_b32_e32 v185, 5, v31
	;; [unrolled: 3-line block ×3, first 2 shown]
	v_lshrrev_b32_e32 v36, 4, v36
	v_lshlrev_b32_e32 v194, 4, v39
	v_lshlrev_b32_e32 v195, 11, v39
	v_lshrrev_b32_e32 v198, 12, v39
	v_lshrrev_b32_e32 v199, 5, v39
	v_and_b32_e32 v32, 0xf0f0f0f, v162
	v_and_b32_e32 v162, 0xf0f0f0f, v149
	v_lshrrev_b32_e32 v149, 4, v149
	v_lshlrev_b32_e32 v201, 4, v37
	v_lshlrev_b32_e32 v202, 11, v37
	v_lshrrev_b32_e32 v205, 12, v37
	v_lshrrev_b32_e32 v206, 5, v37
	v_and_b32_e32 v163, 0xf0f0f0f, v150
	v_lshrrev_b32_e32 v150, 4, v150
	v_and_b32_e32 v164, 0xf0f0f0f, v155
	;; [unrolled: 2-line block ×3, first 2 shown]
	v_lshrrev_b32_e32 v156, 4, v156
	v_lshlrev_b32_e32 v175, 18, v28
	v_lshlrev_b32_e32 v176, 25, v28
	v_and_b32_e32 v30, 0xf0f0f0f, v30
	v_lshlrev_b32_e32 v179, 2, v28
	v_lshlrev_b32_e32 v28, 9, v28
	;; [unrolled: 1-line block ×4, first 2 shown]
	v_lshrrev_b32_e32 v212, 12, v41
	v_lshrrev_b32_e32 v213, 5, v41
	v_lshlrev_b32_e32 v215, 4, v151
	v_lshlrev_b32_e32 v216, 11, v151
	v_lshrrev_b32_e32 v219, 12, v151
	v_lshrrev_b32_e32 v220, 5, v151
	v_lshlrev_b32_e32 v222, 4, v153
	v_lshlrev_b32_e32 v223, 11, v153
	v_lshrrev_b32_e32 v226, 12, v153
	v_lshrrev_b32_e32 v227, 5, v153
	v_and_b32_e32 v173, 16, v173
	v_and_b32_e32 v174, 0x1000, v174
	v_and_b32_e32 v177, 16, v177
	v_and_b32_e32 v178, 0x1000, v178
	v_lshlrev_b32_e32 v182, 18, v31
	v_lshlrev_b32_e32 v183, 25, v31
	v_and_b32_e32 v33, 0xf0f0f0f, v33
	v_lshlrev_b32_e32 v186, 2, v31
	v_lshlrev_b32_e32 v31, 9, v31
	v_and_b32_e32 v180, 16, v180
	v_and_b32_e32 v181, 0x1000, v181
	v_and_b32_e32 v184, 16, v184
	v_and_b32_e32 v185, 0x1000, v185
	v_lshlrev_b32_e32 v189, 18, v34
	v_lshlrev_b32_e32 v190, 25, v34
	v_and_b32_e32 v35, 0xf0f0f0f, v35
	v_lshlrev_b32_e32 v193, 2, v34
	v_lshlrev_b32_e32 v34, 9, v34
	;; [unrolled: 9-line block ×5, first 2 shown]
	v_lshlrev_b32_e32 v217, 18, v151
	v_lshlrev_b32_e32 v218, 25, v151
	v_and_b32_e32 v155, 0xf0f0f0f, v155
	v_lshlrev_b32_e32 v221, 2, v151
	v_lshlrev_b32_e32 v151, 9, v151
	;; [unrolled: 1-line block ×4, first 2 shown]
	v_and_b32_e32 v156, 0xf0f0f0f, v156
	v_lshlrev_b32_e32 v228, 2, v153
	v_lshlrev_b32_e32 v153, 9, v153
	v_and_b32_e32 v175, 0x100000, v175
	v_and_b32_e32 v176, 0x10000000, v176
	v_and_b32_e32 v179, 0x100000, v179
	v_and_b32_e32 v28, 0x10000000, v28
	v_and_b32_e32 v208, 16, v208
	v_and_b32_e32 v209, 0x1000, v209
	v_and_b32_e32 v212, 16, v212
	v_and_b32_e32 v213, 0x1000, v213
	v_and_b32_e32 v215, 16, v215
	v_and_b32_e32 v216, 0x1000, v216
	v_and_b32_e32 v219, 16, v219
	v_and_b32_e32 v220, 0x1000, v220
	v_and_b32_e32 v222, 16, v222
	v_and_b32_e32 v223, 0x1000, v223
	v_and_b32_e32 v226, 16, v226
	v_and_b32_e32 v227, 0x1000, v227
	v_or3_b32 v29, v173, v29, v174
	v_or3_b32 v30, v177, v30, v178
	v_and_b32_e32 v182, 0x100000, v182
	v_and_b32_e32 v183, 0x10000000, v183
	v_and_b32_e32 v186, 0x100000, v186
	v_and_b32_e32 v31, 0x10000000, v31
	v_or3_b32 v32, v180, v32, v181
	v_or3_b32 v33, v184, v33, v185
	v_and_b32_e32 v189, 0x100000, v189
	v_and_b32_e32 v190, 0x10000000, v190
	v_and_b32_e32 v193, 0x100000, v193
	v_and_b32_e32 v34, 0x10000000, v34
	v_or3_b32 v40, v187, v40, v188
	v_or3_b32 v35, v191, v35, v192
	v_and_b32_e32 v196, 0x100000, v196
	v_and_b32_e32 v197, 0x10000000, v197
	v_and_b32_e32 v200, 0x100000, v200
	v_and_b32_e32 v39, 0x10000000, v39
	v_or3_b32 v161, v194, v161, v195
	v_or3_b32 v36, v198, v36, v199
	v_and_b32_e32 v203, 0x100000, v203
	v_and_b32_e32 v204, 0x10000000, v204
	v_and_b32_e32 v207, 0x100000, v207
	v_and_b32_e32 v37, 0x10000000, v37
	v_or3_b32 v162, v201, v162, v202
	v_or3_b32 v149, v205, v149, v206
	s_wait_loadcnt 0x10
	v_ashrrev_i32_e32 v154, v48, v154
	v_ashrrev_i32_e32 v152, v48, v152
	v_and_b32_e32 v210, 0x100000, v210
	v_and_b32_e32 v211, 0x10000000, v211
	v_and_b32_e32 v214, 0x100000, v214
	v_and_b32_e32 v41, 0x10000000, v41
	v_and_b32_e32 v217, 0x100000, v217
	v_and_b32_e32 v218, 0x10000000, v218
	v_and_b32_e32 v221, 0x100000, v221
	v_and_b32_e32 v151, 0x10000000, v151
	v_and_b32_e32 v224, 0x100000, v224
	v_and_b32_e32 v225, 0x10000000, v225
	v_and_b32_e32 v228, 0x100000, v228
	v_and_b32_e32 v153, 0x10000000, v153
	v_or3_b32 v163, v208, v163, v209
	v_or3_b32 v150, v212, v150, v213
	;; [unrolled: 1-line block ×16, first 2 shown]
	s_wait_loadcnt 0xf
	v_and_b32_e32 v171, 0xf0f0f0f, v157
	v_lshrrev_b32_e32 v157, 4, v157
	v_lshlrev_b32_e32 v229, 4, v154
	v_lshlrev_b32_e32 v230, 11, v154
	v_lshrrev_b32_e32 v233, 12, v154
	v_lshrrev_b32_e32 v234, 5, v154
	v_or3_b32 v39, v163, v210, v211
	v_or3_b32 v40, v150, v214, v41
	;; [unrolled: 1-line block ×6, first 2 shown]
	ds_store_2addr_b32 v2, v29, v28 offset1:1
	ds_store_2addr_b32 v3, v30, v31 offset1:1
	;; [unrolled: 1-line block ×8, first 2 shown]
	s_wait_loadcnt 0xe
	v_lshrrev_b32_e32 v32, 4, v158
	v_lshrrev_b32_e32 v33, 12, v152
	;; [unrolled: 1-line block ×3, first 2 shown]
	v_lshlrev_b32_e32 v231, 18, v154
	v_lshlrev_b32_e32 v232, 25, v154
	v_and_b32_e32 v157, 0xf0f0f0f, v157
	v_lshlrev_b32_e32 v235, 2, v154
	v_lshlrev_b32_e32 v154, 9, v154
	v_lshlrev_b32_e32 v236, 4, v152
	v_lshlrev_b32_e32 v237, 11, v152
	v_and_b32_e32 v229, 16, v229
	v_and_b32_e32 v230, 0x1000, v230
	;; [unrolled: 1-line block ×7, first 2 shown]
	v_ashrrev_i32_e32 v36, v48, v42
	v_and_b32_e32 v172, 0xf0f0f0f, v158
	v_and_b32_e32 v231, 0x100000, v231
	;; [unrolled: 1-line block ×7, first 2 shown]
	v_or3_b32 v171, v229, v171, v230
	v_or3_b32 v157, v233, v157, v234
	v_lshlrev_b32_e32 v30, 18, v152
	v_lshlrev_b32_e32 v35, 25, v152
	;; [unrolled: 1-line block ×4, first 2 shown]
	v_or3_b32 v32, v33, v32, v34
	v_lshlrev_b32_e32 v33, 4, v36
	v_lshlrev_b32_e32 v34, 11, v36
	v_or3_b32 v28, v171, v231, v232
	v_or3_b32 v29, v157, v235, v154
	;; [unrolled: 1-line block ×3, first 2 shown]
	v_and_b32_e32 v30, 0x100000, v30
	v_and_b32_e32 v35, 0x10000000, v35
	;; [unrolled: 1-line block ×4, first 2 shown]
	s_wait_loadcnt 0xd
	v_and_b32_e32 v40, 0xf0f0f0f, v159
	v_and_b32_e32 v33, 16, v33
	;; [unrolled: 1-line block ×3, first 2 shown]
	ds_store_2addr_b32 v10, v28, v29 offset1:1
	v_or3_b32 v28, v31, v30, v35
	v_or3_b32 v29, v32, v37, v39
	v_lshrrev_b32_e32 v32, 4, v159
	v_or3_b32 v31, v33, v40, v34
	v_lshrrev_b32_e32 v33, 12, v36
	v_lshrrev_b32_e32 v34, 5, v36
	v_ashrrev_i32_e32 v37, v48, v38
	v_and_b32_e32 v32, 0xf0f0f0f, v32
	v_lshlrev_b32_e32 v30, 18, v36
	v_and_b32_e32 v33, 16, v33
	v_and_b32_e32 v34, 0x1000, v34
	v_lshlrev_b32_e32 v35, 25, v36
	v_lshlrev_b32_e32 v38, 2, v36
	;; [unrolled: 1-line block ×3, first 2 shown]
	v_and_b32_e32 v30, 0x100000, v30
	v_or3_b32 v32, v33, v32, v34
	v_lshlrev_b32_e32 v33, 4, v37
	v_lshlrev_b32_e32 v34, 11, v37
	v_and_b32_e32 v35, 0x10000000, v35
	v_and_b32_e32 v38, 0x100000, v38
	v_and_b32_e32 v36, 0x10000000, v36
	s_wait_loadcnt 0xc
	v_and_b32_e32 v39, 0xf0f0f0f, v160
	v_and_b32_e32 v33, 16, v33
	;; [unrolled: 1-line block ×3, first 2 shown]
	ds_store_2addr_b32 v11, v28, v29 offset1:1
	v_or3_b32 v28, v31, v30, v35
	v_or3_b32 v29, v32, v38, v36
	v_lshrrev_b32_e32 v32, 4, v160
	v_or3_b32 v31, v33, v39, v34
	v_lshrrev_b32_e32 v33, 12, v37
	v_lshrrev_b32_e32 v34, 5, v37
	s_wait_loadcnt 0x8
	v_ashrrev_i32_e32 v36, v48, v168
	v_and_b32_e32 v32, 0xf0f0f0f, v32
	v_lshlrev_b32_e32 v30, 18, v37
	v_and_b32_e32 v33, 16, v33
	v_and_b32_e32 v34, 0x1000, v34
	v_lshlrev_b32_e32 v35, 25, v37
	v_lshlrev_b32_e32 v38, 2, v37
	;; [unrolled: 1-line block ×3, first 2 shown]
	v_and_b32_e32 v30, 0x100000, v30
	v_or3_b32 v32, v33, v32, v34
	v_lshlrev_b32_e32 v33, 4, v36
	v_lshlrev_b32_e32 v34, 11, v36
	v_and_b32_e32 v35, 0x10000000, v35
	v_and_b32_e32 v38, 0x100000, v38
	;; [unrolled: 1-line block ×3, first 2 shown]
	s_wait_loadcnt 0x7
	v_and_b32_e32 v39, 0xf0f0f0f, v169
	v_and_b32_e32 v33, 16, v33
	;; [unrolled: 1-line block ×3, first 2 shown]
	ds_store_2addr_b32 v12, v28, v29 offset1:1
	v_or3_b32 v28, v31, v30, v35
	v_or3_b32 v29, v32, v38, v37
	v_lshrrev_b32_e32 v32, 4, v169
	v_or3_b32 v31, v33, v39, v34
	v_lshrrev_b32_e32 v33, 12, v36
	v_lshrrev_b32_e32 v34, 5, v36
	v_ashrrev_i32_e32 v37, v48, v167
	v_and_b32_e32 v32, 0xf0f0f0f, v32
	v_lshlrev_b32_e32 v30, 18, v36
	v_and_b32_e32 v33, 16, v33
	v_and_b32_e32 v34, 0x1000, v34
	v_lshlrev_b32_e32 v35, 25, v36
	v_lshlrev_b32_e32 v38, 2, v36
	;; [unrolled: 1-line block ×3, first 2 shown]
	v_and_b32_e32 v30, 0x100000, v30
	v_or3_b32 v32, v33, v32, v34
	v_lshlrev_b32_e32 v33, 4, v37
	v_lshlrev_b32_e32 v34, 11, v37
	v_and_b32_e32 v35, 0x10000000, v35
	v_and_b32_e32 v38, 0x100000, v38
	;; [unrolled: 1-line block ×3, first 2 shown]
	s_wait_loadcnt 0x6
	v_and_b32_e32 v39, 0xf0f0f0f, v25
	v_and_b32_e32 v33, 16, v33
	;; [unrolled: 1-line block ×3, first 2 shown]
	v_lshlrev_b32_e32 v40, 18, v37
	v_lshlrev_b32_e32 v41, 25, v37
	v_or3_b32 v30, v31, v30, v35
	v_or3_b32 v31, v32, v38, v36
	;; [unrolled: 1-line block ×3, first 2 shown]
	v_and_b32_e32 v33, 0x100000, v40
	v_and_b32_e32 v34, 0x10000000, v41
	v_lshrrev_b32_e32 v35, 12, v37
	v_lshrrev_b32_e32 v36, 5, v37
	v_ashrrev_i32_e32 v38, v48, v166
	v_lshrrev_b32_e32 v25, 4, v25
	v_or3_b32 v32, v32, v33, v34
	v_and_b32_e32 v33, 16, v35
	v_and_b32_e32 v34, 0x1000, v36
	v_lshlrev_b32_e32 v35, 4, v38
	v_lshlrev_b32_e32 v36, 11, v38
	s_wait_loadcnt 0x5
	v_and_b32_e32 v40, 0xf0f0f0f, v21
	v_and_b32_e32 v25, 0xf0f0f0f, v25
	v_lshlrev_b32_e32 v39, 2, v37
	v_and_b32_e32 v35, 16, v35
	v_and_b32_e32 v36, 0x1000, v36
	v_lshlrev_b32_e32 v37, 9, v37
	v_or3_b32 v25, v33, v25, v34
	v_and_b32_e32 v33, 0x100000, v39
	v_lshrrev_b32_e32 v21, 4, v21
	v_or3_b32 v35, v35, v40, v36
	v_ashrrev_i32_e32 v40, v48, v165
	v_and_b32_e32 v34, 0x10000000, v37
	v_lshrrev_b32_e32 v37, 12, v38
	v_lshrrev_b32_e32 v39, 5, v38
	v_and_b32_e32 v21, 0xf0f0f0f, v21
	v_lshlrev_b32_e32 v42, 4, v40
	v_lshlrev_b32_e32 v149, 11, v40
	v_and_b32_e32 v37, 16, v37
	v_and_b32_e32 v39, 0x1000, v39
	s_wait_loadcnt 0x4
	v_and_b32_e32 v151, 0xf0f0f0f, v22
	v_and_b32_e32 v42, 16, v42
	;; [unrolled: 1-line block ×3, first 2 shown]
	v_lshlrev_b32_e32 v41, 18, v38
	v_lshlrev_b32_e32 v150, 2, v38
	v_or3_b32 v21, v37, v21, v39
	v_lshrrev_b32_e32 v22, 4, v22
	v_or3_b32 v39, v42, v151, v149
	v_lshrrev_b32_e32 v42, 12, v40
	v_lshrrev_b32_e32 v149, 5, v40
	v_and_b32_e32 v36, 0x100000, v41
	v_lshlrev_b32_e32 v41, 25, v38
	v_lshlrev_b32_e32 v38, 9, v38
	v_and_b32_e32 v37, 0x100000, v150
	v_lshlrev_b32_e32 v150, 18, v40
	v_lshlrev_b32_e32 v151, 25, v40
	v_and_b32_e32 v22, 0xf0f0f0f, v22
	v_and_b32_e32 v42, 16, v42
	;; [unrolled: 1-line block ×3, first 2 shown]
	v_lshlrev_b32_e32 v152, 2, v40
	v_lshlrev_b32_e32 v40, 9, v40
	v_and_b32_e32 v41, 0x10000000, v41
	v_and_b32_e32 v38, 0x10000000, v38
	;; [unrolled: 1-line block ×4, first 2 shown]
	v_or3_b32 v22, v42, v22, v149
	v_and_b32_e32 v42, 0x100000, v152
	v_and_b32_e32 v40, 0x10000000, v40
	v_or3_b32 v25, v25, v33, v34
	v_or3_b32 v33, v35, v36, v41
	;; [unrolled: 1-line block ×5, first 2 shown]
	ds_store_2addr_b32 v13, v28, v29 offset1:1
	ds_store_2addr_b32 v14, v30, v31 offset1:1
	;; [unrolled: 1-line block ×5, first 2 shown]
	s_wait_loadcnt 0x3
	ds_store_b32 v102, v23
	s_wait_loadcnt 0x2
	ds_store_b32 v103, v24
	;; [unrolled: 2-line block ×4, first 2 shown]
	s_cbranch_scc0 .LBB144_5
; %bb.7:                                ;   in Loop: Header=BB144_6 Depth=1
	v_add_nc_u32_e32 v29, s4, v61
	v_add_nc_u32_e32 v151, s4, v18
	s_mov_b32 s10, 0
	s_delay_alu instid0(VALU_DEP_2)
	v_add_nc_u32_e32 v30, v29, v78
	v_add_nc_u32_e32 v21, v29, v71
	;; [unrolled: 1-line block ×8, first 2 shown]
	v_mad_co_i64_i32 v[29:30], null, v30, 36, v[19:20]
	v_mad_co_i64_i32 v[21:22], null, v21, 36, v[19:20]
	;; [unrolled: 1-line block ×8, first 2 shown]
	v_mad_co_u64_u32 v[37:38], null, v151, 36, s[2:3]
	s_clause 0x8
	global_load_b32 v29, v[29:30], off offset:4
	global_load_b32 v21, v[21:22], off offset:4
	;; [unrolled: 1-line block ×8, first 2 shown]
	global_load_b32 v28, v[37:38], off
	s_wait_loadcnt 0x8
	ds_store_b32 v121, v29
	s_wait_loadcnt 0x7
	ds_store_b32 v108, v21
	;; [unrolled: 2-line block ×9, first 2 shown]
	s_wait_dscnt 0x0
	s_barrier_signal -1
	s_barrier_wait -1
	global_inv scope:SCOPE_SE
.LBB144_8:                              ;   Parent Loop BB144_6 Depth=1
                                        ; =>  This Inner Loop Header: Depth=2
	s_wait_alu 0xfffe
	s_lshl_b32 s16, s10, 3
	s_wait_alu 0xfffe
	s_add_co_i32 s11, s16, 0x8200
	v_add_nc_u32_e32 v195, s16, v97
	s_wait_alu 0xfffe
	v_lshl_add_u32 v149, v81, 2, s11
	v_lshl_add_u32 v150, v83, 2, s11
	;; [unrolled: 1-line block ×5, first 2 shown]
	ds_load_2addr_b32 v[21:22], v149 offset0:3 offset1:4
	ds_load_2addr_b32 v[159:160], v150 offset0:1 offset1:2
	;; [unrolled: 1-line block ×4, first 2 shown]
	v_lshl_add_u32 v154, v89, 2, s11
	v_add_nc_u32_e32 v194, s16, v96
	v_add_nc_u32_e32 v196, s16, v98
	v_lshl_add_u32 v156, v93, 2, s11
	v_add_nc_u32_e32 v193, s16, v95
	s_add_co_i32 s16, s10, 0xb280
	ds_load_2addr_b32 v[163:164], v153 offset0:1 offset1:2
	ds_load_2addr_b32 v[167:168], v155 offset0:1 offset1:2
	;; [unrolled: 1-line block ×3, first 2 shown]
	s_wait_dscnt 0x6
	v_lshlrev_b32_e32 v23, 16, v22
	v_lshlrev_b32_e32 v24, 8, v22
	v_perm_b32 v22, v22, v22, 0xc0c0003
	s_delay_alu instid0(VALU_DEP_2)
	v_perm_b32 v27, v24, v23, 0x7030c0c
	s_wait_dscnt 0x3
	v_lshlrev_b32_e32 v23, 16, v157
	v_lshlrev_b32_e32 v24, 8, v157
	s_wait_dscnt 0x2
	v_lshlrev_b32_e32 v37, 8, v163
	v_or_b32_e32 v22, v27, v22
	v_perm_b32 v27, v157, v157, 0xc0c0003
	v_perm_b32 v30, v24, v23, 0x7030c0c
	ds_load_2addr_b32 v[23:24], v150 offset0:3 offset1:4
	v_or_b32_e32 v157, v30, v27
	v_perm_b32 v27, v159, v159, 0xc0c0003
	s_wait_dscnt 0x0
	v_lshlrev_b32_e32 v25, 16, v24
	v_lshlrev_b32_e32 v26, 8, v24
	v_perm_b32 v24, v24, v24, 0xc0c0003
	s_delay_alu instid0(VALU_DEP_2) | instskip(SKIP_2) | instid1(VALU_DEP_3)
	v_perm_b32 v31, v26, v25, 0x7030c0c
	v_lshlrev_b32_e32 v25, 16, v159
	v_lshlrev_b32_e32 v26, 8, v159
	v_or_b32_e32 v24, v31, v24
	s_delay_alu instid0(VALU_DEP_2)
	v_perm_b32 v32, v26, v25, 0x7030c0c
	ds_load_2addr_b32 v[25:26], v152 offset0:3 offset1:4
	v_or_b32_e32 v159, v32, v27
	ds_load_2addr_b32 v[31:32], v195 offset1:1
	s_wait_dscnt 0x1
	v_lshlrev_b32_e32 v28, 16, v26
	v_lshlrev_b32_e32 v29, 8, v26
	v_perm_b32 v26, v26, v26, 0xc0c0003
	s_delay_alu instid0(VALU_DEP_2) | instskip(SKIP_2) | instid1(VALU_DEP_3)
	v_perm_b32 v33, v29, v28, 0x7030c0c
	v_lshlrev_b32_e32 v28, 16, v161
	v_lshlrev_b32_e32 v29, 8, v161
	v_or_b32_e32 v30, v33, v26
	v_perm_b32 v26, v161, v161, 0xc0c0003
	s_delay_alu instid0(VALU_DEP_3)
	v_perm_b32 v34, v29, v28, 0x7030c0c
	ds_load_2addr_b32 v[28:29], v153 offset0:3 offset1:4
	v_or_b32_e32 v161, v34, v26
	ds_load_2addr_b32 v[33:34], v194 offset1:1
	s_wait_dscnt 0x1
	v_lshlrev_b32_e32 v35, 16, v29
	v_lshlrev_b32_e32 v36, 8, v29
	v_perm_b32 v26, v29, v29, 0xc0c0003
	s_delay_alu instid0(VALU_DEP_2) | instskip(SKIP_1) | instid1(VALU_DEP_2)
	v_perm_b32 v35, v36, v35, 0x7030c0c
	v_lshlrev_b32_e32 v36, 16, v163
	v_or_b32_e32 v29, v35, v26
	s_delay_alu instid0(VALU_DEP_2) | instskip(SKIP_2) | instid1(VALU_DEP_1)
	v_perm_b32 v36, v37, v36, 0x7030c0c
	ds_load_2addr_b32 v[37:38], v154 offset0:3 offset1:4
	v_perm_b32 v26, v163, v163, 0xc0c0003
	v_or_b32_e32 v163, v36, v26
	ds_load_2addr_b32 v[35:36], v196 offset1:1
	s_wait_dscnt 0x1
	v_lshlrev_b32_e32 v39, 16, v38
	v_lshlrev_b32_e32 v40, 8, v38
	v_perm_b32 v26, v38, v38, 0xc0c0003
	s_delay_alu instid0(VALU_DEP_2) | instskip(SKIP_2) | instid1(VALU_DEP_3)
	v_perm_b32 v171, v40, v39, 0x7030c0c
	v_lshlrev_b32_e32 v39, 16, v165
	v_lshlrev_b32_e32 v40, 8, v165
	v_or_b32_e32 v38, v171, v26
	v_perm_b32 v26, v165, v165, 0xc0c0003
	s_delay_alu instid0(VALU_DEP_3) | instskip(SKIP_3) | instid1(VALU_DEP_1)
	v_perm_b32 v172, v40, v39, 0x7030c0c
	ds_load_2addr_b32 v[39:40], v155 offset0:3 offset1:4
	v_or_b32_e32 v165, v172, v26
	v_perm_b32 v172, v32, v32, 0x2010003
	v_dot4_i32_iu8 v180, v24, v172, 0 neg_lo:[1,1,0]
	v_dot4_i32_iu8 v183, v30, v172, 0 neg_lo:[1,1,0]
	;; [unrolled: 1-line block ×4, first 2 shown]
	s_wait_dscnt 0x0
	v_lshlrev_b32_e32 v41, 16, v40
	v_lshlrev_b32_e32 v42, 8, v40
	v_perm_b32 v26, v40, v40, 0xc0c0003
	s_delay_alu instid0(VALU_DEP_2) | instskip(SKIP_2) | instid1(VALU_DEP_3)
	v_perm_b32 v173, v42, v41, 0x7030c0c
	v_lshlrev_b32_e32 v41, 16, v167
	v_lshlrev_b32_e32 v42, 8, v167
	v_or_b32_e32 v40, v173, v26
	v_perm_b32 v26, v167, v167, 0xc0c0003
	s_delay_alu instid0(VALU_DEP_3)
	v_perm_b32 v174, v42, v41, 0x7030c0c
	ds_load_2addr_b32 v[41:42], v156 offset0:3 offset1:4
	v_perm_b32 v173, v34, v34, 0x2010003
	v_dot4_i32_iu8 v198, v40, v172, 0 neg_lo:[1,1,0]
	v_or_b32_e32 v167, v174, v26
	v_perm_b32 v174, v36, v36, 0x2010003
	s_delay_alu instid0(VALU_DEP_4)
	v_dot4_i32_iu8 v182, v30, v173, 0 neg_lo:[1,1,0]
	v_dot4_i32_iu8 v186, v29, v173, 0 neg_lo:[1,1,0]
	;; [unrolled: 1-line block ×7, first 2 shown]
	s_wait_dscnt 0x0
	v_lshlrev_b32_e32 v169, 16, v42
	v_lshlrev_b32_e32 v170, 8, v42
	v_perm_b32 v26, v42, v42, 0xc0c0003
	s_delay_alu instid0(VALU_DEP_2) | instskip(SKIP_2) | instid1(VALU_DEP_1)
	v_perm_b32 v175, v170, v169, 0x7030c0c
	ds_load_2addr_b32 v[169:170], v156 offset0:1 offset1:2
	v_or_b32_e32 v42, v175, v26
	v_dot4_i32_iu8 v201, v42, v172, 0 neg_lo:[1,1,0]
	v_dot4_i32_iu8 v200, v42, v173, 0 neg_lo:[1,1,0]
	s_wait_dscnt 0x0
	v_lshlrev_b32_e32 v176, 16, v169
	v_lshlrev_b32_e32 v177, 8, v169
	v_perm_b32 v26, v169, v169, 0xc0c0003
	s_delay_alu instid0(VALU_DEP_2) | instskip(SKIP_1) | instid1(VALU_DEP_2)
	v_perm_b32 v176, v177, v176, 0x7030c0c
	v_dot4_i32_iu8 v177, v22, v172, 0 neg_lo:[1,1,0]
	v_or_b32_e32 v169, v176, v26
	ds_load_2addr_b32 v[26:27], v193 offset1:1
	v_dot4_i32_iu8 v176, v22, v173, 0 neg_lo:[1,1,0]
	s_wait_dscnt 0x0
	v_perm_b32 v171, v27, v27, 0x2010003
	s_delay_alu instid0(VALU_DEP_1)
	v_dot4_i32_iu8 v175, v22, v171, 0 neg_lo:[1,1,0]
	v_dot4_i32_iu8 v178, v24, v171, 0 neg_lo:[1,1,0]
	;; [unrolled: 1-line block ×7, first 2 shown]
	ds_load_2addr_b32 v[29:30], v193 offset0:2 offset1:3
	ds_load_2addr_b32 v[171:172], v194 offset0:2 offset1:3
	v_dot4_i32_iu8 v22, v22, v174, 0 neg_lo:[1,1,0]
	v_dot4_i32_iu8 v24, v24, v174, 0 neg_lo:[1,1,0]
	;; [unrolled: 1-line block ×5, first 2 shown]
	ds_load_2addr_b32 v[173:174], v195 offset0:2 offset1:3
	s_wait_dscnt 0x2
	v_perm_b32 v202, v29, v29, 0x2010003
	s_wait_dscnt 0x1
	v_perm_b32 v204, v171, v171, 0x2010003
	v_perm_b32 v224, v172, v172, 0x2010003
	s_delay_alu instid0(VALU_DEP_3) | instskip(NEXT) | instid1(VALU_DEP_3)
	v_dot4_i32_iu8 v203, v157, v202, v175 neg_lo:[1,1,0]
	v_dot4_i32_iu8 v205, v157, v204, v176 neg_lo:[1,1,0]
	ds_load_2addr_b32 v[175:176], v196 offset0:2 offset1:3
	s_wait_dscnt 0x1
	v_perm_b32 v206, v173, v173, 0x2010003
	v_dot4_i32_iu8 v215, v165, v202, v189 neg_lo:[1,1,0]
	v_dot4_i32_iu8 v216, v165, v204, v190 neg_lo:[1,1,0]
	;; [unrolled: 1-line block ×13, first 2 shown]
	s_wait_dscnt 0x0
	v_perm_b32 v177, v175, v175, 0x2010003
	v_perm_b32 v223, v176, v176, 0x2010003
	s_delay_alu instid0(VALU_DEP_2)
	v_dot4_i32_iu8 v38, v165, v177, v38 neg_lo:[1,1,0]
	v_dot4_i32_iu8 v165, v167, v202, v192 neg_lo:[1,1,0]
	;; [unrolled: 1-line block ×7, first 2 shown]
	v_lshl_add_u32 v169, v79, 2, s11
	v_dot4_i32_iu8 v22, v157, v177, v22 neg_lo:[1,1,0]
	v_dot4_i32_iu8 v157, v159, v202, v178 neg_lo:[1,1,0]
	v_dot4_i32_iu8 v24, v159, v177, v24 neg_lo:[1,1,0]
	v_dot4_i32_iu8 v159, v161, v202, v181 neg_lo:[1,1,0]
	v_dot4_i32_iu8 v161, v161, v177, v184 neg_lo:[1,1,0]
	v_dot4_i32_iu8 v163, v163, v177, v188 neg_lo:[1,1,0]
	ds_load_2addr_b32 v[177:178], v169 offset0:3 offset1:4
	s_add_co_i32 s11, s10, 0xa200
	s_wait_dscnt 0x0
	v_lshlrev_b32_e32 v201, 8, v178
	v_lshlrev_b32_e32 v202, 24, v178
	v_lshlrev_b32_e32 v204, 16, v178
	s_delay_alu instid0(VALU_DEP_3) | instskip(NEXT) | instid1(VALU_DEP_2)
	v_perm_b32 v179, v178, v201, 0x7030c0c
	v_perm_b32 v180, v204, v202, 0xc0c0703
	s_delay_alu instid0(VALU_DEP_1)
	v_or_b32_e32 v185, v179, v180
	ds_load_2addr_b32 v[179:180], v169 offset0:1 offset1:2
	s_wait_dscnt 0x0
	v_lshlrev_b32_e32 v206, 8, v179
	v_lshlrev_b32_e32 v218, 24, v179
	;; [unrolled: 1-line block ×3, first 2 shown]
	s_delay_alu instid0(VALU_DEP_3) | instskip(NEXT) | instid1(VALU_DEP_2)
	v_perm_b32 v181, v179, v206, 0x7030c0c
	v_perm_b32 v182, v219, v218, 0xc0c0703
	s_delay_alu instid0(VALU_DEP_1)
	v_or_b32_e32 v186, v181, v182
	ds_load_2addr_b32 v[181:182], v169 offset0:5 offset1:6
	s_wait_dscnt 0x0
	v_lshlrev_b32_e32 v220, 8, v181
	v_lshlrev_b32_e32 v221, 24, v181
	;; [unrolled: 1-line block ×3, first 2 shown]
	v_perm_b32 v179, v181, v179, 0x7030c0c
	s_delay_alu instid0(VALU_DEP_4) | instskip(SKIP_1) | instid1(VALU_DEP_4)
	v_perm_b32 v183, v181, v220, 0x7030c0c
	v_lshlrev_b32_e32 v181, 16, v180
	v_perm_b32 v184, v222, v221, 0xc0c0703
	s_delay_alu instid0(VALU_DEP_1) | instskip(SKIP_3) | instid1(VALU_DEP_1)
	v_or_b32_e32 v187, v183, v184
	ds_load_2addr_b32 v[183:184], v169 offset1:7
	s_wait_dscnt 0x0
	v_dot4_i32_iu8 v169, v183, v31, 0 neg_lo:[1,1,0]
	v_dot4_i32_iu8 v32, v185, v32, v169 neg_lo:[1,1,0]
	v_perm_b32 v169, v174, v174, 0x2010003
	s_delay_alu instid0(VALU_DEP_2) | instskip(SKIP_1) | instid1(VALU_DEP_2)
	v_dot4_i32_iu8 v32, v186, v173, v32 neg_lo:[1,1,0]
	v_dot4_i32_iu8 v173, v183, v35, 0 neg_lo:[1,1,0]
	;; [unrolled: 1-line block ×3, first 2 shown]
	s_delay_alu instid0(VALU_DEP_2) | instskip(SKIP_1) | instid1(VALU_DEP_2)
	v_dot4_i32_iu8 v36, v185, v36, v173 neg_lo:[1,1,0]
	v_dot4_i32_iu8 v173, v183, v33, 0 neg_lo:[1,1,0]
	;; [unrolled: 1-line block ×3, first 2 shown]
	s_delay_alu instid0(VALU_DEP_2) | instskip(NEXT) | instid1(VALU_DEP_2)
	v_dot4_i32_iu8 v34, v185, v34, v173 neg_lo:[1,1,0]
	v_dot4_i32_iu8 v36, v187, v176, v36 neg_lo:[1,1,0]
	s_delay_alu instid0(VALU_DEP_2) | instskip(NEXT) | instid1(VALU_DEP_1)
	v_dot4_i32_iu8 v34, v186, v171, v34 neg_lo:[1,1,0]
	v_dot4_i32_iu8 v34, v187, v172, v34 neg_lo:[1,1,0]
	ds_load_2addr_b32 v[171:172], v149 offset0:5 offset1:6
	s_wait_dscnt 0x0
	v_lshlrev_b32_e32 v173, 16, v171
	v_lshlrev_b32_e32 v174, 8, v171
	v_perm_b32 v171, v171, v171, 0xc0c0003
	s_delay_alu instid0(VALU_DEP_2) | instskip(SKIP_3) | instid1(VALU_DEP_2)
	v_perm_b32 v225, v174, v173, 0x7030c0c
	ds_load_2addr_b32 v[173:174], v150 offset0:5 offset1:6
	v_or_b32_e32 v171, v225, v171
	v_perm_b32 v225, v30, v30, 0x2010003
	v_dot4_i32_iu8 v205, v171, v224, v205 neg_lo:[1,1,0]
	s_delay_alu instid0(VALU_DEP_2)
	v_dot4_i32_iu8 v203, v171, v225, v203 neg_lo:[1,1,0]
	v_dot4_i32_iu8 v207, v171, v169, v207 neg_lo:[1,1,0]
	;; [unrolled: 1-line block ×3, first 2 shown]
	s_wait_dscnt 0x0
	v_lshlrev_b32_e32 v175, 16, v173
	v_lshlrev_b32_e32 v176, 8, v173
	v_perm_b32 v173, v173, v173, 0xc0c0003
	s_delay_alu instid0(VALU_DEP_2) | instskip(SKIP_3) | instid1(VALU_DEP_2)
	v_perm_b32 v226, v176, v175, 0x7030c0c
	ds_load_2addr_b32 v[175:176], v152 offset0:5 offset1:6
	v_or_b32_e32 v173, v226, v173
	v_lshlrev_b32_e32 v226, 8, v168
	v_dot4_i32_iu8 v171, v173, v225, v157 neg_lo:[1,1,0]
	v_dot4_i32_iu8 v208, v173, v224, v208 neg_lo:[1,1,0]
	;; [unrolled: 1-line block ×4, first 2 shown]
	v_lshlrev_b32_e32 v157, 16, v158
	s_wait_dscnt 0x0
	v_lshlrev_b32_e32 v185, 16, v175
	v_lshlrev_b32_e32 v186, 8, v175
	v_perm_b32 v175, v175, v175, 0xc0c0003
	s_delay_alu instid0(VALU_DEP_2) | instskip(SKIP_3) | instid1(VALU_DEP_2)
	v_perm_b32 v227, v186, v185, 0x7030c0c
	ds_load_2addr_b32 v[185:186], v153 offset0:5 offset1:6
	v_or_b32_e32 v175, v227, v175
	v_lshlrev_b32_e32 v227, 16, v170
	v_dot4_i32_iu8 v173, v175, v225, v159 neg_lo:[1,1,0]
	v_dot4_i32_iu8 v210, v175, v224, v210 neg_lo:[1,1,0]
	;; [unrolled: 1-line block ×4, first 2 shown]
	v_lshlrev_b32_e32 v159, 8, v158
	v_lshlrev_b32_e32 v161, 16, v160
	v_perm_b32 v158, v158, v158, 0xc0c0003
	s_delay_alu instid0(VALU_DEP_3) | instskip(SKIP_4) | instid1(VALU_DEP_2)
	v_perm_b32 v157, v159, v157, 0x7030c0c
	s_wait_dscnt 0x0
	v_lshlrev_b32_e32 v187, 16, v185
	v_lshlrev_b32_e32 v188, 8, v185
	v_perm_b32 v185, v185, v185, 0xc0c0003
	v_perm_b32 v228, v188, v187, 0x7030c0c
	ds_load_2addr_b32 v[187:188], v154 offset0:5 offset1:6
	v_or_b32_e32 v185, v228, v185
	v_lshlrev_b32_e32 v228, 8, v170
	v_perm_b32 v170, v170, v170, 0xc0c0003
	s_delay_alu instid0(VALU_DEP_3)
	v_dot4_i32_iu8 v212, v185, v225, v212 neg_lo:[1,1,0]
	v_dot4_i32_iu8 v213, v185, v224, v213 neg_lo:[1,1,0]
	;; [unrolled: 1-line block ×4, first 2 shown]
	v_lshlrev_b32_e32 v163, 8, v160
	v_perm_b32 v160, v160, v160, 0xc0c0003
	s_delay_alu instid0(VALU_DEP_2) | instskip(SKIP_4) | instid1(VALU_DEP_2)
	v_perm_b32 v159, v163, v161, 0x7030c0c
	s_wait_dscnt 0x0
	v_lshlrev_b32_e32 v189, 16, v187
	v_lshlrev_b32_e32 v190, 8, v187
	v_perm_b32 v187, v187, v187, 0xc0c0003
	v_perm_b32 v229, v190, v189, 0x7030c0c
	ds_load_2addr_b32 v[189:190], v155 offset0:5 offset1:6
	v_or_b32_e32 v187, v229, v187
	s_delay_alu instid0(VALU_DEP_1)
	v_dot4_i32_iu8 v215, v187, v225, v215 neg_lo:[1,1,0]
	v_dot4_i32_iu8 v216, v187, v224, v216 neg_lo:[1,1,0]
	;; [unrolled: 1-line block ×4, first 2 shown]
	s_wait_dscnt 0x0
	v_lshlrev_b32_e32 v191, 16, v189
	v_lshlrev_b32_e32 v192, 8, v189
	v_perm_b32 v189, v189, v189, 0xc0c0003
	s_delay_alu instid0(VALU_DEP_2) | instskip(SKIP_2) | instid1(VALU_DEP_1)
	v_perm_b32 v230, v192, v191, 0x7030c0c
	ds_load_2addr_b32 v[191:192], v156 offset0:5 offset1:6
	v_or_b32_e32 v189, v230, v189
	v_dot4_i32_iu8 v165, v189, v225, v165 neg_lo:[1,1,0]
	v_dot4_i32_iu8 v187, v189, v224, v197 neg_lo:[1,1,0]
	;; [unrolled: 1-line block ×4, first 2 shown]
	v_lshlrev_b32_e32 v198, 8, v162
	s_wait_dscnt 0x0
	v_lshlrev_b32_e32 v231, 16, v191
	v_lshlrev_b32_e32 v232, 8, v191
	v_perm_b32 v191, v191, v191, 0xc0c0003
	v_lshlrev_b32_e32 v229, 16, v192
	v_lshlrev_b32_e32 v230, 8, v192
	v_perm_b32 v192, v192, v192, 0xc0c0003
	v_perm_b32 v231, v232, v231, 0x7030c0c
	s_delay_alu instid0(VALU_DEP_1) | instskip(NEXT) | instid1(VALU_DEP_1)
	v_or_b32_e32 v191, v231, v191
	v_dot4_i32_iu8 v167, v191, v225, v167 neg_lo:[1,1,0]
	v_dot4_i32_iu8 v189, v191, v224, v199 neg_lo:[1,1,0]
	;; [unrolled: 1-line block ×4, first 2 shown]
	v_lshlrev_b32_e32 v191, 16, v162
	v_lshlrev_b32_e32 v199, 16, v164
	;; [unrolled: 1-line block ×5, first 2 shown]
	v_perm_b32 v162, v162, v162, 0xc0c0003
	v_perm_b32 v164, v164, v164, 0xc0c0003
	v_lshlrev_b32_e32 v225, 16, v168
	v_perm_b32 v161, v198, v191, 0x7030c0c
	v_perm_b32 v163, v200, v199, 0x7030c0c
	v_perm_b32 v191, v224, v223, 0x7030c0c
	v_or_b32_e32 v200, v157, v158
	v_or_b32_e32 v223, v159, v160
	ds_load_2addr_b32 v[157:158], v193 offset0:4 offset1:5
	ds_load_2addr_b32 v[159:160], v194 offset0:4 offset1:5
	v_perm_b32 v198, v226, v225, 0x7030c0c
	v_or_b32_e32 v224, v161, v162
	v_or_b32_e32 v225, v163, v164
	ds_load_2addr_b32 v[161:162], v195 offset0:4 offset1:5
	ds_load_2addr_b32 v[163:164], v196 offset0:4 offset1:5
	v_perm_b32 v166, v166, v166, 0xc0c0003
	v_perm_b32 v199, v228, v227, 0x7030c0c
	;; [unrolled: 1-line block ×3, first 2 shown]
	v_lshlrev_b32_e32 v227, 16, v190
	v_lshlrev_b32_e32 v228, 8, v190
	v_or_b32_e32 v166, v191, v166
	v_or_b32_e32 v170, v199, v170
	;; [unrolled: 1-line block ×3, first 2 shown]
	v_perm_b32 v190, v190, v190, 0xc0c0003
	s_wait_dscnt 0x3
	v_perm_b32 v191, v157, v157, 0x2010003
	s_wait_dscnt 0x2
	v_perm_b32 v199, v159, v159, 0x2010003
	s_delay_alu instid0(VALU_DEP_2) | instskip(NEXT) | instid1(VALU_DEP_2)
	v_dot4_i32_iu8 v198, v200, v191, v203 neg_lo:[1,1,0]
	v_dot4_i32_iu8 v203, v200, v199, v205 neg_lo:[1,1,0]
	s_wait_dscnt 0x1
	v_perm_b32 v205, v161, v161, 0x2010003
	s_wait_dscnt 0x0
	v_perm_b32 v226, v163, v163, 0x2010003
	v_dot4_i32_iu8 v165, v168, v191, v165 neg_lo:[1,1,0]
	v_dot4_i32_iu8 v167, v170, v191, v167 neg_lo:[1,1,0]
	;; [unrolled: 1-line block ×22, first 2 shown]
	v_lshlrev_b32_e32 v170, 8, v180
	v_lshlrev_b32_e32 v189, 24, v180
	v_dot4_i32_iu8 v173, v224, v191, v173 neg_lo:[1,1,0]
	v_perm_b32 v191, v182, v180, 0xc0c0703
	v_lshlrev_b32_e32 v197, 8, v182
	v_perm_b32 v180, v180, v170, 0x7030c0c
	v_lshlrev_b32_e32 v199, 16, v182
	v_lshlrev_b32_e32 v205, 24, v182
	v_perm_b32 v217, v181, v189, 0xc0c0703
	v_perm_b32 v182, v182, v197, 0x7030c0c
	v_dot4_i32_iu8 v24, v223, v226, v24 neg_lo:[1,1,0]
	v_dot4_i32_iu8 v175, v224, v226, v175 neg_lo:[1,1,0]
	v_dot4_i32_iu8 v185, v225, v226, v185 neg_lo:[1,1,0]
	v_or_b32_e32 v180, v180, v217
	v_perm_b32 v217, v199, v205, 0xc0c0703
	v_lshlrev_b32_e32 v223, 16, v186
	v_lshlrev_b32_e32 v224, 8, v186
	;; [unrolled: 1-line block ×3, first 2 shown]
	v_dot4_i32_iu8 v32, v180, v161, v32 neg_lo:[1,1,0]
	v_or_b32_e32 v182, v182, v217
	v_dot4_i32_iu8 v36, v180, v163, v36 neg_lo:[1,1,0]
	v_dot4_i32_iu8 v34, v180, v159, v34 neg_lo:[1,1,0]
	v_perm_b32 v161, v162, v162, 0x2010003
	v_perm_b32 v159, v160, v160, 0x2010003
	v_dot4_i32_iu8 v32, v182, v162, v32 neg_lo:[1,1,0]
	v_dot4_i32_iu8 v162, v182, v164, v36 neg_lo:[1,1,0]
	v_perm_b32 v36, v164, v164, 0x2010003
	v_dot4_i32_iu8 v34, v182, v160, v34 neg_lo:[1,1,0]
	v_lshlrev_b32_e32 v160, 16, v172
	v_lshlrev_b32_e32 v163, 8, v172
	v_perm_b32 v164, v172, v172, 0xc0c0003
	v_lshlrev_b32_e32 v172, 16, v174
	v_lshlrev_b32_e32 v180, 8, v174
	;; [unrolled: 1-line block ×5, first 2 shown]
	v_perm_b32 v174, v174, v174, 0xc0c0003
	v_perm_b32 v176, v176, v176, 0xc0c0003
	v_perm_b32 v186, v186, v186, 0xc0c0003
	v_perm_b32 v188, v188, v188, 0xc0c0003
	v_perm_b32 v160, v163, v160, 0x7030c0c
	v_perm_b32 v163, v180, v172, 0x7030c0c
	v_perm_b32 v172, v217, v182, 0x7030c0c
	v_perm_b32 v180, v224, v223, 0x7030c0c
	v_perm_b32 v182, v226, v225, 0x7030c0c
	v_perm_b32 v217, v228, v227, 0x7030c0c
	v_perm_b32 v223, v230, v229, 0x7030c0c
	v_or_b32_e32 v160, v160, v164
	v_or_b32_e32 v163, v163, v174
	;; [unrolled: 1-line block ×7, first 2 shown]
	v_perm_b32 v182, v158, v158, 0x2010003
	v_dot4_i32_iu8 v188, v160, v159, v203 neg_lo:[1,1,0]
	v_dot4_i32_iu8 v190, v160, v161, v207 neg_lo:[1,1,0]
	;; [unrolled: 1-line block ×28, first 2 shown]
	v_lshlrev_b32_e32 v22, 16, v21
	v_lshlrev_b32_e32 v24, 8, v21
	;; [unrolled: 1-line block ×12, first 2 shown]
	v_perm_b32 v21, v21, v21, 0xc0c0003
	v_perm_b32 v23, v23, v23, 0xc0c0003
	;; [unrolled: 1-line block ×12, first 2 shown]
	v_or_b32_e32 v180, v22, v21
	v_or_b32_e32 v182, v24, v23
	;; [unrolled: 1-line block ×6, first 2 shown]
	ds_load_2addr_b32 v[21:22], v193 offset0:6 offset1:7
	ds_load_2addr_b32 v[23:24], v194 offset0:6 offset1:7
	;; [unrolled: 1-line block ×4, first 2 shown]
	v_lshlrev_b32_e32 v214, 16, v41
	v_lshlrev_b32_e32 v215, 8, v41
	v_perm_b32 v41, v41, v41, 0xc0c0003
	v_perm_b32 v170, v197, v170, 0xc0c0703
	s_delay_alu instid0(VALU_DEP_3) | instskip(NEXT) | instid1(VALU_DEP_1)
	v_perm_b32 v176, v215, v214, 0x7030c0c
	v_or_b32_e32 v41, v176, v41
	s_wait_dscnt 0x3
	v_perm_b32 v176, v21, v21, 0x2010003
	s_wait_dscnt 0x2
	v_perm_b32 v193, v23, v23, 0x2010003
	;; [unrolled: 2-line block ×4, first 2 shown]
	v_dot4_i32_iu8 v186, v180, v176, v186 neg_lo:[1,1,0]
	v_dot4_i32_iu8 v188, v180, v193, v188 neg_lo:[1,1,0]
	;; [unrolled: 1-line block ×3, first 2 shown]
	s_delay_alu instid0(VALU_DEP_4)
	v_dot4_i32_iu8 v160, v180, v195, v160 neg_lo:[1,1,0]
	v_dot4_i32_iu8 v171, v182, v176, v171 neg_lo:[1,1,0]
	v_dot4_i32_iu8 v180, v182, v193, v192 neg_lo:[1,1,0]
	v_dot4_i32_iu8 v192, v182, v194, v198 neg_lo:[1,1,0]
	v_dot4_i32_iu8 v163, v182, v195, v163 neg_lo:[1,1,0]
	v_dot4_i32_iu8 v173, v25, v176, v173 neg_lo:[1,1,0]
	v_dot4_i32_iu8 v182, v25, v193, v200 neg_lo:[1,1,0]
	v_dot4_i32_iu8 v196, v25, v194, v203 neg_lo:[1,1,0]
	v_dot4_i32_iu8 v25, v25, v195, v164 neg_lo:[1,1,0]
	v_dot4_i32_iu8 v164, v28, v176, v175 neg_lo:[1,1,0]
	v_dot4_i32_iu8 v175, v28, v193, v207 neg_lo:[1,1,0]
	v_dot4_i32_iu8 v198, v28, v194, v208 neg_lo:[1,1,0]
	v_dot4_i32_iu8 v28, v28, v195, v172 neg_lo:[1,1,0]
	v_dot4_i32_iu8 v172, v168, v176, v185 neg_lo:[1,1,0]
	v_dot4_i32_iu8 v185, v168, v193, v209 neg_lo:[1,1,0]
	v_dot4_i32_iu8 v200, v168, v194, v210 neg_lo:[1,1,0]
	v_dot4_i32_iu8 v168, v168, v195, v174 neg_lo:[1,1,0]
	v_dot4_i32_iu8 v165, v169, v176, v165 neg_lo:[1,1,0]
	v_dot4_i32_iu8 v166, v169, v193, v166 neg_lo:[1,1,0]
	v_dot4_i32_iu8 v174, v169, v194, v187 neg_lo:[1,1,0]
	v_dot4_i32_iu8 v167, v41, v176, v167 neg_lo:[1,1,0]
	v_dot4_i32_iu8 v159, v41, v193, v159 neg_lo:[1,1,0]
	v_lshlrev_b32_e32 v176, 8, v177
	v_lshlrev_b32_e32 v187, 16, v177
	;; [unrolled: 1-line block ×3, first 2 shown]
	v_dot4_i32_iu8 v169, v169, v195, v40 neg_lo:[1,1,0]
	v_dot4_i32_iu8 v161, v41, v194, v161 neg_lo:[1,1,0]
	;; [unrolled: 1-line block ×3, first 2 shown]
	v_perm_b32 v40, v177, v176, 0x7030c0c
	v_perm_b32 v41, v187, v193, 0xc0c0703
	v_lshlrev_b32_e32 v194, 8, v184
	v_lshlrev_b32_e32 v195, 16, v184
	;; [unrolled: 1-line block ×3, first 2 shown]
	v_perm_b32 v208, v37, v37, 0x2010003
	v_or_b32_e32 v40, v40, v41
	v_perm_b32 v41, v184, v194, 0x7030c0c
	v_perm_b32 v209, v39, v39, 0x2010003
	;; [unrolled: 1-line block ×3, first 2 shown]
	s_delay_alu instid0(VALU_DEP_4) | instskip(NEXT) | instid1(VALU_DEP_2)
	v_dot4_i32_iu8 v23, v40, v23, v34 neg_lo:[1,1,0]
	v_or_b32_e32 v41, v41, v207
	v_perm_b32 v207, v24, v24, 0x2010003
	s_delay_alu instid0(VALU_DEP_2) | instskip(SKIP_1) | instid1(VALU_DEP_1)
	v_dot4_i32_iu8 v34, v41, v24, v23 neg_lo:[1,1,0]
	v_dot4_i32_iu8 v23, v40, v36, v32 neg_lo:[1,1,0]
	;; [unrolled: 1-line block ×4, first 2 shown]
	s_delay_alu instid0(VALU_DEP_1)
	v_dot4_i32_iu8 v162, v41, v39, v23 neg_lo:[1,1,0]
	ds_load_2addr_b32 v[23:24], v149 offset1:7
	s_wait_dscnt 0x0
	v_lshlrev_b32_e32 v36, 16, v24
	v_lshlrev_b32_e32 v37, 8, v24
	v_perm_b32 v24, v24, v24, 0xc0c0003
	s_delay_alu instid0(VALU_DEP_2) | instskip(SKIP_2) | instid1(VALU_DEP_1)
	v_perm_b32 v210, v37, v36, 0x7030c0c
	ds_load_2addr_b32 v[36:37], v150 offset1:7
	v_or_b32_e32 v24, v210, v24
	v_dot4_i32_iu8 v188, v24, v207, v188 neg_lo:[1,1,0]
	v_dot4_i32_iu8 v190, v24, v208, v190 neg_lo:[1,1,0]
	s_wait_dscnt 0x0
	v_lshlrev_b32_e32 v38, 16, v37
	v_lshlrev_b32_e32 v39, 8, v37
	v_perm_b32 v37, v37, v37, 0xc0c0003
	s_delay_alu instid0(VALU_DEP_2)
	v_perm_b32 v211, v39, v38, 0x7030c0c
	ds_load_2addr_b32 v[38:39], v152 offset1:7
	v_or_b32_e32 v37, v211, v37
	s_wait_dscnt 0x0
	v_lshlrev_b32_e32 v40, 16, v39
	v_lshlrev_b32_e32 v41, 8, v39
	v_perm_b32 v39, v39, v39, 0xc0c0003
	s_delay_alu instid0(VALU_DEP_2) | instskip(SKIP_2) | instid1(VALU_DEP_1)
	v_perm_b32 v212, v41, v40, 0x7030c0c
	ds_load_2addr_b32 v[40:41], v153 offset1:7
	v_or_b32_e32 v39, v212, v39
	v_dot4_i32_iu8 v25, v39, v209, v25 neg_lo:[1,1,0]
	s_delay_alu instid0(VALU_DEP_1) | instskip(NEXT) | instid1(VALU_DEP_1)
	v_dot4_i32_iu8 v25, v38, v35, v25 neg_lo:[1,1,0]
	v_cvt_f32_i32_e32 v25, v25
	s_wait_dscnt 0x0
	v_lshlrev_b32_e32 v149, 16, v41
	v_lshlrev_b32_e32 v150, 8, v41
	v_perm_b32 v41, v41, v41, 0xc0c0003
	s_delay_alu instid0(VALU_DEP_2) | instskip(SKIP_2) | instid1(VALU_DEP_1)
	v_perm_b32 v213, v150, v149, 0x7030c0c
	ds_load_2addr_b32 v[149:150], v154 offset1:7
	v_or_b32_e32 v41, v213, v41
	v_dot4_i32_iu8 v28, v41, v209, v28 neg_lo:[1,1,0]
	s_delay_alu instid0(VALU_DEP_1) | instskip(NEXT) | instid1(VALU_DEP_1)
	v_dot4_i32_iu8 v28, v40, v35, v28 neg_lo:[1,1,0]
	v_cvt_f32_i32_e32 v28, v28
	s_wait_dscnt 0x0
	v_lshlrev_b32_e32 v152, 16, v150
	v_lshlrev_b32_e32 v153, 8, v150
	v_perm_b32 v150, v150, v150, 0xc0c0003
	s_delay_alu instid0(VALU_DEP_2)
	v_perm_b32 v214, v153, v152, 0x7030c0c
	ds_load_2addr_b32 v[152:153], v155 offset1:7
	v_or_b32_e32 v150, v214, v150
	s_wait_dscnt 0x0
	v_lshlrev_b32_e32 v154, 16, v153
	v_lshlrev_b32_e32 v155, 8, v153
	v_perm_b32 v153, v153, v153, 0xc0c0003
	s_delay_alu instid0(VALU_DEP_2) | instskip(SKIP_2) | instid1(VALU_DEP_1)
	v_perm_b32 v215, v155, v154, 0x7030c0c
	ds_load_2addr_b32 v[154:155], v156 offset1:7
	v_or_b32_e32 v153, v215, v153
	v_dot4_i32_iu8 v166, v153, v207, v166 neg_lo:[1,1,0]
	s_delay_alu instid0(VALU_DEP_1) | instskip(SKIP_4) | instid1(VALU_DEP_2)
	v_dot4_i32_iu8 v166, v152, v33, v166 neg_lo:[1,1,0]
	s_wait_dscnt 0x0
	v_lshlrev_b32_e32 v156, 16, v155
	v_lshlrev_b32_e32 v216, 8, v155
	v_perm_b32 v155, v155, v155, 0xc0c0003
	v_perm_b32 v156, v216, v156, 0x7030c0c
	s_delay_alu instid0(VALU_DEP_1) | instskip(SKIP_1) | instid1(VALU_DEP_2)
	v_or_b32_e32 v155, v156, v155
	v_perm_b32 v156, v22, v22, 0x2010003
	v_dot4_i32_iu8 v159, v155, v207, v159 neg_lo:[1,1,0]
	s_delay_alu instid0(VALU_DEP_2)
	v_dot4_i32_iu8 v186, v24, v156, v186 neg_lo:[1,1,0]
	v_dot4_i32_iu8 v24, v24, v209, v160 neg_lo:[1,1,0]
	;; [unrolled: 1-line block ×37, first 2 shown]
	v_perm_b32 v150, v184, v177, 0x7030c0c
	v_perm_b32 v175, v158, v157, 0xc0c0703
	;; [unrolled: 1-line block ×3, first 2 shown]
	v_dot4_i32_iu8 v40, v26, v149, v41 neg_lo:[1,1,0]
	v_dot4_i32_iu8 v41, v149, v33, v172 neg_lo:[1,1,0]
	;; [unrolled: 1-line block ×10, first 2 shown]
	v_perm_b32 v149, v26, v178, 0xc0c0703
	v_perm_b32 v154, v183, v27, 0xc0c0703
	v_or_b32_e32 v175, v177, v175
	v_perm_b32 v177, v30, v29, 0x7030c0c
	v_or_b32_e32 v150, v150, v191
	v_or_b32_e32 v149, v179, v149
	v_perm_b32 v153, v183, v27, 0xc0c0501
	v_perm_b32 v156, v183, v27, 0xc0c0400
	v_or_b32_e32 v154, v177, v154
	v_perm_b32 v27, v183, v27, 0xc0c0602
	v_perm_b32 v159, v26, v204, 0xc0c0503
	;; [unrolled: 1-line block ×4, first 2 shown]
	v_dot4_i32_iu8 v149, v149, v154, 0 neg_lo:[1,1,0]
	v_perm_b32 v154, v22, v21, 0x6020c0c
	v_cvt_f32_i32_e32 v24, v24
	v_cvt_f32_i32_e32 v37, v37
	;; [unrolled: 1-line block ×3, first 2 shown]
	v_dot4_i32_iu8 v149, v150, v175, v149 neg_lo:[1,1,0]
	v_perm_b32 v150, v158, v157, 0xc0c0602
	v_perm_b32 v175, v30, v29, 0x6020c0c
	v_cvt_f32_i32_e32 v40, v40
	v_cvt_f32_i32_e32 v31, v31
	;; [unrolled: 1-line block ×3, first 2 shown]
	v_or_b32_e32 v150, v154, v150
	v_perm_b32 v154, v220, v206, 0x7030c0c
	v_or_b32_e32 v27, v175, v27
	v_perm_b32 v175, v194, v176, 0x7030c0c
	v_cvt_f32_i32_e32 v36, v36
	v_cvt_f32_i32_e32 v39, v39
	v_or_b32_e32 v26, v154, v26
	v_cvt_f32_i32_e32 v41, v41
	v_or_b32_e32 v154, v175, v170
	v_perm_b32 v170, v195, v187, 0x7030c0c
	v_cvt_f32_i32_e32 v152, v152
	v_dot4_i32_iu8 v26, v26, v27, 0 neg_lo:[1,1,0]
	v_perm_b32 v27, v158, v157, 0xc0c0501
	v_cvt_f32_i32_e32 v42, v42
	v_cvt_f32_i32_e32 v33, v33
	s_delay_alu instid0(VALU_DEP_4)
	v_dot4_i32_iu8 v26, v154, v150, v26 neg_lo:[1,1,0]
	v_perm_b32 v150, v22, v21, 0x5010c0c
	v_perm_b32 v154, v30, v29, 0x5010c0c
	;; [unrolled: 1-line block ×5, first 2 shown]
	v_or_b32_e32 v27, v150, v27
	v_perm_b32 v150, v222, v219, 0x7030c0c
	v_or_b32_e32 v153, v154, v153
	v_perm_b32 v154, v199, v181, 0xc0c0703
	;; [unrolled: 2-line block ×3, first 2 shown]
	v_or_b32_e32 v150, v150, v159
	v_or_b32_e32 v29, v29, v161
	v_or_b32_e32 v154, v170, v154
	s_delay_alu instid0(VALU_DEP_3) | instskip(NEXT) | instid1(VALU_DEP_3)
	v_dot4_i32_iu8 v150, v150, v153, 0 neg_lo:[1,1,0]
	v_dot4_i32_iu8 v22, v29, v22, 0 neg_lo:[1,1,0]
	s_wait_alu 0xfffe
	v_add_nc_u32_e32 v29, s16, v80
	s_delay_alu instid0(VALU_DEP_3) | instskip(SKIP_4) | instid1(VALU_DEP_1)
	v_dot4_i32_iu8 v27, v154, v27, v150 neg_lo:[1,1,0]
	v_perm_b32 v150, v158, v157, 0xc0c0400
	ds_load_b32 v29, v29
	v_or_b32_e32 v21, v21, v150
	v_perm_b32 v150, v203, v193, 0x7030c0c
	v_or_b32_e32 v30, v150, v30
	v_lshlrev_b32_e32 v150, 2, v1
	s_delay_alu instid0(VALU_DEP_2) | instskip(SKIP_4) | instid1(VALU_DEP_4)
	v_dot4_i32_iu8 v21, v30, v21, v22 neg_lo:[1,1,0]
	v_add_nc_u32_e32 v22, v27, v149
	v_add3_u32 v27, s11, v131, v133
	v_add_nc_u32_e32 v30, s16, v82
	v_add_nc_u32_e32 v149, s16, v84
	v_add3_u32 v21, v21, v26, v22
	v_add3_u32 v22, s11, v123, v125
	;; [unrolled: 1-line block ×3, first 2 shown]
	ds_load_b32 v27, v27
	ds_load_b32 v30, v30
	;; [unrolled: 1-line block ×5, first 2 shown]
	v_add_nc_u32_e32 v149, s16, v86
	v_cvt_f32_i32_e32 v21, v21
	ds_load_b32 v154, v149
	v_add_nc_u32_e32 v149, s16, v88
	ds_load_b32 v156, v149
	v_add_nc_u32_e32 v149, s16, v90
	s_wait_dscnt 0x6
	v_pk_mul_f16 v188, v29, v27
	s_wait_dscnt 0x5
	v_pk_mul_f16 v189, v27, v30
	ds_load_b32 v157, v149
	v_add_nc_u32_e32 v149, s16, v92
	s_wait_dscnt 0x4
	v_pk_mul_f16 v170, v29, v22
	s_wait_dscnt 0x3
	v_pk_mul_f16 v181, v29, v26
	v_pk_mul_f16 v175, v22, v30
	;; [unrolled: 1-line block ×3, first 2 shown]
	ds_load_b32 v158, v149
	v_add_nc_u32_e32 v149, s16, v94
	s_wait_dscnt 0x3
	v_pk_mul_f16 v177, v22, v154
	v_pk_mul_f16 v182, v26, v30
	;; [unrolled: 1-line block ×4, first 2 shown]
	ds_load_b32 v159, v149
	v_lshlrev_b32_e32 v149, 2, v46
	s_wait_dscnt 0x3
	v_pk_mul_f16 v178, v22, v156
	v_pk_mul_f16 v185, v26, v156
	;; [unrolled: 1-line block ×4, first 2 shown]
	v_add3_u32 v161, s11, v149, v150
	v_pk_mul_f16 v192, v27, v156
	s_wait_dscnt 0x2
	v_pk_mul_f16 v179, v22, v157
	v_pk_mul_f16 v186, v26, v157
	v_pk_mul_f16 v193, v27, v157
	ds_load_b32 v161, v161
	v_fma_mix_f32 v23, v189, v23, v189 op_sel:[0,0,1] op_sel_hi:[1,0,1]
	v_fma_mix_f32 v36, v190, v36, v190 op_sel:[0,0,1] op_sel_hi:[1,0,1]
	s_wait_dscnt 0x2
	v_pk_mul_f16 v180, v22, v158
	v_pk_mul_f16 v187, v26, v158
	v_pk_mul_f16 v194, v27, v158
	v_fma_mix_f32 v25, v191, v25, v191 op_sel:[0,0,1] op_sel_hi:[1,0,1]
	v_fma_mix_f32 v39, v178, v39, v178 op_sel:[0,0,1] op_sel_hi:[1,0,1]
	;; [unrolled: 1-line block ×3, first 2 shown]
	s_wait_dscnt 0x1
	v_pk_mul_f16 v26, v26, v159
	v_pk_mul_f16 v22, v22, v159
	;; [unrolled: 1-line block ×3, first 2 shown]
	v_fma_mix_f32 v41, v179, v41, v179 op_sel:[0,0,1] op_sel_hi:[1,0,1]
	v_fma_mix_f32 v152, v194, v152, v194 op_sel:[0,0,1] op_sel_hi:[1,0,1]
	;; [unrolled: 1-line block ×3, first 2 shown]
	v_cvt_f32_i32_e32 v31, v35
	v_fma_mix_f32 v22, v22, v33, v22 op_sel:[0,0,1] op_sel_hi:[1,0,1]
	v_dual_add_f32 v147, v147, v23 :: v_dual_add_f32 v146, v146, v36
	v_add_f32_e32 v144, v144, v25
	s_wait_dscnt 0x0
	v_pk_mul_f16 v29, v29, v161
	v_pk_mul_f16 v30, v161, v30
	;; [unrolled: 1-line block ×5, first 2 shown]
	v_fma_mix_f32 v21, v29, v21, v29 op_sel:[0,0,1] op_sel_hi:[1,0,1]
	v_cvt_f32_i32_e32 v29, v32
	v_cvt_f32_i32_e32 v32, v162
	v_pk_mul_f16 v157, v161, v157
	v_pk_mul_f16 v158, v161, v158
	v_add_f32_e32 v47, v47, v21
	v_cvt_f32_i32_e32 v21, v34
	v_fma_mix_f32 v32, v188, v32, v188 op_sel:[0,0,1] op_sel_hi:[1,0,1]
	v_fma_mix_f32 v29, v181, v29, v181 op_sel:[0,0,1] op_sel_hi:[1,0,1]
	v_pk_mul_f16 v159, v161, v159
	v_fma_mix_f32 v24, v153, v24, v153 op_sel:[0,0,1] op_sel_hi:[1,0,1]
	v_fma_mix_f32 v21, v170, v21, v170 op_sel:[0,0,1] op_sel_hi:[1,0,1]
	v_add_f32_e32 v148, v148, v32
	v_cvt_f32_i32_e32 v32, v160
	v_cvt_f32_i32_e32 v160, v165
	v_add_f32_e32 v145, v145, v29
	v_add_f32_e32 v140, v140, v21
	v_cvt_f32_i32_e32 v21, v155
	v_cvt_f32_i32_e32 v29, v167
	;; [unrolled: 1-line block ×3, first 2 shown]
	v_fma_mix_f32 v37, v154, v37, v154 op_sel:[0,0,1] op_sel_hi:[1,0,1]
	v_cvt_f32_i32_e32 v153, v163
	v_fma_mix_f32 v21, v30, v21, v30 op_sel:[0,0,1] op_sel_hi:[1,0,1]
	v_cvt_f32_i32_e32 v30, v169
	v_cvt_f32_i32_e32 v154, v173
	v_fma_mix_f32 v38, v156, v38, v156 op_sel:[0,0,1] op_sel_hi:[1,0,1]
	v_cvt_f32_i32_e32 v155, v164
	v_fma_mix_f32 v40, v157, v40, v157 op_sel:[0,0,1] op_sel_hi:[1,0,1]
	v_cvt_f32_i32_e32 v156, v172
	v_cvt_f32_i32_e32 v157, v174
	v_fma_mix_f32 v158, v158, v160, v158 op_sel:[0,0,1] op_sel_hi:[1,0,1]
	v_cvt_f32_i32_e32 v160, v166
	v_cvt_f32_i32_e32 v161, v168
	v_fma_mix_f32 v29, v175, v29, v175 op_sel:[0,0,1] op_sel_hi:[1,0,1]
	v_fma_mix_f32 v30, v182, v30, v182 op_sel:[0,0,1] op_sel_hi:[1,0,1]
	v_fma_mix_f32 v32, v176, v32, v176 op_sel:[0,0,1] op_sel_hi:[1,0,1]
	v_fma_mix_f32 v34, v183, v34, v183 op_sel:[0,0,1] op_sel_hi:[1,0,1]
	v_fma_mix_f32 v153, v177, v153, v177 op_sel:[0,0,1] op_sel_hi:[1,0,1]
	v_fma_mix_f32 v154, v184, v154, v184 op_sel:[0,0,1] op_sel_hi:[1,0,1]
	v_fma_mix_f32 v155, v185, v155, v185 op_sel:[0,0,1] op_sel_hi:[1,0,1]
	v_fma_mix_f32 v156, v186, v156, v186 op_sel:[0,0,1] op_sel_hi:[1,0,1]
	v_fma_mix_f32 v157, v193, v157, v193 op_sel:[0,0,1] op_sel_hi:[1,0,1]
	v_fma_mix_f32 v160, v180, v160, v180 op_sel:[0,0,1] op_sel_hi:[1,0,1]
	v_fma_mix_f32 v161, v187, v161, v187 op_sel:[0,0,1] op_sel_hi:[1,0,1]
	v_fma_mix_f32 v42, v159, v42, v159 op_sel:[0,0,1] op_sel_hi:[1,0,1]
	v_fma_mix_f32 v27, v27, v31, v27 op_sel:[0,0,1] op_sel_hi:[1,0,1]
	v_add_f32_e32 v126, v126, v21
	v_add_f32_e32 v137, v137, v29
	v_dual_add_f32 v143, v143, v30 :: v_dual_add_f32 v120, v120, v24
	v_dual_add_f32 v134, v134, v32 :: v_dual_add_f32 v141, v141, v34
	v_add_f32_e32 v114, v114, v37
	v_add_f32_e32 v128, v128, v153
	;; [unrolled: 1-line block ×3, first 2 shown]
	v_dual_add_f32 v109, v109, v38 :: v_dual_add_f32 v122, v122, v39
	v_dual_add_f32 v135, v135, v155 :: v_dual_add_f32 v142, v142, v28
	v_add_f32_e32 v104, v104, v40
	v_add_f32_e32 v116, v116, v41
	v_dual_add_f32 v130, v130, v156 :: v_dual_add_f32 v139, v139, v157
	v_add_f32_e32 v101, v101, v158
	v_dual_add_f32 v111, v111, v160 :: v_dual_add_f32 v124, v124, v161
	v_add_f32_e32 v136, v136, v152
	v_add_f32_e32 v100, v100, v42
	;; [unrolled: 1-line block ×5, first 2 shown]
	s_add_co_i32 s11, s10, 4
	s_cmp_lt_u32 s10, 12
	s_wait_alu 0xfffe
	s_mov_b32 s10, s11
	s_cbranch_scc1 .LBB144_8
; %bb.9:                                ;   in Loop: Header=BB144_6 Depth=1
	s_and_b32 s10, s7, -4
	s_wait_loadcnt 0x0
	s_wait_alu 0xfffe
	s_cmp_eq_u32 s10, 4
	s_barrier_signal -1
	s_barrier_wait -1
	global_inv scope:SCOPE_SE
	s_cbranch_scc1 .LBB144_5
; %bb.10:                               ;   in Loop: Header=BB144_6 Depth=1
	v_add_nc_u32_e32 v31, s4, v99
	v_add_nc_u32_e32 v37, 4, v151
	s_mov_b32 s10, 16
	s_delay_alu instid0(VALU_DEP_2)
	v_add_nc_u32_e32 v32, v31, v78
	v_add_nc_u32_e32 v21, v31, v71
	v_add_nc_u32_e32 v23, v31, v72
	v_add_nc_u32_e32 v25, v31, v73
	v_add_nc_u32_e32 v27, v31, v74
	v_add_nc_u32_e32 v29, v31, v75
	v_add_nc_u32_e32 v33, v31, v76
	v_add_nc_u32_e32 v35, v31, v77
	v_mad_co_i64_i32 v[31:32], null, v32, 36, v[19:20]
	v_mad_co_i64_i32 v[21:22], null, v21, 36, v[19:20]
	;; [unrolled: 1-line block ×8, first 2 shown]
	v_mad_co_u64_u32 v[37:38], null, v37, 36, s[2:3]
	s_clause 0x8
	global_load_b32 v31, v[31:32], off offset:4
	global_load_b32 v21, v[21:22], off offset:4
	;; [unrolled: 1-line block ×8, first 2 shown]
	global_load_b32 v28, v[37:38], off
	s_wait_loadcnt 0x8
	ds_store_b32 v121, v31
	s_wait_loadcnt 0x7
	ds_store_b32 v108, v21
	s_wait_loadcnt 0x6
	ds_store_b32 v110, v22
	s_wait_loadcnt 0x5
	ds_store_b32 v112, v23
	s_wait_loadcnt 0x4
	ds_store_b32 v113, v24
	s_wait_loadcnt 0x3
	ds_store_b32 v115, v25
	s_wait_loadcnt 0x2
	ds_store_b32 v117, v26
	s_wait_loadcnt 0x1
	ds_store_b32 v119, v27
	s_wait_loadcnt 0x0
	ds_store_b32 v0, v28
	s_wait_dscnt 0x0
	s_barrier_signal -1
	s_barrier_wait -1
	global_inv scope:SCOPE_SE
.LBB144_11:                             ;   Parent Loop BB144_6 Depth=1
                                        ; =>  This Inner Loop Header: Depth=2
	s_wait_alu 0xfffe
	s_lshl_b32 s11, s10, 3
	s_wait_alu 0xfffe
	s_and_b32 s16, s11, 0x60
	v_add_nc_u32_e32 v195, s11, v96
	s_wait_alu 0xfffe
	s_or_b32 s16, s16, 0x8200
	v_add_nc_u32_e32 v196, s11, v97
	s_wait_alu 0xfffe
	v_lshl_add_u32 v151, v81, 2, s16
	v_lshl_add_u32 v152, v83, 2, s16
	;; [unrolled: 1-line block ×5, first 2 shown]
	ds_load_2addr_b32 v[21:22], v151 offset0:3 offset1:4
	ds_load_2addr_b32 v[160:161], v152 offset0:1 offset1:2
	;; [unrolled: 1-line block ×4, first 2 shown]
	v_lshl_add_u32 v155, v89, 2, s16
	v_add_nc_u32_e32 v197, s11, v98
	v_lshl_add_u32 v157, v93, 2, s16
	v_add_nc_u32_e32 v194, s11, v95
	s_and_b32 s11, s10, 12
	ds_load_2addr_b32 v[164:165], v154 offset0:1 offset1:2
	ds_load_2addr_b32 v[168:169], v156 offset0:1 offset1:2
	s_wait_alu 0xfffe
	s_or_b32 s11, s11, 0xb280
	ds_load_2addr_b32 v[166:167], v155 offset0:1 offset1:2
	s_wait_dscnt 0x6
	v_lshlrev_b32_e32 v23, 16, v22
	v_lshlrev_b32_e32 v24, 8, v22
	v_perm_b32 v22, v22, v22, 0xc0c0003
	s_delay_alu instid0(VALU_DEP_2)
	v_perm_b32 v27, v24, v23, 0x7030c0c
	s_wait_dscnt 0x3
	v_lshlrev_b32_e32 v23, 16, v158
	v_lshlrev_b32_e32 v24, 8, v158
	s_wait_dscnt 0x2
	v_lshlrev_b32_e32 v37, 8, v164
	v_or_b32_e32 v22, v27, v22
	v_perm_b32 v27, v158, v158, 0xc0c0003
	v_perm_b32 v30, v24, v23, 0x7030c0c
	ds_load_2addr_b32 v[23:24], v152 offset0:3 offset1:4
	v_or_b32_e32 v158, v30, v27
	v_perm_b32 v27, v160, v160, 0xc0c0003
	s_wait_dscnt 0x0
	v_lshlrev_b32_e32 v25, 16, v24
	v_lshlrev_b32_e32 v26, 8, v24
	v_perm_b32 v24, v24, v24, 0xc0c0003
	s_delay_alu instid0(VALU_DEP_2) | instskip(SKIP_2) | instid1(VALU_DEP_3)
	v_perm_b32 v31, v26, v25, 0x7030c0c
	v_lshlrev_b32_e32 v25, 16, v160
	v_lshlrev_b32_e32 v26, 8, v160
	v_or_b32_e32 v24, v31, v24
	s_delay_alu instid0(VALU_DEP_2)
	v_perm_b32 v32, v26, v25, 0x7030c0c
	ds_load_2addr_b32 v[25:26], v153 offset0:3 offset1:4
	v_or_b32_e32 v160, v32, v27
	ds_load_2addr_b32 v[31:32], v195 offset1:1
	s_wait_dscnt 0x1
	v_lshlrev_b32_e32 v28, 16, v26
	v_lshlrev_b32_e32 v29, 8, v26
	v_perm_b32 v26, v26, v26, 0xc0c0003
	s_delay_alu instid0(VALU_DEP_2) | instskip(SKIP_2) | instid1(VALU_DEP_3)
	v_perm_b32 v33, v29, v28, 0x7030c0c
	v_lshlrev_b32_e32 v28, 16, v162
	v_lshlrev_b32_e32 v29, 8, v162
	v_or_b32_e32 v30, v33, v26
	v_perm_b32 v26, v162, v162, 0xc0c0003
	s_delay_alu instid0(VALU_DEP_3)
	v_perm_b32 v34, v29, v28, 0x7030c0c
	ds_load_2addr_b32 v[28:29], v154 offset0:3 offset1:4
	v_or_b32_e32 v162, v34, v26
	ds_load_2addr_b32 v[33:34], v196 offset1:1
	s_wait_dscnt 0x1
	v_lshlrev_b32_e32 v35, 16, v29
	v_lshlrev_b32_e32 v36, 8, v29
	v_perm_b32 v26, v29, v29, 0xc0c0003
	s_delay_alu instid0(VALU_DEP_2) | instskip(SKIP_1) | instid1(VALU_DEP_2)
	v_perm_b32 v35, v36, v35, 0x7030c0c
	v_lshlrev_b32_e32 v36, 16, v164
	v_or_b32_e32 v29, v35, v26
	s_delay_alu instid0(VALU_DEP_2) | instskip(SKIP_2) | instid1(VALU_DEP_1)
	v_perm_b32 v36, v37, v36, 0x7030c0c
	ds_load_2addr_b32 v[37:38], v155 offset0:3 offset1:4
	v_perm_b32 v26, v164, v164, 0xc0c0003
	v_or_b32_e32 v164, v36, v26
	ds_load_2addr_b32 v[35:36], v197 offset1:1
	s_wait_dscnt 0x1
	v_lshlrev_b32_e32 v39, 16, v38
	v_lshlrev_b32_e32 v40, 8, v38
	v_perm_b32 v26, v38, v38, 0xc0c0003
	s_delay_alu instid0(VALU_DEP_2) | instskip(SKIP_2) | instid1(VALU_DEP_3)
	v_perm_b32 v172, v40, v39, 0x7030c0c
	v_lshlrev_b32_e32 v39, 16, v166
	v_lshlrev_b32_e32 v40, 8, v166
	v_or_b32_e32 v38, v172, v26
	v_perm_b32 v26, v166, v166, 0xc0c0003
	s_delay_alu instid0(VALU_DEP_3) | instskip(SKIP_3) | instid1(VALU_DEP_1)
	v_perm_b32 v173, v40, v39, 0x7030c0c
	ds_load_2addr_b32 v[39:40], v156 offset0:3 offset1:4
	v_or_b32_e32 v166, v173, v26
	v_perm_b32 v173, v32, v32, 0x2010003
	v_dot4_i32_iu8 v180, v24, v173, 0 neg_lo:[1,1,0]
	v_dot4_i32_iu8 v183, v30, v173, 0 neg_lo:[1,1,0]
	v_dot4_i32_iu8 v187, v29, v173, 0 neg_lo:[1,1,0]
	v_dot4_i32_iu8 v191, v38, v173, 0 neg_lo:[1,1,0]
	s_wait_dscnt 0x0
	v_lshlrev_b32_e32 v41, 16, v40
	v_lshlrev_b32_e32 v42, 8, v40
	v_perm_b32 v26, v40, v40, 0xc0c0003
	s_delay_alu instid0(VALU_DEP_2) | instskip(SKIP_2) | instid1(VALU_DEP_3)
	v_perm_b32 v174, v42, v41, 0x7030c0c
	v_lshlrev_b32_e32 v41, 16, v168
	v_lshlrev_b32_e32 v42, 8, v168
	v_or_b32_e32 v40, v174, v26
	v_perm_b32 v26, v168, v168, 0xc0c0003
	s_delay_alu instid0(VALU_DEP_3)
	v_perm_b32 v175, v42, v41, 0x7030c0c
	ds_load_2addr_b32 v[41:42], v157 offset0:3 offset1:4
	v_perm_b32 v174, v34, v34, 0x2010003
	v_dot4_i32_iu8 v198, v40, v173, 0 neg_lo:[1,1,0]
	v_or_b32_e32 v168, v175, v26
	v_perm_b32 v175, v36, v36, 0x2010003
	s_delay_alu instid0(VALU_DEP_4)
	v_dot4_i32_iu8 v184, v30, v174, 0 neg_lo:[1,1,0]
	v_dot4_i32_iu8 v188, v29, v174, 0 neg_lo:[1,1,0]
	;; [unrolled: 1-line block ×7, first 2 shown]
	s_wait_dscnt 0x0
	v_lshlrev_b32_e32 v170, 16, v42
	v_lshlrev_b32_e32 v171, 8, v42
	v_perm_b32 v26, v42, v42, 0xc0c0003
	s_delay_alu instid0(VALU_DEP_2) | instskip(SKIP_2) | instid1(VALU_DEP_1)
	v_perm_b32 v176, v171, v170, 0x7030c0c
	ds_load_2addr_b32 v[170:171], v157 offset0:1 offset1:2
	v_or_b32_e32 v42, v176, v26
	v_dot4_i32_iu8 v201, v42, v173, 0 neg_lo:[1,1,0]
	v_dot4_i32_iu8 v202, v42, v174, 0 neg_lo:[1,1,0]
	s_wait_dscnt 0x0
	v_lshlrev_b32_e32 v177, 16, v170
	v_lshlrev_b32_e32 v178, 8, v170
	v_perm_b32 v26, v170, v170, 0xc0c0003
	s_delay_alu instid0(VALU_DEP_2) | instskip(SKIP_1) | instid1(VALU_DEP_2)
	v_perm_b32 v177, v178, v177, 0x7030c0c
	v_dot4_i32_iu8 v178, v22, v174, 0 neg_lo:[1,1,0]
	v_or_b32_e32 v170, v177, v26
	ds_load_2addr_b32 v[26:27], v194 offset1:1
	v_dot4_i32_iu8 v177, v22, v173, 0 neg_lo:[1,1,0]
	s_wait_dscnt 0x0
	v_perm_b32 v172, v27, v27, 0x2010003
	s_delay_alu instid0(VALU_DEP_1)
	v_dot4_i32_iu8 v176, v22, v172, 0 neg_lo:[1,1,0]
	v_dot4_i32_iu8 v179, v24, v172, 0 neg_lo:[1,1,0]
	;; [unrolled: 1-line block ×7, first 2 shown]
	ds_load_2addr_b32 v[29:30], v194 offset0:2 offset1:3
	ds_load_2addr_b32 v[172:173], v195 offset0:2 offset1:3
	v_dot4_i32_iu8 v22, v22, v175, 0 neg_lo:[1,1,0]
	v_dot4_i32_iu8 v24, v24, v175, 0 neg_lo:[1,1,0]
	;; [unrolled: 1-line block ×5, first 2 shown]
	ds_load_2addr_b32 v[174:175], v196 offset0:2 offset1:3
	s_wait_dscnt 0x2
	v_perm_b32 v203, v29, v29, 0x2010003
	s_wait_dscnt 0x1
	v_perm_b32 v205, v172, v172, 0x2010003
	s_delay_alu instid0(VALU_DEP_2) | instskip(NEXT) | instid1(VALU_DEP_2)
	v_dot4_i32_iu8 v204, v158, v203, v176 neg_lo:[1,1,0]
	v_dot4_i32_iu8 v206, v158, v205, v177 neg_lo:[1,1,0]
	ds_load_2addr_b32 v[176:177], v197 offset0:2 offset1:3
	s_wait_dscnt 0x1
	v_perm_b32 v207, v174, v174, 0x2010003
	v_dot4_i32_iu8 v216, v166, v203, v190 neg_lo:[1,1,0]
	v_dot4_i32_iu8 v217, v166, v205, v191 neg_lo:[1,1,0]
	;; [unrolled: 1-line block ×13, first 2 shown]
	v_perm_b32 v224, v175, v175, 0x2010003
	s_wait_dscnt 0x0
	v_perm_b32 v178, v176, v176, 0x2010003
	v_perm_b32 v225, v177, v177, 0x2010003
	s_delay_alu instid0(VALU_DEP_2)
	v_dot4_i32_iu8 v38, v166, v178, v38 neg_lo:[1,1,0]
	v_dot4_i32_iu8 v166, v168, v203, v193 neg_lo:[1,1,0]
	;; [unrolled: 1-line block ×7, first 2 shown]
	v_lshl_add_u32 v170, v79, 2, s16
	v_dot4_i32_iu8 v22, v158, v178, v22 neg_lo:[1,1,0]
	v_dot4_i32_iu8 v158, v160, v203, v179 neg_lo:[1,1,0]
	;; [unrolled: 1-line block ×6, first 2 shown]
	ds_load_2addr_b32 v[178:179], v170 offset0:3 offset1:4
	s_add_co_i32 s16, s10, 0xa200
	s_wait_dscnt 0x0
	v_lshlrev_b32_e32 v202, 8, v179
	v_lshlrev_b32_e32 v203, 24, v179
	v_lshlrev_b32_e32 v205, 16, v179
	s_delay_alu instid0(VALU_DEP_3) | instskip(NEXT) | instid1(VALU_DEP_2)
	v_perm_b32 v180, v179, v202, 0x7030c0c
	v_perm_b32 v181, v205, v203, 0xc0c0703
	s_delay_alu instid0(VALU_DEP_1)
	v_or_b32_e32 v186, v180, v181
	ds_load_2addr_b32 v[180:181], v170 offset0:1 offset1:2
	s_wait_dscnt 0x0
	v_lshlrev_b32_e32 v207, 8, v180
	v_lshlrev_b32_e32 v219, 24, v180
	v_lshlrev_b32_e32 v220, 16, v180
	s_delay_alu instid0(VALU_DEP_3) | instskip(NEXT) | instid1(VALU_DEP_2)
	v_perm_b32 v182, v180, v207, 0x7030c0c
	v_perm_b32 v183, v220, v219, 0xc0c0703
	s_delay_alu instid0(VALU_DEP_1)
	v_or_b32_e32 v187, v182, v183
	ds_load_2addr_b32 v[182:183], v170 offset0:5 offset1:6
	s_wait_dscnt 0x0
	v_lshlrev_b32_e32 v221, 8, v182
	v_lshlrev_b32_e32 v222, 24, v182
	;; [unrolled: 1-line block ×3, first 2 shown]
	v_perm_b32 v180, v182, v180, 0x7030c0c
	s_delay_alu instid0(VALU_DEP_4) | instskip(SKIP_1) | instid1(VALU_DEP_4)
	v_perm_b32 v184, v182, v221, 0x7030c0c
	v_lshlrev_b32_e32 v182, 16, v181
	v_perm_b32 v185, v223, v222, 0xc0c0703
	s_delay_alu instid0(VALU_DEP_1) | instskip(SKIP_3) | instid1(VALU_DEP_1)
	v_or_b32_e32 v188, v184, v185
	ds_load_2addr_b32 v[184:185], v170 offset1:7
	s_wait_dscnt 0x0
	v_dot4_i32_iu8 v170, v184, v31, 0 neg_lo:[1,1,0]
	v_dot4_i32_iu8 v32, v186, v32, v170 neg_lo:[1,1,0]
	v_perm_b32 v170, v173, v173, 0x2010003
	s_delay_alu instid0(VALU_DEP_2) | instskip(SKIP_1) | instid1(VALU_DEP_2)
	v_dot4_i32_iu8 v32, v187, v172, v32 neg_lo:[1,1,0]
	v_dot4_i32_iu8 v172, v184, v33, 0 neg_lo:[1,1,0]
	;; [unrolled: 1-line block ×3, first 2 shown]
	s_delay_alu instid0(VALU_DEP_2) | instskip(SKIP_1) | instid1(VALU_DEP_2)
	v_dot4_i32_iu8 v34, v186, v34, v172 neg_lo:[1,1,0]
	v_dot4_i32_iu8 v172, v184, v35, 0 neg_lo:[1,1,0]
	;; [unrolled: 1-line block ×3, first 2 shown]
	s_delay_alu instid0(VALU_DEP_2) | instskip(SKIP_3) | instid1(VALU_DEP_1)
	v_dot4_i32_iu8 v36, v186, v36, v172 neg_lo:[1,1,0]
	ds_load_2addr_b32 v[172:173], v151 offset0:5 offset1:6
	v_dot4_i32_iu8 v34, v188, v175, v34 neg_lo:[1,1,0]
	v_dot4_i32_iu8 v36, v187, v176, v36 neg_lo:[1,1,0]
	;; [unrolled: 1-line block ×3, first 2 shown]
	s_wait_dscnt 0x0
	v_lshlrev_b32_e32 v174, 16, v172
	v_lshlrev_b32_e32 v175, 8, v172
	v_perm_b32 v172, v172, v172, 0xc0c0003
	s_delay_alu instid0(VALU_DEP_2) | instskip(SKIP_3) | instid1(VALU_DEP_2)
	v_perm_b32 v226, v175, v174, 0x7030c0c
	ds_load_2addr_b32 v[174:175], v152 offset0:5 offset1:6
	v_or_b32_e32 v172, v226, v172
	v_perm_b32 v226, v30, v30, 0x2010003
	v_dot4_i32_iu8 v206, v172, v170, v206 neg_lo:[1,1,0]
	s_delay_alu instid0(VALU_DEP_2)
	v_dot4_i32_iu8 v204, v172, v226, v204 neg_lo:[1,1,0]
	v_dot4_i32_iu8 v208, v172, v224, v208 neg_lo:[1,1,0]
	v_dot4_i32_iu8 v22, v172, v225, v22 neg_lo:[1,1,0]
	s_wait_dscnt 0x0
	v_lshlrev_b32_e32 v176, 16, v174
	v_lshlrev_b32_e32 v177, 8, v174
	v_perm_b32 v174, v174, v174, 0xc0c0003
	s_delay_alu instid0(VALU_DEP_2) | instskip(SKIP_3) | instid1(VALU_DEP_2)
	v_perm_b32 v227, v177, v176, 0x7030c0c
	ds_load_2addr_b32 v[176:177], v153 offset0:5 offset1:6
	v_or_b32_e32 v174, v227, v174
	v_lshlrev_b32_e32 v227, 8, v169
	v_dot4_i32_iu8 v172, v174, v226, v158 neg_lo:[1,1,0]
	v_dot4_i32_iu8 v209, v174, v170, v209 neg_lo:[1,1,0]
	;; [unrolled: 1-line block ×4, first 2 shown]
	v_lshlrev_b32_e32 v158, 16, v159
	s_wait_dscnt 0x0
	v_lshlrev_b32_e32 v186, 16, v176
	v_lshlrev_b32_e32 v187, 8, v176
	v_perm_b32 v176, v176, v176, 0xc0c0003
	s_delay_alu instid0(VALU_DEP_2) | instskip(SKIP_3) | instid1(VALU_DEP_2)
	v_perm_b32 v228, v187, v186, 0x7030c0c
	ds_load_2addr_b32 v[186:187], v154 offset0:5 offset1:6
	v_or_b32_e32 v176, v228, v176
	v_lshlrev_b32_e32 v228, 16, v171
	v_dot4_i32_iu8 v174, v176, v226, v160 neg_lo:[1,1,0]
	v_dot4_i32_iu8 v211, v176, v170, v211 neg_lo:[1,1,0]
	v_dot4_i32_iu8 v212, v176, v224, v212 neg_lo:[1,1,0]
	v_dot4_i32_iu8 v176, v176, v225, v162 neg_lo:[1,1,0]
	v_lshlrev_b32_e32 v160, 8, v159
	v_lshlrev_b32_e32 v162, 16, v161
	v_perm_b32 v159, v159, v159, 0xc0c0003
	s_delay_alu instid0(VALU_DEP_3) | instskip(SKIP_4) | instid1(VALU_DEP_2)
	v_perm_b32 v158, v160, v158, 0x7030c0c
	s_wait_dscnt 0x0
	v_lshlrev_b32_e32 v188, 16, v186
	v_lshlrev_b32_e32 v189, 8, v186
	v_perm_b32 v186, v186, v186, 0xc0c0003
	v_perm_b32 v229, v189, v188, 0x7030c0c
	ds_load_2addr_b32 v[188:189], v155 offset0:5 offset1:6
	v_or_b32_e32 v186, v229, v186
	v_lshlrev_b32_e32 v229, 8, v171
	v_perm_b32 v171, v171, v171, 0xc0c0003
	s_delay_alu instid0(VALU_DEP_3)
	v_dot4_i32_iu8 v213, v186, v226, v213 neg_lo:[1,1,0]
	v_dot4_i32_iu8 v214, v186, v170, v214 neg_lo:[1,1,0]
	v_dot4_i32_iu8 v215, v186, v224, v215 neg_lo:[1,1,0]
	v_dot4_i32_iu8 v186, v186, v225, v164 neg_lo:[1,1,0]
	v_lshlrev_b32_e32 v164, 8, v161
	v_perm_b32 v161, v161, v161, 0xc0c0003
	s_delay_alu instid0(VALU_DEP_2) | instskip(SKIP_4) | instid1(VALU_DEP_2)
	v_perm_b32 v160, v164, v162, 0x7030c0c
	s_wait_dscnt 0x0
	v_lshlrev_b32_e32 v190, 16, v188
	v_lshlrev_b32_e32 v191, 8, v188
	v_perm_b32 v188, v188, v188, 0xc0c0003
	v_perm_b32 v230, v191, v190, 0x7030c0c
	ds_load_2addr_b32 v[190:191], v156 offset0:5 offset1:6
	v_or_b32_e32 v188, v230, v188
	s_delay_alu instid0(VALU_DEP_1)
	v_dot4_i32_iu8 v216, v188, v226, v216 neg_lo:[1,1,0]
	v_dot4_i32_iu8 v217, v188, v170, v217 neg_lo:[1,1,0]
	;; [unrolled: 1-line block ×4, first 2 shown]
	s_wait_dscnt 0x0
	v_lshlrev_b32_e32 v192, 16, v190
	v_lshlrev_b32_e32 v193, 8, v190
	v_perm_b32 v190, v190, v190, 0xc0c0003
	s_delay_alu instid0(VALU_DEP_2) | instskip(SKIP_2) | instid1(VALU_DEP_1)
	v_perm_b32 v231, v193, v192, 0x7030c0c
	ds_load_2addr_b32 v[192:193], v157 offset0:5 offset1:6
	v_or_b32_e32 v190, v231, v190
	v_dot4_i32_iu8 v166, v190, v226, v166 neg_lo:[1,1,0]
	v_dot4_i32_iu8 v188, v190, v170, v198 neg_lo:[1,1,0]
	v_dot4_i32_iu8 v198, v190, v224, v199 neg_lo:[1,1,0]
	v_dot4_i32_iu8 v40, v190, v225, v40 neg_lo:[1,1,0]
	v_lshlrev_b32_e32 v199, 8, v163
	s_wait_dscnt 0x0
	v_lshlrev_b32_e32 v232, 16, v192
	v_lshlrev_b32_e32 v233, 8, v192
	v_perm_b32 v192, v192, v192, 0xc0c0003
	v_lshlrev_b32_e32 v230, 16, v193
	v_lshlrev_b32_e32 v231, 8, v193
	v_perm_b32 v193, v193, v193, 0xc0c0003
	v_perm_b32 v232, v233, v232, 0x7030c0c
	s_delay_alu instid0(VALU_DEP_1) | instskip(NEXT) | instid1(VALU_DEP_1)
	v_or_b32_e32 v192, v232, v192
	v_dot4_i32_iu8 v168, v192, v226, v168 neg_lo:[1,1,0]
	v_dot4_i32_iu8 v170, v192, v170, v200 neg_lo:[1,1,0]
	;; [unrolled: 1-line block ×4, first 2 shown]
	v_lshlrev_b32_e32 v192, 16, v163
	v_lshlrev_b32_e32 v200, 16, v165
	;; [unrolled: 1-line block ×5, first 2 shown]
	v_perm_b32 v163, v163, v163, 0xc0c0003
	v_perm_b32 v165, v165, v165, 0xc0c0003
	v_lshlrev_b32_e32 v226, 16, v169
	v_perm_b32 v162, v199, v192, 0x7030c0c
	v_perm_b32 v164, v201, v200, 0x7030c0c
	;; [unrolled: 1-line block ×3, first 2 shown]
	v_or_b32_e32 v201, v158, v159
	v_or_b32_e32 v224, v160, v161
	ds_load_2addr_b32 v[158:159], v194 offset0:4 offset1:5
	ds_load_2addr_b32 v[160:161], v195 offset0:4 offset1:5
	v_perm_b32 v199, v227, v226, 0x7030c0c
	v_or_b32_e32 v225, v162, v163
	v_or_b32_e32 v226, v164, v165
	ds_load_2addr_b32 v[162:163], v196 offset0:4 offset1:5
	ds_load_2addr_b32 v[164:165], v197 offset0:4 offset1:5
	v_perm_b32 v167, v167, v167, 0xc0c0003
	v_perm_b32 v200, v229, v228, 0x7030c0c
	;; [unrolled: 1-line block ×3, first 2 shown]
	v_lshlrev_b32_e32 v228, 16, v191
	v_lshlrev_b32_e32 v229, 8, v191
	v_or_b32_e32 v167, v192, v167
	v_or_b32_e32 v171, v200, v171
	;; [unrolled: 1-line block ×3, first 2 shown]
	v_perm_b32 v191, v191, v191, 0xc0c0003
	s_wait_dscnt 0x3
	v_perm_b32 v192, v158, v158, 0x2010003
	s_wait_dscnt 0x2
	v_perm_b32 v200, v160, v160, 0x2010003
	s_delay_alu instid0(VALU_DEP_2) | instskip(NEXT) | instid1(VALU_DEP_2)
	v_dot4_i32_iu8 v199, v201, v192, v204 neg_lo:[1,1,0]
	v_dot4_i32_iu8 v204, v201, v200, v206 neg_lo:[1,1,0]
	s_wait_dscnt 0x1
	v_perm_b32 v206, v162, v162, 0x2010003
	s_wait_dscnt 0x0
	v_perm_b32 v227, v164, v164, 0x2010003
	v_dot4_i32_iu8 v166, v169, v192, v166 neg_lo:[1,1,0]
	v_dot4_i32_iu8 v168, v171, v192, v168 neg_lo:[1,1,0]
	;; [unrolled: 1-line block ×22, first 2 shown]
	v_lshlrev_b32_e32 v171, 8, v181
	v_lshlrev_b32_e32 v190, 24, v181
	v_dot4_i32_iu8 v174, v225, v192, v174 neg_lo:[1,1,0]
	v_perm_b32 v192, v183, v181, 0xc0c0703
	v_lshlrev_b32_e32 v198, 8, v183
	v_perm_b32 v181, v181, v171, 0x7030c0c
	v_lshlrev_b32_e32 v200, 16, v183
	v_lshlrev_b32_e32 v206, 24, v183
	v_perm_b32 v218, v182, v190, 0xc0c0703
	v_perm_b32 v183, v183, v198, 0x7030c0c
	v_dot4_i32_iu8 v24, v224, v227, v24 neg_lo:[1,1,0]
	v_dot4_i32_iu8 v176, v225, v227, v176 neg_lo:[1,1,0]
	;; [unrolled: 1-line block ×3, first 2 shown]
	v_or_b32_e32 v181, v181, v218
	v_perm_b32 v218, v200, v206, 0xc0c0703
	v_lshlrev_b32_e32 v224, 16, v187
	v_lshlrev_b32_e32 v225, 8, v187
	;; [unrolled: 1-line block ×3, first 2 shown]
	v_dot4_i32_iu8 v32, v181, v160, v32 neg_lo:[1,1,0]
	v_or_b32_e32 v183, v183, v218
	v_dot4_i32_iu8 v34, v181, v162, v34 neg_lo:[1,1,0]
	v_dot4_i32_iu8 v36, v181, v164, v36 neg_lo:[1,1,0]
	v_perm_b32 v160, v161, v161, 0x2010003
	v_lshlrev_b32_e32 v164, 8, v173
	v_dot4_i32_iu8 v32, v183, v161, v32 neg_lo:[1,1,0]
	v_dot4_i32_iu8 v34, v183, v163, v34 neg_lo:[1,1,0]
	v_perm_b32 v161, v163, v163, 0x2010003
	v_dot4_i32_iu8 v162, v183, v165, v36 neg_lo:[1,1,0]
	v_perm_b32 v36, v165, v165, 0x2010003
	v_lshlrev_b32_e32 v163, 16, v173
	v_perm_b32 v165, v173, v173, 0xc0c0003
	v_lshlrev_b32_e32 v173, 16, v175
	v_lshlrev_b32_e32 v181, 8, v175
	;; [unrolled: 1-line block ×5, first 2 shown]
	v_perm_b32 v175, v175, v175, 0xc0c0003
	v_perm_b32 v177, v177, v177, 0xc0c0003
	;; [unrolled: 1-line block ×11, first 2 shown]
	v_or_b32_e32 v163, v163, v165
	v_or_b32_e32 v164, v164, v175
	;; [unrolled: 1-line block ×7, first 2 shown]
	v_perm_b32 v183, v159, v159, 0x2010003
	v_dot4_i32_iu8 v189, v163, v160, v204 neg_lo:[1,1,0]
	v_dot4_i32_iu8 v191, v163, v161, v208 neg_lo:[1,1,0]
	;; [unrolled: 1-line block ×28, first 2 shown]
	v_lshlrev_b32_e32 v22, 16, v21
	v_lshlrev_b32_e32 v24, 8, v21
	;; [unrolled: 1-line block ×12, first 2 shown]
	v_perm_b32 v21, v21, v21, 0xc0c0003
	v_perm_b32 v23, v23, v23, 0xc0c0003
	v_perm_b32 v25, v25, v25, 0xc0c0003
	v_perm_b32 v28, v28, v28, 0xc0c0003
	v_perm_b32 v37, v37, v37, 0xc0c0003
	v_perm_b32 v39, v39, v39, 0xc0c0003
	v_perm_b32 v22, v24, v22, 0x7030c0c
	v_perm_b32 v24, v38, v36, 0x7030c0c
	v_perm_b32 v36, v170, v169, 0x7030c0c
	v_perm_b32 v38, v181, v177, 0x7030c0c
	v_perm_b32 v169, v212, v183, 0x7030c0c
	v_perm_b32 v170, v214, v213, 0x7030c0c
	v_or_b32_e32 v181, v22, v21
	v_or_b32_e32 v183, v24, v23
	;; [unrolled: 1-line block ×6, first 2 shown]
	ds_load_2addr_b32 v[21:22], v194 offset0:6 offset1:7
	ds_load_2addr_b32 v[23:24], v195 offset0:6 offset1:7
	;; [unrolled: 1-line block ×4, first 2 shown]
	v_lshlrev_b32_e32 v215, 16, v41
	v_lshlrev_b32_e32 v216, 8, v41
	v_perm_b32 v41, v41, v41, 0xc0c0003
	v_perm_b32 v171, v198, v171, 0xc0c0703
	s_delay_alu instid0(VALU_DEP_3) | instskip(NEXT) | instid1(VALU_DEP_1)
	v_perm_b32 v177, v216, v215, 0x7030c0c
	v_or_b32_e32 v41, v177, v41
	s_wait_dscnt 0x3
	v_perm_b32 v177, v21, v21, 0x2010003
	s_wait_dscnt 0x2
	v_perm_b32 v194, v23, v23, 0x2010003
	;; [unrolled: 2-line block ×4, first 2 shown]
	v_dot4_i32_iu8 v187, v181, v177, v187 neg_lo:[1,1,0]
	v_dot4_i32_iu8 v189, v181, v194, v189 neg_lo:[1,1,0]
	;; [unrolled: 1-line block ×3, first 2 shown]
	s_delay_alu instid0(VALU_DEP_4)
	v_dot4_i32_iu8 v163, v181, v196, v163 neg_lo:[1,1,0]
	v_dot4_i32_iu8 v172, v183, v177, v172 neg_lo:[1,1,0]
	;; [unrolled: 1-line block ×22, first 2 shown]
	v_lshlrev_b32_e32 v177, 8, v178
	v_lshlrev_b32_e32 v188, 16, v178
	;; [unrolled: 1-line block ×3, first 2 shown]
	v_dot4_i32_iu8 v170, v170, v196, v40 neg_lo:[1,1,0]
	v_dot4_i32_iu8 v161, v41, v195, v161 neg_lo:[1,1,0]
	;; [unrolled: 1-line block ×3, first 2 shown]
	v_perm_b32 v40, v178, v177, 0x7030c0c
	v_perm_b32 v41, v188, v194, 0xc0c0703
	v_lshlrev_b32_e32 v195, 8, v185
	v_lshlrev_b32_e32 v196, 16, v185
	;; [unrolled: 1-line block ×3, first 2 shown]
	v_perm_b32 v209, v37, v37, 0x2010003
	v_or_b32_e32 v40, v40, v41
	v_perm_b32 v41, v185, v195, 0x7030c0c
	v_perm_b32 v210, v39, v39, 0x2010003
	v_perm_b32 v208, v196, v204, 0xc0c0703
	s_delay_alu instid0(VALU_DEP_4) | instskip(NEXT) | instid1(VALU_DEP_2)
	v_dot4_i32_iu8 v23, v40, v23, v32 neg_lo:[1,1,0]
	v_or_b32_e32 v41, v41, v208
	v_perm_b32 v208, v24, v24, 0x2010003
	s_delay_alu instid0(VALU_DEP_2) | instskip(SKIP_1) | instid1(VALU_DEP_1)
	v_dot4_i32_iu8 v32, v41, v24, v23 neg_lo:[1,1,0]
	v_dot4_i32_iu8 v23, v40, v36, v34 neg_lo:[1,1,0]
	;; [unrolled: 1-line block ×4, first 2 shown]
	s_delay_alu instid0(VALU_DEP_1)
	v_dot4_i32_iu8 v162, v41, v39, v23 neg_lo:[1,1,0]
	ds_load_2addr_b32 v[23:24], v151 offset1:7
	s_wait_dscnt 0x0
	v_lshlrev_b32_e32 v36, 16, v24
	v_lshlrev_b32_e32 v37, 8, v24
	v_perm_b32 v24, v24, v24, 0xc0c0003
	s_delay_alu instid0(VALU_DEP_2) | instskip(SKIP_2) | instid1(VALU_DEP_1)
	v_perm_b32 v211, v37, v36, 0x7030c0c
	ds_load_2addr_b32 v[36:37], v152 offset1:7
	v_or_b32_e32 v24, v211, v24
	v_dot4_i32_iu8 v189, v24, v208, v189 neg_lo:[1,1,0]
	v_dot4_i32_iu8 v191, v24, v209, v191 neg_lo:[1,1,0]
	s_wait_dscnt 0x0
	v_lshlrev_b32_e32 v38, 16, v37
	v_lshlrev_b32_e32 v39, 8, v37
	v_perm_b32 v37, v37, v37, 0xc0c0003
	s_delay_alu instid0(VALU_DEP_2)
	v_perm_b32 v212, v39, v38, 0x7030c0c
	ds_load_2addr_b32 v[38:39], v153 offset1:7
	v_or_b32_e32 v37, v212, v37
	s_wait_dscnt 0x0
	v_lshlrev_b32_e32 v40, 16, v39
	v_lshlrev_b32_e32 v41, 8, v39
	v_perm_b32 v39, v39, v39, 0xc0c0003
	s_delay_alu instid0(VALU_DEP_2) | instskip(SKIP_2) | instid1(VALU_DEP_1)
	v_perm_b32 v213, v41, v40, 0x7030c0c
	ds_load_2addr_b32 v[40:41], v154 offset1:7
	v_or_b32_e32 v39, v213, v39
	v_dot4_i32_iu8 v25, v39, v210, v25 neg_lo:[1,1,0]
	s_delay_alu instid0(VALU_DEP_1) | instskip(NEXT) | instid1(VALU_DEP_1)
	v_dot4_i32_iu8 v25, v38, v35, v25 neg_lo:[1,1,0]
	v_cvt_f32_i32_e32 v25, v25
	s_wait_dscnt 0x0
	v_lshlrev_b32_e32 v151, 16, v41
	v_lshlrev_b32_e32 v152, 8, v41
	v_perm_b32 v41, v41, v41, 0xc0c0003
	s_delay_alu instid0(VALU_DEP_2) | instskip(SKIP_2) | instid1(VALU_DEP_1)
	v_perm_b32 v214, v152, v151, 0x7030c0c
	ds_load_2addr_b32 v[151:152], v155 offset1:7
	v_or_b32_e32 v41, v214, v41
	v_dot4_i32_iu8 v28, v41, v210, v28 neg_lo:[1,1,0]
	s_delay_alu instid0(VALU_DEP_1) | instskip(NEXT) | instid1(VALU_DEP_1)
	v_dot4_i32_iu8 v28, v40, v35, v28 neg_lo:[1,1,0]
	v_cvt_f32_i32_e32 v28, v28
	s_wait_dscnt 0x0
	v_lshlrev_b32_e32 v153, 16, v152
	v_lshlrev_b32_e32 v154, 8, v152
	v_perm_b32 v152, v152, v152, 0xc0c0003
	s_delay_alu instid0(VALU_DEP_2)
	v_perm_b32 v215, v154, v153, 0x7030c0c
	ds_load_2addr_b32 v[153:154], v156 offset1:7
	v_or_b32_e32 v152, v215, v152
	s_wait_dscnt 0x0
	v_lshlrev_b32_e32 v155, 16, v154
	v_lshlrev_b32_e32 v156, 8, v154
	v_perm_b32 v154, v154, v154, 0xc0c0003
	s_delay_alu instid0(VALU_DEP_2) | instskip(SKIP_2) | instid1(VALU_DEP_1)
	v_perm_b32 v216, v156, v155, 0x7030c0c
	ds_load_2addr_b32 v[155:156], v157 offset1:7
	v_or_b32_e32 v154, v216, v154
	v_dot4_i32_iu8 v167, v154, v208, v167 neg_lo:[1,1,0]
	s_wait_dscnt 0x0
	v_lshlrev_b32_e32 v157, 16, v156
	v_lshlrev_b32_e32 v217, 8, v156
	v_perm_b32 v156, v156, v156, 0xc0c0003
	s_delay_alu instid0(VALU_DEP_2) | instskip(NEXT) | instid1(VALU_DEP_1)
	v_perm_b32 v157, v217, v157, 0x7030c0c
	v_or_b32_e32 v156, v157, v156
	v_perm_b32 v157, v22, v22, 0x2010003
	s_delay_alu instid0(VALU_DEP_2) | instskip(NEXT) | instid1(VALU_DEP_2)
	v_dot4_i32_iu8 v160, v156, v208, v160 neg_lo:[1,1,0]
	v_dot4_i32_iu8 v187, v24, v157, v187 neg_lo:[1,1,0]
	;; [unrolled: 1-line block ×49, first 2 shown]
	v_perm_b32 v155, v185, v178, 0x7030c0c
	v_perm_b32 v176, v159, v158, 0xc0c0703
	;; [unrolled: 1-line block ×5, first 2 shown]
	v_or_b32_e32 v155, v155, v192
	v_perm_b32 v157, v184, v27, 0xc0c0501
	v_or_b32_e32 v176, v178, v176
	v_perm_b32 v178, v30, v29, 0x7030c0c
	;; [unrolled: 2-line block ×3, first 2 shown]
	v_perm_b32 v27, v184, v27, 0xc0c0602
	v_perm_b32 v169, v26, v205, 0xc0c0503
	v_or_b32_e32 v160, v178, v160
	v_perm_b32 v175, v26, v203, 0xc0c0403
	v_perm_b32 v26, v26, v202, 0xc0c0603
	v_cvt_f32_i32_e32 v31, v31
	v_cvt_f32_i32_e32 v23, v23
	v_dot4_i32_iu8 v154, v154, v160, 0 neg_lo:[1,1,0]
	v_perm_b32 v160, v22, v21, 0x6020c0c
	v_cvt_f32_i32_e32 v36, v36
	v_cvt_f32_i32_e32 v151, v151
	;; [unrolled: 1-line block ×3, first 2 shown]
	v_dot4_i32_iu8 v154, v155, v176, v154 neg_lo:[1,1,0]
	v_perm_b32 v155, v159, v158, 0xc0c0602
	v_perm_b32 v176, v30, v29, 0x6020c0c
	v_cvt_f32_i32_e32 v37, v37
	v_cvt_f32_i32_e32 v38, v38
	v_cvt_f32_i32_e32 v39, v39
	v_or_b32_e32 v155, v160, v155
	v_perm_b32 v160, v221, v207, 0x7030c0c
	v_or_b32_e32 v27, v176, v27
	v_perm_b32 v176, v195, v177, 0x7030c0c
	v_cvt_f32_i32_e32 v40, v40
	v_cvt_f32_i32_e32 v41, v41
	v_or_b32_e32 v26, v160, v26
	v_cvt_f32_i32_e32 v152, v152
	v_or_b32_e32 v160, v176, v171
	v_perm_b32 v171, v196, v188, 0x7030c0c
	v_cvt_f32_i32_e32 v153, v153
	v_dot4_i32_iu8 v26, v26, v27, 0 neg_lo:[1,1,0]
	v_perm_b32 v27, v159, v158, 0xc0c0501
	v_cvt_f32_i32_e32 v42, v42
	s_delay_alu instid0(VALU_DEP_3)
	v_dot4_i32_iu8 v26, v160, v155, v26 neg_lo:[1,1,0]
	v_perm_b32 v155, v22, v21, 0x5010c0c
	v_perm_b32 v160, v30, v29, 0x5010c0c
	;; [unrolled: 1-line block ×5, first 2 shown]
	v_or_b32_e32 v27, v155, v27
	v_perm_b32 v155, v223, v220, 0x7030c0c
	v_or_b32_e32 v157, v160, v157
	v_perm_b32 v160, v200, v182, 0xc0c0703
	;; [unrolled: 2-line block ×3, first 2 shown]
	v_or_b32_e32 v155, v155, v169
	v_or_b32_e32 v29, v29, v175
	v_or_b32_e32 v160, v171, v160
	s_wait_alu 0xfffe
	v_add_nc_u32_e32 v161, s11, v94
	v_dot4_i32_iu8 v155, v155, v157, 0 neg_lo:[1,1,0]
	v_dot4_i32_iu8 v22, v29, v22, 0 neg_lo:[1,1,0]
	v_add3_u32 v29, s16, v131, v133
	v_add_nc_u32_e32 v157, s11, v86
	ds_load_b32 v161, v161
	v_dot4_i32_iu8 v27, v160, v27, v155 neg_lo:[1,1,0]
	v_perm_b32 v155, v159, v158, 0xc0c0400
	ds_load_b32 v29, v29
	ds_load_b32 v157, v157
	v_add_nc_u32_e32 v158, s11, v88
	v_add_nc_u32_e32 v159, s11, v90
	v_or_b32_e32 v21, v21, v155
	v_perm_b32 v155, v204, v194, 0x7030c0c
	v_add_nc_u32_e32 v160, s11, v92
	ds_load_b32 v158, v158
	ds_load_b32 v159, v159
	v_or_b32_e32 v30, v155, v30
	v_add_nc_u32_e32 v155, s11, v84
	ds_load_b32 v160, v160
	v_dot4_i32_iu8 v21, v30, v21, v22 neg_lo:[1,1,0]
	v_add_nc_u32_e32 v22, v27, v154
	v_add3_u32 v27, s16, v127, v129
	v_add_nc_u32_e32 v30, s11, v80
	v_add_nc_u32_e32 v154, s11, v82
	ds_load_b32 v155, v155
	v_add3_u32 v21, v21, v26, v22
	v_add3_u32 v22, s16, v149, v150
	;; [unrolled: 1-line block ×3, first 2 shown]
	ds_load_b32 v27, v27
	ds_load_b32 v30, v30
	;; [unrolled: 1-line block ×5, first 2 shown]
	v_cvt_f32_i32_e32 v21, v21
	s_add_co_i32 s11, s10, 4
	s_cmp_lt_u32 s10, 28
	s_wait_alu 0xfffe
	s_mov_b32 s10, s11
	s_wait_dscnt 0x4
	v_pk_mul_f16 v181, v27, v155
	s_wait_dscnt 0x3
	v_pk_mul_f16 v175, v30, v27
	;; [unrolled: 2-line block ×5, first 2 shown]
	v_pk_mul_f16 v30, v30, v29
	v_pk_mul_f16 v177, v26, v154
	;; [unrolled: 1-line block ×3, first 2 shown]
	v_fma_mix_f32 v21, v169, v21, v169 op_sel:[0,0,1] op_sel_hi:[1,0,1]
	v_pk_mul_f16 v183, v26, v157
	v_pk_mul_f16 v186, v26, v158
	;; [unrolled: 1-line block ×5, first 2 shown]
	v_add_f32_e32 v47, v47, v21
	v_cvt_f32_i32_e32 v21, v32
	v_cvt_f32_i32_e32 v32, v34
	;; [unrolled: 1-line block ×3, first 2 shown]
	v_pk_mul_f16 v176, v22, v154
	v_pk_mul_f16 v154, v29, v154
	;; [unrolled: 1-line block ×15, first 2 shown]
	v_fma_mix_f32 v21, v171, v21, v171 op_sel:[0,0,1] op_sel_hi:[1,0,1]
	v_fma_mix_f32 v32, v175, v32, v175 op_sel:[0,0,1] op_sel_hi:[1,0,1]
	;; [unrolled: 1-line block ×4, first 2 shown]
	v_cvt_f32_i32_e32 v31, v33
	v_pk_mul_f16 v191, v22, v160
	v_pk_mul_f16 v160, v29, v160
	;; [unrolled: 1-line block ×4, first 2 shown]
	v_dual_add_f32 v140, v140, v21 :: v_dual_add_f32 v145, v145, v32
	v_add_f32_e32 v148, v148, v30
	v_cvt_f32_i32_e32 v21, v156
	v_cvt_f32_i32_e32 v30, v168
	;; [unrolled: 1-line block ×3, first 2 shown]
	v_fma_mix_f32 v23, v154, v23, v154 op_sel:[0,0,1] op_sel_hi:[1,0,1]
	v_cvt_f32_i32_e32 v34, v163
	v_cvt_f32_i32_e32 v154, v172
	v_fma_mix_f32 v36, v155, v36, v155 op_sel:[0,0,1] op_sel_hi:[1,0,1]
	v_cvt_f32_i32_e32 v155, v164
	v_cvt_f32_i32_e32 v156, v174
	v_fma_mix_f32 v25, v157, v25, v157 op_sel:[0,0,1] op_sel_hi:[1,0,1]
	v_cvt_f32_i32_e32 v157, v165
	v_fma_mix_f32 v28, v158, v28, v158 op_sel:[0,0,1] op_sel_hi:[1,0,1]
	;; [unrolled: 2-line block ×3, first 2 shown]
	v_cvt_f32_i32_e32 v159, v166
	v_cvt_f32_i32_e32 v161, v167
	v_fma_mix_f32 v27, v27, v31, v27 op_sel:[0,0,1] op_sel_hi:[1,0,1]
	v_cvt_f32_i32_e32 v31, v35
	v_fma_mix_f32 v21, v176, v21, v176 op_sel:[0,0,1] op_sel_hi:[1,0,1]
	v_fma_mix_f32 v30, v177, v30, v177 op_sel:[0,0,1] op_sel_hi:[1,0,1]
	;; [unrolled: 1-line block ×21, first 2 shown]
	v_dual_add_f32 v126, v126, v21 :: v_dual_add_f32 v137, v137, v30
	v_add_f32_e32 v143, v143, v32
	v_dual_add_f32 v147, v147, v23 :: v_dual_add_f32 v120, v120, v24
	v_add_f32_e32 v134, v134, v34
	;; [unrolled: 2-line block ×3, first 2 shown]
	v_add_f32_e32 v128, v128, v155
	v_add_f32_e32 v138, v138, v156
	v_dual_add_f32 v144, v144, v25 :: v_dual_add_f32 v109, v109, v38
	v_dual_add_f32 v122, v122, v39 :: v_dual_add_f32 v135, v135, v157
	v_add_f32_e32 v142, v142, v28
	v_add_f32_e32 v104, v104, v40
	;; [unrolled: 1-line block ×3, first 2 shown]
	v_dual_add_f32 v130, v130, v158 :: v_dual_add_f32 v139, v139, v151
	v_add_f32_e32 v101, v101, v152
	v_dual_add_f32 v111, v111, v159 :: v_dual_add_f32 v124, v124, v161
	v_add_f32_e32 v136, v136, v153
	v_add_f32_e32 v100, v100, v22
	;; [unrolled: 1-line block ×5, first 2 shown]
	s_cbranch_scc1 .LBB144_11
; %bb.12:                               ;   in Loop: Header=BB144_6 Depth=1
	s_wait_loadcnt 0x0
	s_barrier_signal -1
	s_barrier_wait -1
	global_inv scope:SCOPE_SE
	s_branch .LBB144_5
.LBB144_13:
	v_cvt_f16_f32_e32 v12, v47
	v_cvt_f16_f32_e64 v13, v140
	v_cvt_f16_f32_e64 v14, v145
	v_cvt_f16_f32_e64 v33, v148
	v_cvt_f16_f32_e32 v32, v126
	v_cvt_f16_f32_e64 v31, v137
	v_cvt_f16_f32_e64 v30, v143
	v_cvt_f16_f32_e64 v29, v147
	v_cvt_f16_f32_e32 v28, v120
	v_cvt_f16_f32_e64 v27, v134
	v_cvt_f16_f32_e64 v26, v141
	v_cvt_f16_f32_e64 v25, v146
	v_cvt_f16_f32_e32 v24, v114
	v_cvt_f16_f32_e64 v23, v128
	v_cvt_f16_f32_e64 v22, v138
	v_cvt_f16_f32_e64 v21, v144
	v_cvt_f16_f32_e32 v20, v109
	v_cvt_f16_f32_e32 v19, v122
	v_cvt_f16_f32_e64 v18, v135
	v_cvt_f16_f32_e64 v17, v142
	v_cvt_f16_f32_e32 v16, v104
	v_cvt_f16_f32_e32 v15, v116
	v_cvt_f16_f32_e64 v11, v130
	v_cvt_f16_f32_e64 v10, v139
	v_cvt_f16_f32_e32 v9, v101
	v_cvt_f16_f32_e32 v8, v111
	;; [unrolled: 1-line block ×3, first 2 shown]
	v_cvt_f16_f32_e64 v5, v136
	v_cvt_f16_f32_e32 v4, v100
	v_cvt_f16_f32_e32 v3, v106
	v_cvt_f16_f32_e32 v2, v118
	v_cvt_f16_f32_e64 v1, v132
	v_mov_b32_e32 v6, v43
	v_mov_b32_e32 v34, v44
.LBB144_14:
	s_mov_b32 s0, exec_lo
	v_cmpx_gt_u32_e64 s6, v45
	s_cbranch_execz .LBB144_65
; %bb.15:
	s_delay_alu instid0(VALU_DEP_2) | instskip(SKIP_1) | instid1(VALU_DEP_2)
	v_add_nc_u32_e32 v0, s14, v34
	v_mul_lo_u32 v34, v45, s12
	v_cmp_gt_u32_e32 vcc_lo, s12, v0
	s_and_saveexec_b32 s1, vcc_lo
	s_cbranch_execz .LBB144_17
; %bb.16:
	s_delay_alu instid0(VALU_DEP_2) | instskip(NEXT) | instid1(VALU_DEP_1)
	v_dual_mov_b32 v36, 0 :: v_dual_add_nc_u32 v35, v0, v34
	v_lshlrev_b64_e32 v[35:36], 1, v[35:36]
	s_wait_kmcnt 0x0
	s_delay_alu instid0(VALU_DEP_1) | instskip(NEXT) | instid1(VALU_DEP_1)
	v_add_co_u32 v35, s0, s8, v35
	v_add_co_ci_u32_e64 v36, null, s9, v36, s0
	global_store_b16 v[35:36], v12, off
.LBB144_17:
	s_or_b32 exec_lo, exec_lo, s1
	v_add_nc_u32_e32 v12, 32, v0
	s_delay_alu instid0(VALU_DEP_1)
	v_cmp_gt_u32_e64 s0, s12, v12
	s_and_saveexec_b32 s2, s0
	s_cbranch_execz .LBB144_19
; %bb.18:
	v_dual_mov_b32 v36, 0 :: v_dual_add_nc_u32 v35, v12, v34
	s_delay_alu instid0(VALU_DEP_1) | instskip(SKIP_1) | instid1(VALU_DEP_1)
	v_lshlrev_b64_e32 v[35:36], 1, v[35:36]
	s_wait_kmcnt 0x0
	v_add_co_u32 v35, s1, s8, v35
	s_wait_alu 0xf1ff
	s_delay_alu instid0(VALU_DEP_2)
	v_add_co_ci_u32_e64 v36, null, s9, v36, s1
	global_store_b16 v[35:36], v13, off
.LBB144_19:
	s_wait_alu 0xfffe
	s_or_b32 exec_lo, exec_lo, s2
	v_add_nc_u32_e32 v13, 64, v0
	s_delay_alu instid0(VALU_DEP_1)
	v_cmp_gt_u32_e64 s1, s12, v13
	s_and_saveexec_b32 s3, s1
	s_cbranch_execz .LBB144_21
; %bb.20:
	v_dual_mov_b32 v36, 0 :: v_dual_add_nc_u32 v35, v13, v34
	s_delay_alu instid0(VALU_DEP_1) | instskip(SKIP_1) | instid1(VALU_DEP_1)
	v_lshlrev_b64_e32 v[35:36], 1, v[35:36]
	s_wait_kmcnt 0x0
	v_add_co_u32 v35, s2, s8, v35
	s_wait_alu 0xf1ff
	s_delay_alu instid0(VALU_DEP_2)
	v_add_co_ci_u32_e64 v36, null, s9, v36, s2
	global_store_b16 v[35:36], v14, off
.LBB144_21:
	s_wait_alu 0xfffe
	;; [unrolled: 18-line block ×3, first 2 shown]
	s_or_b32 exec_lo, exec_lo, s4
	v_add3_u32 v33, v6, s13, 8
	s_delay_alu instid0(VALU_DEP_1)
	v_cmp_gt_u32_e64 s3, s6, v33
	s_and_b32 exec_lo, exec_lo, s3
	s_cbranch_execz .LBB144_65
; %bb.24:
	v_mul_lo_u32 v33, v33, s12
	s_and_saveexec_b32 s4, vcc_lo
	s_cbranch_execnz .LBB144_66
; %bb.25:
	s_wait_alu 0xfffe
	s_or_b32 exec_lo, exec_lo, s4
	s_and_saveexec_b32 s4, s0
	s_cbranch_execnz .LBB144_67
.LBB144_26:
	s_wait_alu 0xfffe
	s_or_b32 exec_lo, exec_lo, s4
	s_and_saveexec_b32 s4, s1
	s_cbranch_execnz .LBB144_68
.LBB144_27:
	s_wait_alu 0xfffe
	s_or_b32 exec_lo, exec_lo, s4
	s_and_saveexec_b32 s4, s2
	s_cbranch_execz .LBB144_29
.LBB144_28:
	v_dual_mov_b32 v31, 0 :: v_dual_add_nc_u32 v30, v33, v14
	s_delay_alu instid0(VALU_DEP_1) | instskip(SKIP_1) | instid1(VALU_DEP_1)
	v_lshlrev_b64_e32 v[30:31], 1, v[30:31]
	s_wait_kmcnt 0x0
	v_add_co_u32 v30, s3, s8, v30
	s_wait_alu 0xf1ff
	s_delay_alu instid0(VALU_DEP_2)
	v_add_co_ci_u32_e64 v31, null, s9, v31, s3
	global_store_b16 v[30:31], v29, off
.LBB144_29:
	s_wait_alu 0xfffe
	s_or_b32 exec_lo, exec_lo, s4
	v_add3_u32 v29, v6, s13, 16
	s_delay_alu instid0(VALU_DEP_1)
	v_cmp_gt_u32_e64 s3, s6, v29
	s_and_b32 exec_lo, exec_lo, s3
	s_cbranch_execz .LBB144_65
; %bb.30:
	v_mul_lo_u32 v29, v29, s12
	s_and_saveexec_b32 s4, vcc_lo
	s_cbranch_execnz .LBB144_69
; %bb.31:
	s_wait_alu 0xfffe
	s_or_b32 exec_lo, exec_lo, s4
	s_and_saveexec_b32 s4, s0
	s_cbranch_execnz .LBB144_70
.LBB144_32:
	s_wait_alu 0xfffe
	s_or_b32 exec_lo, exec_lo, s4
	s_and_saveexec_b32 s4, s1
	s_cbranch_execnz .LBB144_71
.LBB144_33:
	s_wait_alu 0xfffe
	s_or_b32 exec_lo, exec_lo, s4
	s_and_saveexec_b32 s4, s2
	s_cbranch_execz .LBB144_35
.LBB144_34:
	v_dual_mov_b32 v27, 0 :: v_dual_add_nc_u32 v26, v29, v14
	s_delay_alu instid0(VALU_DEP_1) | instskip(SKIP_1) | instid1(VALU_DEP_1)
	v_lshlrev_b64_e32 v[26:27], 1, v[26:27]
	s_wait_kmcnt 0x0
	v_add_co_u32 v26, s3, s8, v26
	s_wait_alu 0xf1ff
	s_delay_alu instid0(VALU_DEP_2)
	v_add_co_ci_u32_e64 v27, null, s9, v27, s3
	global_store_b16 v[26:27], v25, off
.LBB144_35:
	s_wait_alu 0xfffe
	s_or_b32 exec_lo, exec_lo, s4
	v_add3_u32 v25, v6, s13, 24
	s_delay_alu instid0(VALU_DEP_1)
	v_cmp_gt_u32_e64 s3, s6, v25
	s_and_b32 exec_lo, exec_lo, s3
	s_cbranch_execz .LBB144_65
; %bb.36:
	v_mul_lo_u32 v25, v25, s12
	s_and_saveexec_b32 s4, vcc_lo
	s_cbranch_execnz .LBB144_72
; %bb.37:
	s_wait_alu 0xfffe
	s_or_b32 exec_lo, exec_lo, s4
	s_and_saveexec_b32 s4, s0
	s_cbranch_execnz .LBB144_73
.LBB144_38:
	s_wait_alu 0xfffe
	s_or_b32 exec_lo, exec_lo, s4
	s_and_saveexec_b32 s4, s1
	s_cbranch_execnz .LBB144_74
.LBB144_39:
	s_wait_alu 0xfffe
	s_or_b32 exec_lo, exec_lo, s4
	s_and_saveexec_b32 s4, s2
	s_cbranch_execz .LBB144_41
.LBB144_40:
	v_dual_mov_b32 v23, 0 :: v_dual_add_nc_u32 v22, v25, v14
	s_delay_alu instid0(VALU_DEP_1) | instskip(SKIP_1) | instid1(VALU_DEP_1)
	v_lshlrev_b64_e32 v[22:23], 1, v[22:23]
	s_wait_kmcnt 0x0
	v_add_co_u32 v22, s3, s8, v22
	s_wait_alu 0xf1ff
	s_delay_alu instid0(VALU_DEP_2)
	v_add_co_ci_u32_e64 v23, null, s9, v23, s3
	global_store_b16 v[22:23], v21, off
.LBB144_41:
	s_wait_alu 0xfffe
	s_or_b32 exec_lo, exec_lo, s4
	v_add3_u32 v21, v6, s13, 32
	s_delay_alu instid0(VALU_DEP_1)
	v_cmp_gt_u32_e64 s3, s6, v21
	s_and_b32 exec_lo, exec_lo, s3
	s_cbranch_execz .LBB144_65
; %bb.42:
	v_mul_lo_u32 v21, v21, s12
	s_and_saveexec_b32 s4, vcc_lo
	s_cbranch_execnz .LBB144_75
; %bb.43:
	s_wait_alu 0xfffe
	s_or_b32 exec_lo, exec_lo, s4
	s_and_saveexec_b32 s4, s0
	s_cbranch_execnz .LBB144_76
.LBB144_44:
	s_wait_alu 0xfffe
	s_or_b32 exec_lo, exec_lo, s4
	s_and_saveexec_b32 s4, s1
	s_cbranch_execnz .LBB144_77
.LBB144_45:
	s_wait_alu 0xfffe
	s_or_b32 exec_lo, exec_lo, s4
	s_and_saveexec_b32 s4, s2
	s_cbranch_execz .LBB144_47
.LBB144_46:
	v_dual_mov_b32 v19, 0 :: v_dual_add_nc_u32 v18, v21, v14
	s_delay_alu instid0(VALU_DEP_1) | instskip(SKIP_1) | instid1(VALU_DEP_1)
	v_lshlrev_b64_e32 v[18:19], 1, v[18:19]
	s_wait_kmcnt 0x0
	v_add_co_u32 v18, s3, s8, v18
	s_wait_alu 0xf1ff
	s_delay_alu instid0(VALU_DEP_2)
	v_add_co_ci_u32_e64 v19, null, s9, v19, s3
	global_store_b16 v[18:19], v17, off
.LBB144_47:
	s_wait_alu 0xfffe
	s_or_b32 exec_lo, exec_lo, s4
	v_add3_u32 v17, v6, s13, 40
	s_delay_alu instid0(VALU_DEP_1)
	v_cmp_gt_u32_e64 s3, s6, v17
	s_and_b32 exec_lo, exec_lo, s3
	s_cbranch_execz .LBB144_65
; %bb.48:
	v_mul_lo_u32 v17, v17, s12
	s_and_saveexec_b32 s4, vcc_lo
	s_cbranch_execnz .LBB144_78
; %bb.49:
	s_wait_alu 0xfffe
	s_or_b32 exec_lo, exec_lo, s4
	s_and_saveexec_b32 s4, s0
	s_cbranch_execnz .LBB144_79
.LBB144_50:
	s_wait_alu 0xfffe
	s_or_b32 exec_lo, exec_lo, s4
	s_and_saveexec_b32 s4, s1
	s_cbranch_execnz .LBB144_80
.LBB144_51:
	s_wait_alu 0xfffe
	s_or_b32 exec_lo, exec_lo, s4
	s_and_saveexec_b32 s4, s2
	s_cbranch_execz .LBB144_53
.LBB144_52:
	v_dual_mov_b32 v16, 0 :: v_dual_add_nc_u32 v15, v17, v14
	s_delay_alu instid0(VALU_DEP_1) | instskip(SKIP_1) | instid1(VALU_DEP_1)
	v_lshlrev_b64_e32 v[15:16], 1, v[15:16]
	s_wait_kmcnt 0x0
	v_add_co_u32 v15, s3, s8, v15
	s_wait_alu 0xf1ff
	s_delay_alu instid0(VALU_DEP_2)
	v_add_co_ci_u32_e64 v16, null, s9, v16, s3
	global_store_b16 v[15:16], v10, off
.LBB144_53:
	s_wait_alu 0xfffe
	s_or_b32 exec_lo, exec_lo, s4
	v_add3_u32 v10, v6, s13, 48
	s_delay_alu instid0(VALU_DEP_1)
	v_cmp_gt_u32_e64 s3, s6, v10
	s_and_b32 exec_lo, exec_lo, s3
	s_cbranch_execz .LBB144_65
; %bb.54:
	v_mul_lo_u32 v10, v10, s12
	s_and_saveexec_b32 s4, vcc_lo
	s_cbranch_execnz .LBB144_81
; %bb.55:
	s_wait_alu 0xfffe
	s_or_b32 exec_lo, exec_lo, s4
	s_and_saveexec_b32 s4, s0
	s_cbranch_execnz .LBB144_82
.LBB144_56:
	s_wait_alu 0xfffe
	s_or_b32 exec_lo, exec_lo, s4
	s_and_saveexec_b32 s4, s1
	s_cbranch_execnz .LBB144_83
.LBB144_57:
	s_wait_alu 0xfffe
	s_or_b32 exec_lo, exec_lo, s4
	s_and_saveexec_b32 s4, s2
	s_cbranch_execz .LBB144_59
.LBB144_58:
	v_dual_mov_b32 v8, 0 :: v_dual_add_nc_u32 v7, v10, v14
	s_delay_alu instid0(VALU_DEP_1) | instskip(SKIP_1) | instid1(VALU_DEP_1)
	v_lshlrev_b64_e32 v[7:8], 1, v[7:8]
	s_wait_kmcnt 0x0
	v_add_co_u32 v7, s3, s8, v7
	s_wait_alu 0xf1ff
	s_delay_alu instid0(VALU_DEP_2)
	v_add_co_ci_u32_e64 v8, null, s9, v8, s3
	global_store_b16 v[7:8], v5, off
.LBB144_59:
	s_wait_alu 0xfffe
	s_or_b32 exec_lo, exec_lo, s4
	v_add3_u32 v5, v6, s13, 56
	s_delay_alu instid0(VALU_DEP_1)
	v_cmp_gt_u32_e64 s3, s6, v5
	s_and_b32 exec_lo, exec_lo, s3
	s_cbranch_execz .LBB144_65
; %bb.60:
	v_mul_lo_u32 v5, v5, s12
	s_and_saveexec_b32 s3, vcc_lo
	s_cbranch_execnz .LBB144_84
; %bb.61:
	s_wait_alu 0xfffe
	s_or_b32 exec_lo, exec_lo, s3
	s_and_saveexec_b32 s3, s0
	s_cbranch_execnz .LBB144_85
.LBB144_62:
	s_wait_alu 0xfffe
	s_or_b32 exec_lo, exec_lo, s3
	s_and_saveexec_b32 s0, s1
	s_cbranch_execnz .LBB144_86
.LBB144_63:
	s_wait_alu 0xfffe
	s_or_b32 exec_lo, exec_lo, s0
	s_delay_alu instid0(SALU_CYCLE_1)
	s_and_b32 exec_lo, exec_lo, s2
	s_cbranch_execz .LBB144_65
.LBB144_64:
	v_dual_mov_b32 v3, 0 :: v_dual_add_nc_u32 v2, v5, v14
	s_delay_alu instid0(VALU_DEP_1) | instskip(SKIP_1) | instid1(VALU_DEP_1)
	v_lshlrev_b64_e32 v[2:3], 1, v[2:3]
	s_wait_kmcnt 0x0
	v_add_co_u32 v2, vcc_lo, s8, v2
	s_wait_alu 0xfffd
	s_delay_alu instid0(VALU_DEP_2)
	v_add_co_ci_u32_e64 v3, null, s9, v3, vcc_lo
	global_store_b16 v[2:3], v1, off
.LBB144_65:
	s_nop 0
	s_sendmsg sendmsg(MSG_DEALLOC_VGPRS)
	s_endpgm
.LBB144_66:
	s_delay_alu instid0(VALU_DEP_1) | instskip(NEXT) | instid1(VALU_DEP_1)
	v_dual_mov_b32 v35, 0 :: v_dual_add_nc_u32 v34, v33, v0
	v_lshlrev_b64_e32 v[34:35], 1, v[34:35]
	s_wait_kmcnt 0x0
	s_delay_alu instid0(VALU_DEP_1) | instskip(SKIP_1) | instid1(VALU_DEP_2)
	v_add_co_u32 v34, s3, s8, v34
	s_wait_alu 0xf1ff
	v_add_co_ci_u32_e64 v35, null, s9, v35, s3
	global_store_b16 v[34:35], v32, off
	s_wait_alu 0xfffe
	s_or_b32 exec_lo, exec_lo, s4
	s_and_saveexec_b32 s4, s0
	s_cbranch_execz .LBB144_26
.LBB144_67:
	s_delay_alu instid0(VALU_DEP_1) | instskip(NEXT) | instid1(VALU_DEP_1)
	v_dual_mov_b32 v35, 0 :: v_dual_add_nc_u32 v34, v33, v12
	v_lshlrev_b64_e32 v[34:35], 1, v[34:35]
	s_wait_kmcnt 0x0
	s_delay_alu instid0(VALU_DEP_1) | instskip(SKIP_1) | instid1(VALU_DEP_2)
	v_add_co_u32 v34, s3, s8, v34
	s_wait_alu 0xf1ff
	v_add_co_ci_u32_e64 v35, null, s9, v35, s3
	global_store_b16 v[34:35], v31, off
	s_wait_alu 0xfffe
	s_or_b32 exec_lo, exec_lo, s4
	s_and_saveexec_b32 s4, s1
	s_cbranch_execz .LBB144_27
.LBB144_68:
	v_dual_mov_b32 v32, 0 :: v_dual_add_nc_u32 v31, v33, v13
	s_delay_alu instid0(VALU_DEP_1) | instskip(SKIP_1) | instid1(VALU_DEP_1)
	v_lshlrev_b64_e32 v[31:32], 1, v[31:32]
	s_wait_kmcnt 0x0
	v_add_co_u32 v31, s3, s8, v31
	s_wait_alu 0xf1ff
	s_delay_alu instid0(VALU_DEP_2)
	v_add_co_ci_u32_e64 v32, null, s9, v32, s3
	global_store_b16 v[31:32], v30, off
	s_wait_alu 0xfffe
	s_or_b32 exec_lo, exec_lo, s4
	s_and_saveexec_b32 s4, s2
	s_cbranch_execnz .LBB144_28
	s_branch .LBB144_29
.LBB144_69:
	s_delay_alu instid0(VALU_DEP_1) | instskip(NEXT) | instid1(VALU_DEP_1)
	v_dual_mov_b32 v31, 0 :: v_dual_add_nc_u32 v30, v29, v0
	v_lshlrev_b64_e32 v[30:31], 1, v[30:31]
	s_wait_kmcnt 0x0
	s_delay_alu instid0(VALU_DEP_1) | instskip(SKIP_1) | instid1(VALU_DEP_2)
	v_add_co_u32 v30, s3, s8, v30
	s_wait_alu 0xf1ff
	v_add_co_ci_u32_e64 v31, null, s9, v31, s3
	global_store_b16 v[30:31], v28, off
	s_wait_alu 0xfffe
	s_or_b32 exec_lo, exec_lo, s4
	s_and_saveexec_b32 s4, s0
	s_cbranch_execz .LBB144_32
.LBB144_70:
	s_delay_alu instid0(VALU_DEP_1) | instskip(NEXT) | instid1(VALU_DEP_1)
	v_dual_mov_b32 v31, 0 :: v_dual_add_nc_u32 v30, v29, v12
	v_lshlrev_b64_e32 v[30:31], 1, v[30:31]
	s_wait_kmcnt 0x0
	s_delay_alu instid0(VALU_DEP_1) | instskip(SKIP_1) | instid1(VALU_DEP_2)
	v_add_co_u32 v30, s3, s8, v30
	s_wait_alu 0xf1ff
	v_add_co_ci_u32_e64 v31, null, s9, v31, s3
	global_store_b16 v[30:31], v27, off
	s_wait_alu 0xfffe
	s_or_b32 exec_lo, exec_lo, s4
	s_and_saveexec_b32 s4, s1
	s_cbranch_execz .LBB144_33
.LBB144_71:
	v_dual_mov_b32 v28, 0 :: v_dual_add_nc_u32 v27, v29, v13
	s_delay_alu instid0(VALU_DEP_1) | instskip(SKIP_1) | instid1(VALU_DEP_1)
	v_lshlrev_b64_e32 v[27:28], 1, v[27:28]
	s_wait_kmcnt 0x0
	v_add_co_u32 v27, s3, s8, v27
	s_wait_alu 0xf1ff
	s_delay_alu instid0(VALU_DEP_2)
	v_add_co_ci_u32_e64 v28, null, s9, v28, s3
	global_store_b16 v[27:28], v26, off
	s_wait_alu 0xfffe
	s_or_b32 exec_lo, exec_lo, s4
	s_and_saveexec_b32 s4, s2
	s_cbranch_execnz .LBB144_34
	s_branch .LBB144_35
.LBB144_72:
	s_delay_alu instid0(VALU_DEP_1) | instskip(NEXT) | instid1(VALU_DEP_1)
	v_dual_mov_b32 v27, 0 :: v_dual_add_nc_u32 v26, v25, v0
	v_lshlrev_b64_e32 v[26:27], 1, v[26:27]
	s_wait_kmcnt 0x0
	s_delay_alu instid0(VALU_DEP_1) | instskip(SKIP_1) | instid1(VALU_DEP_2)
	v_add_co_u32 v26, s3, s8, v26
	s_wait_alu 0xf1ff
	v_add_co_ci_u32_e64 v27, null, s9, v27, s3
	global_store_b16 v[26:27], v24, off
	s_wait_alu 0xfffe
	s_or_b32 exec_lo, exec_lo, s4
	s_and_saveexec_b32 s4, s0
	s_cbranch_execz .LBB144_38
.LBB144_73:
	s_delay_alu instid0(VALU_DEP_1) | instskip(NEXT) | instid1(VALU_DEP_1)
	v_dual_mov_b32 v27, 0 :: v_dual_add_nc_u32 v26, v25, v12
	v_lshlrev_b64_e32 v[26:27], 1, v[26:27]
	s_wait_kmcnt 0x0
	s_delay_alu instid0(VALU_DEP_1) | instskip(SKIP_1) | instid1(VALU_DEP_2)
	v_add_co_u32 v26, s3, s8, v26
	s_wait_alu 0xf1ff
	v_add_co_ci_u32_e64 v27, null, s9, v27, s3
	global_store_b16 v[26:27], v23, off
	s_wait_alu 0xfffe
	s_or_b32 exec_lo, exec_lo, s4
	s_and_saveexec_b32 s4, s1
	s_cbranch_execz .LBB144_39
.LBB144_74:
	v_dual_mov_b32 v24, 0 :: v_dual_add_nc_u32 v23, v25, v13
	s_delay_alu instid0(VALU_DEP_1) | instskip(SKIP_1) | instid1(VALU_DEP_1)
	v_lshlrev_b64_e32 v[23:24], 1, v[23:24]
	s_wait_kmcnt 0x0
	v_add_co_u32 v23, s3, s8, v23
	s_wait_alu 0xf1ff
	s_delay_alu instid0(VALU_DEP_2)
	v_add_co_ci_u32_e64 v24, null, s9, v24, s3
	global_store_b16 v[23:24], v22, off
	s_wait_alu 0xfffe
	s_or_b32 exec_lo, exec_lo, s4
	s_and_saveexec_b32 s4, s2
	s_cbranch_execnz .LBB144_40
	s_branch .LBB144_41
.LBB144_75:
	s_delay_alu instid0(VALU_DEP_1) | instskip(NEXT) | instid1(VALU_DEP_1)
	v_dual_mov_b32 v23, 0 :: v_dual_add_nc_u32 v22, v21, v0
	v_lshlrev_b64_e32 v[22:23], 1, v[22:23]
	s_wait_kmcnt 0x0
	s_delay_alu instid0(VALU_DEP_1) | instskip(SKIP_1) | instid1(VALU_DEP_2)
	v_add_co_u32 v22, s3, s8, v22
	s_wait_alu 0xf1ff
	v_add_co_ci_u32_e64 v23, null, s9, v23, s3
	global_store_b16 v[22:23], v20, off
	s_wait_alu 0xfffe
	s_or_b32 exec_lo, exec_lo, s4
	s_and_saveexec_b32 s4, s0
	s_cbranch_execz .LBB144_44
.LBB144_76:
	s_delay_alu instid0(VALU_DEP_1) | instskip(NEXT) | instid1(VALU_DEP_1)
	v_dual_mov_b32 v23, 0 :: v_dual_add_nc_u32 v22, v21, v12
	v_lshlrev_b64_e32 v[22:23], 1, v[22:23]
	s_wait_kmcnt 0x0
	s_delay_alu instid0(VALU_DEP_1) | instskip(SKIP_1) | instid1(VALU_DEP_2)
	v_add_co_u32 v22, s3, s8, v22
	s_wait_alu 0xf1ff
	v_add_co_ci_u32_e64 v23, null, s9, v23, s3
	global_store_b16 v[22:23], v19, off
	s_wait_alu 0xfffe
	s_or_b32 exec_lo, exec_lo, s4
	s_and_saveexec_b32 s4, s1
	s_cbranch_execz .LBB144_45
.LBB144_77:
	v_dual_mov_b32 v20, 0 :: v_dual_add_nc_u32 v19, v21, v13
	s_delay_alu instid0(VALU_DEP_1) | instskip(SKIP_1) | instid1(VALU_DEP_1)
	v_lshlrev_b64_e32 v[19:20], 1, v[19:20]
	s_wait_kmcnt 0x0
	v_add_co_u32 v19, s3, s8, v19
	s_wait_alu 0xf1ff
	s_delay_alu instid0(VALU_DEP_2)
	v_add_co_ci_u32_e64 v20, null, s9, v20, s3
	global_store_b16 v[19:20], v18, off
	s_wait_alu 0xfffe
	s_or_b32 exec_lo, exec_lo, s4
	s_and_saveexec_b32 s4, s2
	s_cbranch_execnz .LBB144_46
	s_branch .LBB144_47
.LBB144_78:
	s_delay_alu instid0(VALU_DEP_1) | instskip(NEXT) | instid1(VALU_DEP_1)
	v_dual_mov_b32 v19, 0 :: v_dual_add_nc_u32 v18, v17, v0
	v_lshlrev_b64_e32 v[18:19], 1, v[18:19]
	s_wait_kmcnt 0x0
	s_delay_alu instid0(VALU_DEP_1) | instskip(SKIP_1) | instid1(VALU_DEP_2)
	v_add_co_u32 v18, s3, s8, v18
	s_wait_alu 0xf1ff
	v_add_co_ci_u32_e64 v19, null, s9, v19, s3
	global_store_b16 v[18:19], v16, off
	s_wait_alu 0xfffe
	s_or_b32 exec_lo, exec_lo, s4
	s_and_saveexec_b32 s4, s0
	s_cbranch_execz .LBB144_50
.LBB144_79:
	s_delay_alu instid0(VALU_DEP_1) | instskip(NEXT) | instid1(VALU_DEP_1)
	v_dual_mov_b32 v19, 0 :: v_dual_add_nc_u32 v18, v17, v12
	v_lshlrev_b64_e32 v[18:19], 1, v[18:19]
	s_wait_kmcnt 0x0
	s_delay_alu instid0(VALU_DEP_1) | instskip(SKIP_1) | instid1(VALU_DEP_2)
	v_add_co_u32 v18, s3, s8, v18
	s_wait_alu 0xf1ff
	v_add_co_ci_u32_e64 v19, null, s9, v19, s3
	global_store_b16 v[18:19], v15, off
	s_wait_alu 0xfffe
	s_or_b32 exec_lo, exec_lo, s4
	s_and_saveexec_b32 s4, s1
	s_cbranch_execz .LBB144_51
.LBB144_80:
	v_dual_mov_b32 v16, 0 :: v_dual_add_nc_u32 v15, v17, v13
	s_delay_alu instid0(VALU_DEP_1) | instskip(SKIP_1) | instid1(VALU_DEP_1)
	v_lshlrev_b64_e32 v[15:16], 1, v[15:16]
	s_wait_kmcnt 0x0
	v_add_co_u32 v15, s3, s8, v15
	s_wait_alu 0xf1ff
	s_delay_alu instid0(VALU_DEP_2)
	v_add_co_ci_u32_e64 v16, null, s9, v16, s3
	global_store_b16 v[15:16], v11, off
	s_wait_alu 0xfffe
	s_or_b32 exec_lo, exec_lo, s4
	s_and_saveexec_b32 s4, s2
	s_cbranch_execnz .LBB144_52
	s_branch .LBB144_53
.LBB144_81:
	s_delay_alu instid0(VALU_DEP_1) | instskip(NEXT) | instid1(VALU_DEP_1)
	v_dual_mov_b32 v16, 0 :: v_dual_add_nc_u32 v15, v10, v0
	v_lshlrev_b64_e32 v[15:16], 1, v[15:16]
	s_wait_kmcnt 0x0
	s_delay_alu instid0(VALU_DEP_1) | instskip(SKIP_1) | instid1(VALU_DEP_2)
	v_add_co_u32 v15, s3, s8, v15
	s_wait_alu 0xf1ff
	v_add_co_ci_u32_e64 v16, null, s9, v16, s3
	global_store_b16 v[15:16], v9, off
	s_wait_alu 0xfffe
	s_or_b32 exec_lo, exec_lo, s4
	s_and_saveexec_b32 s4, s0
	s_cbranch_execz .LBB144_56
.LBB144_82:
	s_delay_alu instid0(VALU_DEP_1) | instskip(NEXT) | instid1(VALU_DEP_1)
	v_dual_mov_b32 v16, 0 :: v_dual_add_nc_u32 v15, v10, v12
	v_lshlrev_b64_e32 v[15:16], 1, v[15:16]
	s_wait_kmcnt 0x0
	s_delay_alu instid0(VALU_DEP_1) | instskip(SKIP_1) | instid1(VALU_DEP_2)
	v_add_co_u32 v15, s3, s8, v15
	s_wait_alu 0xf1ff
	v_add_co_ci_u32_e64 v16, null, s9, v16, s3
	global_store_b16 v[15:16], v8, off
	s_wait_alu 0xfffe
	s_or_b32 exec_lo, exec_lo, s4
	s_and_saveexec_b32 s4, s1
	s_cbranch_execz .LBB144_57
.LBB144_83:
	v_dual_mov_b32 v9, 0 :: v_dual_add_nc_u32 v8, v10, v13
	s_delay_alu instid0(VALU_DEP_1) | instskip(SKIP_1) | instid1(VALU_DEP_1)
	v_lshlrev_b64_e32 v[8:9], 1, v[8:9]
	s_wait_kmcnt 0x0
	v_add_co_u32 v8, s3, s8, v8
	s_wait_alu 0xf1ff
	s_delay_alu instid0(VALU_DEP_2)
	v_add_co_ci_u32_e64 v9, null, s9, v9, s3
	global_store_b16 v[8:9], v7, off
	s_wait_alu 0xfffe
	s_or_b32 exec_lo, exec_lo, s4
	s_and_saveexec_b32 s4, s2
	s_cbranch_execnz .LBB144_58
	s_branch .LBB144_59
.LBB144_84:
	s_delay_alu instid0(VALU_DEP_1) | instskip(NEXT) | instid1(VALU_DEP_1)
	v_dual_mov_b32 v7, 0 :: v_dual_add_nc_u32 v6, v5, v0
	v_lshlrev_b64_e32 v[6:7], 1, v[6:7]
	s_wait_kmcnt 0x0
	s_delay_alu instid0(VALU_DEP_1) | instskip(SKIP_1) | instid1(VALU_DEP_2)
	v_add_co_u32 v6, vcc_lo, s8, v6
	s_wait_alu 0xfffd
	v_add_co_ci_u32_e64 v7, null, s9, v7, vcc_lo
	global_store_b16 v[6:7], v4, off
	s_wait_alu 0xfffe
	s_or_b32 exec_lo, exec_lo, s3
	s_and_saveexec_b32 s3, s0
	s_cbranch_execz .LBB144_62
.LBB144_85:
	s_delay_alu instid0(VALU_DEP_1) | instskip(NEXT) | instid1(VALU_DEP_1)
	v_dual_mov_b32 v7, 0 :: v_dual_add_nc_u32 v6, v5, v12
	v_lshlrev_b64_e32 v[6:7], 1, v[6:7]
	s_wait_kmcnt 0x0
	s_delay_alu instid0(VALU_DEP_1) | instskip(SKIP_1) | instid1(VALU_DEP_2)
	v_add_co_u32 v6, vcc_lo, s8, v6
	s_wait_alu 0xfffd
	v_add_co_ci_u32_e64 v7, null, s9, v7, vcc_lo
	global_store_b16 v[6:7], v3, off
	s_wait_alu 0xfffe
	s_or_b32 exec_lo, exec_lo, s3
	s_and_saveexec_b32 s0, s1
	s_cbranch_execz .LBB144_63
.LBB144_86:
	v_dual_mov_b32 v4, 0 :: v_dual_add_nc_u32 v3, v5, v13
	s_delay_alu instid0(VALU_DEP_1) | instskip(SKIP_1) | instid1(VALU_DEP_1)
	v_lshlrev_b64_e32 v[3:4], 1, v[3:4]
	s_wait_kmcnt 0x0
	v_add_co_u32 v3, vcc_lo, s8, v3
	s_wait_alu 0xfffd
	s_delay_alu instid0(VALU_DEP_2) | instskip(SKIP_3) | instid1(SALU_CYCLE_1)
	v_add_co_ci_u32_e64 v4, null, s9, v4, vcc_lo
	global_store_b16 v[3:4], v2, off
	s_wait_alu 0xfffe
	s_or_b32 exec_lo, exec_lo, s0
	s_and_b32 exec_lo, exec_lo, s2
	s_cbranch_execnz .LBB144_64
	s_branch .LBB144_65
	.section	.rodata,"a",@progbits
	.p2align	6, 0x0
	.amdhsa_kernel _ZL12mul_mat_q5_1IN3c104HalfELb1EEvPKvS3_PT_iiiii
		.amdhsa_group_segment_fixed_size 46720
		.amdhsa_private_segment_fixed_size 0
		.amdhsa_kernarg_size 44
		.amdhsa_user_sgpr_count 2
		.amdhsa_user_sgpr_dispatch_ptr 0
		.amdhsa_user_sgpr_queue_ptr 0
		.amdhsa_user_sgpr_kernarg_segment_ptr 1
		.amdhsa_user_sgpr_dispatch_id 0
		.amdhsa_user_sgpr_private_segment_size 0
		.amdhsa_wavefront_size32 1
		.amdhsa_uses_dynamic_stack 0
		.amdhsa_enable_private_segment 0
		.amdhsa_system_sgpr_workgroup_id_x 1
		.amdhsa_system_sgpr_workgroup_id_y 1
		.amdhsa_system_sgpr_workgroup_id_z 0
		.amdhsa_system_sgpr_workgroup_info 0
		.amdhsa_system_vgpr_workitem_id 1
		.amdhsa_next_free_vgpr 241
		.amdhsa_next_free_sgpr 17
		.amdhsa_reserve_vcc 1
		.amdhsa_float_round_mode_32 0
		.amdhsa_float_round_mode_16_64 0
		.amdhsa_float_denorm_mode_32 3
		.amdhsa_float_denorm_mode_16_64 3
		.amdhsa_fp16_overflow 0
		.amdhsa_workgroup_processor_mode 1
		.amdhsa_memory_ordered 1
		.amdhsa_forward_progress 1
		.amdhsa_inst_pref_size 179
		.amdhsa_round_robin_scheduling 0
		.amdhsa_exception_fp_ieee_invalid_op 0
		.amdhsa_exception_fp_denorm_src 0
		.amdhsa_exception_fp_ieee_div_zero 0
		.amdhsa_exception_fp_ieee_overflow 0
		.amdhsa_exception_fp_ieee_underflow 0
		.amdhsa_exception_fp_ieee_inexact 0
		.amdhsa_exception_int_div_zero 0
	.end_amdhsa_kernel
	.section	.text._ZL12mul_mat_q5_1IN3c104HalfELb1EEvPKvS3_PT_iiiii,"axG",@progbits,_ZL12mul_mat_q5_1IN3c104HalfELb1EEvPKvS3_PT_iiiii,comdat
.Lfunc_end144:
	.size	_ZL12mul_mat_q5_1IN3c104HalfELb1EEvPKvS3_PT_iiiii, .Lfunc_end144-_ZL12mul_mat_q5_1IN3c104HalfELb1EEvPKvS3_PT_iiiii
                                        ; -- End function
	.set _ZL12mul_mat_q5_1IN3c104HalfELb1EEvPKvS3_PT_iiiii.num_vgpr, 238
	.set _ZL12mul_mat_q5_1IN3c104HalfELb1EEvPKvS3_PT_iiiii.num_agpr, 0
	.set _ZL12mul_mat_q5_1IN3c104HalfELb1EEvPKvS3_PT_iiiii.numbered_sgpr, 17
	.set _ZL12mul_mat_q5_1IN3c104HalfELb1EEvPKvS3_PT_iiiii.num_named_barrier, 0
	.set _ZL12mul_mat_q5_1IN3c104HalfELb1EEvPKvS3_PT_iiiii.private_seg_size, 0
	.set _ZL12mul_mat_q5_1IN3c104HalfELb1EEvPKvS3_PT_iiiii.uses_vcc, 1
	.set _ZL12mul_mat_q5_1IN3c104HalfELb1EEvPKvS3_PT_iiiii.uses_flat_scratch, 0
	.set _ZL12mul_mat_q5_1IN3c104HalfELb1EEvPKvS3_PT_iiiii.has_dyn_sized_stack, 0
	.set _ZL12mul_mat_q5_1IN3c104HalfELb1EEvPKvS3_PT_iiiii.has_recursion, 0
	.set _ZL12mul_mat_q5_1IN3c104HalfELb1EEvPKvS3_PT_iiiii.has_indirect_call, 0
	.section	.AMDGPU.csdata,"",@progbits
; Kernel info:
; codeLenInByte = 22884
; TotalNumSgprs: 19
; NumVgprs: 238
; ScratchSize: 0
; MemoryBound: 0
; FloatMode: 240
; IeeeMode: 1
; LDSByteSize: 46720 bytes/workgroup (compile time only)
; SGPRBlocks: 0
; VGPRBlocks: 30
; NumSGPRsForWavesPerEU: 19
; NumVGPRsForWavesPerEU: 241
; Occupancy: 4
; WaveLimiterHint : 0
; COMPUTE_PGM_RSRC2:SCRATCH_EN: 0
; COMPUTE_PGM_RSRC2:USER_SGPR: 2
; COMPUTE_PGM_RSRC2:TRAP_HANDLER: 0
; COMPUTE_PGM_RSRC2:TGID_X_EN: 1
; COMPUTE_PGM_RSRC2:TGID_Y_EN: 1
; COMPUTE_PGM_RSRC2:TGID_Z_EN: 0
; COMPUTE_PGM_RSRC2:TIDIG_COMP_CNT: 1
	.section	.text._ZL12mul_mat_q8_0IN3c104HalfELb0EEvPKvS3_PT_iiiii,"axG",@progbits,_ZL12mul_mat_q8_0IN3c104HalfELb0EEvPKvS3_PT_iiiii,comdat
	.globl	_ZL12mul_mat_q8_0IN3c104HalfELb0EEvPKvS3_PT_iiiii ; -- Begin function _ZL12mul_mat_q8_0IN3c104HalfELb0EEvPKvS3_PT_iiiii
	.p2align	8
	.type	_ZL12mul_mat_q8_0IN3c104HalfELb0EEvPKvS3_PT_iiiii,@function
_ZL12mul_mat_q8_0IN3c104HalfELb0EEvPKvS3_PT_iiiii: ; @_ZL12mul_mat_q8_0IN3c104HalfELb0EEvPKvS3_PT_iiiii
; %bb.0:
	s_clause 0x1
	s_load_b32 s10, s[0:1], 0x18
	s_load_b96 s[4:6], s[0:1], 0x20
	v_bfe_u32 v37, v0, 10, 10
	v_and_b32_e32 v38, 0x3ff, v0
	s_lshl_b32 s7, ttmp7, 6
	s_wait_kmcnt 0x0
	s_cmp_gt_i32 s10, 31
	s_cbranch_scc1 .LBB145_2
; %bb.1:
	v_bfe_u32 v6, v0, 10, 10
	v_and_b32_e32 v34, 0x3ff, v0
	s_mov_b32 s2, 0
	s_delay_alu instid0(VALU_DEP_2)
	v_add_nc_u32_e32 v39, s7, v6
	s_branch .LBB145_3
.LBB145_2:
	s_mov_b32 s2, -1
                                        ; implicit-def: $vgpr6
                                        ; implicit-def: $vgpr34
                                        ; implicit-def: $vgpr39
.LBB145_3:
	s_load_b64 s[8:9], s[0:1], 0x10
	v_dual_mov_b32 v1, 0 :: v_dual_mov_b32 v10, 0
	v_dual_mov_b32 v5, 0 :: v_dual_mov_b32 v2, 0
	;; [unrolled: 1-line block ×15, first 2 shown]
	v_mov_b32_e32 v13, 0
	v_mov_b32_e32 v9, 0
	s_and_not1_b32 vcc_lo, exec_lo, s2
	s_lshl_b32 s14, ttmp9, 7
	s_cbranch_vccnz .LBB145_9
; %bb.4:
	v_dual_mov_b32 v40, 0 :: v_dual_add_nc_u32 v39, s7, v37
	s_add_co_i32 s16, s4, -1
	s_ashr_i32 s11, s10, 31
	v_cvt_f64_i32_e32 v[2:3], s16
	s_delay_alu instid0(VALU_DEP_2)
	v_dual_mov_b32 v114, 0 :: v_dual_add_nc_u32 v1, 8, v39
	v_cvt_f64_u32_e32 v[4:5], v39
	v_dual_mov_b32 v131, 0 :: v_dual_add_nc_u32 v8, 16, v39
	v_dual_mov_b32 v125, 0 :: v_dual_add_nc_u32 v10, 24, v39
	;; [unrolled: 1-line block ×3, first 2 shown]
	v_cvt_f64_u32_e32 v[6:7], v1
	v_dual_mov_b32 v109, 0 :: v_dual_add_nc_u32 v14, 40, v39
	v_dual_mov_b32 v110, 0 :: v_dual_add_nc_u32 v1, 48, v39
	;; [unrolled: 1-line block ×3, first 2 shown]
	v_cvt_f64_u32_e32 v[8:9], v8
	v_cvt_f64_u32_e32 v[10:11], v10
	;; [unrolled: 1-line block ×6, first 2 shown]
	s_lshr_b32 s11, s11, 27
	v_mov_b32_e32 v146, 0
	s_add_co_i32 s10, s10, s11
	v_mov_b32_e32 v129, 0
	s_ashr_i32 s15, s10, 5
	v_mov_b32_e32 v152, 0
	v_mul_lo_u32 v42, s15, v37
	s_lshl_b32 s20, s15, 3
	v_dual_mov_b32 v151, 0 :: v_dual_lshlrev_b32 v28, 3, v37
	v_mov_b32_e32 v111, 0
	v_bfe_u32 v29, v0, 2, 8
	v_dual_mov_b32 v148, 0 :: v_dual_and_b32 v1, 3, v0
	v_add_nc_u32_e32 v43, s20, v42
	s_load_b128 s[0:3], s[0:1], 0x0
	s_ashr_i32 s12, s5, 31
	v_dual_mov_b32 v139, 0 :: v_dual_lshlrev_b32 v20, 2, v38
	v_min_num_f64_e32 v[4:5], v[4:5], v[2:3]
	v_add_nc_u32_e32 v44, s20, v43
	s_lshr_b32 s10, s12, 27
	v_dual_mov_b32 v106, 0 :: v_dual_add_nc_u32 v21, 8, v37
	s_add_co_i32 s5, s5, s10
	v_min_num_f64_e32 v[6:7], v[6:7], v[2:3]
	v_add_nc_u32_e32 v47, s20, v44
	v_mov_b32_e32 v123, 0
	v_mov_b32_e32 v153, 0
	s_ashr_i32 s5, s5, 5
	v_dual_mov_b32 v133, 0 :: v_dual_add_nc_u32 v22, 16, v37
	v_min_num_f64_e32 v[8:9], v[8:9], v[2:3]
	v_min_num_f64_e32 v[10:11], v[10:11], v[2:3]
	;; [unrolled: 1-line block ×6, first 2 shown]
	v_add_nc_u32_e32 v48, s20, v47
	v_add_nc_u32_e32 v18, v29, v28
	v_add_nc_u16 v19, v29, v28
	v_lshlrev_b32_e32 v28, 2, v1
	v_dual_mov_b32 v142, 0 :: v_dual_add_nc_u32 v23, 24, v37
	v_add_nc_u32_e32 v51, s20, v48
	v_dual_mov_b32 v127, 0 :: v_dual_add_nc_u32 v24, 32, v37
	v_dual_mov_b32 v116, 0 :: v_dual_add_nc_u32 v25, 40, v37
	s_delay_alu instid0(VALU_DEP_3) | instskip(SKIP_2) | instid1(VALU_DEP_3)
	v_add_nc_u32_e32 v55, s20, v51
	v_dual_mov_b32 v121, 0 :: v_dual_add_nc_u32 v26, 48, v37
	v_dual_mov_b32 v150, 0 :: v_dual_add_nc_u32 v27, 56, v37
	v_add_nc_u32_e32 v60, s20, v55
	v_dual_mov_b32 v143, 0 :: v_dual_and_b32 v30, 31, v0
	v_cvt_i32_f64_e32 v4, v[4:5]
	v_mul_lo_u32 v72, s15, v18
	s_delay_alu instid0(VALU_DEP_4) | instskip(SKIP_3) | instid1(VALU_DEP_4)
	v_add_nc_u32_e32 v65, s20, v60
	v_dual_mov_b32 v140, 0 :: v_dual_and_b32 v45, 28, v20
	v_bfe_u32 v41, v0, 3, 7
	v_cvt_i32_f64_e32 v5, v[6:7]
	v_add_nc_u32_e32 v67, s20, v65
	v_dual_mov_b32 v135, 0 :: v_dual_lshlrev_b32 v0, 7, v37
	v_mad_u32_u24 v46, 0x84, v37, v20
	v_lshl_or_b32 v29, v30, 2, 0x4200
	s_delay_alu instid0(VALU_DEP_4)
	v_add_nc_u32_e32 v70, s20, v67
	v_cvt_i32_f64_e32 v6, v[8:9]
	v_cvt_i32_f64_e32 v7, v[10:11]
	;; [unrolled: 1-line block ×6, first 2 shown]
	v_lshrrev_b16 v2, 1, v19
	v_add_nc_u32_e32 v3, 64, v18
	v_and_b32_e32 v13, 63, v18
	v_add_nc_u32_e32 v73, s20, v70
	v_dual_mov_b32 v144, 0 :: v_dual_lshlrev_b32 v49, 7, v21
	v_and_b32_e32 v2, 0x7fc, v2
	v_lshrrev_b32_e32 v14, 1, v3
	v_lshlrev_b32_e32 v15, 4, v3
	v_or_b32_e32 v3, s7, v13
	v_add_nc_u32_e32 v74, s20, v73
	v_add3_u32 v16, v2, v28, 0x6200
	v_lshl_or_b32 v13, v13, 4, v28
	v_and_b32_e32 v14, 0xffc, v14
	v_min_i32_e32 v2, s16, v3
	v_add_nc_u32_e32 v75, s20, v74
	v_dual_mov_b32 v149, 0 :: v_dual_lshlrev_b32 v50, 7, v22
	v_lshlrev_b32_e32 v12, 4, v18
	s_delay_alu instid0(VALU_DEP_4)
	v_mad_co_u64_u32 v[2:3], null, v2, s5, v[1:2]
	v_mul_lo_u32 v80, s5, v4
	v_add_nc_u32_e32 v3, 32, v38
	v_add_nc_u32_e32 v4, 64, v38
	;; [unrolled: 1-line block ×3, first 2 shown]
	v_mul_lo_u32 v81, s5, v5
	v_add_nc_u32_e32 v5, 0x60, v38
	v_add_nc_u32_e32 v78, 0x6a40, v13
	v_add3_u32 v13, v14, v28, 0x6200
	v_lshlrev_b32_e32 v84, 7, v23
	v_lshlrev_b32_e32 v86, 7, v24
	;; [unrolled: 1-line block ×3, first 2 shown]
	v_mul_lo_u32 v82, s5, v6
	v_mul_lo_u32 v83, s5, v7
	;; [unrolled: 1-line block ×3, first 2 shown]
	v_lshlrev_b32_e32 v90, 7, v26
	v_lshlrev_b32_e32 v92, 7, v27
	v_lshrrev_b32_e32 v6, 3, v3
	v_lshrrev_b32_e32 v7, 3, v4
	;; [unrolled: 1-line block ×3, first 2 shown]
	s_mul_i32 s10, s15, s14
	v_mul_lo_u32 v87, s5, v9
	v_mul_lo_u32 v89, s5, v10
	;; [unrolled: 1-line block ×3, first 2 shown]
	s_movk_i32 s17, 0x1080
	s_movk_i32 s18, 0x2100
	;; [unrolled: 1-line block ×3, first 2 shown]
	v_lshlrev_b32_e32 v103, 4, v3
	s_wait_kmcnt 0x0
	v_add_co_u32 v3, s5, s2, v45
	s_ashr_i32 s11, s10, 31
	v_dual_mov_b32 v147, 0 :: v_dual_add_nc_u32 v52, 0x420, v46
	v_add_nc_u32_e32 v53, 0x840, v46
	v_dual_mov_b32 v141, 0 :: v_dual_add_nc_u32 v54, 0xc60, v46
	v_dual_mov_b32 v137, 0 :: v_dual_add_nc_u32 v56, 0x1080, v46
	v_add_nc_u32_e32 v57, 0x14a0, v46
	v_add_nc_u32_e32 v58, 0x18c0, v46
	;; [unrolled: 1-line block ×11, first 2 shown]
	v_lshl_add_u32 v76, s15, 6, v72
	v_add_nc_u32_e32 v79, s20, v77
	v_lshlrev_b32_e32 v93, 4, v37
	v_lshlrev_b32_e32 v94, 4, v21
	;; [unrolled: 1-line block ×8, first 2 shown]
	v_mul_u32_u24_e32 v101, 0x84, v38
	s_wait_alu 0xfffe
	v_mad_u32_u24 v102, 0x84, v38, s17
	v_mad_u32_u24 v104, 0x84, v38, s18
	v_lshlrev_b32_e32 v105, 4, v4
	v_mad_u32_u24 v107, 0x84, v38, s19
	v_lshlrev_b32_e32 v108, 4, v5
	s_wait_alu 0xf1ff
	v_add_co_ci_u32_e64 v4, null, s3, 0, s5
	v_add_nc_u32_e32 v112, v16, v12
	v_add_nc_u32_e32 v113, v13, v15
	;; [unrolled: 1-line block ×10, first 2 shown]
	v_lshlrev_b32_e32 v130, 2, v41
	v_lshlrev_b32_e32 v132, 2, v20
	;; [unrolled: 1-line block ×5, first 2 shown]
	s_mul_u64 s[12:13], s[10:11], 34
	s_mov_b32 s11, 0
	s_add_nc_u64 s[0:1], s[0:1], s[12:13]
	s_mov_b32 s10, s11
.LBB145_5:                              ; =>This Loop Header: Depth=1
                                        ;     Child Loop BB145_6 Depth 2
	s_delay_alu instid0(SALU_CYCLE_1)
	s_mul_u64 s[12:13], s[10:11], 34
	v_add_nc_u32_e32 v35, s10, v41
	s_wait_alu 0xfffe
	s_add_nc_u64 s[12:13], s[0:1], s[12:13]
	v_add_nc_u32_e32 v25, s10, v2
	s_wait_alu 0xfffe
	v_mad_co_u64_u32 v[5:6], null, v41, 34, s[12:13]
	s_mov_b32 s5, 0
	v_mad_co_u64_u32 v[25:26], null, v25, 36, s[2:3]
	v_mad_co_u64_u32 v[7:8], null, v42, 34, v[5:6]
	;; [unrolled: 1-line block ×5, first 2 shown]
	s_delay_alu instid0(VALU_DEP_4)
	v_add_co_u32 v7, vcc_lo, v7, v45
	v_mad_co_u64_u32 v[15:16], null, v48, 34, v[5:6]
	s_wait_alu 0xfffd
	v_add_co_ci_u32_e64 v8, null, 0, v8, vcc_lo
	v_add_co_u32 v9, vcc_lo, v9, v45
	v_mad_co_u64_u32 v[17:18], null, v51, 34, v[5:6]
	s_wait_alu 0xfffd
	v_add_co_ci_u32_e64 v10, null, 0, v10, vcc_lo
	;; [unrolled: 4-line block ×4, first 2 shown]
	v_add_co_u32 v15, vcc_lo, v15, v45
	s_wait_alu 0xfffd
	v_add_co_ci_u32_e64 v16, null, 0, v16, vcc_lo
	v_add_co_u32 v17, vcc_lo, v17, v45
	s_wait_alu 0xfffd
	v_add_co_ci_u32_e64 v18, null, 0, v18, vcc_lo
	;; [unrolled: 3-line block ×3, first 2 shown]
	v_add_co_u32 v21, vcc_lo, v21, v45
	v_mad_co_u64_u32 v[23:24], null, v65, 34, v[5:6]
	s_wait_alu 0xfffd
	v_add_co_ci_u32_e64 v22, null, 0, v22, vcc_lo
	s_clause 0x7
	global_load_b32 v27, v[7:8], off offset:2
	global_load_b32 v28, v[9:10], off offset:2
	;; [unrolled: 1-line block ×8, first 2 shown]
	v_mad_co_u64_u32 v[7:8], null, v67, 34, v[5:6]
	v_mad_co_u64_u32 v[11:12], null, v70, 34, v[5:6]
	;; [unrolled: 1-line block ×3, first 2 shown]
	v_add_co_u32 v9, vcc_lo, v23, v45
	v_mad_co_u64_u32 v[15:16], null, v74, 34, v[5:6]
	s_wait_alu 0xfffd
	v_add_co_ci_u32_e64 v10, null, 0, v24, vcc_lo
	v_add_co_u32 v7, vcc_lo, v7, v45
	v_mad_co_u64_u32 v[17:18], null, v75, 34, v[5:6]
	s_wait_alu 0xfffd
	v_add_co_ci_u32_e64 v8, null, 0, v8, vcc_lo
	;; [unrolled: 4-line block ×4, first 2 shown]
	v_add_co_u32 v15, vcc_lo, v15, v45
	s_wait_alu 0xfffd
	v_add_co_ci_u32_e64 v16, null, 0, v16, vcc_lo
	v_add_co_u32 v17, vcc_lo, v17, v45
	s_wait_alu 0xfffd
	v_add_co_ci_u32_e64 v18, null, 0, v18, vcc_lo
	v_add_co_u32 v19, vcc_lo, v19, v45
	v_mad_co_u64_u32 v[21:22], null, v1, 34, s[12:13]
	s_wait_alu 0xfffd
	v_add_co_ci_u32_e64 v20, null, 0, v20, vcc_lo
	v_add_co_u32 v5, vcc_lo, v5, v45
	s_wait_alu 0xfffd
	v_add_co_ci_u32_e64 v6, null, 0, v6, vcc_lo
	s_clause 0x7
	global_load_b32 v36, v[9:10], off offset:2
	global_load_b32 v154, v[7:8], off offset:2
	;; [unrolled: 1-line block ×8, first 2 shown]
	v_add_nc_u32_e32 v7, v35, v81
	v_add_nc_u32_e32 v11, v35, v83
	;; [unrolled: 1-line block ×5, first 2 shown]
	v_mad_co_u64_u32 v[23:24], null, v72, 34, v[21:22]
	v_add_nc_u32_e32 v9, v35, v82
	v_mad_co_i64_i32 v[7:8], null, v7, 36, v[3:4]
	v_mad_co_u64_u32 v[21:22], null, v76, 34, v[21:22]
	v_mad_co_i64_i32 v[11:12], null, v11, 36, v[3:4]
	v_add_nc_u32_e32 v17, v35, v85
	v_mad_co_i64_i32 v[13:14], null, v13, 36, v[3:4]
	v_add_nc_u32_e32 v19, v35, v89
	v_mad_co_i64_i32 v[15:16], null, v15, 36, v[3:4]
	v_mad_co_i64_i32 v[5:6], null, v5, 36, v[3:4]
	;; [unrolled: 1-line block ×5, first 2 shown]
	s_clause 0x1
	global_load_u16 v23, v[23:24], off
	global_load_u16 v21, v[21:22], off
	s_clause 0x8
	global_load_b32 v22, v[25:26], off
	global_load_b32 v7, v[7:8], off offset:4
	global_load_b32 v8, v[11:12], off offset:4
	;; [unrolled: 1-line block ×8, first 2 shown]
	s_wait_loadcnt 0xa
	v_cvt_f32_f16_e32 v14, v23
	s_wait_loadcnt 0x9
	v_cvt_f32_f16_e32 v15, v21
	s_wait_loadcnt 0x8
	v_cvt_f32_f16_e32 v13, v22
	ds_store_b32 v46, v27
	ds_store_b32 v52, v28
	;; [unrolled: 1-line block ×18, first 2 shown]
	s_wait_loadcnt 0x7
	ds_store_b32 v117, v7
	s_wait_loadcnt 0x6
	ds_store_b32 v120, v8
	;; [unrolled: 2-line block ×8, first 2 shown]
	ds_store_b32 v78, v13
	s_wait_dscnt 0x0
	s_barrier_signal -1
	s_barrier_wait -1
	global_inv scope:SCOPE_SE
.LBB145_6:                              ;   Parent Loop BB145_5 Depth=1
                                        ; =>  This Inner Loop Header: Depth=2
	s_wait_alu 0xfffe
	s_lshr_b32 s17, s5, 1
	s_lshl_b32 s16, s5, 2
	s_wait_alu 0xfffe
	s_add_co_i32 s13, s17, 0x6a40
	s_addk_co_i32 s17, 0x6200
	s_wait_alu 0xfffe
	v_add_nc_u32_e32 v6, s13, v93
	s_add_co_i32 s12, s16, 0x4200
	v_add3_u32 v7, s17, v130, v132
	v_add_nc_u32_e32 v35, s16, v102
	ds_load_b32 v29, v6
	s_wait_alu 0xfffe
	v_add_nc_u32_e32 v5, s12, v0
	v_add_nc_u32_e32 v6, s16, v101
	ds_load_b32 v155, v7
	ds_load_b128 v[31:34], v5
	ds_load_b128 v[158:161], v5 offset:16
	ds_load_2addr_b32 v[11:12], v6 offset1:1
	ds_load_2addr_b32 v[9:10], v6 offset0:2 offset1:3
	ds_load_2addr_b32 v[7:8], v6 offset0:4 offset1:5
	;; [unrolled: 1-line block ×3, first 2 shown]
	s_wait_dscnt 0x5
	v_perm_b32 v15, v34, v33, 0x5010c0c
	v_perm_b32 v16, v34, v33, 0x7030c0c
	s_wait_dscnt 0x3
	v_perm_b32 v13, v11, v12, 0xc0c0501
	s_wait_dscnt 0x2
	v_perm_b32 v14, v10, v9, 0x5010c0c
	v_perm_b32 v17, v34, v33, 0x4000c0c
	;; [unrolled: 1-line block ×4, first 2 shown]
	s_delay_alu instid0(VALU_DEP_4) | instskip(SKIP_1) | instid1(VALU_DEP_1)
	v_or_b32_e32 v13, v14, v13
	v_perm_b32 v14, v31, v32, 0xc0c0501
	v_or_b32_e32 v14, v15, v14
	v_perm_b32 v15, v10, v9, 0x7030c0c
	s_delay_alu instid0(VALU_DEP_2) | instskip(SKIP_1) | instid1(VALU_DEP_1)
	v_dot4_i32_iu8 v13, v13, v14, 0 neg_lo:[1,1,0]
	v_perm_b32 v14, v11, v12, 0xc0c0703
	v_or_b32_e32 v14, v15, v14
	v_perm_b32 v15, v31, v32, 0xc0c0703
	s_delay_alu instid0(VALU_DEP_1) | instskip(SKIP_1) | instid1(VALU_DEP_2)
	v_or_b32_e32 v15, v16, v15
	v_perm_b32 v16, v10, v9, 0x4000c0c
	v_dot4_i32_iu8 v14, v14, v15, 0 neg_lo:[1,1,0]
	v_perm_b32 v15, v11, v12, 0xc0c0400
	s_delay_alu instid0(VALU_DEP_1) | instskip(SKIP_1) | instid1(VALU_DEP_1)
	v_or_b32_e32 v15, v16, v15
	v_perm_b32 v16, v31, v32, 0xc0c0400
	v_or_b32_e32 v16, v17, v16
	v_perm_b32 v17, v10, v9, 0x6020c0c
	s_delay_alu instid0(VALU_DEP_2) | instskip(SKIP_1) | instid1(VALU_DEP_1)
	v_dot4_i32_iu8 v15, v15, v16, 0 neg_lo:[1,1,0]
	v_perm_b32 v16, v11, v12, 0xc0c0602
	v_or_b32_e32 v16, v17, v16
	v_perm_b32 v17, v31, v32, 0xc0c0602
	s_delay_alu instid0(VALU_DEP_1) | instskip(SKIP_2) | instid1(VALU_DEP_2)
	v_or_b32_e32 v17, v18, v17
	s_wait_dscnt 0x0
	v_perm_b32 v18, v6, v5, 0x6020c0c
	v_dot4_i32_iu8 v16, v16, v17, 0 neg_lo:[1,1,0]
	v_perm_b32 v17, v8, v7, 0xc0c0602
	s_delay_alu instid0(VALU_DEP_1) | instskip(SKIP_1) | instid1(VALU_DEP_1)
	v_or_b32_e32 v17, v18, v17
	v_perm_b32 v18, v159, v158, 0xc0c0602
	v_or_b32_e32 v18, v19, v18
	v_perm_b32 v19, v161, v160, 0x4000c0c
	s_delay_alu instid0(VALU_DEP_2) | instskip(SKIP_2) | instid1(VALU_DEP_1)
	v_dot4_i32_iu8 v16, v17, v18, v16 neg_lo:[1,1,0]
	v_perm_b32 v17, v8, v7, 0xc0c0400
	v_perm_b32 v18, v6, v5, 0x4000c0c
	v_or_b32_e32 v17, v18, v17
	v_perm_b32 v18, v159, v158, 0xc0c0400
	s_delay_alu instid0(VALU_DEP_1) | instskip(SKIP_1) | instid1(VALU_DEP_2)
	v_or_b32_e32 v18, v19, v18
	v_perm_b32 v19, v161, v160, 0x7030c0c
	v_dot4_i32_iu8 v15, v17, v18, v15 neg_lo:[1,1,0]
	v_perm_b32 v17, v8, v7, 0xc0c0703
	v_perm_b32 v18, v6, v5, 0x7030c0c
	s_delay_alu instid0(VALU_DEP_1) | instskip(SKIP_1) | instid1(VALU_DEP_1)
	v_or_b32_e32 v17, v18, v17
	v_perm_b32 v18, v159, v158, 0xc0c0703
	v_or_b32_e32 v18, v19, v18
	v_perm_b32 v19, v161, v160, 0x5010c0c
	s_delay_alu instid0(VALU_DEP_2) | instskip(SKIP_2) | instid1(VALU_DEP_1)
	v_dot4_i32_iu8 v14, v17, v18, v14 neg_lo:[1,1,0]
	v_perm_b32 v17, v8, v7, 0xc0c0501
	v_perm_b32 v18, v6, v5, 0x5010c0c
	v_or_b32_e32 v17, v18, v17
	v_perm_b32 v18, v159, v158, 0xc0c0501
	s_delay_alu instid0(VALU_DEP_1) | instskip(NEXT) | instid1(VALU_DEP_1)
	v_or_b32_e32 v18, v19, v18
	v_dot4_i32_iu8 v13, v17, v18, v13 neg_lo:[1,1,0]
	s_delay_alu instid0(VALU_DEP_1) | instskip(SKIP_1) | instid1(VALU_DEP_2)
	v_add_nc_u32_e32 v13, v13, v14
	v_mul_f32_e32 v14, v29, v155
	v_add3_u32 v13, v15, v16, v13
	s_delay_alu instid0(VALU_DEP_1) | instskip(NEXT) | instid1(VALU_DEP_1)
	v_cvt_f32_i32_e32 v13, v13
	v_fmac_f32_e32 v40, v14, v13
	v_add3_u32 v13, s17, v134, v103
	v_add3_u32 v14, s17, v136, v105
	ds_load_b32 v157, v13
	v_add_nc_u32_e32 v13, s16, v104
	ds_load_b32 v156, v14
	ds_load_2addr_b32 v[17:18], v13 offset1:1
	ds_load_2addr_b32 v[19:20], v13 offset0:2 offset1:3
	ds_load_2addr_b32 v[15:16], v13 offset0:4 offset1:5
	ds_load_2addr_b32 v[13:14], v13 offset0:6 offset1:7
	s_wait_dscnt 0x5
	v_mul_f32_e32 v170, v29, v157
	v_add_nc_u32_e32 v36, s12, v49
	s_wait_dscnt 0x4
	v_mul_f32_e32 v22, v29, v156
	s_wait_dscnt 0x3
	v_dot4_i32_iu8 v21, v31, v17, 0 neg_lo:[1,1,0]
	s_delay_alu instid0(VALU_DEP_1) | instskip(SKIP_1) | instid1(VALU_DEP_1)
	v_dot4_i32_iu8 v21, v32, v18, v21 neg_lo:[1,1,0]
	s_wait_dscnt 0x2
	v_dot4_i32_iu8 v21, v33, v19, v21 neg_lo:[1,1,0]
	s_delay_alu instid0(VALU_DEP_1) | instskip(SKIP_1) | instid1(VALU_DEP_1)
	v_dot4_i32_iu8 v21, v34, v20, v21 neg_lo:[1,1,0]
	;; [unrolled: 4-line block ×3, first 2 shown]
	s_wait_dscnt 0x0
	v_dot4_i32_iu8 v21, v160, v13, v21 neg_lo:[1,1,0]
	s_delay_alu instid0(VALU_DEP_1) | instskip(NEXT) | instid1(VALU_DEP_1)
	v_dot4_i32_iu8 v21, v161, v14, v21 neg_lo:[1,1,0]
	v_cvt_f32_i32_e32 v21, v21
	s_delay_alu instid0(VALU_DEP_1)
	v_fmac_f32_e32 v150, v22, v21
	v_add3_u32 v22, s17, v138, v108
	v_add_nc_u32_e32 v21, s16, v107
	ds_load_b32 v154, v22
	ds_load_2addr_b32 v[25:26], v21 offset1:1
	ds_load_2addr_b32 v[27:28], v21 offset0:2 offset1:3
	ds_load_2addr_b32 v[23:24], v21 offset0:4 offset1:5
	;; [unrolled: 1-line block ×3, first 2 shown]
	s_wait_dscnt 0x4
	v_mul_f32_e32 v29, v29, v154
	s_wait_dscnt 0x3
	v_dot4_i32_iu8 v30, v31, v25, 0 neg_lo:[1,1,0]
	s_delay_alu instid0(VALU_DEP_1) | instskip(SKIP_1) | instid1(VALU_DEP_1)
	v_dot4_i32_iu8 v30, v32, v26, v30 neg_lo:[1,1,0]
	s_wait_dscnt 0x2
	v_dot4_i32_iu8 v30, v33, v27, v30 neg_lo:[1,1,0]
	s_delay_alu instid0(VALU_DEP_1) | instskip(SKIP_1) | instid1(VALU_DEP_1)
	v_dot4_i32_iu8 v30, v34, v28, v30 neg_lo:[1,1,0]
	;; [unrolled: 4-line block ×3, first 2 shown]
	s_wait_dscnt 0x0
	v_dot4_i32_iu8 v30, v160, v21, v30 neg_lo:[1,1,0]
	s_delay_alu instid0(VALU_DEP_1) | instskip(NEXT) | instid1(VALU_DEP_1)
	v_dot4_i32_iu8 v30, v161, v22, v30 neg_lo:[1,1,0]
	v_cvt_f32_i32_e32 v30, v30
	s_delay_alu instid0(VALU_DEP_1)
	v_fmac_f32_e32 v153, v29, v30
	v_add_nc_u32_e32 v29, s13, v94
	ds_load_b32 v171, v29
	ds_load_2addr_b32 v[29:30], v35 offset1:1
	ds_load_b128 v[162:165], v36
	ds_load_b128 v[166:169], v36 offset:16
	s_wait_dscnt 0x3
	v_mul_f32_e32 v172, v155, v171
	s_wait_dscnt 0x2
	v_dot4_i32_iu8 v31, v29, v31, 0 neg_lo:[1,1,0]
	s_wait_dscnt 0x1
	v_dot4_i32_iu8 v36, v162, v11, 0 neg_lo:[1,1,0]
	s_delay_alu instid0(VALU_DEP_2) | instskip(SKIP_2) | instid1(VALU_DEP_1)
	v_dot4_i32_iu8 v173, v30, v32, v31 neg_lo:[1,1,0]
	ds_load_2addr_b32 v[31:32], v35 offset0:2 offset1:3
	v_dot4_i32_iu8 v36, v163, v12, v36 neg_lo:[1,1,0]
	v_dot4_i32_iu8 v36, v164, v9, v36 neg_lo:[1,1,0]
	s_delay_alu instid0(VALU_DEP_1) | instskip(SKIP_1) | instid1(VALU_DEP_1)
	v_dot4_i32_iu8 v36, v165, v10, v36 neg_lo:[1,1,0]
	s_wait_dscnt 0x1
	v_dot4_i32_iu8 v36, v166, v7, v36 neg_lo:[1,1,0]
	s_wait_dscnt 0x0
	v_dot4_i32_iu8 v33, v31, v33, v173 neg_lo:[1,1,0]
	s_delay_alu instid0(VALU_DEP_1) | instskip(SKIP_4) | instid1(VALU_DEP_2)
	v_dot4_i32_iu8 v173, v32, v34, v33 neg_lo:[1,1,0]
	ds_load_2addr_b32 v[33:34], v35 offset0:4 offset1:5
	s_wait_dscnt 0x0
	v_dot4_i32_iu8 v158, v33, v158, v173 neg_lo:[1,1,0]
	v_perm_b32 v173, v169, v168, 0x6020c0c
	v_dot4_i32_iu8 v158, v34, v159, v158 neg_lo:[1,1,0]
	v_dot4_i32_iu8 v159, v167, v8, v36 neg_lo:[1,1,0]
	ds_load_2addr_b32 v[35:36], v35 offset0:6 offset1:7
	v_dot4_i32_iu8 v159, v168, v5, v159 neg_lo:[1,1,0]
	s_wait_dscnt 0x0
	v_dot4_i32_iu8 v158, v35, v160, v158 neg_lo:[1,1,0]
	v_perm_b32 v160, v165, v164, 0x5010c0c
	s_delay_alu instid0(VALU_DEP_2) | instskip(SKIP_1) | instid1(VALU_DEP_2)
	v_dot4_i32_iu8 v158, v36, v161, v158 neg_lo:[1,1,0]
	v_perm_b32 v161, v165, v164, 0x7030c0c
	v_cvt_f32_i32_e32 v158, v158
	s_delay_alu instid0(VALU_DEP_1) | instskip(SKIP_3) | instid1(VALU_DEP_3)
	v_fmac_f32_e32 v145, v170, v158
	v_dot4_i32_iu8 v158, v169, v6, v159 neg_lo:[1,1,0]
	v_perm_b32 v159, v32, v31, 0x5010c0c
	v_perm_b32 v170, v165, v164, 0x4000c0c
	v_cvt_f32_i32_e32 v158, v158
	s_delay_alu instid0(VALU_DEP_1) | instskip(SKIP_2) | instid1(VALU_DEP_2)
	v_fmac_f32_e32 v131, v172, v158
	v_perm_b32 v158, v29, v30, 0xc0c0501
	v_perm_b32 v172, v165, v164, 0x6020c0c
	v_or_b32_e32 v158, v159, v158
	v_perm_b32 v159, v162, v163, 0xc0c0501
	s_delay_alu instid0(VALU_DEP_1) | instskip(SKIP_1) | instid1(VALU_DEP_2)
	v_or_b32_e32 v159, v160, v159
	v_perm_b32 v160, v32, v31, 0x7030c0c
	v_dot4_i32_iu8 v158, v159, v158, 0 neg_lo:[1,1,0]
	v_perm_b32 v159, v29, v30, 0xc0c0703
	s_delay_alu instid0(VALU_DEP_1) | instskip(SKIP_1) | instid1(VALU_DEP_1)
	v_or_b32_e32 v159, v160, v159
	v_perm_b32 v160, v162, v163, 0xc0c0703
	v_or_b32_e32 v160, v161, v160
	v_perm_b32 v161, v32, v31, 0x4000c0c
	s_delay_alu instid0(VALU_DEP_2) | instskip(SKIP_1) | instid1(VALU_DEP_1)
	v_dot4_i32_iu8 v159, v160, v159, 0 neg_lo:[1,1,0]
	v_perm_b32 v160, v29, v30, 0xc0c0400
	v_or_b32_e32 v160, v161, v160
	v_perm_b32 v161, v162, v163, 0xc0c0400
	s_delay_alu instid0(VALU_DEP_1) | instskip(SKIP_1) | instid1(VALU_DEP_2)
	v_or_b32_e32 v161, v170, v161
	v_perm_b32 v170, v32, v31, 0x6020c0c
	v_dot4_i32_iu8 v160, v161, v160, 0 neg_lo:[1,1,0]
	v_perm_b32 v161, v29, v30, 0xc0c0602
	s_delay_alu instid0(VALU_DEP_1) | instskip(SKIP_1) | instid1(VALU_DEP_1)
	v_or_b32_e32 v161, v170, v161
	v_perm_b32 v170, v162, v163, 0xc0c0602
	v_or_b32_e32 v170, v172, v170
	v_perm_b32 v172, v36, v35, 0x6020c0c
	s_delay_alu instid0(VALU_DEP_2) | instskip(SKIP_1) | instid1(VALU_DEP_1)
	v_dot4_i32_iu8 v161, v170, v161, 0 neg_lo:[1,1,0]
	v_perm_b32 v170, v34, v33, 0xc0c0602
	v_or_b32_e32 v170, v172, v170
	v_perm_b32 v172, v167, v166, 0xc0c0602
	s_delay_alu instid0(VALU_DEP_1) | instskip(SKIP_1) | instid1(VALU_DEP_2)
	v_or_b32_e32 v172, v173, v172
	v_perm_b32 v173, v169, v168, 0x4000c0c
	v_dot4_i32_iu8 v161, v172, v170, v161 neg_lo:[1,1,0]
	v_perm_b32 v170, v34, v33, 0xc0c0400
	v_perm_b32 v172, v36, v35, 0x4000c0c
	s_delay_alu instid0(VALU_DEP_1) | instskip(SKIP_1) | instid1(VALU_DEP_1)
	v_or_b32_e32 v170, v172, v170
	v_perm_b32 v172, v167, v166, 0xc0c0400
	v_or_b32_e32 v172, v173, v172
	v_perm_b32 v173, v169, v168, 0x7030c0c
	s_delay_alu instid0(VALU_DEP_2) | instskip(SKIP_2) | instid1(VALU_DEP_1)
	v_dot4_i32_iu8 v160, v172, v170, v160 neg_lo:[1,1,0]
	v_perm_b32 v170, v34, v33, 0xc0c0703
	v_perm_b32 v172, v36, v35, 0x7030c0c
	v_or_b32_e32 v170, v172, v170
	v_perm_b32 v172, v167, v166, 0xc0c0703
	s_delay_alu instid0(VALU_DEP_1) | instskip(SKIP_1) | instid1(VALU_DEP_2)
	v_or_b32_e32 v172, v173, v172
	v_perm_b32 v173, v169, v168, 0x5010c0c
	v_dot4_i32_iu8 v159, v172, v170, v159 neg_lo:[1,1,0]
	v_perm_b32 v170, v34, v33, 0xc0c0501
	v_perm_b32 v172, v36, v35, 0x5010c0c
	s_delay_alu instid0(VALU_DEP_1) | instskip(SKIP_1) | instid1(VALU_DEP_1)
	v_or_b32_e32 v170, v172, v170
	v_perm_b32 v172, v167, v166, 0xc0c0501
	v_or_b32_e32 v172, v173, v172
	s_delay_alu instid0(VALU_DEP_1) | instskip(NEXT) | instid1(VALU_DEP_1)
	v_dot4_i32_iu8 v158, v172, v170, v158 neg_lo:[1,1,0]
	v_add_nc_u32_e32 v158, v158, v159
	v_mul_f32_e32 v159, v157, v171
	s_delay_alu instid0(VALU_DEP_2) | instskip(NEXT) | instid1(VALU_DEP_1)
	v_add3_u32 v158, v160, v161, v158
	v_cvt_f32_i32_e32 v158, v158
	s_delay_alu instid0(VALU_DEP_1) | instskip(SKIP_1) | instid1(VALU_DEP_1)
	v_dual_fmac_f32 v142, v159, v158 :: v_dual_mul_f32 v159, v156, v171
	v_dot4_i32_iu8 v158, v162, v17, 0 neg_lo:[1,1,0]
	v_dot4_i32_iu8 v158, v163, v18, v158 neg_lo:[1,1,0]
	s_delay_alu instid0(VALU_DEP_1) | instskip(NEXT) | instid1(VALU_DEP_1)
	v_dot4_i32_iu8 v158, v164, v19, v158 neg_lo:[1,1,0]
	v_dot4_i32_iu8 v158, v165, v20, v158 neg_lo:[1,1,0]
	s_delay_alu instid0(VALU_DEP_1) | instskip(NEXT) | instid1(VALU_DEP_1)
	;; [unrolled: 3-line block ×4, first 2 shown]
	v_cvt_f32_i32_e32 v158, v158
	v_dual_fmac_f32 v148, v159, v158 :: v_dual_mul_f32 v159, v154, v171
	v_dot4_i32_iu8 v158, v162, v25, 0 neg_lo:[1,1,0]
	v_add_nc_u32_e32 v162, s12, v50
	s_delay_alu instid0(VALU_DEP_2) | instskip(NEXT) | instid1(VALU_DEP_1)
	v_dot4_i32_iu8 v158, v163, v26, v158 neg_lo:[1,1,0]
	v_dot4_i32_iu8 v158, v164, v27, v158 neg_lo:[1,1,0]
	s_delay_alu instid0(VALU_DEP_1) | instskip(NEXT) | instid1(VALU_DEP_1)
	v_dot4_i32_iu8 v158, v165, v28, v158 neg_lo:[1,1,0]
	v_dot4_i32_iu8 v158, v166, v23, v158 neg_lo:[1,1,0]
	s_delay_alu instid0(VALU_DEP_1) | instskip(NEXT) | instid1(VALU_DEP_1)
	;; [unrolled: 3-line block ×3, first 2 shown]
	v_dot4_i32_iu8 v158, v169, v22, v158 neg_lo:[1,1,0]
	v_cvt_f32_i32_e32 v158, v158
	s_delay_alu instid0(VALU_DEP_1)
	v_fmac_f32_e32 v152, v159, v158
	v_add_nc_u32_e32 v158, s13, v95
	ds_load_b32 v166, v158
	ds_load_b128 v[158:161], v162
	ds_load_b128 v[162:165], v162 offset:16
	s_wait_dscnt 0x2
	v_mul_f32_e32 v168, v155, v166
	s_wait_dscnt 0x1
	v_dot4_i32_iu8 v167, v11, v158, 0 neg_lo:[1,1,0]
	s_delay_alu instid0(VALU_DEP_1) | instskip(NEXT) | instid1(VALU_DEP_1)
	v_dot4_i32_iu8 v167, v12, v159, v167 neg_lo:[1,1,0]
	v_dot4_i32_iu8 v167, v9, v160, v167 neg_lo:[1,1,0]
	s_delay_alu instid0(VALU_DEP_1) | instskip(SKIP_1) | instid1(VALU_DEP_1)
	v_dot4_i32_iu8 v167, v10, v161, v167 neg_lo:[1,1,0]
	s_wait_dscnt 0x0
	v_dot4_i32_iu8 v167, v7, v162, v167 neg_lo:[1,1,0]
	s_delay_alu instid0(VALU_DEP_1) | instskip(NEXT) | instid1(VALU_DEP_1)
	v_dot4_i32_iu8 v167, v8, v163, v167 neg_lo:[1,1,0]
	v_dot4_i32_iu8 v167, v5, v164, v167 neg_lo:[1,1,0]
	s_delay_alu instid0(VALU_DEP_1) | instskip(NEXT) | instid1(VALU_DEP_1)
	v_dot4_i32_iu8 v167, v6, v165, v167 neg_lo:[1,1,0]
	v_cvt_f32_i32_e32 v167, v167
	s_delay_alu instid0(VALU_DEP_1) | instskip(SKIP_2) | instid1(VALU_DEP_2)
	v_fmac_f32_e32 v125, v168, v167
	v_dot4_i32_iu8 v167, v29, v158, 0 neg_lo:[1,1,0]
	v_mul_f32_e32 v168, v157, v166
	v_dot4_i32_iu8 v167, v30, v159, v167 neg_lo:[1,1,0]
	s_delay_alu instid0(VALU_DEP_1) | instskip(NEXT) | instid1(VALU_DEP_1)
	v_dot4_i32_iu8 v167, v31, v160, v167 neg_lo:[1,1,0]
	v_dot4_i32_iu8 v167, v32, v161, v167 neg_lo:[1,1,0]
	s_delay_alu instid0(VALU_DEP_1) | instskip(NEXT) | instid1(VALU_DEP_1)
	v_dot4_i32_iu8 v167, v33, v162, v167 neg_lo:[1,1,0]
	;; [unrolled: 3-line block ×3, first 2 shown]
	v_dot4_i32_iu8 v167, v36, v165, v167 neg_lo:[1,1,0]
	s_delay_alu instid0(VALU_DEP_1) | instskip(NEXT) | instid1(VALU_DEP_1)
	v_cvt_f32_i32_e32 v167, v167
	v_fmac_f32_e32 v139, v168, v167
	v_dot4_i32_iu8 v167, v158, v17, 0 neg_lo:[1,1,0]
	v_dot4_i32_iu8 v158, v158, v25, 0 neg_lo:[1,1,0]
	v_mul_f32_e32 v168, v156, v166
	s_delay_alu instid0(VALU_DEP_3) | instskip(NEXT) | instid1(VALU_DEP_3)
	v_dot4_i32_iu8 v167, v159, v18, v167 neg_lo:[1,1,0]
	v_dot4_i32_iu8 v158, v159, v26, v158 neg_lo:[1,1,0]
	v_mul_f32_e32 v159, v154, v166
	s_delay_alu instid0(VALU_DEP_3) | instskip(NEXT) | instid1(VALU_DEP_3)
	v_dot4_i32_iu8 v167, v160, v19, v167 neg_lo:[1,1,0]
	v_dot4_i32_iu8 v158, v160, v27, v158 neg_lo:[1,1,0]
	s_delay_alu instid0(VALU_DEP_2) | instskip(NEXT) | instid1(VALU_DEP_2)
	v_dot4_i32_iu8 v167, v161, v20, v167 neg_lo:[1,1,0]
	v_dot4_i32_iu8 v158, v161, v28, v158 neg_lo:[1,1,0]
	s_delay_alu instid0(VALU_DEP_2) | instskip(NEXT) | instid1(VALU_DEP_2)
	v_dot4_i32_iu8 v167, v162, v15, v167 neg_lo:[1,1,0]
	v_dot4_i32_iu8 v158, v162, v23, v158 neg_lo:[1,1,0]
	v_add_nc_u32_e32 v162, s12, v84
	s_delay_alu instid0(VALU_DEP_3) | instskip(NEXT) | instid1(VALU_DEP_3)
	v_dot4_i32_iu8 v167, v163, v16, v167 neg_lo:[1,1,0]
	v_dot4_i32_iu8 v158, v163, v24, v158 neg_lo:[1,1,0]
	s_delay_alu instid0(VALU_DEP_2) | instskip(NEXT) | instid1(VALU_DEP_2)
	v_dot4_i32_iu8 v167, v164, v13, v167 neg_lo:[1,1,0]
	v_dot4_i32_iu8 v158, v164, v21, v158 neg_lo:[1,1,0]
	s_delay_alu instid0(VALU_DEP_2) | instskip(NEXT) | instid1(VALU_DEP_2)
	;; [unrolled: 3-line block ×3, first 2 shown]
	v_cvt_f32_i32_e32 v167, v167
	v_cvt_f32_i32_e32 v158, v158
	s_delay_alu instid0(VALU_DEP_1)
	v_dual_fmac_f32 v146, v168, v167 :: v_dual_fmac_f32 v151, v159, v158
	v_add_nc_u32_e32 v158, s13, v96
	ds_load_b32 v166, v158
	ds_load_b128 v[158:161], v162
	ds_load_b128 v[162:165], v162 offset:16
	s_wait_dscnt 0x2
	v_mul_f32_e32 v168, v155, v166
	s_wait_dscnt 0x1
	v_dot4_i32_iu8 v167, v11, v158, 0 neg_lo:[1,1,0]
	s_delay_alu instid0(VALU_DEP_1) | instskip(NEXT) | instid1(VALU_DEP_1)
	v_dot4_i32_iu8 v167, v12, v159, v167 neg_lo:[1,1,0]
	v_dot4_i32_iu8 v167, v9, v160, v167 neg_lo:[1,1,0]
	s_delay_alu instid0(VALU_DEP_1) | instskip(SKIP_1) | instid1(VALU_DEP_1)
	v_dot4_i32_iu8 v167, v10, v161, v167 neg_lo:[1,1,0]
	s_wait_dscnt 0x0
	v_dot4_i32_iu8 v167, v7, v162, v167 neg_lo:[1,1,0]
	s_delay_alu instid0(VALU_DEP_1) | instskip(NEXT) | instid1(VALU_DEP_1)
	v_dot4_i32_iu8 v167, v8, v163, v167 neg_lo:[1,1,0]
	v_dot4_i32_iu8 v167, v5, v164, v167 neg_lo:[1,1,0]
	s_delay_alu instid0(VALU_DEP_1) | instskip(NEXT) | instid1(VALU_DEP_1)
	v_dot4_i32_iu8 v167, v6, v165, v167 neg_lo:[1,1,0]
	v_cvt_f32_i32_e32 v167, v167
	s_delay_alu instid0(VALU_DEP_1) | instskip(SKIP_2) | instid1(VALU_DEP_2)
	v_fmac_f32_e32 v119, v168, v167
	v_dot4_i32_iu8 v167, v29, v158, 0 neg_lo:[1,1,0]
	v_mul_f32_e32 v168, v157, v166
	v_dot4_i32_iu8 v167, v30, v159, v167 neg_lo:[1,1,0]
	s_delay_alu instid0(VALU_DEP_1) | instskip(NEXT) | instid1(VALU_DEP_1)
	v_dot4_i32_iu8 v167, v31, v160, v167 neg_lo:[1,1,0]
	v_dot4_i32_iu8 v167, v32, v161, v167 neg_lo:[1,1,0]
	s_delay_alu instid0(VALU_DEP_1) | instskip(NEXT) | instid1(VALU_DEP_1)
	v_dot4_i32_iu8 v167, v33, v162, v167 neg_lo:[1,1,0]
	v_dot4_i32_iu8 v167, v34, v163, v167 neg_lo:[1,1,0]
	s_delay_alu instid0(VALU_DEP_1) | instskip(NEXT) | instid1(VALU_DEP_1)
	v_dot4_i32_iu8 v167, v35, v164, v167 neg_lo:[1,1,0]
	v_dot4_i32_iu8 v167, v36, v165, v167 neg_lo:[1,1,0]
	s_delay_alu instid0(VALU_DEP_1) | instskip(NEXT) | instid1(VALU_DEP_1)
	v_cvt_f32_i32_e32 v167, v167
	v_fmac_f32_e32 v133, v168, v167
	v_dot4_i32_iu8 v167, v158, v17, 0 neg_lo:[1,1,0]
	v_dot4_i32_iu8 v158, v158, v25, 0 neg_lo:[1,1,0]
	v_mul_f32_e32 v168, v156, v166
	s_delay_alu instid0(VALU_DEP_3) | instskip(NEXT) | instid1(VALU_DEP_3)
	v_dot4_i32_iu8 v167, v159, v18, v167 neg_lo:[1,1,0]
	v_dot4_i32_iu8 v158, v159, v26, v158 neg_lo:[1,1,0]
	v_mul_f32_e32 v159, v154, v166
	s_delay_alu instid0(VALU_DEP_3) | instskip(NEXT) | instid1(VALU_DEP_3)
	v_dot4_i32_iu8 v167, v160, v19, v167 neg_lo:[1,1,0]
	v_dot4_i32_iu8 v158, v160, v27, v158 neg_lo:[1,1,0]
	s_delay_alu instid0(VALU_DEP_2) | instskip(NEXT) | instid1(VALU_DEP_2)
	v_dot4_i32_iu8 v167, v161, v20, v167 neg_lo:[1,1,0]
	v_dot4_i32_iu8 v158, v161, v28, v158 neg_lo:[1,1,0]
	s_delay_alu instid0(VALU_DEP_2) | instskip(NEXT) | instid1(VALU_DEP_2)
	v_dot4_i32_iu8 v167, v162, v15, v167 neg_lo:[1,1,0]
	v_dot4_i32_iu8 v158, v162, v23, v158 neg_lo:[1,1,0]
	v_add_nc_u32_e32 v162, s12, v86
	s_delay_alu instid0(VALU_DEP_3) | instskip(NEXT) | instid1(VALU_DEP_3)
	v_dot4_i32_iu8 v167, v163, v16, v167 neg_lo:[1,1,0]
	v_dot4_i32_iu8 v158, v163, v24, v158 neg_lo:[1,1,0]
	s_delay_alu instid0(VALU_DEP_2) | instskip(NEXT) | instid1(VALU_DEP_2)
	v_dot4_i32_iu8 v167, v164, v13, v167 neg_lo:[1,1,0]
	v_dot4_i32_iu8 v158, v164, v21, v158 neg_lo:[1,1,0]
	s_delay_alu instid0(VALU_DEP_2) | instskip(NEXT) | instid1(VALU_DEP_2)
	;; [unrolled: 3-line block ×3, first 2 shown]
	v_cvt_f32_i32_e32 v167, v167
	v_cvt_f32_i32_e32 v158, v158
	s_delay_alu instid0(VALU_DEP_2) | instskip(NEXT) | instid1(VALU_DEP_2)
	v_fmac_f32_e32 v143, v168, v167
	v_dual_fmac_f32 v149, v159, v158 :: v_dual_add_nc_u32 v158, s13, v97
	ds_load_b32 v166, v158
	ds_load_b128 v[158:161], v162
	ds_load_b128 v[162:165], v162 offset:16
	s_wait_dscnt 0x2
	v_mul_f32_e32 v168, v155, v166
	s_wait_dscnt 0x1
	v_dot4_i32_iu8 v167, v11, v158, 0 neg_lo:[1,1,0]
	s_delay_alu instid0(VALU_DEP_1) | instskip(NEXT) | instid1(VALU_DEP_1)
	v_dot4_i32_iu8 v167, v12, v159, v167 neg_lo:[1,1,0]
	v_dot4_i32_iu8 v167, v9, v160, v167 neg_lo:[1,1,0]
	s_delay_alu instid0(VALU_DEP_1) | instskip(SKIP_1) | instid1(VALU_DEP_1)
	v_dot4_i32_iu8 v167, v10, v161, v167 neg_lo:[1,1,0]
	s_wait_dscnt 0x0
	v_dot4_i32_iu8 v167, v7, v162, v167 neg_lo:[1,1,0]
	s_delay_alu instid0(VALU_DEP_1) | instskip(NEXT) | instid1(VALU_DEP_1)
	v_dot4_i32_iu8 v167, v8, v163, v167 neg_lo:[1,1,0]
	v_dot4_i32_iu8 v167, v5, v164, v167 neg_lo:[1,1,0]
	s_delay_alu instid0(VALU_DEP_1) | instskip(NEXT) | instid1(VALU_DEP_1)
	v_dot4_i32_iu8 v167, v6, v165, v167 neg_lo:[1,1,0]
	v_cvt_f32_i32_e32 v167, v167
	s_delay_alu instid0(VALU_DEP_1) | instskip(SKIP_2) | instid1(VALU_DEP_2)
	v_fmac_f32_e32 v114, v168, v167
	v_dot4_i32_iu8 v167, v29, v158, 0 neg_lo:[1,1,0]
	v_mul_f32_e32 v168, v157, v166
	v_dot4_i32_iu8 v167, v30, v159, v167 neg_lo:[1,1,0]
	s_delay_alu instid0(VALU_DEP_1) | instskip(NEXT) | instid1(VALU_DEP_1)
	v_dot4_i32_iu8 v167, v31, v160, v167 neg_lo:[1,1,0]
	v_dot4_i32_iu8 v167, v32, v161, v167 neg_lo:[1,1,0]
	s_delay_alu instid0(VALU_DEP_1) | instskip(NEXT) | instid1(VALU_DEP_1)
	v_dot4_i32_iu8 v167, v33, v162, v167 neg_lo:[1,1,0]
	;; [unrolled: 3-line block ×3, first 2 shown]
	v_dot4_i32_iu8 v167, v36, v165, v167 neg_lo:[1,1,0]
	s_delay_alu instid0(VALU_DEP_1) | instskip(NEXT) | instid1(VALU_DEP_1)
	v_cvt_f32_i32_e32 v167, v167
	v_fmac_f32_e32 v127, v168, v167
	v_dot4_i32_iu8 v167, v158, v17, 0 neg_lo:[1,1,0]
	v_dot4_i32_iu8 v158, v158, v25, 0 neg_lo:[1,1,0]
	v_mul_f32_e32 v168, v156, v166
	s_delay_alu instid0(VALU_DEP_3) | instskip(NEXT) | instid1(VALU_DEP_3)
	v_dot4_i32_iu8 v167, v159, v18, v167 neg_lo:[1,1,0]
	v_dot4_i32_iu8 v158, v159, v26, v158 neg_lo:[1,1,0]
	v_mul_f32_e32 v159, v154, v166
	s_delay_alu instid0(VALU_DEP_3) | instskip(NEXT) | instid1(VALU_DEP_3)
	v_dot4_i32_iu8 v167, v160, v19, v167 neg_lo:[1,1,0]
	v_dot4_i32_iu8 v158, v160, v27, v158 neg_lo:[1,1,0]
	s_delay_alu instid0(VALU_DEP_2) | instskip(NEXT) | instid1(VALU_DEP_2)
	v_dot4_i32_iu8 v167, v161, v20, v167 neg_lo:[1,1,0]
	v_dot4_i32_iu8 v158, v161, v28, v158 neg_lo:[1,1,0]
	s_delay_alu instid0(VALU_DEP_2) | instskip(NEXT) | instid1(VALU_DEP_2)
	v_dot4_i32_iu8 v167, v162, v15, v167 neg_lo:[1,1,0]
	v_dot4_i32_iu8 v158, v162, v23, v158 neg_lo:[1,1,0]
	v_add_nc_u32_e32 v162, s12, v88
	s_delay_alu instid0(VALU_DEP_3) | instskip(NEXT) | instid1(VALU_DEP_3)
	v_dot4_i32_iu8 v167, v163, v16, v167 neg_lo:[1,1,0]
	v_dot4_i32_iu8 v158, v163, v24, v158 neg_lo:[1,1,0]
	s_delay_alu instid0(VALU_DEP_2) | instskip(NEXT) | instid1(VALU_DEP_2)
	v_dot4_i32_iu8 v167, v164, v13, v167 neg_lo:[1,1,0]
	v_dot4_i32_iu8 v158, v164, v21, v158 neg_lo:[1,1,0]
	s_delay_alu instid0(VALU_DEP_2) | instskip(NEXT) | instid1(VALU_DEP_2)
	;; [unrolled: 3-line block ×3, first 2 shown]
	v_cvt_f32_i32_e32 v167, v167
	v_cvt_f32_i32_e32 v158, v158
	s_delay_alu instid0(VALU_DEP_1)
	v_dual_fmac_f32 v140, v168, v167 :: v_dual_fmac_f32 v147, v159, v158
	v_add_nc_u32_e32 v158, s13, v98
	ds_load_b32 v166, v158
	ds_load_b128 v[158:161], v162
	ds_load_b128 v[162:165], v162 offset:16
	s_wait_dscnt 0x2
	v_mul_f32_e32 v168, v155, v166
	s_wait_dscnt 0x1
	v_dot4_i32_iu8 v167, v11, v158, 0 neg_lo:[1,1,0]
	s_delay_alu instid0(VALU_DEP_1) | instskip(NEXT) | instid1(VALU_DEP_1)
	v_dot4_i32_iu8 v167, v12, v159, v167 neg_lo:[1,1,0]
	v_dot4_i32_iu8 v167, v9, v160, v167 neg_lo:[1,1,0]
	s_delay_alu instid0(VALU_DEP_1) | instskip(SKIP_1) | instid1(VALU_DEP_1)
	v_dot4_i32_iu8 v167, v10, v161, v167 neg_lo:[1,1,0]
	s_wait_dscnt 0x0
	v_dot4_i32_iu8 v167, v7, v162, v167 neg_lo:[1,1,0]
	s_delay_alu instid0(VALU_DEP_1) | instskip(NEXT) | instid1(VALU_DEP_1)
	v_dot4_i32_iu8 v167, v8, v163, v167 neg_lo:[1,1,0]
	v_dot4_i32_iu8 v167, v5, v164, v167 neg_lo:[1,1,0]
	s_delay_alu instid0(VALU_DEP_1) | instskip(NEXT) | instid1(VALU_DEP_1)
	v_dot4_i32_iu8 v167, v6, v165, v167 neg_lo:[1,1,0]
	v_cvt_f32_i32_e32 v167, v167
	s_delay_alu instid0(VALU_DEP_1) | instskip(SKIP_2) | instid1(VALU_DEP_2)
	v_fmac_f32_e32 v110, v168, v167
	v_dot4_i32_iu8 v167, v29, v158, 0 neg_lo:[1,1,0]
	v_mul_f32_e32 v168, v157, v166
	v_dot4_i32_iu8 v167, v30, v159, v167 neg_lo:[1,1,0]
	s_delay_alu instid0(VALU_DEP_1) | instskip(NEXT) | instid1(VALU_DEP_1)
	v_dot4_i32_iu8 v167, v31, v160, v167 neg_lo:[1,1,0]
	v_dot4_i32_iu8 v167, v32, v161, v167 neg_lo:[1,1,0]
	s_delay_alu instid0(VALU_DEP_1) | instskip(NEXT) | instid1(VALU_DEP_1)
	v_dot4_i32_iu8 v167, v33, v162, v167 neg_lo:[1,1,0]
	;; [unrolled: 3-line block ×3, first 2 shown]
	v_dot4_i32_iu8 v167, v36, v165, v167 neg_lo:[1,1,0]
	s_delay_alu instid0(VALU_DEP_1) | instskip(NEXT) | instid1(VALU_DEP_1)
	v_cvt_f32_i32_e32 v167, v167
	v_fmac_f32_e32 v121, v168, v167
	v_dot4_i32_iu8 v167, v158, v17, 0 neg_lo:[1,1,0]
	v_dot4_i32_iu8 v158, v158, v25, 0 neg_lo:[1,1,0]
	v_mul_f32_e32 v168, v156, v166
	s_delay_alu instid0(VALU_DEP_3) | instskip(NEXT) | instid1(VALU_DEP_3)
	v_dot4_i32_iu8 v167, v159, v18, v167 neg_lo:[1,1,0]
	v_dot4_i32_iu8 v158, v159, v26, v158 neg_lo:[1,1,0]
	v_mul_f32_e32 v159, v154, v166
	s_delay_alu instid0(VALU_DEP_3) | instskip(NEXT) | instid1(VALU_DEP_3)
	v_dot4_i32_iu8 v167, v160, v19, v167 neg_lo:[1,1,0]
	v_dot4_i32_iu8 v158, v160, v27, v158 neg_lo:[1,1,0]
	s_delay_alu instid0(VALU_DEP_2) | instskip(NEXT) | instid1(VALU_DEP_2)
	v_dot4_i32_iu8 v167, v161, v20, v167 neg_lo:[1,1,0]
	v_dot4_i32_iu8 v158, v161, v28, v158 neg_lo:[1,1,0]
	s_delay_alu instid0(VALU_DEP_2) | instskip(NEXT) | instid1(VALU_DEP_2)
	v_dot4_i32_iu8 v167, v162, v15, v167 neg_lo:[1,1,0]
	v_dot4_i32_iu8 v158, v162, v23, v158 neg_lo:[1,1,0]
	v_add_nc_u32_e32 v162, s12, v90
	s_delay_alu instid0(VALU_DEP_3) | instskip(NEXT) | instid1(VALU_DEP_3)
	v_dot4_i32_iu8 v167, v163, v16, v167 neg_lo:[1,1,0]
	v_dot4_i32_iu8 v158, v163, v24, v158 neg_lo:[1,1,0]
	s_delay_alu instid0(VALU_DEP_2) | instskip(NEXT) | instid1(VALU_DEP_2)
	v_dot4_i32_iu8 v167, v164, v13, v167 neg_lo:[1,1,0]
	v_dot4_i32_iu8 v158, v164, v21, v158 neg_lo:[1,1,0]
	s_delay_alu instid0(VALU_DEP_2) | instskip(NEXT) | instid1(VALU_DEP_2)
	;; [unrolled: 3-line block ×3, first 2 shown]
	v_cvt_f32_i32_e32 v167, v167
	v_cvt_f32_i32_e32 v158, v158
	s_delay_alu instid0(VALU_DEP_1)
	v_dual_fmac_f32 v135, v168, v167 :: v_dual_fmac_f32 v144, v159, v158
	v_add_nc_u32_e32 v158, s13, v99
	ds_load_b32 v166, v158
	ds_load_b128 v[158:161], v162
	ds_load_b128 v[162:165], v162 offset:16
	s_wait_dscnt 0x2
	v_mul_f32_e32 v168, v155, v166
	s_wait_dscnt 0x1
	v_dot4_i32_iu8 v167, v11, v158, 0 neg_lo:[1,1,0]
	s_delay_alu instid0(VALU_DEP_1) | instskip(NEXT) | instid1(VALU_DEP_1)
	v_dot4_i32_iu8 v167, v12, v159, v167 neg_lo:[1,1,0]
	v_dot4_i32_iu8 v167, v9, v160, v167 neg_lo:[1,1,0]
	s_delay_alu instid0(VALU_DEP_1) | instskip(SKIP_1) | instid1(VALU_DEP_1)
	v_dot4_i32_iu8 v167, v10, v161, v167 neg_lo:[1,1,0]
	s_wait_dscnt 0x0
	v_dot4_i32_iu8 v167, v7, v162, v167 neg_lo:[1,1,0]
	s_delay_alu instid0(VALU_DEP_1) | instskip(NEXT) | instid1(VALU_DEP_1)
	v_dot4_i32_iu8 v167, v8, v163, v167 neg_lo:[1,1,0]
	v_dot4_i32_iu8 v167, v5, v164, v167 neg_lo:[1,1,0]
	s_delay_alu instid0(VALU_DEP_1) | instskip(NEXT) | instid1(VALU_DEP_1)
	v_dot4_i32_iu8 v167, v6, v165, v167 neg_lo:[1,1,0]
	v_cvt_f32_i32_e32 v167, v167
	s_delay_alu instid0(VALU_DEP_1) | instskip(SKIP_2) | instid1(VALU_DEP_2)
	v_fmac_f32_e32 v109, v168, v167
	v_dot4_i32_iu8 v167, v29, v158, 0 neg_lo:[1,1,0]
	v_mul_f32_e32 v168, v157, v166
	v_dot4_i32_iu8 v167, v30, v159, v167 neg_lo:[1,1,0]
	s_delay_alu instid0(VALU_DEP_1) | instskip(NEXT) | instid1(VALU_DEP_1)
	v_dot4_i32_iu8 v167, v31, v160, v167 neg_lo:[1,1,0]
	v_dot4_i32_iu8 v167, v32, v161, v167 neg_lo:[1,1,0]
	s_delay_alu instid0(VALU_DEP_1) | instskip(NEXT) | instid1(VALU_DEP_1)
	v_dot4_i32_iu8 v167, v33, v162, v167 neg_lo:[1,1,0]
	;; [unrolled: 3-line block ×3, first 2 shown]
	v_dot4_i32_iu8 v167, v36, v165, v167 neg_lo:[1,1,0]
	s_delay_alu instid0(VALU_DEP_1) | instskip(NEXT) | instid1(VALU_DEP_1)
	v_cvt_f32_i32_e32 v167, v167
	v_fmac_f32_e32 v116, v168, v167
	v_dot4_i32_iu8 v167, v158, v17, 0 neg_lo:[1,1,0]
	v_dot4_i32_iu8 v158, v158, v25, 0 neg_lo:[1,1,0]
	v_mul_f32_e32 v168, v156, v166
	s_delay_alu instid0(VALU_DEP_3) | instskip(NEXT) | instid1(VALU_DEP_3)
	v_dot4_i32_iu8 v167, v159, v18, v167 neg_lo:[1,1,0]
	v_dot4_i32_iu8 v158, v159, v26, v158 neg_lo:[1,1,0]
	v_mul_f32_e32 v159, v154, v166
	s_delay_alu instid0(VALU_DEP_3) | instskip(NEXT) | instid1(VALU_DEP_3)
	v_dot4_i32_iu8 v167, v160, v19, v167 neg_lo:[1,1,0]
	v_dot4_i32_iu8 v158, v160, v27, v158 neg_lo:[1,1,0]
	s_delay_alu instid0(VALU_DEP_2) | instskip(NEXT) | instid1(VALU_DEP_2)
	v_dot4_i32_iu8 v167, v161, v20, v167 neg_lo:[1,1,0]
	v_dot4_i32_iu8 v158, v161, v28, v158 neg_lo:[1,1,0]
	s_delay_alu instid0(VALU_DEP_2) | instskip(NEXT) | instid1(VALU_DEP_2)
	v_dot4_i32_iu8 v167, v162, v15, v167 neg_lo:[1,1,0]
	v_dot4_i32_iu8 v158, v162, v23, v158 neg_lo:[1,1,0]
	v_add_nc_u32_e32 v162, s12, v92
	s_add_co_i32 s12, s5, 8
	s_cmp_lt_u32 s5, 24
	v_dot4_i32_iu8 v167, v163, v16, v167 neg_lo:[1,1,0]
	v_dot4_i32_iu8 v158, v163, v24, v158 neg_lo:[1,1,0]
	s_wait_alu 0xfffe
	s_mov_b32 s5, s12
	s_delay_alu instid0(VALU_DEP_2) | instskip(NEXT) | instid1(VALU_DEP_2)
	v_dot4_i32_iu8 v167, v164, v13, v167 neg_lo:[1,1,0]
	v_dot4_i32_iu8 v158, v164, v21, v158 neg_lo:[1,1,0]
	s_delay_alu instid0(VALU_DEP_2) | instskip(NEXT) | instid1(VALU_DEP_2)
	v_dot4_i32_iu8 v167, v165, v14, v167 neg_lo:[1,1,0]
	v_dot4_i32_iu8 v158, v165, v22, v158 neg_lo:[1,1,0]
	s_delay_alu instid0(VALU_DEP_2) | instskip(NEXT) | instid1(VALU_DEP_2)
	v_cvt_f32_i32_e32 v167, v167
	v_cvt_f32_i32_e32 v158, v158
	s_delay_alu instid0(VALU_DEP_2) | instskip(NEXT) | instid1(VALU_DEP_2)
	v_fmac_f32_e32 v129, v168, v167
	v_dual_fmac_f32 v141, v159, v158 :: v_dual_add_nc_u32 v158, s13, v100
	ds_load_b32 v166, v158
	ds_load_b128 v[158:161], v162
	ds_load_b128 v[162:165], v162 offset:16
	s_wait_dscnt 0x1
	v_dot4_i32_iu8 v11, v11, v158, 0 neg_lo:[1,1,0]
	s_delay_alu instid0(VALU_DEP_1) | instskip(NEXT) | instid1(VALU_DEP_1)
	v_dot4_i32_iu8 v11, v12, v159, v11 neg_lo:[1,1,0]
	v_dot4_i32_iu8 v9, v9, v160, v11 neg_lo:[1,1,0]
	s_delay_alu instid0(VALU_DEP_1) | instskip(SKIP_1) | instid1(VALU_DEP_1)
	v_dot4_i32_iu8 v9, v10, v161, v9 neg_lo:[1,1,0]
	s_wait_dscnt 0x0
	v_dot4_i32_iu8 v7, v7, v162, v9 neg_lo:[1,1,0]
	s_delay_alu instid0(VALU_DEP_1) | instskip(NEXT) | instid1(VALU_DEP_1)
	v_dot4_i32_iu8 v7, v8, v163, v7 neg_lo:[1,1,0]
	v_dot4_i32_iu8 v5, v5, v164, v7 neg_lo:[1,1,0]
	s_delay_alu instid0(VALU_DEP_1) | instskip(SKIP_1) | instid1(VALU_DEP_2)
	v_dot4_i32_iu8 v5, v6, v165, v5 neg_lo:[1,1,0]
	v_mul_f32_e32 v6, v155, v166
	v_cvt_f32_i32_e32 v5, v5
	s_delay_alu instid0(VALU_DEP_1) | instskip(SKIP_2) | instid1(VALU_DEP_2)
	v_fmac_f32_e32 v106, v6, v5
	v_dot4_i32_iu8 v5, v29, v158, 0 neg_lo:[1,1,0]
	v_mul_f32_e32 v6, v157, v166
	v_dot4_i32_iu8 v5, v30, v159, v5 neg_lo:[1,1,0]
	s_delay_alu instid0(VALU_DEP_1) | instskip(NEXT) | instid1(VALU_DEP_1)
	v_dot4_i32_iu8 v5, v31, v160, v5 neg_lo:[1,1,0]
	v_dot4_i32_iu8 v5, v32, v161, v5 neg_lo:[1,1,0]
	s_delay_alu instid0(VALU_DEP_1) | instskip(NEXT) | instid1(VALU_DEP_1)
	v_dot4_i32_iu8 v5, v33, v162, v5 neg_lo:[1,1,0]
	;; [unrolled: 3-line block ×3, first 2 shown]
	v_dot4_i32_iu8 v5, v36, v165, v5 neg_lo:[1,1,0]
	s_delay_alu instid0(VALU_DEP_1) | instskip(NEXT) | instid1(VALU_DEP_1)
	v_cvt_f32_i32_e32 v5, v5
	v_fmac_f32_e32 v111, v6, v5
	v_dot4_i32_iu8 v5, v158, v17, 0 neg_lo:[1,1,0]
	v_mul_f32_e32 v6, v156, v166
	s_delay_alu instid0(VALU_DEP_2) | instskip(NEXT) | instid1(VALU_DEP_1)
	v_dot4_i32_iu8 v5, v159, v18, v5 neg_lo:[1,1,0]
	v_dot4_i32_iu8 v5, v160, v19, v5 neg_lo:[1,1,0]
	s_delay_alu instid0(VALU_DEP_1) | instskip(NEXT) | instid1(VALU_DEP_1)
	v_dot4_i32_iu8 v5, v161, v20, v5 neg_lo:[1,1,0]
	v_dot4_i32_iu8 v5, v162, v15, v5 neg_lo:[1,1,0]
	s_delay_alu instid0(VALU_DEP_1) | instskip(NEXT) | instid1(VALU_DEP_1)
	;; [unrolled: 3-line block ×3, first 2 shown]
	v_dot4_i32_iu8 v5, v165, v14, v5 neg_lo:[1,1,0]
	v_cvt_f32_i32_e32 v5, v5
	s_delay_alu instid0(VALU_DEP_1) | instskip(SKIP_2) | instid1(VALU_DEP_2)
	v_fmac_f32_e32 v123, v6, v5
	v_dot4_i32_iu8 v5, v158, v25, 0 neg_lo:[1,1,0]
	v_mul_f32_e32 v6, v154, v166
	v_dot4_i32_iu8 v5, v159, v26, v5 neg_lo:[1,1,0]
	s_delay_alu instid0(VALU_DEP_1) | instskip(NEXT) | instid1(VALU_DEP_1)
	v_dot4_i32_iu8 v5, v160, v27, v5 neg_lo:[1,1,0]
	v_dot4_i32_iu8 v5, v161, v28, v5 neg_lo:[1,1,0]
	s_delay_alu instid0(VALU_DEP_1) | instskip(NEXT) | instid1(VALU_DEP_1)
	v_dot4_i32_iu8 v5, v162, v23, v5 neg_lo:[1,1,0]
	;; [unrolled: 3-line block ×3, first 2 shown]
	v_dot4_i32_iu8 v5, v165, v22, v5 neg_lo:[1,1,0]
	s_delay_alu instid0(VALU_DEP_1) | instskip(NEXT) | instid1(VALU_DEP_1)
	v_cvt_f32_i32_e32 v5, v5
	v_fmac_f32_e32 v137, v6, v5
	s_cbranch_scc1 .LBB145_6
; %bb.7:                                ;   in Loop: Header=BB145_5 Depth=1
	s_add_co_i32 s10, s10, 4
	s_wait_loadcnt 0x0
	s_wait_alu 0xfffe
	s_cmp_ge_i32 s10, s15
	s_barrier_signal -1
	s_barrier_wait -1
	global_inv scope:SCOPE_SE
	s_cbranch_scc0 .LBB145_5
; %bb.8:
	v_cvt_f16_f32_e32 v12, v40
	v_cvt_f16_f32_e64 v13, v145
	v_cvt_f16_f32_e64 v14, v150
	;; [unrolled: 1-line block ×7, first 2 shown]
	v_cvt_f16_f32_e32 v28, v125
	v_cvt_f16_f32_e64 v27, v139
	v_cvt_f16_f32_e64 v26, v146
	v_cvt_f16_f32_e64 v25, v151
	v_cvt_f16_f32_e32 v24, v119
	v_cvt_f16_f32_e64 v23, v133
	v_cvt_f16_f32_e64 v22, v143
	;; [unrolled: 1-line block ×3, first 2 shown]
	v_cvt_f16_f32_e32 v20, v114
	v_cvt_f16_f32_e32 v19, v127
	v_cvt_f16_f32_e64 v18, v140
	v_cvt_f16_f32_e64 v17, v147
	v_cvt_f16_f32_e32 v16, v110
	v_cvt_f16_f32_e32 v15, v121
	v_cvt_f16_f32_e64 v11, v135
	v_cvt_f16_f32_e64 v10, v144
	;; [unrolled: 4-line block ×3, first 2 shown]
	v_cvt_f16_f32_e32 v4, v106
	v_cvt_f16_f32_e32 v3, v111
	;; [unrolled: 1-line block ×3, first 2 shown]
	v_cvt_f16_f32_e64 v1, v137
	v_mov_b32_e32 v6, v37
	v_mov_b32_e32 v34, v38
.LBB145_9:
	s_mov_b32 s0, exec_lo
	v_cmpx_gt_u32_e64 s4, v39
	s_cbranch_execz .LBB145_60
; %bb.10:
	s_delay_alu instid0(VALU_DEP_2) | instskip(SKIP_1) | instid1(VALU_DEP_2)
	v_add_nc_u32_e32 v0, s14, v34
	v_mul_lo_u32 v34, v39, s6
	v_cmp_gt_u32_e32 vcc_lo, s6, v0
	s_and_saveexec_b32 s1, vcc_lo
	s_cbranch_execz .LBB145_12
; %bb.11:
	s_delay_alu instid0(VALU_DEP_2) | instskip(NEXT) | instid1(VALU_DEP_1)
	v_dual_mov_b32 v36, 0 :: v_dual_add_nc_u32 v35, v0, v34
	v_lshlrev_b64_e32 v[35:36], 1, v[35:36]
	s_wait_kmcnt 0x0
	s_delay_alu instid0(VALU_DEP_1) | instskip(NEXT) | instid1(VALU_DEP_1)
	v_add_co_u32 v35, s0, s8, v35
	v_add_co_ci_u32_e64 v36, null, s9, v36, s0
	global_store_b16 v[35:36], v12, off
.LBB145_12:
	s_or_b32 exec_lo, exec_lo, s1
	v_add_nc_u32_e32 v12, 32, v0
	s_delay_alu instid0(VALU_DEP_1)
	v_cmp_gt_u32_e64 s0, s6, v12
	s_and_saveexec_b32 s2, s0
	s_cbranch_execz .LBB145_14
; %bb.13:
	v_dual_mov_b32 v36, 0 :: v_dual_add_nc_u32 v35, v12, v34
	s_delay_alu instid0(VALU_DEP_1) | instskip(SKIP_1) | instid1(VALU_DEP_1)
	v_lshlrev_b64_e32 v[35:36], 1, v[35:36]
	s_wait_kmcnt 0x0
	v_add_co_u32 v35, s1, s8, v35
	s_wait_alu 0xf1ff
	s_delay_alu instid0(VALU_DEP_2)
	v_add_co_ci_u32_e64 v36, null, s9, v36, s1
	global_store_b16 v[35:36], v13, off
.LBB145_14:
	s_wait_alu 0xfffe
	s_or_b32 exec_lo, exec_lo, s2
	v_add_nc_u32_e32 v13, 64, v0
	s_delay_alu instid0(VALU_DEP_1)
	v_cmp_gt_u32_e64 s1, s6, v13
	s_and_saveexec_b32 s3, s1
	s_cbranch_execz .LBB145_16
; %bb.15:
	v_dual_mov_b32 v36, 0 :: v_dual_add_nc_u32 v35, v13, v34
	s_delay_alu instid0(VALU_DEP_1) | instskip(SKIP_1) | instid1(VALU_DEP_1)
	v_lshlrev_b64_e32 v[35:36], 1, v[35:36]
	s_wait_kmcnt 0x0
	v_add_co_u32 v35, s2, s8, v35
	s_wait_alu 0xf1ff
	s_delay_alu instid0(VALU_DEP_2)
	v_add_co_ci_u32_e64 v36, null, s9, v36, s2
	global_store_b16 v[35:36], v14, off
.LBB145_16:
	s_wait_alu 0xfffe
	;; [unrolled: 18-line block ×3, first 2 shown]
	s_or_b32 exec_lo, exec_lo, s5
	v_add3_u32 v33, v6, s7, 8
	s_delay_alu instid0(VALU_DEP_1)
	v_cmp_gt_u32_e64 s3, s4, v33
	s_and_b32 exec_lo, exec_lo, s3
	s_cbranch_execz .LBB145_60
; %bb.19:
	v_mul_lo_u32 v33, v33, s6
	s_and_saveexec_b32 s5, vcc_lo
	s_cbranch_execnz .LBB145_61
; %bb.20:
	s_wait_alu 0xfffe
	s_or_b32 exec_lo, exec_lo, s5
	s_and_saveexec_b32 s5, s0
	s_cbranch_execnz .LBB145_62
.LBB145_21:
	s_wait_alu 0xfffe
	s_or_b32 exec_lo, exec_lo, s5
	s_and_saveexec_b32 s5, s1
	s_cbranch_execnz .LBB145_63
.LBB145_22:
	s_wait_alu 0xfffe
	s_or_b32 exec_lo, exec_lo, s5
	s_and_saveexec_b32 s5, s2
	s_cbranch_execz .LBB145_24
.LBB145_23:
	v_dual_mov_b32 v31, 0 :: v_dual_add_nc_u32 v30, v33, v14
	s_delay_alu instid0(VALU_DEP_1) | instskip(SKIP_1) | instid1(VALU_DEP_1)
	v_lshlrev_b64_e32 v[30:31], 1, v[30:31]
	s_wait_kmcnt 0x0
	v_add_co_u32 v30, s3, s8, v30
	s_wait_alu 0xf1ff
	s_delay_alu instid0(VALU_DEP_2)
	v_add_co_ci_u32_e64 v31, null, s9, v31, s3
	global_store_b16 v[30:31], v29, off
.LBB145_24:
	s_wait_alu 0xfffe
	s_or_b32 exec_lo, exec_lo, s5
	v_add3_u32 v29, v6, s7, 16
	s_delay_alu instid0(VALU_DEP_1)
	v_cmp_gt_u32_e64 s3, s4, v29
	s_and_b32 exec_lo, exec_lo, s3
	s_cbranch_execz .LBB145_60
; %bb.25:
	v_mul_lo_u32 v29, v29, s6
	s_and_saveexec_b32 s5, vcc_lo
	s_cbranch_execnz .LBB145_64
; %bb.26:
	s_wait_alu 0xfffe
	s_or_b32 exec_lo, exec_lo, s5
	s_and_saveexec_b32 s5, s0
	s_cbranch_execnz .LBB145_65
.LBB145_27:
	s_wait_alu 0xfffe
	s_or_b32 exec_lo, exec_lo, s5
	s_and_saveexec_b32 s5, s1
	s_cbranch_execnz .LBB145_66
.LBB145_28:
	s_wait_alu 0xfffe
	s_or_b32 exec_lo, exec_lo, s5
	s_and_saveexec_b32 s5, s2
	s_cbranch_execz .LBB145_30
.LBB145_29:
	v_dual_mov_b32 v27, 0 :: v_dual_add_nc_u32 v26, v29, v14
	s_delay_alu instid0(VALU_DEP_1) | instskip(SKIP_1) | instid1(VALU_DEP_1)
	v_lshlrev_b64_e32 v[26:27], 1, v[26:27]
	s_wait_kmcnt 0x0
	v_add_co_u32 v26, s3, s8, v26
	s_wait_alu 0xf1ff
	s_delay_alu instid0(VALU_DEP_2)
	v_add_co_ci_u32_e64 v27, null, s9, v27, s3
	global_store_b16 v[26:27], v25, off
.LBB145_30:
	s_wait_alu 0xfffe
	s_or_b32 exec_lo, exec_lo, s5
	v_add3_u32 v25, v6, s7, 24
	s_delay_alu instid0(VALU_DEP_1)
	v_cmp_gt_u32_e64 s3, s4, v25
	s_and_b32 exec_lo, exec_lo, s3
	s_cbranch_execz .LBB145_60
; %bb.31:
	v_mul_lo_u32 v25, v25, s6
	s_and_saveexec_b32 s5, vcc_lo
	s_cbranch_execnz .LBB145_67
; %bb.32:
	s_wait_alu 0xfffe
	s_or_b32 exec_lo, exec_lo, s5
	s_and_saveexec_b32 s5, s0
	s_cbranch_execnz .LBB145_68
.LBB145_33:
	s_wait_alu 0xfffe
	s_or_b32 exec_lo, exec_lo, s5
	s_and_saveexec_b32 s5, s1
	s_cbranch_execnz .LBB145_69
.LBB145_34:
	s_wait_alu 0xfffe
	s_or_b32 exec_lo, exec_lo, s5
	s_and_saveexec_b32 s5, s2
	s_cbranch_execz .LBB145_36
.LBB145_35:
	v_dual_mov_b32 v23, 0 :: v_dual_add_nc_u32 v22, v25, v14
	s_delay_alu instid0(VALU_DEP_1) | instskip(SKIP_1) | instid1(VALU_DEP_1)
	v_lshlrev_b64_e32 v[22:23], 1, v[22:23]
	s_wait_kmcnt 0x0
	v_add_co_u32 v22, s3, s8, v22
	s_wait_alu 0xf1ff
	s_delay_alu instid0(VALU_DEP_2)
	v_add_co_ci_u32_e64 v23, null, s9, v23, s3
	global_store_b16 v[22:23], v21, off
.LBB145_36:
	s_wait_alu 0xfffe
	s_or_b32 exec_lo, exec_lo, s5
	v_add3_u32 v21, v6, s7, 32
	s_delay_alu instid0(VALU_DEP_1)
	v_cmp_gt_u32_e64 s3, s4, v21
	s_and_b32 exec_lo, exec_lo, s3
	s_cbranch_execz .LBB145_60
; %bb.37:
	v_mul_lo_u32 v21, v21, s6
	s_and_saveexec_b32 s5, vcc_lo
	s_cbranch_execnz .LBB145_70
; %bb.38:
	s_wait_alu 0xfffe
	s_or_b32 exec_lo, exec_lo, s5
	s_and_saveexec_b32 s5, s0
	s_cbranch_execnz .LBB145_71
.LBB145_39:
	s_wait_alu 0xfffe
	s_or_b32 exec_lo, exec_lo, s5
	s_and_saveexec_b32 s5, s1
	s_cbranch_execnz .LBB145_72
.LBB145_40:
	s_wait_alu 0xfffe
	s_or_b32 exec_lo, exec_lo, s5
	s_and_saveexec_b32 s5, s2
	s_cbranch_execz .LBB145_42
.LBB145_41:
	v_dual_mov_b32 v19, 0 :: v_dual_add_nc_u32 v18, v21, v14
	s_delay_alu instid0(VALU_DEP_1) | instskip(SKIP_1) | instid1(VALU_DEP_1)
	v_lshlrev_b64_e32 v[18:19], 1, v[18:19]
	s_wait_kmcnt 0x0
	v_add_co_u32 v18, s3, s8, v18
	s_wait_alu 0xf1ff
	s_delay_alu instid0(VALU_DEP_2)
	v_add_co_ci_u32_e64 v19, null, s9, v19, s3
	global_store_b16 v[18:19], v17, off
.LBB145_42:
	s_wait_alu 0xfffe
	s_or_b32 exec_lo, exec_lo, s5
	v_add3_u32 v17, v6, s7, 40
	s_delay_alu instid0(VALU_DEP_1)
	v_cmp_gt_u32_e64 s3, s4, v17
	s_and_b32 exec_lo, exec_lo, s3
	s_cbranch_execz .LBB145_60
; %bb.43:
	v_mul_lo_u32 v17, v17, s6
	s_and_saveexec_b32 s5, vcc_lo
	s_cbranch_execnz .LBB145_73
; %bb.44:
	s_wait_alu 0xfffe
	s_or_b32 exec_lo, exec_lo, s5
	s_and_saveexec_b32 s5, s0
	s_cbranch_execnz .LBB145_74
.LBB145_45:
	s_wait_alu 0xfffe
	s_or_b32 exec_lo, exec_lo, s5
	s_and_saveexec_b32 s5, s1
	s_cbranch_execnz .LBB145_75
.LBB145_46:
	s_wait_alu 0xfffe
	s_or_b32 exec_lo, exec_lo, s5
	s_and_saveexec_b32 s5, s2
	s_cbranch_execz .LBB145_48
.LBB145_47:
	v_dual_mov_b32 v16, 0 :: v_dual_add_nc_u32 v15, v17, v14
	s_delay_alu instid0(VALU_DEP_1) | instskip(SKIP_1) | instid1(VALU_DEP_1)
	v_lshlrev_b64_e32 v[15:16], 1, v[15:16]
	s_wait_kmcnt 0x0
	v_add_co_u32 v15, s3, s8, v15
	s_wait_alu 0xf1ff
	s_delay_alu instid0(VALU_DEP_2)
	v_add_co_ci_u32_e64 v16, null, s9, v16, s3
	global_store_b16 v[15:16], v10, off
.LBB145_48:
	s_wait_alu 0xfffe
	s_or_b32 exec_lo, exec_lo, s5
	v_add3_u32 v10, v6, s7, 48
	s_delay_alu instid0(VALU_DEP_1)
	v_cmp_gt_u32_e64 s3, s4, v10
	s_and_b32 exec_lo, exec_lo, s3
	s_cbranch_execz .LBB145_60
; %bb.49:
	v_mul_lo_u32 v10, v10, s6
	s_and_saveexec_b32 s5, vcc_lo
	s_cbranch_execnz .LBB145_76
; %bb.50:
	s_wait_alu 0xfffe
	s_or_b32 exec_lo, exec_lo, s5
	s_and_saveexec_b32 s5, s0
	s_cbranch_execnz .LBB145_77
.LBB145_51:
	s_wait_alu 0xfffe
	s_or_b32 exec_lo, exec_lo, s5
	s_and_saveexec_b32 s5, s1
	s_cbranch_execnz .LBB145_78
.LBB145_52:
	s_wait_alu 0xfffe
	s_or_b32 exec_lo, exec_lo, s5
	s_and_saveexec_b32 s5, s2
	s_cbranch_execz .LBB145_54
.LBB145_53:
	v_dual_mov_b32 v8, 0 :: v_dual_add_nc_u32 v7, v10, v14
	s_delay_alu instid0(VALU_DEP_1) | instskip(SKIP_1) | instid1(VALU_DEP_1)
	v_lshlrev_b64_e32 v[7:8], 1, v[7:8]
	s_wait_kmcnt 0x0
	v_add_co_u32 v7, s3, s8, v7
	s_wait_alu 0xf1ff
	s_delay_alu instid0(VALU_DEP_2)
	v_add_co_ci_u32_e64 v8, null, s9, v8, s3
	global_store_b16 v[7:8], v5, off
.LBB145_54:
	s_wait_alu 0xfffe
	s_or_b32 exec_lo, exec_lo, s5
	v_add3_u32 v5, v6, s7, 56
	s_delay_alu instid0(VALU_DEP_1)
	v_cmp_gt_u32_e64 s3, s4, v5
	s_and_b32 exec_lo, exec_lo, s3
	s_cbranch_execz .LBB145_60
; %bb.55:
	v_mul_lo_u32 v5, v5, s6
	s_and_saveexec_b32 s3, vcc_lo
	s_cbranch_execnz .LBB145_79
; %bb.56:
	s_wait_alu 0xfffe
	s_or_b32 exec_lo, exec_lo, s3
	s_and_saveexec_b32 s3, s0
	s_cbranch_execnz .LBB145_80
.LBB145_57:
	s_wait_alu 0xfffe
	s_or_b32 exec_lo, exec_lo, s3
	s_and_saveexec_b32 s0, s1
	s_cbranch_execnz .LBB145_81
.LBB145_58:
	s_wait_alu 0xfffe
	s_or_b32 exec_lo, exec_lo, s0
	s_delay_alu instid0(SALU_CYCLE_1)
	s_and_b32 exec_lo, exec_lo, s2
	s_cbranch_execz .LBB145_60
.LBB145_59:
	v_dual_mov_b32 v3, 0 :: v_dual_add_nc_u32 v2, v5, v14
	s_delay_alu instid0(VALU_DEP_1) | instskip(SKIP_1) | instid1(VALU_DEP_1)
	v_lshlrev_b64_e32 v[2:3], 1, v[2:3]
	s_wait_kmcnt 0x0
	v_add_co_u32 v2, vcc_lo, s8, v2
	s_wait_alu 0xfffd
	s_delay_alu instid0(VALU_DEP_2)
	v_add_co_ci_u32_e64 v3, null, s9, v3, vcc_lo
	global_store_b16 v[2:3], v1, off
.LBB145_60:
	s_nop 0
	s_sendmsg sendmsg(MSG_DEALLOC_VGPRS)
	s_endpgm
.LBB145_61:
	s_delay_alu instid0(VALU_DEP_1) | instskip(NEXT) | instid1(VALU_DEP_1)
	v_dual_mov_b32 v35, 0 :: v_dual_add_nc_u32 v34, v33, v0
	v_lshlrev_b64_e32 v[34:35], 1, v[34:35]
	s_wait_kmcnt 0x0
	s_delay_alu instid0(VALU_DEP_1) | instskip(SKIP_1) | instid1(VALU_DEP_2)
	v_add_co_u32 v34, s3, s8, v34
	s_wait_alu 0xf1ff
	v_add_co_ci_u32_e64 v35, null, s9, v35, s3
	global_store_b16 v[34:35], v32, off
	s_wait_alu 0xfffe
	s_or_b32 exec_lo, exec_lo, s5
	s_and_saveexec_b32 s5, s0
	s_cbranch_execz .LBB145_21
.LBB145_62:
	s_delay_alu instid0(VALU_DEP_1) | instskip(NEXT) | instid1(VALU_DEP_1)
	v_dual_mov_b32 v35, 0 :: v_dual_add_nc_u32 v34, v33, v12
	v_lshlrev_b64_e32 v[34:35], 1, v[34:35]
	s_wait_kmcnt 0x0
	s_delay_alu instid0(VALU_DEP_1) | instskip(SKIP_1) | instid1(VALU_DEP_2)
	v_add_co_u32 v34, s3, s8, v34
	s_wait_alu 0xf1ff
	v_add_co_ci_u32_e64 v35, null, s9, v35, s3
	global_store_b16 v[34:35], v31, off
	s_wait_alu 0xfffe
	s_or_b32 exec_lo, exec_lo, s5
	s_and_saveexec_b32 s5, s1
	s_cbranch_execz .LBB145_22
.LBB145_63:
	v_dual_mov_b32 v32, 0 :: v_dual_add_nc_u32 v31, v33, v13
	s_delay_alu instid0(VALU_DEP_1) | instskip(SKIP_1) | instid1(VALU_DEP_1)
	v_lshlrev_b64_e32 v[31:32], 1, v[31:32]
	s_wait_kmcnt 0x0
	v_add_co_u32 v31, s3, s8, v31
	s_wait_alu 0xf1ff
	s_delay_alu instid0(VALU_DEP_2)
	v_add_co_ci_u32_e64 v32, null, s9, v32, s3
	global_store_b16 v[31:32], v30, off
	s_wait_alu 0xfffe
	s_or_b32 exec_lo, exec_lo, s5
	s_and_saveexec_b32 s5, s2
	s_cbranch_execnz .LBB145_23
	s_branch .LBB145_24
.LBB145_64:
	s_delay_alu instid0(VALU_DEP_1) | instskip(NEXT) | instid1(VALU_DEP_1)
	v_dual_mov_b32 v31, 0 :: v_dual_add_nc_u32 v30, v29, v0
	v_lshlrev_b64_e32 v[30:31], 1, v[30:31]
	s_wait_kmcnt 0x0
	s_delay_alu instid0(VALU_DEP_1) | instskip(SKIP_1) | instid1(VALU_DEP_2)
	v_add_co_u32 v30, s3, s8, v30
	s_wait_alu 0xf1ff
	v_add_co_ci_u32_e64 v31, null, s9, v31, s3
	global_store_b16 v[30:31], v28, off
	s_wait_alu 0xfffe
	s_or_b32 exec_lo, exec_lo, s5
	s_and_saveexec_b32 s5, s0
	s_cbranch_execz .LBB145_27
.LBB145_65:
	s_delay_alu instid0(VALU_DEP_1) | instskip(NEXT) | instid1(VALU_DEP_1)
	v_dual_mov_b32 v31, 0 :: v_dual_add_nc_u32 v30, v29, v12
	v_lshlrev_b64_e32 v[30:31], 1, v[30:31]
	s_wait_kmcnt 0x0
	s_delay_alu instid0(VALU_DEP_1) | instskip(SKIP_1) | instid1(VALU_DEP_2)
	v_add_co_u32 v30, s3, s8, v30
	s_wait_alu 0xf1ff
	v_add_co_ci_u32_e64 v31, null, s9, v31, s3
	global_store_b16 v[30:31], v27, off
	s_wait_alu 0xfffe
	s_or_b32 exec_lo, exec_lo, s5
	s_and_saveexec_b32 s5, s1
	s_cbranch_execz .LBB145_28
.LBB145_66:
	v_dual_mov_b32 v28, 0 :: v_dual_add_nc_u32 v27, v29, v13
	s_delay_alu instid0(VALU_DEP_1) | instskip(SKIP_1) | instid1(VALU_DEP_1)
	v_lshlrev_b64_e32 v[27:28], 1, v[27:28]
	s_wait_kmcnt 0x0
	v_add_co_u32 v27, s3, s8, v27
	s_wait_alu 0xf1ff
	s_delay_alu instid0(VALU_DEP_2)
	v_add_co_ci_u32_e64 v28, null, s9, v28, s3
	global_store_b16 v[27:28], v26, off
	s_wait_alu 0xfffe
	s_or_b32 exec_lo, exec_lo, s5
	s_and_saveexec_b32 s5, s2
	s_cbranch_execnz .LBB145_29
	s_branch .LBB145_30
.LBB145_67:
	s_delay_alu instid0(VALU_DEP_1) | instskip(NEXT) | instid1(VALU_DEP_1)
	v_dual_mov_b32 v27, 0 :: v_dual_add_nc_u32 v26, v25, v0
	v_lshlrev_b64_e32 v[26:27], 1, v[26:27]
	s_wait_kmcnt 0x0
	s_delay_alu instid0(VALU_DEP_1) | instskip(SKIP_1) | instid1(VALU_DEP_2)
	v_add_co_u32 v26, s3, s8, v26
	s_wait_alu 0xf1ff
	v_add_co_ci_u32_e64 v27, null, s9, v27, s3
	global_store_b16 v[26:27], v24, off
	s_wait_alu 0xfffe
	s_or_b32 exec_lo, exec_lo, s5
	s_and_saveexec_b32 s5, s0
	s_cbranch_execz .LBB145_33
.LBB145_68:
	s_delay_alu instid0(VALU_DEP_1) | instskip(NEXT) | instid1(VALU_DEP_1)
	v_dual_mov_b32 v27, 0 :: v_dual_add_nc_u32 v26, v25, v12
	v_lshlrev_b64_e32 v[26:27], 1, v[26:27]
	s_wait_kmcnt 0x0
	s_delay_alu instid0(VALU_DEP_1) | instskip(SKIP_1) | instid1(VALU_DEP_2)
	v_add_co_u32 v26, s3, s8, v26
	s_wait_alu 0xf1ff
	v_add_co_ci_u32_e64 v27, null, s9, v27, s3
	global_store_b16 v[26:27], v23, off
	s_wait_alu 0xfffe
	s_or_b32 exec_lo, exec_lo, s5
	s_and_saveexec_b32 s5, s1
	s_cbranch_execz .LBB145_34
.LBB145_69:
	v_dual_mov_b32 v24, 0 :: v_dual_add_nc_u32 v23, v25, v13
	s_delay_alu instid0(VALU_DEP_1) | instskip(SKIP_1) | instid1(VALU_DEP_1)
	v_lshlrev_b64_e32 v[23:24], 1, v[23:24]
	s_wait_kmcnt 0x0
	v_add_co_u32 v23, s3, s8, v23
	s_wait_alu 0xf1ff
	s_delay_alu instid0(VALU_DEP_2)
	v_add_co_ci_u32_e64 v24, null, s9, v24, s3
	global_store_b16 v[23:24], v22, off
	s_wait_alu 0xfffe
	s_or_b32 exec_lo, exec_lo, s5
	s_and_saveexec_b32 s5, s2
	s_cbranch_execnz .LBB145_35
	s_branch .LBB145_36
.LBB145_70:
	s_delay_alu instid0(VALU_DEP_1) | instskip(NEXT) | instid1(VALU_DEP_1)
	v_dual_mov_b32 v23, 0 :: v_dual_add_nc_u32 v22, v21, v0
	v_lshlrev_b64_e32 v[22:23], 1, v[22:23]
	s_wait_kmcnt 0x0
	s_delay_alu instid0(VALU_DEP_1) | instskip(SKIP_1) | instid1(VALU_DEP_2)
	v_add_co_u32 v22, s3, s8, v22
	s_wait_alu 0xf1ff
	v_add_co_ci_u32_e64 v23, null, s9, v23, s3
	global_store_b16 v[22:23], v20, off
	s_wait_alu 0xfffe
	s_or_b32 exec_lo, exec_lo, s5
	s_and_saveexec_b32 s5, s0
	s_cbranch_execz .LBB145_39
.LBB145_71:
	s_delay_alu instid0(VALU_DEP_1) | instskip(NEXT) | instid1(VALU_DEP_1)
	v_dual_mov_b32 v23, 0 :: v_dual_add_nc_u32 v22, v21, v12
	v_lshlrev_b64_e32 v[22:23], 1, v[22:23]
	s_wait_kmcnt 0x0
	s_delay_alu instid0(VALU_DEP_1) | instskip(SKIP_1) | instid1(VALU_DEP_2)
	v_add_co_u32 v22, s3, s8, v22
	s_wait_alu 0xf1ff
	v_add_co_ci_u32_e64 v23, null, s9, v23, s3
	global_store_b16 v[22:23], v19, off
	s_wait_alu 0xfffe
	s_or_b32 exec_lo, exec_lo, s5
	s_and_saveexec_b32 s5, s1
	s_cbranch_execz .LBB145_40
.LBB145_72:
	v_dual_mov_b32 v20, 0 :: v_dual_add_nc_u32 v19, v21, v13
	s_delay_alu instid0(VALU_DEP_1) | instskip(SKIP_1) | instid1(VALU_DEP_1)
	v_lshlrev_b64_e32 v[19:20], 1, v[19:20]
	s_wait_kmcnt 0x0
	v_add_co_u32 v19, s3, s8, v19
	s_wait_alu 0xf1ff
	s_delay_alu instid0(VALU_DEP_2)
	v_add_co_ci_u32_e64 v20, null, s9, v20, s3
	global_store_b16 v[19:20], v18, off
	s_wait_alu 0xfffe
	s_or_b32 exec_lo, exec_lo, s5
	s_and_saveexec_b32 s5, s2
	s_cbranch_execnz .LBB145_41
	s_branch .LBB145_42
.LBB145_73:
	s_delay_alu instid0(VALU_DEP_1) | instskip(NEXT) | instid1(VALU_DEP_1)
	v_dual_mov_b32 v19, 0 :: v_dual_add_nc_u32 v18, v17, v0
	v_lshlrev_b64_e32 v[18:19], 1, v[18:19]
	s_wait_kmcnt 0x0
	s_delay_alu instid0(VALU_DEP_1) | instskip(SKIP_1) | instid1(VALU_DEP_2)
	v_add_co_u32 v18, s3, s8, v18
	s_wait_alu 0xf1ff
	v_add_co_ci_u32_e64 v19, null, s9, v19, s3
	global_store_b16 v[18:19], v16, off
	s_wait_alu 0xfffe
	s_or_b32 exec_lo, exec_lo, s5
	s_and_saveexec_b32 s5, s0
	s_cbranch_execz .LBB145_45
.LBB145_74:
	s_delay_alu instid0(VALU_DEP_1) | instskip(NEXT) | instid1(VALU_DEP_1)
	v_dual_mov_b32 v19, 0 :: v_dual_add_nc_u32 v18, v17, v12
	v_lshlrev_b64_e32 v[18:19], 1, v[18:19]
	s_wait_kmcnt 0x0
	s_delay_alu instid0(VALU_DEP_1) | instskip(SKIP_1) | instid1(VALU_DEP_2)
	v_add_co_u32 v18, s3, s8, v18
	s_wait_alu 0xf1ff
	v_add_co_ci_u32_e64 v19, null, s9, v19, s3
	global_store_b16 v[18:19], v15, off
	s_wait_alu 0xfffe
	s_or_b32 exec_lo, exec_lo, s5
	s_and_saveexec_b32 s5, s1
	s_cbranch_execz .LBB145_46
.LBB145_75:
	v_dual_mov_b32 v16, 0 :: v_dual_add_nc_u32 v15, v17, v13
	s_delay_alu instid0(VALU_DEP_1) | instskip(SKIP_1) | instid1(VALU_DEP_1)
	v_lshlrev_b64_e32 v[15:16], 1, v[15:16]
	s_wait_kmcnt 0x0
	v_add_co_u32 v15, s3, s8, v15
	s_wait_alu 0xf1ff
	s_delay_alu instid0(VALU_DEP_2)
	v_add_co_ci_u32_e64 v16, null, s9, v16, s3
	global_store_b16 v[15:16], v11, off
	s_wait_alu 0xfffe
	s_or_b32 exec_lo, exec_lo, s5
	s_and_saveexec_b32 s5, s2
	s_cbranch_execnz .LBB145_47
	s_branch .LBB145_48
.LBB145_76:
	s_delay_alu instid0(VALU_DEP_1) | instskip(NEXT) | instid1(VALU_DEP_1)
	v_dual_mov_b32 v16, 0 :: v_dual_add_nc_u32 v15, v10, v0
	v_lshlrev_b64_e32 v[15:16], 1, v[15:16]
	s_wait_kmcnt 0x0
	s_delay_alu instid0(VALU_DEP_1) | instskip(SKIP_1) | instid1(VALU_DEP_2)
	v_add_co_u32 v15, s3, s8, v15
	s_wait_alu 0xf1ff
	v_add_co_ci_u32_e64 v16, null, s9, v16, s3
	global_store_b16 v[15:16], v9, off
	s_wait_alu 0xfffe
	s_or_b32 exec_lo, exec_lo, s5
	s_and_saveexec_b32 s5, s0
	s_cbranch_execz .LBB145_51
.LBB145_77:
	s_delay_alu instid0(VALU_DEP_1) | instskip(NEXT) | instid1(VALU_DEP_1)
	v_dual_mov_b32 v16, 0 :: v_dual_add_nc_u32 v15, v10, v12
	v_lshlrev_b64_e32 v[15:16], 1, v[15:16]
	s_wait_kmcnt 0x0
	s_delay_alu instid0(VALU_DEP_1) | instskip(SKIP_1) | instid1(VALU_DEP_2)
	v_add_co_u32 v15, s3, s8, v15
	s_wait_alu 0xf1ff
	v_add_co_ci_u32_e64 v16, null, s9, v16, s3
	global_store_b16 v[15:16], v8, off
	s_wait_alu 0xfffe
	s_or_b32 exec_lo, exec_lo, s5
	s_and_saveexec_b32 s5, s1
	s_cbranch_execz .LBB145_52
.LBB145_78:
	v_dual_mov_b32 v9, 0 :: v_dual_add_nc_u32 v8, v10, v13
	s_delay_alu instid0(VALU_DEP_1) | instskip(SKIP_1) | instid1(VALU_DEP_1)
	v_lshlrev_b64_e32 v[8:9], 1, v[8:9]
	s_wait_kmcnt 0x0
	v_add_co_u32 v8, s3, s8, v8
	s_wait_alu 0xf1ff
	s_delay_alu instid0(VALU_DEP_2)
	v_add_co_ci_u32_e64 v9, null, s9, v9, s3
	global_store_b16 v[8:9], v7, off
	s_wait_alu 0xfffe
	s_or_b32 exec_lo, exec_lo, s5
	s_and_saveexec_b32 s5, s2
	s_cbranch_execnz .LBB145_53
	s_branch .LBB145_54
.LBB145_79:
	s_delay_alu instid0(VALU_DEP_1) | instskip(NEXT) | instid1(VALU_DEP_1)
	v_dual_mov_b32 v7, 0 :: v_dual_add_nc_u32 v6, v5, v0
	v_lshlrev_b64_e32 v[6:7], 1, v[6:7]
	s_wait_kmcnt 0x0
	s_delay_alu instid0(VALU_DEP_1) | instskip(SKIP_1) | instid1(VALU_DEP_2)
	v_add_co_u32 v6, vcc_lo, s8, v6
	s_wait_alu 0xfffd
	v_add_co_ci_u32_e64 v7, null, s9, v7, vcc_lo
	global_store_b16 v[6:7], v4, off
	s_wait_alu 0xfffe
	s_or_b32 exec_lo, exec_lo, s3
	s_and_saveexec_b32 s3, s0
	s_cbranch_execz .LBB145_57
.LBB145_80:
	s_delay_alu instid0(VALU_DEP_1) | instskip(NEXT) | instid1(VALU_DEP_1)
	v_dual_mov_b32 v7, 0 :: v_dual_add_nc_u32 v6, v5, v12
	v_lshlrev_b64_e32 v[6:7], 1, v[6:7]
	s_wait_kmcnt 0x0
	s_delay_alu instid0(VALU_DEP_1) | instskip(SKIP_1) | instid1(VALU_DEP_2)
	v_add_co_u32 v6, vcc_lo, s8, v6
	s_wait_alu 0xfffd
	v_add_co_ci_u32_e64 v7, null, s9, v7, vcc_lo
	global_store_b16 v[6:7], v3, off
	s_wait_alu 0xfffe
	s_or_b32 exec_lo, exec_lo, s3
	s_and_saveexec_b32 s0, s1
	s_cbranch_execz .LBB145_58
.LBB145_81:
	v_dual_mov_b32 v4, 0 :: v_dual_add_nc_u32 v3, v5, v13
	s_delay_alu instid0(VALU_DEP_1) | instskip(SKIP_1) | instid1(VALU_DEP_1)
	v_lshlrev_b64_e32 v[3:4], 1, v[3:4]
	s_wait_kmcnt 0x0
	v_add_co_u32 v3, vcc_lo, s8, v3
	s_wait_alu 0xfffd
	s_delay_alu instid0(VALU_DEP_2) | instskip(SKIP_3) | instid1(SALU_CYCLE_1)
	v_add_co_ci_u32_e64 v4, null, s9, v4, vcc_lo
	global_store_b16 v[3:4], v2, off
	s_wait_alu 0xfffe
	s_or_b32 exec_lo, exec_lo, s0
	s_and_b32 exec_lo, exec_lo, s2
	s_cbranch_execnz .LBB145_59
	s_branch .LBB145_60
	.section	.rodata,"a",@progbits
	.p2align	6, 0x0
	.amdhsa_kernel _ZL12mul_mat_q8_0IN3c104HalfELb0EEvPKvS3_PT_iiiii
		.amdhsa_group_segment_fixed_size 28224
		.amdhsa_private_segment_fixed_size 0
		.amdhsa_kernarg_size 44
		.amdhsa_user_sgpr_count 2
		.amdhsa_user_sgpr_dispatch_ptr 0
		.amdhsa_user_sgpr_queue_ptr 0
		.amdhsa_user_sgpr_kernarg_segment_ptr 1
		.amdhsa_user_sgpr_dispatch_id 0
		.amdhsa_user_sgpr_private_segment_size 0
		.amdhsa_wavefront_size32 1
		.amdhsa_uses_dynamic_stack 0
		.amdhsa_enable_private_segment 0
		.amdhsa_system_sgpr_workgroup_id_x 1
		.amdhsa_system_sgpr_workgroup_id_y 1
		.amdhsa_system_sgpr_workgroup_id_z 0
		.amdhsa_system_sgpr_workgroup_info 0
		.amdhsa_system_vgpr_workitem_id 1
		.amdhsa_next_free_vgpr 174
		.amdhsa_next_free_sgpr 21
		.amdhsa_reserve_vcc 1
		.amdhsa_float_round_mode_32 0
		.amdhsa_float_round_mode_16_64 0
		.amdhsa_float_denorm_mode_32 3
		.amdhsa_float_denorm_mode_16_64 3
		.amdhsa_fp16_overflow 0
		.amdhsa_workgroup_processor_mode 1
		.amdhsa_memory_ordered 1
		.amdhsa_forward_progress 1
		.amdhsa_inst_pref_size 83
		.amdhsa_round_robin_scheduling 0
		.amdhsa_exception_fp_ieee_invalid_op 0
		.amdhsa_exception_fp_denorm_src 0
		.amdhsa_exception_fp_ieee_div_zero 0
		.amdhsa_exception_fp_ieee_overflow 0
		.amdhsa_exception_fp_ieee_underflow 0
		.amdhsa_exception_fp_ieee_inexact 0
		.amdhsa_exception_int_div_zero 0
	.end_amdhsa_kernel
	.section	.text._ZL12mul_mat_q8_0IN3c104HalfELb0EEvPKvS3_PT_iiiii,"axG",@progbits,_ZL12mul_mat_q8_0IN3c104HalfELb0EEvPKvS3_PT_iiiii,comdat
.Lfunc_end145:
	.size	_ZL12mul_mat_q8_0IN3c104HalfELb0EEvPKvS3_PT_iiiii, .Lfunc_end145-_ZL12mul_mat_q8_0IN3c104HalfELb0EEvPKvS3_PT_iiiii
                                        ; -- End function
	.set _ZL12mul_mat_q8_0IN3c104HalfELb0EEvPKvS3_PT_iiiii.num_vgpr, 174
	.set _ZL12mul_mat_q8_0IN3c104HalfELb0EEvPKvS3_PT_iiiii.num_agpr, 0
	.set _ZL12mul_mat_q8_0IN3c104HalfELb0EEvPKvS3_PT_iiiii.numbered_sgpr, 21
	.set _ZL12mul_mat_q8_0IN3c104HalfELb0EEvPKvS3_PT_iiiii.num_named_barrier, 0
	.set _ZL12mul_mat_q8_0IN3c104HalfELb0EEvPKvS3_PT_iiiii.private_seg_size, 0
	.set _ZL12mul_mat_q8_0IN3c104HalfELb0EEvPKvS3_PT_iiiii.uses_vcc, 1
	.set _ZL12mul_mat_q8_0IN3c104HalfELb0EEvPKvS3_PT_iiiii.uses_flat_scratch, 0
	.set _ZL12mul_mat_q8_0IN3c104HalfELb0EEvPKvS3_PT_iiiii.has_dyn_sized_stack, 0
	.set _ZL12mul_mat_q8_0IN3c104HalfELb0EEvPKvS3_PT_iiiii.has_recursion, 0
	.set _ZL12mul_mat_q8_0IN3c104HalfELb0EEvPKvS3_PT_iiiii.has_indirect_call, 0
	.section	.AMDGPU.csdata,"",@progbits
; Kernel info:
; codeLenInByte = 10504
; TotalNumSgprs: 23
; NumVgprs: 174
; ScratchSize: 0
; MemoryBound: 0
; FloatMode: 240
; IeeeMode: 1
; LDSByteSize: 28224 bytes/workgroup (compile time only)
; SGPRBlocks: 0
; VGPRBlocks: 21
; NumSGPRsForWavesPerEU: 23
; NumVGPRsForWavesPerEU: 174
; Occupancy: 8
; WaveLimiterHint : 0
; COMPUTE_PGM_RSRC2:SCRATCH_EN: 0
; COMPUTE_PGM_RSRC2:USER_SGPR: 2
; COMPUTE_PGM_RSRC2:TRAP_HANDLER: 0
; COMPUTE_PGM_RSRC2:TGID_X_EN: 1
; COMPUTE_PGM_RSRC2:TGID_Y_EN: 1
; COMPUTE_PGM_RSRC2:TGID_Z_EN: 0
; COMPUTE_PGM_RSRC2:TIDIG_COMP_CNT: 1
	.section	.text._ZL12mul_mat_q8_0IN3c104HalfELb1EEvPKvS3_PT_iiiii,"axG",@progbits,_ZL12mul_mat_q8_0IN3c104HalfELb1EEvPKvS3_PT_iiiii,comdat
	.globl	_ZL12mul_mat_q8_0IN3c104HalfELb1EEvPKvS3_PT_iiiii ; -- Begin function _ZL12mul_mat_q8_0IN3c104HalfELb1EEvPKvS3_PT_iiiii
	.p2align	8
	.type	_ZL12mul_mat_q8_0IN3c104HalfELb1EEvPKvS3_PT_iiiii,@function
_ZL12mul_mat_q8_0IN3c104HalfELb1EEvPKvS3_PT_iiiii: ; @_ZL12mul_mat_q8_0IN3c104HalfELb1EEvPKvS3_PT_iiiii
; %bb.0:
	s_clause 0x1
	s_load_b128 s[4:7], s[0:1], 0x18
	s_load_b32 s12, s[0:1], 0x28
	v_bfe_u32 v53, v0, 10, 10
	v_and_b32_e32 v54, 0x3ff, v0
	s_lshl_b32 s13, ttmp7, 6
	s_wait_kmcnt 0x0
	s_cmp_gt_i32 s4, 31
	s_cbranch_scc1 .LBB146_2
; %bb.1:
	v_bfe_u32 v6, v0, 10, 10
	v_and_b32_e32 v34, 0x3ff, v0
	s_mov_b32 s2, 0
	s_delay_alu instid0(VALU_DEP_2)
	v_add_nc_u32_e32 v55, s13, v6
	s_branch .LBB146_3
.LBB146_2:
	s_mov_b32 s2, -1
                                        ; implicit-def: $vgpr6
                                        ; implicit-def: $vgpr34
                                        ; implicit-def: $vgpr55
.LBB146_3:
	s_load_b64 s[8:9], s[0:1], 0x10
	v_dual_mov_b32 v1, 0 :: v_dual_mov_b32 v10, 0
	v_dual_mov_b32 v5, 0 :: v_dual_mov_b32 v2, 0
	;; [unrolled: 1-line block ×15, first 2 shown]
	v_mov_b32_e32 v13, 0
	v_mov_b32_e32 v9, 0
	s_and_not1_b32 vcc_lo, exec_lo, s2
	s_lshl_b32 s14, ttmp9, 7
	s_cbranch_vccnz .LBB146_9
; %bb.4:
	s_not_b32 s16, s14
	v_dual_mov_b32 v131, 0 :: v_dual_add_nc_u32 v20, 8, v53
	s_ashr_i32 s10, s4, 31
	v_dual_mov_b32 v119, 0 :: v_dual_add_nc_u32 v34, 16, v53
	s_add_co_i32 s5, s5, s16
	v_dual_mov_b32 v114, 0 :: v_dual_add_nc_u32 v35, 24, v53
	v_dual_mov_b32 v106, 0 :: v_dual_add_nc_u32 v55, s13, v53
	s_lshr_b32 s10, s10, 27
	v_dual_mov_b32 v56, 0 :: v_dual_lshlrev_b32 v21, 2, v54
	v_min_i32_e32 v1, s5, v53
	s_add_co_i32 s4, s4, s10
	v_min_i32_e32 v3, s5, v20
	v_min_i32_e32 v4, s5, v34
	s_wait_alu 0xfffe
	s_ashr_i32 s15, s4, 5
	v_min_i32_e32 v5, s5, v35
	v_dual_mov_b32 v116, 0 :: v_dual_add_nc_u32 v9, 24, v55
	v_mul_lo_u32 v59, v1, s15
	v_mad_co_u64_u32 v[1:2], null, 0x84, v1, v[21:22]
	v_mul_lo_u32 v60, v3, s15
	v_mad_co_u64_u32 v[2:3], null, 0x84, v3, v[21:22]
	s_ashr_i32 s11, s7, 31
	v_mul_lo_u32 v61, v4, s15
	v_mad_co_u64_u32 v[3:4], null, 0x84, v4, v[21:22]
	v_mul_lo_u32 v62, v5, s15
	v_mad_co_u64_u32 v[4:5], null, 0x84, v5, v[21:22]
	v_cvt_f64_u32_e32 v[22:23], v9
	s_lshr_b32 s4, s11, 27
	v_dual_mov_b32 v142, 0 :: v_dual_add_nc_u32 v5, 8, v55
	s_wait_alu 0xfffe
	s_add_co_i32 s4, s7, s4
	s_add_co_i32 s7, s6, -1
	v_dual_mov_b32 v145, 0 :: v_dual_add_nc_u32 v8, 16, v55
	v_cvt_f64_i32_e32 v[12:13], s7
	v_cvt_f64_u32_e32 v[16:17], v5
	v_dual_mov_b32 v150, 0 :: v_dual_add_nc_u32 v5, 32, v55
	s_delay_alu instid0(VALU_DEP_4)
	v_cvt_f64_u32_e32 v[18:19], v8
	v_dual_mov_b32 v139, 0 :: v_dual_add_nc_u32 v8, 40, v55
	v_dual_mov_b32 v148, 0 :: v_dual_add_nc_u32 v9, 48, v55
	;; [unrolled: 1-line block ×4, first 2 shown]
	v_cvt_f64_u32_e32 v[24:25], v5
	v_dual_mov_b32 v110, 0 :: v_dual_add_nc_u32 v37, 40, v53
	v_cvt_f64_u32_e32 v[14:15], v55
	v_dual_mov_b32 v127, 0 :: v_dual_add_nc_u32 v38, 48, v53
	v_cvt_f64_u32_e32 v[26:27], v8
	v_cvt_f64_u32_e32 v[28:29], v9
	;; [unrolled: 1-line block ×3, first 2 shown]
	v_dual_mov_b32 v146, 0 :: v_dual_add_nc_u32 v39, 56, v53
	v_dual_mov_b32 v121, 0 :: v_dual_add_nc_u32 v10, 64, v53
	v_min_i32_e32 v6, s5, v36
	v_dual_mov_b32 v140, 0 :: v_dual_add_nc_u32 v11, 0x48, v53
	v_min_i32_e32 v7, s5, v37
	v_min_i32_e32 v8, s5, v38
	;; [unrolled: 1-line block ×4, first 2 shown]
	v_mul_lo_u32 v63, v6, s15
	v_mad_co_u64_u32 v[5:6], null, 0x84, v6, v[21:22]
	v_min_i32_e32 v11, s5, v11
	v_mul_lo_u32 v64, v7, s15
	v_mad_co_u64_u32 v[6:7], null, 0x84, v7, v[21:22]
	v_mul_lo_u32 v65, v8, s15
	v_mad_co_u64_u32 v[7:8], null, 0x84, v8, v[21:22]
	;; [unrolled: 2-line block ×5, first 2 shown]
	v_min_num_f64_e32 v[22:23], v[22:23], v[12:13]
	v_dual_mov_b32 v111, 0 :: v_dual_add_nc_u32 v32, 0x50, v53
	v_min_num_f64_e32 v[24:25], v[24:25], v[12:13]
	v_min_num_f64_e32 v[16:17], v[16:17], v[12:13]
	;; [unrolled: 1-line block ×3, first 2 shown]
	s_delay_alu instid0(VALU_DEP_4)
	v_min_i32_e32 v40, s5, v32
	v_min_num_f64_e32 v[32:33], v[14:15], v[12:13]
	v_min_num_f64_e32 v[26:27], v[26:27], v[12:13]
	;; [unrolled: 1-line block ×4, first 2 shown]
	v_dual_mov_b32 v152, 0 :: v_dual_add_nc_u32 v41, 0x58, v53
	v_dual_mov_b32 v144, 0 :: v_dual_add_nc_u32 v15, 0x60, v53
	v_mul_lo_u32 v69, v40, s15
	s_delay_alu instid0(VALU_DEP_3) | instskip(SKIP_1) | instid1(VALU_DEP_4)
	v_min_i32_e32 v14, s5, v41
	v_bfe_u32 v41, v0, 2, 8
	v_min_i32_e32 v15, s5, v15
	v_mov_b32_e32 v143, 0
	v_mov_b32_e32 v129, 0
	v_mul_lo_u32 v70, v14, s15
	v_lshl_add_u32 v41, v53, 3, v41
	v_mul_lo_u32 v71, v15, s15
	v_dual_mov_b32 v135, 0 :: v_dual_add_nc_u32 v42, 0x70, v53
	v_mov_b32_e32 v123, 0
	s_delay_alu instid0(VALU_DEP_4) | instskip(SKIP_1) | instid1(VALU_DEP_4)
	v_min_i32_e32 v43, s5, v41
	v_add_nc_u32_e32 v44, 64, v41
	v_min_i32_e32 v42, s5, v42
	s_load_b128 s[0:3], s[0:1], 0x0
	v_mov_b32_e32 v153, 0
	v_ashrrev_i32_e32 v45, 31, v43
	v_min_i32_e32 v44, s5, v44
	s_ashr_i32 s4, s4, 5
	v_bfe_u32 v57, v0, 3, 7
	v_dual_mov_b32 v125, 0 :: v_dual_and_b32 v58, 28, v21
	v_mad_co_u64_u32 v[11:12], null, 0x84, v40, v[21:22]
	v_add_nc_u32_e32 v40, 0x68, v53
	v_mad_co_u64_u32 v[12:13], null, 0x84, v14, v[21:22]
	v_mad_co_u64_u32 v[13:14], null, 0x84, v15, v[21:22]
	s_delay_alu instid0(VALU_DEP_3)
	v_min_i32_e32 v40, s5, v40
	v_cvt_i32_f64_e32 v32, v[32:33]
	v_cvt_i32_f64_e32 v46, v[16:17]
	v_dual_mov_b32 v151, 0 :: v_dual_lshlrev_b32 v78, 7, v53
	v_mov_b32_e32 v137, 0
	v_mad_co_u64_u32 v[14:15], null, 0x84, v40, v[21:22]
	v_cvt_i32_f64_e32 v22, v[22:23]
	v_mul_lo_u32 v72, v40, s15
	v_lshrrev_b32_e32 v40, 29, v45
	v_cvt_i32_f64_e32 v23, v[24:25]
	v_cvt_i32_f64_e32 v24, v[26:27]
	v_cvt_i32_f64_e32 v25, v[28:29]
	v_cvt_i32_f64_e32 v26, v[30:31]
	v_add_nc_u32_e32 v16, v43, v40
	v_cvt_i32_f64_e32 v40, v[18:19]
	v_ashrrev_i32_e32 v45, 31, v44
	v_add_nc_u32_e32 v15, 0x78, v53
	v_and_b32_e32 v29, 63, v41
	v_ashrrev_i32_e32 v18, 3, v16
	v_dual_mov_b32 v149, 0 :: v_dual_lshlrev_b32 v30, 4, v43
	v_lshrrev_b32_e32 v17, 29, v45
	v_min_i32_e32 v33, s5, v15
	v_and_b32_e32 v15, 3, v0
	v_lshlrev_b32_e32 v27, 2, v18
	v_dual_mov_b32 v147, 0 :: v_dual_and_b32 v0, 31, v0
	v_add_nc_u32_e32 v19, v44, v17
	s_delay_alu instid0(VALU_DEP_4)
	v_lshlrev_b32_e32 v28, 2, v15
	v_mul_lo_u32 v74, v33, s15
	v_lshlrev_b32_e32 v80, 7, v20
	v_lshlrev_b32_e32 v82, 7, v34
	v_ashrrev_i32_e32 v19, 3, v19
	v_add3_u32 v27, v27, v28, 0x6200
	v_lshlrev_b32_e32 v84, 7, v35
	v_lshlrev_b32_e32 v86, 7, v36
	;; [unrolled: 1-line block ×3, first 2 shown]
	s_wait_alu 0xfffe
	v_mul_lo_u32 v77, s4, v32
	v_mul_lo_u32 v79, s4, v46
	v_lshlrev_b32_e32 v90, 7, v38
	v_lshlrev_b32_e32 v92, 7, v39
	s_mul_i32 s10, s15, s14
	v_mul_lo_u32 v73, v42, s15
	v_mul_lo_u32 v75, v43, s15
	v_mad_co_u64_u32 v[16:17], null, 0x84, v42, v[21:22]
	v_mad_co_u64_u32 v[17:18], null, 0x84, v33, v[21:22]
	v_lshlrev_b32_e32 v18, 2, v19
	v_or_b32_e32 v19, s13, v29
	v_mul_lo_u32 v83, s4, v22
	v_mul_lo_u32 v85, s4, v23
	v_add_nc_u32_e32 v22, 64, v54
	v_add3_u32 v31, v18, v28, 0x6200
	v_min_i32_e32 v18, s7, v19
	v_add_nc_u32_e32 v23, 0x60, v54
	v_mul_lo_u32 v81, s4, v40
	v_mul_lo_u32 v87, s4, v24
	;; [unrolled: 1-line block ×3, first 2 shown]
	v_mad_co_u64_u32 v[18:19], null, v18, s4, v[15:16]
	v_add_nc_u32_e32 v19, 32, v54
	v_mul_lo_u32 v91, s4, v26
	s_movk_i32 s4, 0x1080
	v_lshl_or_b32 v28, v29, 4, v28
	s_wait_alu 0xfffe
	v_mad_u32_u24 v102, 0x84, v54, s4
	s_movk_i32 s4, 0x2100
	v_lshlrev_b32_e32 v29, 4, v44
	v_lshl_or_b32 v33, v0, 2, 0x4200
	v_lshrrev_b32_e32 v24, 3, v19
	v_lshrrev_b32_e32 v25, 3, v22
	;; [unrolled: 1-line block ×3, first 2 shown]
	s_wait_alu 0xfffe
	v_mad_u32_u24 v104, 0x84, v54, s4
	s_movk_i32 s4, 0x3180
	v_mul_lo_u32 v76, v44, s15
	v_lshlrev_b32_e32 v103, 4, v19
	s_wait_alu 0xfffe
	v_mad_u32_u24 v107, 0x84, v54, s4
	s_wait_kmcnt 0x0
	v_add_co_u32 v19, s4, s2, v58
	s_ashr_i32 s11, s10, 31
	v_dual_mov_b32 v141, 0 :: v_dual_add_nc_u32 v0, 0x6a40, v28
	v_lshlrev_b32_e32 v93, 4, v53
	v_lshlrev_b32_e32 v94, 4, v20
	v_lshlrev_b32_e32 v95, 4, v34
	v_lshlrev_b32_e32 v96, 4, v35
	v_lshlrev_b32_e32 v97, 4, v36
	v_lshlrev_b32_e32 v98, 4, v37
	v_lshlrev_b32_e32 v99, 4, v38
	v_lshlrev_b32_e32 v100, 4, v39
	v_mul_u32_u24_e32 v101, 0x84, v54
	v_lshlrev_b32_e32 v105, 4, v22
	v_lshlrev_b32_e32 v108, 4, v23
	s_wait_alu 0xf1ff
	v_add_co_ci_u32_e64 v20, null, s3, 0, s4
	v_add_nc_u32_e32 v112, v27, v30
	v_add_nc_u32_e32 v113, v31, v29
	;; [unrolled: 1-line block ×10, first 2 shown]
	v_lshlrev_b32_e32 v130, 2, v57
	v_lshlrev_b32_e32 v132, 2, v21
	;; [unrolled: 1-line block ×5, first 2 shown]
	s_mul_u64 s[10:11], s[10:11], 34
	s_mov_b32 s5, 0
	s_add_nc_u64 s[0:1], s[0:1], s[10:11]
	s_wait_alu 0xfffe
	s_mov_b32 s4, s5
.LBB146_5:                              ; =>This Loop Header: Depth=1
                                        ;     Child Loop BB146_6 Depth 2
	s_wait_alu 0xfffe
	s_mul_u64 s[10:11], s[4:5], 34
	v_add_nc_u32_e32 v51, s4, v57
	s_wait_alu 0xfffe
	s_add_nc_u64 s[10:11], s[0:1], s[10:11]
	v_add_nc_u32_e32 v41, s4, v18
	s_wait_alu 0xfffe
	v_mad_co_u64_u32 v[21:22], null, v57, 34, s[10:11]
	s_mov_b32 s7, 0
	v_mad_co_u64_u32 v[41:42], null, v41, 36, s[2:3]
	v_mad_co_i64_i32 v[23:24], null, v59, 34, v[21:22]
	v_mad_co_i64_i32 v[25:26], null, v60, 34, v[21:22]
	v_mad_co_i64_i32 v[27:28], null, v61, 34, v[21:22]
	v_mad_co_i64_i32 v[29:30], null, v62, 34, v[21:22]
	s_delay_alu instid0(VALU_DEP_4)
	v_add_co_u32 v23, vcc_lo, v23, v58
	v_mad_co_i64_i32 v[31:32], null, v63, 34, v[21:22]
	s_wait_alu 0xfffd
	v_add_co_ci_u32_e64 v24, null, 0, v24, vcc_lo
	v_add_co_u32 v25, vcc_lo, v25, v58
	v_mad_co_i64_i32 v[33:34], null, v64, 34, v[21:22]
	s_wait_alu 0xfffd
	v_add_co_ci_u32_e64 v26, null, 0, v26, vcc_lo
	;; [unrolled: 4-line block ×4, first 2 shown]
	v_add_co_u32 v31, vcc_lo, v31, v58
	s_wait_alu 0xfffd
	v_add_co_ci_u32_e64 v32, null, 0, v32, vcc_lo
	v_add_co_u32 v33, vcc_lo, v33, v58
	s_wait_alu 0xfffd
	v_add_co_ci_u32_e64 v34, null, 0, v34, vcc_lo
	v_add_co_u32 v35, vcc_lo, v35, v58
	s_wait_alu 0xfffd
	v_add_co_ci_u32_e64 v36, null, 0, v36, vcc_lo
	v_add_co_u32 v37, vcc_lo, v37, v58
	v_mad_co_i64_i32 v[39:40], null, v67, 34, v[21:22]
	s_wait_alu 0xfffd
	v_add_co_ci_u32_e64 v38, null, 0, v38, vcc_lo
	s_clause 0x7
	global_load_b32 v43, v[23:24], off offset:2
	global_load_b32 v44, v[25:26], off offset:2
	;; [unrolled: 1-line block ×8, first 2 shown]
	v_mad_co_i64_i32 v[23:24], null, v68, 34, v[21:22]
	v_mad_co_i64_i32 v[27:28], null, v69, 34, v[21:22]
	;; [unrolled: 1-line block ×3, first 2 shown]
	v_add_co_u32 v25, vcc_lo, v39, v58
	v_mad_co_i64_i32 v[31:32], null, v71, 34, v[21:22]
	s_wait_alu 0xfffd
	v_add_co_ci_u32_e64 v26, null, 0, v40, vcc_lo
	v_add_co_u32 v23, vcc_lo, v23, v58
	v_mad_co_i64_i32 v[33:34], null, v72, 34, v[21:22]
	s_wait_alu 0xfffd
	v_add_co_ci_u32_e64 v24, null, 0, v24, vcc_lo
	;; [unrolled: 4-line block ×4, first 2 shown]
	v_add_co_u32 v31, vcc_lo, v31, v58
	s_wait_alu 0xfffd
	v_add_co_ci_u32_e64 v32, null, 0, v32, vcc_lo
	v_add_co_u32 v33, vcc_lo, v33, v58
	v_mad_co_u64_u32 v[37:38], null, v15, 34, s[10:11]
	s_wait_alu 0xfffd
	v_add_co_ci_u32_e64 v34, null, 0, v34, vcc_lo
	v_add_co_u32 v35, vcc_lo, v35, v58
	s_wait_alu 0xfffd
	v_add_co_ci_u32_e64 v36, null, 0, v36, vcc_lo
	v_add_co_u32 v21, vcc_lo, v21, v58
	s_wait_alu 0xfffd
	v_add_co_ci_u32_e64 v22, null, 0, v22, vcc_lo
	s_clause 0x7
	global_load_b32 v52, v[25:26], off offset:2
	global_load_b32 v154, v[23:24], off offset:2
	;; [unrolled: 1-line block ×8, first 2 shown]
	v_add_nc_u32_e32 v21, v51, v77
	v_add_nc_u32_e32 v23, v51, v79
	;; [unrolled: 1-line block ×3, first 2 shown]
	v_mad_co_i64_i32 v[39:40], null, v75, 34, v[37:38]
	v_add_nc_u32_e32 v27, v51, v83
	v_mad_co_i64_i32 v[37:38], null, v76, 34, v[37:38]
	v_add_nc_u32_e32 v29, v51, v85
	;; [unrolled: 2-line block ×5, first 2 shown]
	v_mad_co_i64_i32 v[27:28], null, v27, 36, v[19:20]
	v_mad_co_i64_i32 v[29:30], null, v29, 36, v[19:20]
	;; [unrolled: 1-line block ×3, first 2 shown]
	s_clause 0x1
	global_load_u16 v39, v[39:40], off
	global_load_u16 v37, v[37:38], off
	global_load_b32 v38, v[41:42], off
	v_mad_co_i64_i32 v[33:34], null, v33, 36, v[19:20]
	v_mad_co_i64_i32 v[35:36], null, v35, 36, v[19:20]
	s_clause 0x7
	global_load_b32 v21, v[21:22], off offset:4
	global_load_b32 v22, v[23:24], off offset:4
	;; [unrolled: 1-line block ×8, first 2 shown]
	s_wait_loadcnt 0xa
	v_cvt_f32_f16_e32 v29, v39
	s_wait_loadcnt 0x9
	v_cvt_f32_f16_e32 v31, v37
	;; [unrolled: 2-line block ×3, first 2 shown]
	ds_store_b32 v1, v43
	ds_store_b32 v112, v29
	;; [unrolled: 1-line block ×18, first 2 shown]
	s_wait_loadcnt 0x7
	ds_store_b32 v115, v21
	s_wait_loadcnt 0x6
	ds_store_b32 v117, v22
	;; [unrolled: 2-line block ×8, first 2 shown]
	ds_store_b32 v0, v30
	s_wait_dscnt 0x0
	s_barrier_signal -1
	s_barrier_wait -1
	global_inv scope:SCOPE_SE
.LBB146_6:                              ;   Parent Loop BB146_5 Depth=1
                                        ; =>  This Inner Loop Header: Depth=2
	s_wait_alu 0xfffe
	s_lshr_b32 s17, s7, 1
	s_lshl_b32 s16, s7, 2
	s_wait_alu 0xfffe
	s_add_co_i32 s11, s17, 0x6a40
	s_addk_co_i32 s17, 0x6200
	s_wait_alu 0xfffe
	v_add_nc_u32_e32 v22, s11, v93
	s_add_co_i32 s10, s16, 0x4200
	v_add3_u32 v23, s17, v130, v132
	v_add_nc_u32_e32 v51, s16, v102
	ds_load_b32 v45, v22
	s_wait_alu 0xfffe
	v_add_nc_u32_e32 v21, s10, v78
	v_add_nc_u32_e32 v22, s16, v101
	ds_load_b32 v155, v23
	ds_load_b128 v[47:50], v21
	ds_load_b128 v[158:161], v21 offset:16
	ds_load_2addr_b32 v[27:28], v22 offset1:1
	ds_load_2addr_b32 v[25:26], v22 offset0:2 offset1:3
	ds_load_2addr_b32 v[23:24], v22 offset0:4 offset1:5
	;; [unrolled: 1-line block ×3, first 2 shown]
	s_wait_dscnt 0x5
	v_perm_b32 v31, v50, v49, 0x5010c0c
	v_perm_b32 v32, v50, v49, 0x7030c0c
	s_wait_dscnt 0x3
	v_perm_b32 v29, v27, v28, 0xc0c0501
	s_wait_dscnt 0x2
	v_perm_b32 v30, v26, v25, 0x5010c0c
	v_perm_b32 v33, v50, v49, 0x4000c0c
	;; [unrolled: 1-line block ×4, first 2 shown]
	s_delay_alu instid0(VALU_DEP_4) | instskip(SKIP_1) | instid1(VALU_DEP_1)
	v_or_b32_e32 v29, v30, v29
	v_perm_b32 v30, v47, v48, 0xc0c0501
	v_or_b32_e32 v30, v31, v30
	v_perm_b32 v31, v26, v25, 0x7030c0c
	s_delay_alu instid0(VALU_DEP_2) | instskip(SKIP_1) | instid1(VALU_DEP_1)
	v_dot4_i32_iu8 v29, v29, v30, 0 neg_lo:[1,1,0]
	v_perm_b32 v30, v27, v28, 0xc0c0703
	v_or_b32_e32 v30, v31, v30
	v_perm_b32 v31, v47, v48, 0xc0c0703
	s_delay_alu instid0(VALU_DEP_1) | instskip(SKIP_1) | instid1(VALU_DEP_2)
	v_or_b32_e32 v31, v32, v31
	v_perm_b32 v32, v26, v25, 0x4000c0c
	v_dot4_i32_iu8 v30, v30, v31, 0 neg_lo:[1,1,0]
	v_perm_b32 v31, v27, v28, 0xc0c0400
	s_delay_alu instid0(VALU_DEP_1) | instskip(SKIP_1) | instid1(VALU_DEP_1)
	v_or_b32_e32 v31, v32, v31
	v_perm_b32 v32, v47, v48, 0xc0c0400
	v_or_b32_e32 v32, v33, v32
	v_perm_b32 v33, v26, v25, 0x6020c0c
	s_delay_alu instid0(VALU_DEP_2) | instskip(SKIP_1) | instid1(VALU_DEP_1)
	v_dot4_i32_iu8 v31, v31, v32, 0 neg_lo:[1,1,0]
	v_perm_b32 v32, v27, v28, 0xc0c0602
	v_or_b32_e32 v32, v33, v32
	v_perm_b32 v33, v47, v48, 0xc0c0602
	s_delay_alu instid0(VALU_DEP_1) | instskip(SKIP_2) | instid1(VALU_DEP_2)
	v_or_b32_e32 v33, v34, v33
	s_wait_dscnt 0x0
	v_perm_b32 v34, v22, v21, 0x6020c0c
	v_dot4_i32_iu8 v32, v32, v33, 0 neg_lo:[1,1,0]
	v_perm_b32 v33, v24, v23, 0xc0c0602
	s_delay_alu instid0(VALU_DEP_1) | instskip(SKIP_1) | instid1(VALU_DEP_1)
	v_or_b32_e32 v33, v34, v33
	v_perm_b32 v34, v159, v158, 0xc0c0602
	v_or_b32_e32 v34, v35, v34
	v_perm_b32 v35, v161, v160, 0x4000c0c
	s_delay_alu instid0(VALU_DEP_2) | instskip(SKIP_2) | instid1(VALU_DEP_1)
	v_dot4_i32_iu8 v32, v33, v34, v32 neg_lo:[1,1,0]
	v_perm_b32 v33, v24, v23, 0xc0c0400
	v_perm_b32 v34, v22, v21, 0x4000c0c
	v_or_b32_e32 v33, v34, v33
	v_perm_b32 v34, v159, v158, 0xc0c0400
	s_delay_alu instid0(VALU_DEP_1) | instskip(SKIP_1) | instid1(VALU_DEP_2)
	v_or_b32_e32 v34, v35, v34
	v_perm_b32 v35, v161, v160, 0x7030c0c
	v_dot4_i32_iu8 v31, v33, v34, v31 neg_lo:[1,1,0]
	v_perm_b32 v33, v24, v23, 0xc0c0703
	v_perm_b32 v34, v22, v21, 0x7030c0c
	s_delay_alu instid0(VALU_DEP_1) | instskip(SKIP_1) | instid1(VALU_DEP_1)
	v_or_b32_e32 v33, v34, v33
	v_perm_b32 v34, v159, v158, 0xc0c0703
	v_or_b32_e32 v34, v35, v34
	v_perm_b32 v35, v161, v160, 0x5010c0c
	s_delay_alu instid0(VALU_DEP_2) | instskip(SKIP_2) | instid1(VALU_DEP_1)
	v_dot4_i32_iu8 v30, v33, v34, v30 neg_lo:[1,1,0]
	v_perm_b32 v33, v24, v23, 0xc0c0501
	v_perm_b32 v34, v22, v21, 0x5010c0c
	v_or_b32_e32 v33, v34, v33
	v_perm_b32 v34, v159, v158, 0xc0c0501
	s_delay_alu instid0(VALU_DEP_1) | instskip(NEXT) | instid1(VALU_DEP_1)
	v_or_b32_e32 v34, v35, v34
	v_dot4_i32_iu8 v29, v33, v34, v29 neg_lo:[1,1,0]
	s_delay_alu instid0(VALU_DEP_1) | instskip(SKIP_1) | instid1(VALU_DEP_2)
	v_add_nc_u32_e32 v29, v29, v30
	v_mul_f32_e32 v30, v45, v155
	v_add3_u32 v29, v31, v32, v29
	s_delay_alu instid0(VALU_DEP_1) | instskip(NEXT) | instid1(VALU_DEP_1)
	v_cvt_f32_i32_e32 v29, v29
	v_fmac_f32_e32 v56, v30, v29
	v_add3_u32 v29, s17, v134, v103
	v_add3_u32 v30, s17, v136, v105
	ds_load_b32 v157, v29
	v_add_nc_u32_e32 v29, s16, v104
	ds_load_b32 v156, v30
	ds_load_2addr_b32 v[33:34], v29 offset1:1
	ds_load_2addr_b32 v[35:36], v29 offset0:2 offset1:3
	ds_load_2addr_b32 v[31:32], v29 offset0:4 offset1:5
	;; [unrolled: 1-line block ×3, first 2 shown]
	s_wait_dscnt 0x5
	v_mul_f32_e32 v170, v45, v157
	v_add_nc_u32_e32 v52, s10, v80
	s_wait_dscnt 0x4
	v_mul_f32_e32 v38, v45, v156
	s_wait_dscnt 0x3
	v_dot4_i32_iu8 v37, v47, v33, 0 neg_lo:[1,1,0]
	s_delay_alu instid0(VALU_DEP_1) | instskip(SKIP_1) | instid1(VALU_DEP_1)
	v_dot4_i32_iu8 v37, v48, v34, v37 neg_lo:[1,1,0]
	s_wait_dscnt 0x2
	v_dot4_i32_iu8 v37, v49, v35, v37 neg_lo:[1,1,0]
	s_delay_alu instid0(VALU_DEP_1) | instskip(SKIP_1) | instid1(VALU_DEP_1)
	v_dot4_i32_iu8 v37, v50, v36, v37 neg_lo:[1,1,0]
	;; [unrolled: 4-line block ×3, first 2 shown]
	s_wait_dscnt 0x0
	v_dot4_i32_iu8 v37, v160, v29, v37 neg_lo:[1,1,0]
	s_delay_alu instid0(VALU_DEP_1) | instskip(NEXT) | instid1(VALU_DEP_1)
	v_dot4_i32_iu8 v37, v161, v30, v37 neg_lo:[1,1,0]
	v_cvt_f32_i32_e32 v37, v37
	s_delay_alu instid0(VALU_DEP_1)
	v_fmac_f32_e32 v150, v38, v37
	v_add3_u32 v38, s17, v138, v108
	v_add_nc_u32_e32 v37, s16, v107
	ds_load_b32 v154, v38
	ds_load_2addr_b32 v[41:42], v37 offset1:1
	ds_load_2addr_b32 v[43:44], v37 offset0:2 offset1:3
	ds_load_2addr_b32 v[39:40], v37 offset0:4 offset1:5
	;; [unrolled: 1-line block ×3, first 2 shown]
	s_wait_dscnt 0x4
	v_mul_f32_e32 v45, v45, v154
	s_wait_dscnt 0x3
	v_dot4_i32_iu8 v46, v47, v41, 0 neg_lo:[1,1,0]
	s_delay_alu instid0(VALU_DEP_1) | instskip(SKIP_1) | instid1(VALU_DEP_1)
	v_dot4_i32_iu8 v46, v48, v42, v46 neg_lo:[1,1,0]
	s_wait_dscnt 0x2
	v_dot4_i32_iu8 v46, v49, v43, v46 neg_lo:[1,1,0]
	s_delay_alu instid0(VALU_DEP_1) | instskip(SKIP_1) | instid1(VALU_DEP_1)
	v_dot4_i32_iu8 v46, v50, v44, v46 neg_lo:[1,1,0]
	s_wait_dscnt 0x1
	v_dot4_i32_iu8 v46, v158, v39, v46 neg_lo:[1,1,0]
	s_delay_alu instid0(VALU_DEP_1) | instskip(SKIP_1) | instid1(VALU_DEP_1)
	v_dot4_i32_iu8 v46, v159, v40, v46 neg_lo:[1,1,0]
	s_wait_dscnt 0x0
	v_dot4_i32_iu8 v46, v160, v37, v46 neg_lo:[1,1,0]
	s_delay_alu instid0(VALU_DEP_1) | instskip(NEXT) | instid1(VALU_DEP_1)
	v_dot4_i32_iu8 v46, v161, v38, v46 neg_lo:[1,1,0]
	v_cvt_f32_i32_e32 v46, v46
	s_delay_alu instid0(VALU_DEP_1)
	v_fmac_f32_e32 v153, v45, v46
	v_add_nc_u32_e32 v45, s11, v94
	ds_load_b32 v171, v45
	ds_load_2addr_b32 v[45:46], v51 offset1:1
	ds_load_b128 v[162:165], v52
	ds_load_b128 v[166:169], v52 offset:16
	s_wait_dscnt 0x3
	v_mul_f32_e32 v172, v155, v171
	s_wait_dscnt 0x2
	v_dot4_i32_iu8 v47, v45, v47, 0 neg_lo:[1,1,0]
	s_wait_dscnt 0x1
	v_dot4_i32_iu8 v52, v162, v27, 0 neg_lo:[1,1,0]
	s_delay_alu instid0(VALU_DEP_2) | instskip(SKIP_2) | instid1(VALU_DEP_1)
	v_dot4_i32_iu8 v173, v46, v48, v47 neg_lo:[1,1,0]
	ds_load_2addr_b32 v[47:48], v51 offset0:2 offset1:3
	v_dot4_i32_iu8 v52, v163, v28, v52 neg_lo:[1,1,0]
	v_dot4_i32_iu8 v52, v164, v25, v52 neg_lo:[1,1,0]
	s_delay_alu instid0(VALU_DEP_1) | instskip(SKIP_1) | instid1(VALU_DEP_1)
	v_dot4_i32_iu8 v52, v165, v26, v52 neg_lo:[1,1,0]
	s_wait_dscnt 0x1
	v_dot4_i32_iu8 v52, v166, v23, v52 neg_lo:[1,1,0]
	s_wait_dscnt 0x0
	v_dot4_i32_iu8 v49, v47, v49, v173 neg_lo:[1,1,0]
	s_delay_alu instid0(VALU_DEP_1) | instskip(SKIP_4) | instid1(VALU_DEP_2)
	v_dot4_i32_iu8 v173, v48, v50, v49 neg_lo:[1,1,0]
	ds_load_2addr_b32 v[49:50], v51 offset0:4 offset1:5
	s_wait_dscnt 0x0
	v_dot4_i32_iu8 v158, v49, v158, v173 neg_lo:[1,1,0]
	v_perm_b32 v173, v169, v168, 0x6020c0c
	v_dot4_i32_iu8 v158, v50, v159, v158 neg_lo:[1,1,0]
	v_dot4_i32_iu8 v159, v167, v24, v52 neg_lo:[1,1,0]
	ds_load_2addr_b32 v[51:52], v51 offset0:6 offset1:7
	v_dot4_i32_iu8 v159, v168, v21, v159 neg_lo:[1,1,0]
	s_wait_dscnt 0x0
	v_dot4_i32_iu8 v158, v51, v160, v158 neg_lo:[1,1,0]
	v_perm_b32 v160, v165, v164, 0x5010c0c
	s_delay_alu instid0(VALU_DEP_2) | instskip(SKIP_1) | instid1(VALU_DEP_2)
	v_dot4_i32_iu8 v158, v52, v161, v158 neg_lo:[1,1,0]
	v_perm_b32 v161, v165, v164, 0x7030c0c
	v_cvt_f32_i32_e32 v158, v158
	s_delay_alu instid0(VALU_DEP_1) | instskip(SKIP_3) | instid1(VALU_DEP_3)
	v_fmac_f32_e32 v145, v170, v158
	v_dot4_i32_iu8 v158, v169, v22, v159 neg_lo:[1,1,0]
	v_perm_b32 v159, v48, v47, 0x5010c0c
	v_perm_b32 v170, v165, v164, 0x4000c0c
	v_cvt_f32_i32_e32 v158, v158
	s_delay_alu instid0(VALU_DEP_1) | instskip(SKIP_2) | instid1(VALU_DEP_2)
	v_fmac_f32_e32 v131, v172, v158
	v_perm_b32 v158, v45, v46, 0xc0c0501
	v_perm_b32 v172, v165, v164, 0x6020c0c
	v_or_b32_e32 v158, v159, v158
	v_perm_b32 v159, v162, v163, 0xc0c0501
	s_delay_alu instid0(VALU_DEP_1) | instskip(SKIP_1) | instid1(VALU_DEP_2)
	v_or_b32_e32 v159, v160, v159
	v_perm_b32 v160, v48, v47, 0x7030c0c
	v_dot4_i32_iu8 v158, v159, v158, 0 neg_lo:[1,1,0]
	v_perm_b32 v159, v45, v46, 0xc0c0703
	s_delay_alu instid0(VALU_DEP_1) | instskip(SKIP_1) | instid1(VALU_DEP_1)
	v_or_b32_e32 v159, v160, v159
	v_perm_b32 v160, v162, v163, 0xc0c0703
	v_or_b32_e32 v160, v161, v160
	v_perm_b32 v161, v48, v47, 0x4000c0c
	s_delay_alu instid0(VALU_DEP_2) | instskip(SKIP_1) | instid1(VALU_DEP_1)
	v_dot4_i32_iu8 v159, v160, v159, 0 neg_lo:[1,1,0]
	v_perm_b32 v160, v45, v46, 0xc0c0400
	v_or_b32_e32 v160, v161, v160
	v_perm_b32 v161, v162, v163, 0xc0c0400
	s_delay_alu instid0(VALU_DEP_1) | instskip(SKIP_1) | instid1(VALU_DEP_2)
	v_or_b32_e32 v161, v170, v161
	v_perm_b32 v170, v48, v47, 0x6020c0c
	v_dot4_i32_iu8 v160, v161, v160, 0 neg_lo:[1,1,0]
	v_perm_b32 v161, v45, v46, 0xc0c0602
	s_delay_alu instid0(VALU_DEP_1) | instskip(SKIP_1) | instid1(VALU_DEP_1)
	v_or_b32_e32 v161, v170, v161
	v_perm_b32 v170, v162, v163, 0xc0c0602
	v_or_b32_e32 v170, v172, v170
	v_perm_b32 v172, v52, v51, 0x6020c0c
	s_delay_alu instid0(VALU_DEP_2) | instskip(SKIP_1) | instid1(VALU_DEP_1)
	v_dot4_i32_iu8 v161, v170, v161, 0 neg_lo:[1,1,0]
	v_perm_b32 v170, v50, v49, 0xc0c0602
	v_or_b32_e32 v170, v172, v170
	v_perm_b32 v172, v167, v166, 0xc0c0602
	s_delay_alu instid0(VALU_DEP_1) | instskip(SKIP_1) | instid1(VALU_DEP_2)
	v_or_b32_e32 v172, v173, v172
	v_perm_b32 v173, v169, v168, 0x4000c0c
	v_dot4_i32_iu8 v161, v172, v170, v161 neg_lo:[1,1,0]
	v_perm_b32 v170, v50, v49, 0xc0c0400
	v_perm_b32 v172, v52, v51, 0x4000c0c
	s_delay_alu instid0(VALU_DEP_1) | instskip(SKIP_1) | instid1(VALU_DEP_1)
	v_or_b32_e32 v170, v172, v170
	v_perm_b32 v172, v167, v166, 0xc0c0400
	v_or_b32_e32 v172, v173, v172
	v_perm_b32 v173, v169, v168, 0x7030c0c
	s_delay_alu instid0(VALU_DEP_2) | instskip(SKIP_2) | instid1(VALU_DEP_1)
	v_dot4_i32_iu8 v160, v172, v170, v160 neg_lo:[1,1,0]
	v_perm_b32 v170, v50, v49, 0xc0c0703
	v_perm_b32 v172, v52, v51, 0x7030c0c
	v_or_b32_e32 v170, v172, v170
	v_perm_b32 v172, v167, v166, 0xc0c0703
	s_delay_alu instid0(VALU_DEP_1) | instskip(SKIP_1) | instid1(VALU_DEP_2)
	v_or_b32_e32 v172, v173, v172
	v_perm_b32 v173, v169, v168, 0x5010c0c
	v_dot4_i32_iu8 v159, v172, v170, v159 neg_lo:[1,1,0]
	v_perm_b32 v170, v50, v49, 0xc0c0501
	v_perm_b32 v172, v52, v51, 0x5010c0c
	s_delay_alu instid0(VALU_DEP_1) | instskip(SKIP_1) | instid1(VALU_DEP_1)
	v_or_b32_e32 v170, v172, v170
	v_perm_b32 v172, v167, v166, 0xc0c0501
	v_or_b32_e32 v172, v173, v172
	s_delay_alu instid0(VALU_DEP_1) | instskip(NEXT) | instid1(VALU_DEP_1)
	v_dot4_i32_iu8 v158, v172, v170, v158 neg_lo:[1,1,0]
	v_add_nc_u32_e32 v158, v158, v159
	v_mul_f32_e32 v159, v157, v171
	s_delay_alu instid0(VALU_DEP_2) | instskip(NEXT) | instid1(VALU_DEP_1)
	v_add3_u32 v158, v160, v161, v158
	v_cvt_f32_i32_e32 v158, v158
	s_delay_alu instid0(VALU_DEP_1) | instskip(SKIP_1) | instid1(VALU_DEP_1)
	v_dual_fmac_f32 v142, v159, v158 :: v_dual_mul_f32 v159, v156, v171
	v_dot4_i32_iu8 v158, v162, v33, 0 neg_lo:[1,1,0]
	v_dot4_i32_iu8 v158, v163, v34, v158 neg_lo:[1,1,0]
	s_delay_alu instid0(VALU_DEP_1) | instskip(NEXT) | instid1(VALU_DEP_1)
	v_dot4_i32_iu8 v158, v164, v35, v158 neg_lo:[1,1,0]
	v_dot4_i32_iu8 v158, v165, v36, v158 neg_lo:[1,1,0]
	s_delay_alu instid0(VALU_DEP_1) | instskip(NEXT) | instid1(VALU_DEP_1)
	;; [unrolled: 3-line block ×4, first 2 shown]
	v_cvt_f32_i32_e32 v158, v158
	v_dual_fmac_f32 v148, v159, v158 :: v_dual_mul_f32 v159, v154, v171
	v_dot4_i32_iu8 v158, v162, v41, 0 neg_lo:[1,1,0]
	v_add_nc_u32_e32 v162, s10, v82
	s_delay_alu instid0(VALU_DEP_2) | instskip(NEXT) | instid1(VALU_DEP_1)
	v_dot4_i32_iu8 v158, v163, v42, v158 neg_lo:[1,1,0]
	v_dot4_i32_iu8 v158, v164, v43, v158 neg_lo:[1,1,0]
	s_delay_alu instid0(VALU_DEP_1) | instskip(NEXT) | instid1(VALU_DEP_1)
	v_dot4_i32_iu8 v158, v165, v44, v158 neg_lo:[1,1,0]
	v_dot4_i32_iu8 v158, v166, v39, v158 neg_lo:[1,1,0]
	s_delay_alu instid0(VALU_DEP_1) | instskip(NEXT) | instid1(VALU_DEP_1)
	;; [unrolled: 3-line block ×3, first 2 shown]
	v_dot4_i32_iu8 v158, v169, v38, v158 neg_lo:[1,1,0]
	v_cvt_f32_i32_e32 v158, v158
	s_delay_alu instid0(VALU_DEP_1)
	v_fmac_f32_e32 v152, v159, v158
	v_add_nc_u32_e32 v158, s11, v95
	ds_load_b32 v166, v158
	ds_load_b128 v[158:161], v162
	ds_load_b128 v[162:165], v162 offset:16
	s_wait_dscnt 0x2
	v_mul_f32_e32 v168, v155, v166
	s_wait_dscnt 0x1
	v_dot4_i32_iu8 v167, v27, v158, 0 neg_lo:[1,1,0]
	s_delay_alu instid0(VALU_DEP_1) | instskip(NEXT) | instid1(VALU_DEP_1)
	v_dot4_i32_iu8 v167, v28, v159, v167 neg_lo:[1,1,0]
	v_dot4_i32_iu8 v167, v25, v160, v167 neg_lo:[1,1,0]
	s_delay_alu instid0(VALU_DEP_1) | instskip(SKIP_1) | instid1(VALU_DEP_1)
	v_dot4_i32_iu8 v167, v26, v161, v167 neg_lo:[1,1,0]
	s_wait_dscnt 0x0
	v_dot4_i32_iu8 v167, v23, v162, v167 neg_lo:[1,1,0]
	s_delay_alu instid0(VALU_DEP_1) | instskip(NEXT) | instid1(VALU_DEP_1)
	v_dot4_i32_iu8 v167, v24, v163, v167 neg_lo:[1,1,0]
	v_dot4_i32_iu8 v167, v21, v164, v167 neg_lo:[1,1,0]
	s_delay_alu instid0(VALU_DEP_1) | instskip(NEXT) | instid1(VALU_DEP_1)
	v_dot4_i32_iu8 v167, v22, v165, v167 neg_lo:[1,1,0]
	v_cvt_f32_i32_e32 v167, v167
	s_delay_alu instid0(VALU_DEP_1) | instskip(SKIP_2) | instid1(VALU_DEP_2)
	v_fmac_f32_e32 v125, v168, v167
	v_dot4_i32_iu8 v167, v45, v158, 0 neg_lo:[1,1,0]
	v_mul_f32_e32 v168, v157, v166
	v_dot4_i32_iu8 v167, v46, v159, v167 neg_lo:[1,1,0]
	s_delay_alu instid0(VALU_DEP_1) | instskip(NEXT) | instid1(VALU_DEP_1)
	v_dot4_i32_iu8 v167, v47, v160, v167 neg_lo:[1,1,0]
	v_dot4_i32_iu8 v167, v48, v161, v167 neg_lo:[1,1,0]
	s_delay_alu instid0(VALU_DEP_1) | instskip(NEXT) | instid1(VALU_DEP_1)
	v_dot4_i32_iu8 v167, v49, v162, v167 neg_lo:[1,1,0]
	;; [unrolled: 3-line block ×3, first 2 shown]
	v_dot4_i32_iu8 v167, v52, v165, v167 neg_lo:[1,1,0]
	s_delay_alu instid0(VALU_DEP_1) | instskip(NEXT) | instid1(VALU_DEP_1)
	v_cvt_f32_i32_e32 v167, v167
	v_fmac_f32_e32 v139, v168, v167
	v_dot4_i32_iu8 v167, v158, v33, 0 neg_lo:[1,1,0]
	v_dot4_i32_iu8 v158, v158, v41, 0 neg_lo:[1,1,0]
	v_mul_f32_e32 v168, v156, v166
	s_delay_alu instid0(VALU_DEP_3) | instskip(NEXT) | instid1(VALU_DEP_3)
	v_dot4_i32_iu8 v167, v159, v34, v167 neg_lo:[1,1,0]
	v_dot4_i32_iu8 v158, v159, v42, v158 neg_lo:[1,1,0]
	v_mul_f32_e32 v159, v154, v166
	s_delay_alu instid0(VALU_DEP_3) | instskip(NEXT) | instid1(VALU_DEP_3)
	v_dot4_i32_iu8 v167, v160, v35, v167 neg_lo:[1,1,0]
	v_dot4_i32_iu8 v158, v160, v43, v158 neg_lo:[1,1,0]
	s_delay_alu instid0(VALU_DEP_2) | instskip(NEXT) | instid1(VALU_DEP_2)
	v_dot4_i32_iu8 v167, v161, v36, v167 neg_lo:[1,1,0]
	v_dot4_i32_iu8 v158, v161, v44, v158 neg_lo:[1,1,0]
	s_delay_alu instid0(VALU_DEP_2) | instskip(NEXT) | instid1(VALU_DEP_2)
	v_dot4_i32_iu8 v167, v162, v31, v167 neg_lo:[1,1,0]
	v_dot4_i32_iu8 v158, v162, v39, v158 neg_lo:[1,1,0]
	v_add_nc_u32_e32 v162, s10, v84
	s_delay_alu instid0(VALU_DEP_3) | instskip(NEXT) | instid1(VALU_DEP_3)
	v_dot4_i32_iu8 v167, v163, v32, v167 neg_lo:[1,1,0]
	v_dot4_i32_iu8 v158, v163, v40, v158 neg_lo:[1,1,0]
	s_delay_alu instid0(VALU_DEP_2) | instskip(NEXT) | instid1(VALU_DEP_2)
	v_dot4_i32_iu8 v167, v164, v29, v167 neg_lo:[1,1,0]
	v_dot4_i32_iu8 v158, v164, v37, v158 neg_lo:[1,1,0]
	s_delay_alu instid0(VALU_DEP_2) | instskip(NEXT) | instid1(VALU_DEP_2)
	;; [unrolled: 3-line block ×3, first 2 shown]
	v_cvt_f32_i32_e32 v167, v167
	v_cvt_f32_i32_e32 v158, v158
	s_delay_alu instid0(VALU_DEP_1)
	v_dual_fmac_f32 v146, v168, v167 :: v_dual_fmac_f32 v151, v159, v158
	v_add_nc_u32_e32 v158, s11, v96
	ds_load_b32 v166, v158
	ds_load_b128 v[158:161], v162
	ds_load_b128 v[162:165], v162 offset:16
	s_wait_dscnt 0x2
	v_mul_f32_e32 v168, v155, v166
	s_wait_dscnt 0x1
	v_dot4_i32_iu8 v167, v27, v158, 0 neg_lo:[1,1,0]
	s_delay_alu instid0(VALU_DEP_1) | instskip(NEXT) | instid1(VALU_DEP_1)
	v_dot4_i32_iu8 v167, v28, v159, v167 neg_lo:[1,1,0]
	v_dot4_i32_iu8 v167, v25, v160, v167 neg_lo:[1,1,0]
	s_delay_alu instid0(VALU_DEP_1) | instskip(SKIP_1) | instid1(VALU_DEP_1)
	v_dot4_i32_iu8 v167, v26, v161, v167 neg_lo:[1,1,0]
	s_wait_dscnt 0x0
	v_dot4_i32_iu8 v167, v23, v162, v167 neg_lo:[1,1,0]
	s_delay_alu instid0(VALU_DEP_1) | instskip(NEXT) | instid1(VALU_DEP_1)
	v_dot4_i32_iu8 v167, v24, v163, v167 neg_lo:[1,1,0]
	v_dot4_i32_iu8 v167, v21, v164, v167 neg_lo:[1,1,0]
	s_delay_alu instid0(VALU_DEP_1) | instskip(NEXT) | instid1(VALU_DEP_1)
	v_dot4_i32_iu8 v167, v22, v165, v167 neg_lo:[1,1,0]
	v_cvt_f32_i32_e32 v167, v167
	s_delay_alu instid0(VALU_DEP_1) | instskip(SKIP_2) | instid1(VALU_DEP_2)
	v_fmac_f32_e32 v119, v168, v167
	v_dot4_i32_iu8 v167, v45, v158, 0 neg_lo:[1,1,0]
	v_mul_f32_e32 v168, v157, v166
	v_dot4_i32_iu8 v167, v46, v159, v167 neg_lo:[1,1,0]
	s_delay_alu instid0(VALU_DEP_1) | instskip(NEXT) | instid1(VALU_DEP_1)
	v_dot4_i32_iu8 v167, v47, v160, v167 neg_lo:[1,1,0]
	v_dot4_i32_iu8 v167, v48, v161, v167 neg_lo:[1,1,0]
	s_delay_alu instid0(VALU_DEP_1) | instskip(NEXT) | instid1(VALU_DEP_1)
	v_dot4_i32_iu8 v167, v49, v162, v167 neg_lo:[1,1,0]
	;; [unrolled: 3-line block ×3, first 2 shown]
	v_dot4_i32_iu8 v167, v52, v165, v167 neg_lo:[1,1,0]
	s_delay_alu instid0(VALU_DEP_1) | instskip(NEXT) | instid1(VALU_DEP_1)
	v_cvt_f32_i32_e32 v167, v167
	v_fmac_f32_e32 v133, v168, v167
	v_dot4_i32_iu8 v167, v158, v33, 0 neg_lo:[1,1,0]
	v_dot4_i32_iu8 v158, v158, v41, 0 neg_lo:[1,1,0]
	v_mul_f32_e32 v168, v156, v166
	s_delay_alu instid0(VALU_DEP_3) | instskip(NEXT) | instid1(VALU_DEP_3)
	v_dot4_i32_iu8 v167, v159, v34, v167 neg_lo:[1,1,0]
	v_dot4_i32_iu8 v158, v159, v42, v158 neg_lo:[1,1,0]
	v_mul_f32_e32 v159, v154, v166
	s_delay_alu instid0(VALU_DEP_3) | instskip(NEXT) | instid1(VALU_DEP_3)
	v_dot4_i32_iu8 v167, v160, v35, v167 neg_lo:[1,1,0]
	v_dot4_i32_iu8 v158, v160, v43, v158 neg_lo:[1,1,0]
	s_delay_alu instid0(VALU_DEP_2) | instskip(NEXT) | instid1(VALU_DEP_2)
	v_dot4_i32_iu8 v167, v161, v36, v167 neg_lo:[1,1,0]
	v_dot4_i32_iu8 v158, v161, v44, v158 neg_lo:[1,1,0]
	s_delay_alu instid0(VALU_DEP_2) | instskip(NEXT) | instid1(VALU_DEP_2)
	v_dot4_i32_iu8 v167, v162, v31, v167 neg_lo:[1,1,0]
	v_dot4_i32_iu8 v158, v162, v39, v158 neg_lo:[1,1,0]
	v_add_nc_u32_e32 v162, s10, v86
	s_delay_alu instid0(VALU_DEP_3) | instskip(NEXT) | instid1(VALU_DEP_3)
	v_dot4_i32_iu8 v167, v163, v32, v167 neg_lo:[1,1,0]
	v_dot4_i32_iu8 v158, v163, v40, v158 neg_lo:[1,1,0]
	s_delay_alu instid0(VALU_DEP_2) | instskip(NEXT) | instid1(VALU_DEP_2)
	v_dot4_i32_iu8 v167, v164, v29, v167 neg_lo:[1,1,0]
	v_dot4_i32_iu8 v158, v164, v37, v158 neg_lo:[1,1,0]
	s_delay_alu instid0(VALU_DEP_2) | instskip(NEXT) | instid1(VALU_DEP_2)
	;; [unrolled: 3-line block ×3, first 2 shown]
	v_cvt_f32_i32_e32 v167, v167
	v_cvt_f32_i32_e32 v158, v158
	s_delay_alu instid0(VALU_DEP_2) | instskip(NEXT) | instid1(VALU_DEP_2)
	v_fmac_f32_e32 v143, v168, v167
	v_dual_fmac_f32 v149, v159, v158 :: v_dual_add_nc_u32 v158, s11, v97
	ds_load_b32 v166, v158
	ds_load_b128 v[158:161], v162
	ds_load_b128 v[162:165], v162 offset:16
	s_wait_dscnt 0x2
	v_mul_f32_e32 v168, v155, v166
	s_wait_dscnt 0x1
	v_dot4_i32_iu8 v167, v27, v158, 0 neg_lo:[1,1,0]
	s_delay_alu instid0(VALU_DEP_1) | instskip(NEXT) | instid1(VALU_DEP_1)
	v_dot4_i32_iu8 v167, v28, v159, v167 neg_lo:[1,1,0]
	v_dot4_i32_iu8 v167, v25, v160, v167 neg_lo:[1,1,0]
	s_delay_alu instid0(VALU_DEP_1) | instskip(SKIP_1) | instid1(VALU_DEP_1)
	v_dot4_i32_iu8 v167, v26, v161, v167 neg_lo:[1,1,0]
	s_wait_dscnt 0x0
	v_dot4_i32_iu8 v167, v23, v162, v167 neg_lo:[1,1,0]
	s_delay_alu instid0(VALU_DEP_1) | instskip(NEXT) | instid1(VALU_DEP_1)
	v_dot4_i32_iu8 v167, v24, v163, v167 neg_lo:[1,1,0]
	v_dot4_i32_iu8 v167, v21, v164, v167 neg_lo:[1,1,0]
	s_delay_alu instid0(VALU_DEP_1) | instskip(NEXT) | instid1(VALU_DEP_1)
	v_dot4_i32_iu8 v167, v22, v165, v167 neg_lo:[1,1,0]
	v_cvt_f32_i32_e32 v167, v167
	s_delay_alu instid0(VALU_DEP_1) | instskip(SKIP_2) | instid1(VALU_DEP_2)
	v_fmac_f32_e32 v114, v168, v167
	v_dot4_i32_iu8 v167, v45, v158, 0 neg_lo:[1,1,0]
	v_mul_f32_e32 v168, v157, v166
	v_dot4_i32_iu8 v167, v46, v159, v167 neg_lo:[1,1,0]
	s_delay_alu instid0(VALU_DEP_1) | instskip(NEXT) | instid1(VALU_DEP_1)
	v_dot4_i32_iu8 v167, v47, v160, v167 neg_lo:[1,1,0]
	v_dot4_i32_iu8 v167, v48, v161, v167 neg_lo:[1,1,0]
	s_delay_alu instid0(VALU_DEP_1) | instskip(NEXT) | instid1(VALU_DEP_1)
	v_dot4_i32_iu8 v167, v49, v162, v167 neg_lo:[1,1,0]
	;; [unrolled: 3-line block ×3, first 2 shown]
	v_dot4_i32_iu8 v167, v52, v165, v167 neg_lo:[1,1,0]
	s_delay_alu instid0(VALU_DEP_1) | instskip(NEXT) | instid1(VALU_DEP_1)
	v_cvt_f32_i32_e32 v167, v167
	v_fmac_f32_e32 v127, v168, v167
	v_dot4_i32_iu8 v167, v158, v33, 0 neg_lo:[1,1,0]
	v_dot4_i32_iu8 v158, v158, v41, 0 neg_lo:[1,1,0]
	v_mul_f32_e32 v168, v156, v166
	s_delay_alu instid0(VALU_DEP_3) | instskip(NEXT) | instid1(VALU_DEP_3)
	v_dot4_i32_iu8 v167, v159, v34, v167 neg_lo:[1,1,0]
	v_dot4_i32_iu8 v158, v159, v42, v158 neg_lo:[1,1,0]
	v_mul_f32_e32 v159, v154, v166
	s_delay_alu instid0(VALU_DEP_3) | instskip(NEXT) | instid1(VALU_DEP_3)
	v_dot4_i32_iu8 v167, v160, v35, v167 neg_lo:[1,1,0]
	v_dot4_i32_iu8 v158, v160, v43, v158 neg_lo:[1,1,0]
	s_delay_alu instid0(VALU_DEP_2) | instskip(NEXT) | instid1(VALU_DEP_2)
	v_dot4_i32_iu8 v167, v161, v36, v167 neg_lo:[1,1,0]
	v_dot4_i32_iu8 v158, v161, v44, v158 neg_lo:[1,1,0]
	s_delay_alu instid0(VALU_DEP_2) | instskip(NEXT) | instid1(VALU_DEP_2)
	v_dot4_i32_iu8 v167, v162, v31, v167 neg_lo:[1,1,0]
	v_dot4_i32_iu8 v158, v162, v39, v158 neg_lo:[1,1,0]
	v_add_nc_u32_e32 v162, s10, v88
	s_delay_alu instid0(VALU_DEP_3) | instskip(NEXT) | instid1(VALU_DEP_3)
	v_dot4_i32_iu8 v167, v163, v32, v167 neg_lo:[1,1,0]
	v_dot4_i32_iu8 v158, v163, v40, v158 neg_lo:[1,1,0]
	s_delay_alu instid0(VALU_DEP_2) | instskip(NEXT) | instid1(VALU_DEP_2)
	v_dot4_i32_iu8 v167, v164, v29, v167 neg_lo:[1,1,0]
	v_dot4_i32_iu8 v158, v164, v37, v158 neg_lo:[1,1,0]
	s_delay_alu instid0(VALU_DEP_2) | instskip(NEXT) | instid1(VALU_DEP_2)
	;; [unrolled: 3-line block ×3, first 2 shown]
	v_cvt_f32_i32_e32 v167, v167
	v_cvt_f32_i32_e32 v158, v158
	s_delay_alu instid0(VALU_DEP_1)
	v_dual_fmac_f32 v140, v168, v167 :: v_dual_fmac_f32 v147, v159, v158
	v_add_nc_u32_e32 v158, s11, v98
	ds_load_b32 v166, v158
	ds_load_b128 v[158:161], v162
	ds_load_b128 v[162:165], v162 offset:16
	s_wait_dscnt 0x2
	v_mul_f32_e32 v168, v155, v166
	s_wait_dscnt 0x1
	v_dot4_i32_iu8 v167, v27, v158, 0 neg_lo:[1,1,0]
	s_delay_alu instid0(VALU_DEP_1) | instskip(NEXT) | instid1(VALU_DEP_1)
	v_dot4_i32_iu8 v167, v28, v159, v167 neg_lo:[1,1,0]
	v_dot4_i32_iu8 v167, v25, v160, v167 neg_lo:[1,1,0]
	s_delay_alu instid0(VALU_DEP_1) | instskip(SKIP_1) | instid1(VALU_DEP_1)
	v_dot4_i32_iu8 v167, v26, v161, v167 neg_lo:[1,1,0]
	s_wait_dscnt 0x0
	v_dot4_i32_iu8 v167, v23, v162, v167 neg_lo:[1,1,0]
	s_delay_alu instid0(VALU_DEP_1) | instskip(NEXT) | instid1(VALU_DEP_1)
	v_dot4_i32_iu8 v167, v24, v163, v167 neg_lo:[1,1,0]
	v_dot4_i32_iu8 v167, v21, v164, v167 neg_lo:[1,1,0]
	s_delay_alu instid0(VALU_DEP_1) | instskip(NEXT) | instid1(VALU_DEP_1)
	v_dot4_i32_iu8 v167, v22, v165, v167 neg_lo:[1,1,0]
	v_cvt_f32_i32_e32 v167, v167
	s_delay_alu instid0(VALU_DEP_1) | instskip(SKIP_2) | instid1(VALU_DEP_2)
	v_fmac_f32_e32 v110, v168, v167
	v_dot4_i32_iu8 v167, v45, v158, 0 neg_lo:[1,1,0]
	v_mul_f32_e32 v168, v157, v166
	v_dot4_i32_iu8 v167, v46, v159, v167 neg_lo:[1,1,0]
	s_delay_alu instid0(VALU_DEP_1) | instskip(NEXT) | instid1(VALU_DEP_1)
	v_dot4_i32_iu8 v167, v47, v160, v167 neg_lo:[1,1,0]
	v_dot4_i32_iu8 v167, v48, v161, v167 neg_lo:[1,1,0]
	s_delay_alu instid0(VALU_DEP_1) | instskip(NEXT) | instid1(VALU_DEP_1)
	v_dot4_i32_iu8 v167, v49, v162, v167 neg_lo:[1,1,0]
	;; [unrolled: 3-line block ×3, first 2 shown]
	v_dot4_i32_iu8 v167, v52, v165, v167 neg_lo:[1,1,0]
	s_delay_alu instid0(VALU_DEP_1) | instskip(NEXT) | instid1(VALU_DEP_1)
	v_cvt_f32_i32_e32 v167, v167
	v_fmac_f32_e32 v121, v168, v167
	v_dot4_i32_iu8 v167, v158, v33, 0 neg_lo:[1,1,0]
	v_dot4_i32_iu8 v158, v158, v41, 0 neg_lo:[1,1,0]
	v_mul_f32_e32 v168, v156, v166
	s_delay_alu instid0(VALU_DEP_3) | instskip(NEXT) | instid1(VALU_DEP_3)
	v_dot4_i32_iu8 v167, v159, v34, v167 neg_lo:[1,1,0]
	v_dot4_i32_iu8 v158, v159, v42, v158 neg_lo:[1,1,0]
	v_mul_f32_e32 v159, v154, v166
	s_delay_alu instid0(VALU_DEP_3) | instskip(NEXT) | instid1(VALU_DEP_3)
	v_dot4_i32_iu8 v167, v160, v35, v167 neg_lo:[1,1,0]
	v_dot4_i32_iu8 v158, v160, v43, v158 neg_lo:[1,1,0]
	s_delay_alu instid0(VALU_DEP_2) | instskip(NEXT) | instid1(VALU_DEP_2)
	v_dot4_i32_iu8 v167, v161, v36, v167 neg_lo:[1,1,0]
	v_dot4_i32_iu8 v158, v161, v44, v158 neg_lo:[1,1,0]
	s_delay_alu instid0(VALU_DEP_2) | instskip(NEXT) | instid1(VALU_DEP_2)
	v_dot4_i32_iu8 v167, v162, v31, v167 neg_lo:[1,1,0]
	v_dot4_i32_iu8 v158, v162, v39, v158 neg_lo:[1,1,0]
	v_add_nc_u32_e32 v162, s10, v90
	s_delay_alu instid0(VALU_DEP_3) | instskip(NEXT) | instid1(VALU_DEP_3)
	v_dot4_i32_iu8 v167, v163, v32, v167 neg_lo:[1,1,0]
	v_dot4_i32_iu8 v158, v163, v40, v158 neg_lo:[1,1,0]
	s_delay_alu instid0(VALU_DEP_2) | instskip(NEXT) | instid1(VALU_DEP_2)
	v_dot4_i32_iu8 v167, v164, v29, v167 neg_lo:[1,1,0]
	v_dot4_i32_iu8 v158, v164, v37, v158 neg_lo:[1,1,0]
	s_delay_alu instid0(VALU_DEP_2) | instskip(NEXT) | instid1(VALU_DEP_2)
	;; [unrolled: 3-line block ×3, first 2 shown]
	v_cvt_f32_i32_e32 v167, v167
	v_cvt_f32_i32_e32 v158, v158
	s_delay_alu instid0(VALU_DEP_1)
	v_dual_fmac_f32 v135, v168, v167 :: v_dual_fmac_f32 v144, v159, v158
	v_add_nc_u32_e32 v158, s11, v99
	ds_load_b32 v166, v158
	ds_load_b128 v[158:161], v162
	ds_load_b128 v[162:165], v162 offset:16
	s_wait_dscnt 0x2
	v_mul_f32_e32 v168, v155, v166
	s_wait_dscnt 0x1
	v_dot4_i32_iu8 v167, v27, v158, 0 neg_lo:[1,1,0]
	s_delay_alu instid0(VALU_DEP_1) | instskip(NEXT) | instid1(VALU_DEP_1)
	v_dot4_i32_iu8 v167, v28, v159, v167 neg_lo:[1,1,0]
	v_dot4_i32_iu8 v167, v25, v160, v167 neg_lo:[1,1,0]
	s_delay_alu instid0(VALU_DEP_1) | instskip(SKIP_1) | instid1(VALU_DEP_1)
	v_dot4_i32_iu8 v167, v26, v161, v167 neg_lo:[1,1,0]
	s_wait_dscnt 0x0
	v_dot4_i32_iu8 v167, v23, v162, v167 neg_lo:[1,1,0]
	s_delay_alu instid0(VALU_DEP_1) | instskip(NEXT) | instid1(VALU_DEP_1)
	v_dot4_i32_iu8 v167, v24, v163, v167 neg_lo:[1,1,0]
	v_dot4_i32_iu8 v167, v21, v164, v167 neg_lo:[1,1,0]
	s_delay_alu instid0(VALU_DEP_1) | instskip(NEXT) | instid1(VALU_DEP_1)
	v_dot4_i32_iu8 v167, v22, v165, v167 neg_lo:[1,1,0]
	v_cvt_f32_i32_e32 v167, v167
	s_delay_alu instid0(VALU_DEP_1) | instskip(SKIP_2) | instid1(VALU_DEP_2)
	v_fmac_f32_e32 v109, v168, v167
	v_dot4_i32_iu8 v167, v45, v158, 0 neg_lo:[1,1,0]
	v_mul_f32_e32 v168, v157, v166
	v_dot4_i32_iu8 v167, v46, v159, v167 neg_lo:[1,1,0]
	s_delay_alu instid0(VALU_DEP_1) | instskip(NEXT) | instid1(VALU_DEP_1)
	v_dot4_i32_iu8 v167, v47, v160, v167 neg_lo:[1,1,0]
	v_dot4_i32_iu8 v167, v48, v161, v167 neg_lo:[1,1,0]
	s_delay_alu instid0(VALU_DEP_1) | instskip(NEXT) | instid1(VALU_DEP_1)
	v_dot4_i32_iu8 v167, v49, v162, v167 neg_lo:[1,1,0]
	;; [unrolled: 3-line block ×3, first 2 shown]
	v_dot4_i32_iu8 v167, v52, v165, v167 neg_lo:[1,1,0]
	s_delay_alu instid0(VALU_DEP_1) | instskip(NEXT) | instid1(VALU_DEP_1)
	v_cvt_f32_i32_e32 v167, v167
	v_fmac_f32_e32 v116, v168, v167
	v_dot4_i32_iu8 v167, v158, v33, 0 neg_lo:[1,1,0]
	v_dot4_i32_iu8 v158, v158, v41, 0 neg_lo:[1,1,0]
	v_mul_f32_e32 v168, v156, v166
	s_delay_alu instid0(VALU_DEP_3) | instskip(NEXT) | instid1(VALU_DEP_3)
	v_dot4_i32_iu8 v167, v159, v34, v167 neg_lo:[1,1,0]
	v_dot4_i32_iu8 v158, v159, v42, v158 neg_lo:[1,1,0]
	v_mul_f32_e32 v159, v154, v166
	s_delay_alu instid0(VALU_DEP_3) | instskip(NEXT) | instid1(VALU_DEP_3)
	v_dot4_i32_iu8 v167, v160, v35, v167 neg_lo:[1,1,0]
	v_dot4_i32_iu8 v158, v160, v43, v158 neg_lo:[1,1,0]
	s_delay_alu instid0(VALU_DEP_2) | instskip(NEXT) | instid1(VALU_DEP_2)
	v_dot4_i32_iu8 v167, v161, v36, v167 neg_lo:[1,1,0]
	v_dot4_i32_iu8 v158, v161, v44, v158 neg_lo:[1,1,0]
	s_delay_alu instid0(VALU_DEP_2) | instskip(NEXT) | instid1(VALU_DEP_2)
	v_dot4_i32_iu8 v167, v162, v31, v167 neg_lo:[1,1,0]
	v_dot4_i32_iu8 v158, v162, v39, v158 neg_lo:[1,1,0]
	v_add_nc_u32_e32 v162, s10, v92
	s_add_co_i32 s10, s7, 8
	s_cmp_lt_u32 s7, 24
	v_dot4_i32_iu8 v167, v163, v32, v167 neg_lo:[1,1,0]
	v_dot4_i32_iu8 v158, v163, v40, v158 neg_lo:[1,1,0]
	s_wait_alu 0xfffe
	s_mov_b32 s7, s10
	s_delay_alu instid0(VALU_DEP_2) | instskip(NEXT) | instid1(VALU_DEP_2)
	v_dot4_i32_iu8 v167, v164, v29, v167 neg_lo:[1,1,0]
	v_dot4_i32_iu8 v158, v164, v37, v158 neg_lo:[1,1,0]
	s_delay_alu instid0(VALU_DEP_2) | instskip(NEXT) | instid1(VALU_DEP_2)
	v_dot4_i32_iu8 v167, v165, v30, v167 neg_lo:[1,1,0]
	v_dot4_i32_iu8 v158, v165, v38, v158 neg_lo:[1,1,0]
	s_delay_alu instid0(VALU_DEP_2) | instskip(NEXT) | instid1(VALU_DEP_2)
	v_cvt_f32_i32_e32 v167, v167
	v_cvt_f32_i32_e32 v158, v158
	s_delay_alu instid0(VALU_DEP_2) | instskip(NEXT) | instid1(VALU_DEP_2)
	v_fmac_f32_e32 v129, v168, v167
	v_dual_fmac_f32 v141, v159, v158 :: v_dual_add_nc_u32 v158, s11, v100
	ds_load_b32 v166, v158
	ds_load_b128 v[158:161], v162
	ds_load_b128 v[162:165], v162 offset:16
	s_wait_dscnt 0x1
	v_dot4_i32_iu8 v27, v27, v158, 0 neg_lo:[1,1,0]
	s_delay_alu instid0(VALU_DEP_1) | instskip(NEXT) | instid1(VALU_DEP_1)
	v_dot4_i32_iu8 v27, v28, v159, v27 neg_lo:[1,1,0]
	v_dot4_i32_iu8 v25, v25, v160, v27 neg_lo:[1,1,0]
	s_delay_alu instid0(VALU_DEP_1) | instskip(SKIP_1) | instid1(VALU_DEP_1)
	v_dot4_i32_iu8 v25, v26, v161, v25 neg_lo:[1,1,0]
	s_wait_dscnt 0x0
	v_dot4_i32_iu8 v23, v23, v162, v25 neg_lo:[1,1,0]
	s_delay_alu instid0(VALU_DEP_1) | instskip(NEXT) | instid1(VALU_DEP_1)
	v_dot4_i32_iu8 v23, v24, v163, v23 neg_lo:[1,1,0]
	v_dot4_i32_iu8 v21, v21, v164, v23 neg_lo:[1,1,0]
	s_delay_alu instid0(VALU_DEP_1) | instskip(SKIP_1) | instid1(VALU_DEP_2)
	v_dot4_i32_iu8 v21, v22, v165, v21 neg_lo:[1,1,0]
	v_mul_f32_e32 v22, v155, v166
	v_cvt_f32_i32_e32 v21, v21
	s_delay_alu instid0(VALU_DEP_1) | instskip(SKIP_2) | instid1(VALU_DEP_2)
	v_fmac_f32_e32 v106, v22, v21
	v_dot4_i32_iu8 v21, v45, v158, 0 neg_lo:[1,1,0]
	v_mul_f32_e32 v22, v157, v166
	v_dot4_i32_iu8 v21, v46, v159, v21 neg_lo:[1,1,0]
	s_delay_alu instid0(VALU_DEP_1) | instskip(NEXT) | instid1(VALU_DEP_1)
	v_dot4_i32_iu8 v21, v47, v160, v21 neg_lo:[1,1,0]
	v_dot4_i32_iu8 v21, v48, v161, v21 neg_lo:[1,1,0]
	s_delay_alu instid0(VALU_DEP_1) | instskip(NEXT) | instid1(VALU_DEP_1)
	v_dot4_i32_iu8 v21, v49, v162, v21 neg_lo:[1,1,0]
	;; [unrolled: 3-line block ×3, first 2 shown]
	v_dot4_i32_iu8 v21, v52, v165, v21 neg_lo:[1,1,0]
	s_delay_alu instid0(VALU_DEP_1) | instskip(NEXT) | instid1(VALU_DEP_1)
	v_cvt_f32_i32_e32 v21, v21
	v_fmac_f32_e32 v111, v22, v21
	v_dot4_i32_iu8 v21, v158, v33, 0 neg_lo:[1,1,0]
	v_mul_f32_e32 v22, v156, v166
	s_delay_alu instid0(VALU_DEP_2) | instskip(NEXT) | instid1(VALU_DEP_1)
	v_dot4_i32_iu8 v21, v159, v34, v21 neg_lo:[1,1,0]
	v_dot4_i32_iu8 v21, v160, v35, v21 neg_lo:[1,1,0]
	s_delay_alu instid0(VALU_DEP_1) | instskip(NEXT) | instid1(VALU_DEP_1)
	v_dot4_i32_iu8 v21, v161, v36, v21 neg_lo:[1,1,0]
	v_dot4_i32_iu8 v21, v162, v31, v21 neg_lo:[1,1,0]
	s_delay_alu instid0(VALU_DEP_1) | instskip(NEXT) | instid1(VALU_DEP_1)
	;; [unrolled: 3-line block ×3, first 2 shown]
	v_dot4_i32_iu8 v21, v165, v30, v21 neg_lo:[1,1,0]
	v_cvt_f32_i32_e32 v21, v21
	s_delay_alu instid0(VALU_DEP_1) | instskip(SKIP_2) | instid1(VALU_DEP_2)
	v_fmac_f32_e32 v123, v22, v21
	v_dot4_i32_iu8 v21, v158, v41, 0 neg_lo:[1,1,0]
	v_mul_f32_e32 v22, v154, v166
	v_dot4_i32_iu8 v21, v159, v42, v21 neg_lo:[1,1,0]
	s_delay_alu instid0(VALU_DEP_1) | instskip(NEXT) | instid1(VALU_DEP_1)
	v_dot4_i32_iu8 v21, v160, v43, v21 neg_lo:[1,1,0]
	v_dot4_i32_iu8 v21, v161, v44, v21 neg_lo:[1,1,0]
	s_delay_alu instid0(VALU_DEP_1) | instskip(NEXT) | instid1(VALU_DEP_1)
	v_dot4_i32_iu8 v21, v162, v39, v21 neg_lo:[1,1,0]
	;; [unrolled: 3-line block ×3, first 2 shown]
	v_dot4_i32_iu8 v21, v165, v38, v21 neg_lo:[1,1,0]
	s_delay_alu instid0(VALU_DEP_1) | instskip(NEXT) | instid1(VALU_DEP_1)
	v_cvt_f32_i32_e32 v21, v21
	v_fmac_f32_e32 v137, v22, v21
	s_cbranch_scc1 .LBB146_6
; %bb.7:                                ;   in Loop: Header=BB146_5 Depth=1
	s_add_co_i32 s4, s4, 4
	s_wait_loadcnt 0x0
	s_wait_alu 0xfffe
	s_cmp_ge_i32 s4, s15
	s_barrier_signal -1
	s_barrier_wait -1
	global_inv scope:SCOPE_SE
	s_cbranch_scc0 .LBB146_5
; %bb.8:
	v_cvt_f16_f32_e32 v12, v56
	v_cvt_f16_f32_e64 v13, v145
	v_cvt_f16_f32_e64 v14, v150
	;; [unrolled: 1-line block ×7, first 2 shown]
	v_cvt_f16_f32_e32 v28, v125
	v_cvt_f16_f32_e64 v27, v139
	v_cvt_f16_f32_e64 v26, v146
	;; [unrolled: 1-line block ×3, first 2 shown]
	v_cvt_f16_f32_e32 v24, v119
	v_cvt_f16_f32_e64 v23, v133
	v_cvt_f16_f32_e64 v22, v143
	;; [unrolled: 1-line block ×3, first 2 shown]
	v_cvt_f16_f32_e32 v20, v114
	v_cvt_f16_f32_e32 v19, v127
	v_cvt_f16_f32_e64 v18, v140
	v_cvt_f16_f32_e64 v17, v147
	v_cvt_f16_f32_e32 v16, v110
	v_cvt_f16_f32_e32 v15, v121
	v_cvt_f16_f32_e64 v11, v135
	v_cvt_f16_f32_e64 v10, v144
	;; [unrolled: 4-line block ×3, first 2 shown]
	v_cvt_f16_f32_e32 v4, v106
	v_cvt_f16_f32_e32 v3, v111
	;; [unrolled: 1-line block ×3, first 2 shown]
	v_cvt_f16_f32_e64 v1, v137
	v_mov_b32_e32 v6, v53
	v_mov_b32_e32 v34, v54
.LBB146_9:
	s_mov_b32 s0, exec_lo
	v_cmpx_gt_u32_e64 s6, v55
	s_cbranch_execz .LBB146_60
; %bb.10:
	s_delay_alu instid0(VALU_DEP_2) | instskip(SKIP_1) | instid1(VALU_DEP_2)
	v_add_nc_u32_e32 v0, s14, v34
	v_mul_lo_u32 v34, v55, s12
	v_cmp_gt_u32_e32 vcc_lo, s12, v0
	s_and_saveexec_b32 s1, vcc_lo
	s_cbranch_execz .LBB146_12
; %bb.11:
	s_delay_alu instid0(VALU_DEP_2) | instskip(NEXT) | instid1(VALU_DEP_1)
	v_dual_mov_b32 v36, 0 :: v_dual_add_nc_u32 v35, v0, v34
	v_lshlrev_b64_e32 v[35:36], 1, v[35:36]
	s_wait_kmcnt 0x0
	s_delay_alu instid0(VALU_DEP_1) | instskip(NEXT) | instid1(VALU_DEP_1)
	v_add_co_u32 v35, s0, s8, v35
	v_add_co_ci_u32_e64 v36, null, s9, v36, s0
	global_store_b16 v[35:36], v12, off
.LBB146_12:
	s_or_b32 exec_lo, exec_lo, s1
	v_add_nc_u32_e32 v12, 32, v0
	s_delay_alu instid0(VALU_DEP_1)
	v_cmp_gt_u32_e64 s0, s12, v12
	s_and_saveexec_b32 s2, s0
	s_cbranch_execz .LBB146_14
; %bb.13:
	v_dual_mov_b32 v36, 0 :: v_dual_add_nc_u32 v35, v12, v34
	s_delay_alu instid0(VALU_DEP_1) | instskip(SKIP_1) | instid1(VALU_DEP_1)
	v_lshlrev_b64_e32 v[35:36], 1, v[35:36]
	s_wait_kmcnt 0x0
	v_add_co_u32 v35, s1, s8, v35
	s_wait_alu 0xf1ff
	s_delay_alu instid0(VALU_DEP_2)
	v_add_co_ci_u32_e64 v36, null, s9, v36, s1
	global_store_b16 v[35:36], v13, off
.LBB146_14:
	s_wait_alu 0xfffe
	s_or_b32 exec_lo, exec_lo, s2
	v_add_nc_u32_e32 v13, 64, v0
	s_delay_alu instid0(VALU_DEP_1)
	v_cmp_gt_u32_e64 s1, s12, v13
	s_and_saveexec_b32 s3, s1
	s_cbranch_execz .LBB146_16
; %bb.15:
	v_dual_mov_b32 v36, 0 :: v_dual_add_nc_u32 v35, v13, v34
	s_delay_alu instid0(VALU_DEP_1) | instskip(SKIP_1) | instid1(VALU_DEP_1)
	v_lshlrev_b64_e32 v[35:36], 1, v[35:36]
	s_wait_kmcnt 0x0
	v_add_co_u32 v35, s2, s8, v35
	s_wait_alu 0xf1ff
	s_delay_alu instid0(VALU_DEP_2)
	v_add_co_ci_u32_e64 v36, null, s9, v36, s2
	global_store_b16 v[35:36], v14, off
.LBB146_16:
	s_wait_alu 0xfffe
	;; [unrolled: 18-line block ×3, first 2 shown]
	s_or_b32 exec_lo, exec_lo, s4
	v_add3_u32 v33, v6, s13, 8
	s_delay_alu instid0(VALU_DEP_1)
	v_cmp_gt_u32_e64 s3, s6, v33
	s_and_b32 exec_lo, exec_lo, s3
	s_cbranch_execz .LBB146_60
; %bb.19:
	v_mul_lo_u32 v33, v33, s12
	s_and_saveexec_b32 s4, vcc_lo
	s_cbranch_execnz .LBB146_61
; %bb.20:
	s_wait_alu 0xfffe
	s_or_b32 exec_lo, exec_lo, s4
	s_and_saveexec_b32 s4, s0
	s_cbranch_execnz .LBB146_62
.LBB146_21:
	s_wait_alu 0xfffe
	s_or_b32 exec_lo, exec_lo, s4
	s_and_saveexec_b32 s4, s1
	s_cbranch_execnz .LBB146_63
.LBB146_22:
	s_wait_alu 0xfffe
	s_or_b32 exec_lo, exec_lo, s4
	s_and_saveexec_b32 s4, s2
	s_cbranch_execz .LBB146_24
.LBB146_23:
	v_dual_mov_b32 v31, 0 :: v_dual_add_nc_u32 v30, v33, v14
	s_delay_alu instid0(VALU_DEP_1) | instskip(SKIP_1) | instid1(VALU_DEP_1)
	v_lshlrev_b64_e32 v[30:31], 1, v[30:31]
	s_wait_kmcnt 0x0
	v_add_co_u32 v30, s3, s8, v30
	s_wait_alu 0xf1ff
	s_delay_alu instid0(VALU_DEP_2)
	v_add_co_ci_u32_e64 v31, null, s9, v31, s3
	global_store_b16 v[30:31], v29, off
.LBB146_24:
	s_wait_alu 0xfffe
	s_or_b32 exec_lo, exec_lo, s4
	v_add3_u32 v29, v6, s13, 16
	s_delay_alu instid0(VALU_DEP_1)
	v_cmp_gt_u32_e64 s3, s6, v29
	s_and_b32 exec_lo, exec_lo, s3
	s_cbranch_execz .LBB146_60
; %bb.25:
	v_mul_lo_u32 v29, v29, s12
	s_and_saveexec_b32 s4, vcc_lo
	s_cbranch_execnz .LBB146_64
; %bb.26:
	s_wait_alu 0xfffe
	s_or_b32 exec_lo, exec_lo, s4
	s_and_saveexec_b32 s4, s0
	s_cbranch_execnz .LBB146_65
.LBB146_27:
	s_wait_alu 0xfffe
	s_or_b32 exec_lo, exec_lo, s4
	s_and_saveexec_b32 s4, s1
	s_cbranch_execnz .LBB146_66
.LBB146_28:
	s_wait_alu 0xfffe
	s_or_b32 exec_lo, exec_lo, s4
	s_and_saveexec_b32 s4, s2
	s_cbranch_execz .LBB146_30
.LBB146_29:
	v_dual_mov_b32 v27, 0 :: v_dual_add_nc_u32 v26, v29, v14
	s_delay_alu instid0(VALU_DEP_1) | instskip(SKIP_1) | instid1(VALU_DEP_1)
	v_lshlrev_b64_e32 v[26:27], 1, v[26:27]
	s_wait_kmcnt 0x0
	v_add_co_u32 v26, s3, s8, v26
	s_wait_alu 0xf1ff
	s_delay_alu instid0(VALU_DEP_2)
	v_add_co_ci_u32_e64 v27, null, s9, v27, s3
	global_store_b16 v[26:27], v25, off
.LBB146_30:
	s_wait_alu 0xfffe
	s_or_b32 exec_lo, exec_lo, s4
	v_add3_u32 v25, v6, s13, 24
	s_delay_alu instid0(VALU_DEP_1)
	v_cmp_gt_u32_e64 s3, s6, v25
	s_and_b32 exec_lo, exec_lo, s3
	s_cbranch_execz .LBB146_60
; %bb.31:
	v_mul_lo_u32 v25, v25, s12
	s_and_saveexec_b32 s4, vcc_lo
	s_cbranch_execnz .LBB146_67
; %bb.32:
	s_wait_alu 0xfffe
	s_or_b32 exec_lo, exec_lo, s4
	s_and_saveexec_b32 s4, s0
	s_cbranch_execnz .LBB146_68
.LBB146_33:
	s_wait_alu 0xfffe
	s_or_b32 exec_lo, exec_lo, s4
	s_and_saveexec_b32 s4, s1
	s_cbranch_execnz .LBB146_69
.LBB146_34:
	s_wait_alu 0xfffe
	s_or_b32 exec_lo, exec_lo, s4
	s_and_saveexec_b32 s4, s2
	s_cbranch_execz .LBB146_36
.LBB146_35:
	v_dual_mov_b32 v23, 0 :: v_dual_add_nc_u32 v22, v25, v14
	s_delay_alu instid0(VALU_DEP_1) | instskip(SKIP_1) | instid1(VALU_DEP_1)
	v_lshlrev_b64_e32 v[22:23], 1, v[22:23]
	s_wait_kmcnt 0x0
	v_add_co_u32 v22, s3, s8, v22
	s_wait_alu 0xf1ff
	s_delay_alu instid0(VALU_DEP_2)
	v_add_co_ci_u32_e64 v23, null, s9, v23, s3
	global_store_b16 v[22:23], v21, off
.LBB146_36:
	s_wait_alu 0xfffe
	s_or_b32 exec_lo, exec_lo, s4
	v_add3_u32 v21, v6, s13, 32
	s_delay_alu instid0(VALU_DEP_1)
	v_cmp_gt_u32_e64 s3, s6, v21
	s_and_b32 exec_lo, exec_lo, s3
	s_cbranch_execz .LBB146_60
; %bb.37:
	v_mul_lo_u32 v21, v21, s12
	s_and_saveexec_b32 s4, vcc_lo
	s_cbranch_execnz .LBB146_70
; %bb.38:
	s_wait_alu 0xfffe
	s_or_b32 exec_lo, exec_lo, s4
	s_and_saveexec_b32 s4, s0
	s_cbranch_execnz .LBB146_71
.LBB146_39:
	s_wait_alu 0xfffe
	s_or_b32 exec_lo, exec_lo, s4
	s_and_saveexec_b32 s4, s1
	s_cbranch_execnz .LBB146_72
.LBB146_40:
	s_wait_alu 0xfffe
	s_or_b32 exec_lo, exec_lo, s4
	s_and_saveexec_b32 s4, s2
	s_cbranch_execz .LBB146_42
.LBB146_41:
	v_dual_mov_b32 v19, 0 :: v_dual_add_nc_u32 v18, v21, v14
	s_delay_alu instid0(VALU_DEP_1) | instskip(SKIP_1) | instid1(VALU_DEP_1)
	v_lshlrev_b64_e32 v[18:19], 1, v[18:19]
	s_wait_kmcnt 0x0
	v_add_co_u32 v18, s3, s8, v18
	s_wait_alu 0xf1ff
	s_delay_alu instid0(VALU_DEP_2)
	v_add_co_ci_u32_e64 v19, null, s9, v19, s3
	global_store_b16 v[18:19], v17, off
.LBB146_42:
	s_wait_alu 0xfffe
	s_or_b32 exec_lo, exec_lo, s4
	v_add3_u32 v17, v6, s13, 40
	s_delay_alu instid0(VALU_DEP_1)
	v_cmp_gt_u32_e64 s3, s6, v17
	s_and_b32 exec_lo, exec_lo, s3
	s_cbranch_execz .LBB146_60
; %bb.43:
	v_mul_lo_u32 v17, v17, s12
	s_and_saveexec_b32 s4, vcc_lo
	s_cbranch_execnz .LBB146_73
; %bb.44:
	s_wait_alu 0xfffe
	s_or_b32 exec_lo, exec_lo, s4
	s_and_saveexec_b32 s4, s0
	s_cbranch_execnz .LBB146_74
.LBB146_45:
	s_wait_alu 0xfffe
	s_or_b32 exec_lo, exec_lo, s4
	s_and_saveexec_b32 s4, s1
	s_cbranch_execnz .LBB146_75
.LBB146_46:
	s_wait_alu 0xfffe
	s_or_b32 exec_lo, exec_lo, s4
	s_and_saveexec_b32 s4, s2
	s_cbranch_execz .LBB146_48
.LBB146_47:
	v_dual_mov_b32 v16, 0 :: v_dual_add_nc_u32 v15, v17, v14
	s_delay_alu instid0(VALU_DEP_1) | instskip(SKIP_1) | instid1(VALU_DEP_1)
	v_lshlrev_b64_e32 v[15:16], 1, v[15:16]
	s_wait_kmcnt 0x0
	v_add_co_u32 v15, s3, s8, v15
	s_wait_alu 0xf1ff
	s_delay_alu instid0(VALU_DEP_2)
	v_add_co_ci_u32_e64 v16, null, s9, v16, s3
	global_store_b16 v[15:16], v10, off
.LBB146_48:
	s_wait_alu 0xfffe
	s_or_b32 exec_lo, exec_lo, s4
	v_add3_u32 v10, v6, s13, 48
	s_delay_alu instid0(VALU_DEP_1)
	v_cmp_gt_u32_e64 s3, s6, v10
	s_and_b32 exec_lo, exec_lo, s3
	s_cbranch_execz .LBB146_60
; %bb.49:
	v_mul_lo_u32 v10, v10, s12
	s_and_saveexec_b32 s4, vcc_lo
	s_cbranch_execnz .LBB146_76
; %bb.50:
	s_wait_alu 0xfffe
	s_or_b32 exec_lo, exec_lo, s4
	s_and_saveexec_b32 s4, s0
	s_cbranch_execnz .LBB146_77
.LBB146_51:
	s_wait_alu 0xfffe
	s_or_b32 exec_lo, exec_lo, s4
	s_and_saveexec_b32 s4, s1
	s_cbranch_execnz .LBB146_78
.LBB146_52:
	s_wait_alu 0xfffe
	s_or_b32 exec_lo, exec_lo, s4
	s_and_saveexec_b32 s4, s2
	s_cbranch_execz .LBB146_54
.LBB146_53:
	v_dual_mov_b32 v8, 0 :: v_dual_add_nc_u32 v7, v10, v14
	s_delay_alu instid0(VALU_DEP_1) | instskip(SKIP_1) | instid1(VALU_DEP_1)
	v_lshlrev_b64_e32 v[7:8], 1, v[7:8]
	s_wait_kmcnt 0x0
	v_add_co_u32 v7, s3, s8, v7
	s_wait_alu 0xf1ff
	s_delay_alu instid0(VALU_DEP_2)
	v_add_co_ci_u32_e64 v8, null, s9, v8, s3
	global_store_b16 v[7:8], v5, off
.LBB146_54:
	s_wait_alu 0xfffe
	s_or_b32 exec_lo, exec_lo, s4
	v_add3_u32 v5, v6, s13, 56
	s_delay_alu instid0(VALU_DEP_1)
	v_cmp_gt_u32_e64 s3, s6, v5
	s_and_b32 exec_lo, exec_lo, s3
	s_cbranch_execz .LBB146_60
; %bb.55:
	v_mul_lo_u32 v5, v5, s12
	s_and_saveexec_b32 s3, vcc_lo
	s_cbranch_execnz .LBB146_79
; %bb.56:
	s_wait_alu 0xfffe
	s_or_b32 exec_lo, exec_lo, s3
	s_and_saveexec_b32 s3, s0
	s_cbranch_execnz .LBB146_80
.LBB146_57:
	s_wait_alu 0xfffe
	s_or_b32 exec_lo, exec_lo, s3
	s_and_saveexec_b32 s0, s1
	s_cbranch_execnz .LBB146_81
.LBB146_58:
	s_wait_alu 0xfffe
	s_or_b32 exec_lo, exec_lo, s0
	s_delay_alu instid0(SALU_CYCLE_1)
	s_and_b32 exec_lo, exec_lo, s2
	s_cbranch_execz .LBB146_60
.LBB146_59:
	v_dual_mov_b32 v3, 0 :: v_dual_add_nc_u32 v2, v5, v14
	s_delay_alu instid0(VALU_DEP_1) | instskip(SKIP_1) | instid1(VALU_DEP_1)
	v_lshlrev_b64_e32 v[2:3], 1, v[2:3]
	s_wait_kmcnt 0x0
	v_add_co_u32 v2, vcc_lo, s8, v2
	s_wait_alu 0xfffd
	s_delay_alu instid0(VALU_DEP_2)
	v_add_co_ci_u32_e64 v3, null, s9, v3, vcc_lo
	global_store_b16 v[2:3], v1, off
.LBB146_60:
	s_nop 0
	s_sendmsg sendmsg(MSG_DEALLOC_VGPRS)
	s_endpgm
.LBB146_61:
	s_delay_alu instid0(VALU_DEP_1) | instskip(NEXT) | instid1(VALU_DEP_1)
	v_dual_mov_b32 v35, 0 :: v_dual_add_nc_u32 v34, v33, v0
	v_lshlrev_b64_e32 v[34:35], 1, v[34:35]
	s_wait_kmcnt 0x0
	s_delay_alu instid0(VALU_DEP_1) | instskip(SKIP_1) | instid1(VALU_DEP_2)
	v_add_co_u32 v34, s3, s8, v34
	s_wait_alu 0xf1ff
	v_add_co_ci_u32_e64 v35, null, s9, v35, s3
	global_store_b16 v[34:35], v32, off
	s_wait_alu 0xfffe
	s_or_b32 exec_lo, exec_lo, s4
	s_and_saveexec_b32 s4, s0
	s_cbranch_execz .LBB146_21
.LBB146_62:
	s_delay_alu instid0(VALU_DEP_1) | instskip(NEXT) | instid1(VALU_DEP_1)
	v_dual_mov_b32 v35, 0 :: v_dual_add_nc_u32 v34, v33, v12
	v_lshlrev_b64_e32 v[34:35], 1, v[34:35]
	s_wait_kmcnt 0x0
	s_delay_alu instid0(VALU_DEP_1) | instskip(SKIP_1) | instid1(VALU_DEP_2)
	v_add_co_u32 v34, s3, s8, v34
	s_wait_alu 0xf1ff
	v_add_co_ci_u32_e64 v35, null, s9, v35, s3
	global_store_b16 v[34:35], v31, off
	s_wait_alu 0xfffe
	s_or_b32 exec_lo, exec_lo, s4
	s_and_saveexec_b32 s4, s1
	s_cbranch_execz .LBB146_22
.LBB146_63:
	v_dual_mov_b32 v32, 0 :: v_dual_add_nc_u32 v31, v33, v13
	s_delay_alu instid0(VALU_DEP_1) | instskip(SKIP_1) | instid1(VALU_DEP_1)
	v_lshlrev_b64_e32 v[31:32], 1, v[31:32]
	s_wait_kmcnt 0x0
	v_add_co_u32 v31, s3, s8, v31
	s_wait_alu 0xf1ff
	s_delay_alu instid0(VALU_DEP_2)
	v_add_co_ci_u32_e64 v32, null, s9, v32, s3
	global_store_b16 v[31:32], v30, off
	s_wait_alu 0xfffe
	s_or_b32 exec_lo, exec_lo, s4
	s_and_saveexec_b32 s4, s2
	s_cbranch_execnz .LBB146_23
	s_branch .LBB146_24
.LBB146_64:
	s_delay_alu instid0(VALU_DEP_1) | instskip(NEXT) | instid1(VALU_DEP_1)
	v_dual_mov_b32 v31, 0 :: v_dual_add_nc_u32 v30, v29, v0
	v_lshlrev_b64_e32 v[30:31], 1, v[30:31]
	s_wait_kmcnt 0x0
	s_delay_alu instid0(VALU_DEP_1) | instskip(SKIP_1) | instid1(VALU_DEP_2)
	v_add_co_u32 v30, s3, s8, v30
	s_wait_alu 0xf1ff
	v_add_co_ci_u32_e64 v31, null, s9, v31, s3
	global_store_b16 v[30:31], v28, off
	s_wait_alu 0xfffe
	s_or_b32 exec_lo, exec_lo, s4
	s_and_saveexec_b32 s4, s0
	s_cbranch_execz .LBB146_27
.LBB146_65:
	s_delay_alu instid0(VALU_DEP_1) | instskip(NEXT) | instid1(VALU_DEP_1)
	v_dual_mov_b32 v31, 0 :: v_dual_add_nc_u32 v30, v29, v12
	v_lshlrev_b64_e32 v[30:31], 1, v[30:31]
	s_wait_kmcnt 0x0
	s_delay_alu instid0(VALU_DEP_1) | instskip(SKIP_1) | instid1(VALU_DEP_2)
	v_add_co_u32 v30, s3, s8, v30
	s_wait_alu 0xf1ff
	v_add_co_ci_u32_e64 v31, null, s9, v31, s3
	global_store_b16 v[30:31], v27, off
	s_wait_alu 0xfffe
	s_or_b32 exec_lo, exec_lo, s4
	s_and_saveexec_b32 s4, s1
	s_cbranch_execz .LBB146_28
.LBB146_66:
	v_dual_mov_b32 v28, 0 :: v_dual_add_nc_u32 v27, v29, v13
	s_delay_alu instid0(VALU_DEP_1) | instskip(SKIP_1) | instid1(VALU_DEP_1)
	v_lshlrev_b64_e32 v[27:28], 1, v[27:28]
	s_wait_kmcnt 0x0
	v_add_co_u32 v27, s3, s8, v27
	s_wait_alu 0xf1ff
	s_delay_alu instid0(VALU_DEP_2)
	v_add_co_ci_u32_e64 v28, null, s9, v28, s3
	global_store_b16 v[27:28], v26, off
	s_wait_alu 0xfffe
	s_or_b32 exec_lo, exec_lo, s4
	s_and_saveexec_b32 s4, s2
	s_cbranch_execnz .LBB146_29
	s_branch .LBB146_30
.LBB146_67:
	s_delay_alu instid0(VALU_DEP_1) | instskip(NEXT) | instid1(VALU_DEP_1)
	v_dual_mov_b32 v27, 0 :: v_dual_add_nc_u32 v26, v25, v0
	v_lshlrev_b64_e32 v[26:27], 1, v[26:27]
	s_wait_kmcnt 0x0
	s_delay_alu instid0(VALU_DEP_1) | instskip(SKIP_1) | instid1(VALU_DEP_2)
	v_add_co_u32 v26, s3, s8, v26
	s_wait_alu 0xf1ff
	v_add_co_ci_u32_e64 v27, null, s9, v27, s3
	global_store_b16 v[26:27], v24, off
	s_wait_alu 0xfffe
	s_or_b32 exec_lo, exec_lo, s4
	s_and_saveexec_b32 s4, s0
	s_cbranch_execz .LBB146_33
.LBB146_68:
	s_delay_alu instid0(VALU_DEP_1) | instskip(NEXT) | instid1(VALU_DEP_1)
	v_dual_mov_b32 v27, 0 :: v_dual_add_nc_u32 v26, v25, v12
	v_lshlrev_b64_e32 v[26:27], 1, v[26:27]
	s_wait_kmcnt 0x0
	s_delay_alu instid0(VALU_DEP_1) | instskip(SKIP_1) | instid1(VALU_DEP_2)
	v_add_co_u32 v26, s3, s8, v26
	s_wait_alu 0xf1ff
	v_add_co_ci_u32_e64 v27, null, s9, v27, s3
	global_store_b16 v[26:27], v23, off
	s_wait_alu 0xfffe
	s_or_b32 exec_lo, exec_lo, s4
	s_and_saveexec_b32 s4, s1
	s_cbranch_execz .LBB146_34
.LBB146_69:
	v_dual_mov_b32 v24, 0 :: v_dual_add_nc_u32 v23, v25, v13
	s_delay_alu instid0(VALU_DEP_1) | instskip(SKIP_1) | instid1(VALU_DEP_1)
	v_lshlrev_b64_e32 v[23:24], 1, v[23:24]
	s_wait_kmcnt 0x0
	v_add_co_u32 v23, s3, s8, v23
	s_wait_alu 0xf1ff
	s_delay_alu instid0(VALU_DEP_2)
	v_add_co_ci_u32_e64 v24, null, s9, v24, s3
	global_store_b16 v[23:24], v22, off
	s_wait_alu 0xfffe
	s_or_b32 exec_lo, exec_lo, s4
	s_and_saveexec_b32 s4, s2
	s_cbranch_execnz .LBB146_35
	s_branch .LBB146_36
.LBB146_70:
	s_delay_alu instid0(VALU_DEP_1) | instskip(NEXT) | instid1(VALU_DEP_1)
	v_dual_mov_b32 v23, 0 :: v_dual_add_nc_u32 v22, v21, v0
	v_lshlrev_b64_e32 v[22:23], 1, v[22:23]
	s_wait_kmcnt 0x0
	s_delay_alu instid0(VALU_DEP_1) | instskip(SKIP_1) | instid1(VALU_DEP_2)
	v_add_co_u32 v22, s3, s8, v22
	s_wait_alu 0xf1ff
	v_add_co_ci_u32_e64 v23, null, s9, v23, s3
	global_store_b16 v[22:23], v20, off
	s_wait_alu 0xfffe
	s_or_b32 exec_lo, exec_lo, s4
	s_and_saveexec_b32 s4, s0
	s_cbranch_execz .LBB146_39
.LBB146_71:
	s_delay_alu instid0(VALU_DEP_1) | instskip(NEXT) | instid1(VALU_DEP_1)
	v_dual_mov_b32 v23, 0 :: v_dual_add_nc_u32 v22, v21, v12
	v_lshlrev_b64_e32 v[22:23], 1, v[22:23]
	s_wait_kmcnt 0x0
	s_delay_alu instid0(VALU_DEP_1) | instskip(SKIP_1) | instid1(VALU_DEP_2)
	v_add_co_u32 v22, s3, s8, v22
	s_wait_alu 0xf1ff
	v_add_co_ci_u32_e64 v23, null, s9, v23, s3
	global_store_b16 v[22:23], v19, off
	s_wait_alu 0xfffe
	s_or_b32 exec_lo, exec_lo, s4
	s_and_saveexec_b32 s4, s1
	s_cbranch_execz .LBB146_40
.LBB146_72:
	v_dual_mov_b32 v20, 0 :: v_dual_add_nc_u32 v19, v21, v13
	s_delay_alu instid0(VALU_DEP_1) | instskip(SKIP_1) | instid1(VALU_DEP_1)
	v_lshlrev_b64_e32 v[19:20], 1, v[19:20]
	s_wait_kmcnt 0x0
	v_add_co_u32 v19, s3, s8, v19
	s_wait_alu 0xf1ff
	s_delay_alu instid0(VALU_DEP_2)
	v_add_co_ci_u32_e64 v20, null, s9, v20, s3
	global_store_b16 v[19:20], v18, off
	s_wait_alu 0xfffe
	s_or_b32 exec_lo, exec_lo, s4
	s_and_saveexec_b32 s4, s2
	s_cbranch_execnz .LBB146_41
	s_branch .LBB146_42
.LBB146_73:
	s_delay_alu instid0(VALU_DEP_1) | instskip(NEXT) | instid1(VALU_DEP_1)
	v_dual_mov_b32 v19, 0 :: v_dual_add_nc_u32 v18, v17, v0
	v_lshlrev_b64_e32 v[18:19], 1, v[18:19]
	s_wait_kmcnt 0x0
	s_delay_alu instid0(VALU_DEP_1) | instskip(SKIP_1) | instid1(VALU_DEP_2)
	v_add_co_u32 v18, s3, s8, v18
	s_wait_alu 0xf1ff
	v_add_co_ci_u32_e64 v19, null, s9, v19, s3
	global_store_b16 v[18:19], v16, off
	s_wait_alu 0xfffe
	s_or_b32 exec_lo, exec_lo, s4
	s_and_saveexec_b32 s4, s0
	s_cbranch_execz .LBB146_45
.LBB146_74:
	s_delay_alu instid0(VALU_DEP_1) | instskip(NEXT) | instid1(VALU_DEP_1)
	v_dual_mov_b32 v19, 0 :: v_dual_add_nc_u32 v18, v17, v12
	v_lshlrev_b64_e32 v[18:19], 1, v[18:19]
	s_wait_kmcnt 0x0
	s_delay_alu instid0(VALU_DEP_1) | instskip(SKIP_1) | instid1(VALU_DEP_2)
	v_add_co_u32 v18, s3, s8, v18
	s_wait_alu 0xf1ff
	v_add_co_ci_u32_e64 v19, null, s9, v19, s3
	global_store_b16 v[18:19], v15, off
	s_wait_alu 0xfffe
	s_or_b32 exec_lo, exec_lo, s4
	s_and_saveexec_b32 s4, s1
	s_cbranch_execz .LBB146_46
.LBB146_75:
	v_dual_mov_b32 v16, 0 :: v_dual_add_nc_u32 v15, v17, v13
	s_delay_alu instid0(VALU_DEP_1) | instskip(SKIP_1) | instid1(VALU_DEP_1)
	v_lshlrev_b64_e32 v[15:16], 1, v[15:16]
	s_wait_kmcnt 0x0
	v_add_co_u32 v15, s3, s8, v15
	s_wait_alu 0xf1ff
	s_delay_alu instid0(VALU_DEP_2)
	v_add_co_ci_u32_e64 v16, null, s9, v16, s3
	global_store_b16 v[15:16], v11, off
	s_wait_alu 0xfffe
	s_or_b32 exec_lo, exec_lo, s4
	s_and_saveexec_b32 s4, s2
	s_cbranch_execnz .LBB146_47
	s_branch .LBB146_48
.LBB146_76:
	s_delay_alu instid0(VALU_DEP_1) | instskip(NEXT) | instid1(VALU_DEP_1)
	v_dual_mov_b32 v16, 0 :: v_dual_add_nc_u32 v15, v10, v0
	v_lshlrev_b64_e32 v[15:16], 1, v[15:16]
	s_wait_kmcnt 0x0
	s_delay_alu instid0(VALU_DEP_1) | instskip(SKIP_1) | instid1(VALU_DEP_2)
	v_add_co_u32 v15, s3, s8, v15
	s_wait_alu 0xf1ff
	v_add_co_ci_u32_e64 v16, null, s9, v16, s3
	global_store_b16 v[15:16], v9, off
	s_wait_alu 0xfffe
	s_or_b32 exec_lo, exec_lo, s4
	s_and_saveexec_b32 s4, s0
	s_cbranch_execz .LBB146_51
.LBB146_77:
	s_delay_alu instid0(VALU_DEP_1) | instskip(NEXT) | instid1(VALU_DEP_1)
	v_dual_mov_b32 v16, 0 :: v_dual_add_nc_u32 v15, v10, v12
	v_lshlrev_b64_e32 v[15:16], 1, v[15:16]
	s_wait_kmcnt 0x0
	s_delay_alu instid0(VALU_DEP_1) | instskip(SKIP_1) | instid1(VALU_DEP_2)
	v_add_co_u32 v15, s3, s8, v15
	s_wait_alu 0xf1ff
	v_add_co_ci_u32_e64 v16, null, s9, v16, s3
	global_store_b16 v[15:16], v8, off
	s_wait_alu 0xfffe
	s_or_b32 exec_lo, exec_lo, s4
	s_and_saveexec_b32 s4, s1
	s_cbranch_execz .LBB146_52
.LBB146_78:
	v_dual_mov_b32 v9, 0 :: v_dual_add_nc_u32 v8, v10, v13
	s_delay_alu instid0(VALU_DEP_1) | instskip(SKIP_1) | instid1(VALU_DEP_1)
	v_lshlrev_b64_e32 v[8:9], 1, v[8:9]
	s_wait_kmcnt 0x0
	v_add_co_u32 v8, s3, s8, v8
	s_wait_alu 0xf1ff
	s_delay_alu instid0(VALU_DEP_2)
	v_add_co_ci_u32_e64 v9, null, s9, v9, s3
	global_store_b16 v[8:9], v7, off
	s_wait_alu 0xfffe
	s_or_b32 exec_lo, exec_lo, s4
	s_and_saveexec_b32 s4, s2
	s_cbranch_execnz .LBB146_53
	s_branch .LBB146_54
.LBB146_79:
	s_delay_alu instid0(VALU_DEP_1) | instskip(NEXT) | instid1(VALU_DEP_1)
	v_dual_mov_b32 v7, 0 :: v_dual_add_nc_u32 v6, v5, v0
	v_lshlrev_b64_e32 v[6:7], 1, v[6:7]
	s_wait_kmcnt 0x0
	s_delay_alu instid0(VALU_DEP_1) | instskip(SKIP_1) | instid1(VALU_DEP_2)
	v_add_co_u32 v6, vcc_lo, s8, v6
	s_wait_alu 0xfffd
	v_add_co_ci_u32_e64 v7, null, s9, v7, vcc_lo
	global_store_b16 v[6:7], v4, off
	s_wait_alu 0xfffe
	s_or_b32 exec_lo, exec_lo, s3
	s_and_saveexec_b32 s3, s0
	s_cbranch_execz .LBB146_57
.LBB146_80:
	s_delay_alu instid0(VALU_DEP_1) | instskip(NEXT) | instid1(VALU_DEP_1)
	v_dual_mov_b32 v7, 0 :: v_dual_add_nc_u32 v6, v5, v12
	v_lshlrev_b64_e32 v[6:7], 1, v[6:7]
	s_wait_kmcnt 0x0
	s_delay_alu instid0(VALU_DEP_1) | instskip(SKIP_1) | instid1(VALU_DEP_2)
	v_add_co_u32 v6, vcc_lo, s8, v6
	s_wait_alu 0xfffd
	v_add_co_ci_u32_e64 v7, null, s9, v7, vcc_lo
	global_store_b16 v[6:7], v3, off
	s_wait_alu 0xfffe
	s_or_b32 exec_lo, exec_lo, s3
	s_and_saveexec_b32 s0, s1
	s_cbranch_execz .LBB146_58
.LBB146_81:
	v_dual_mov_b32 v4, 0 :: v_dual_add_nc_u32 v3, v5, v13
	s_delay_alu instid0(VALU_DEP_1) | instskip(SKIP_1) | instid1(VALU_DEP_1)
	v_lshlrev_b64_e32 v[3:4], 1, v[3:4]
	s_wait_kmcnt 0x0
	v_add_co_u32 v3, vcc_lo, s8, v3
	s_wait_alu 0xfffd
	s_delay_alu instid0(VALU_DEP_2) | instskip(SKIP_3) | instid1(SALU_CYCLE_1)
	v_add_co_ci_u32_e64 v4, null, s9, v4, vcc_lo
	global_store_b16 v[3:4], v2, off
	s_wait_alu 0xfffe
	s_or_b32 exec_lo, exec_lo, s0
	s_and_b32 exec_lo, exec_lo, s2
	s_cbranch_execnz .LBB146_59
	s_branch .LBB146_60
	.section	.rodata,"a",@progbits
	.p2align	6, 0x0
	.amdhsa_kernel _ZL12mul_mat_q8_0IN3c104HalfELb1EEvPKvS3_PT_iiiii
		.amdhsa_group_segment_fixed_size 28224
		.amdhsa_private_segment_fixed_size 0
		.amdhsa_kernarg_size 44
		.amdhsa_user_sgpr_count 2
		.amdhsa_user_sgpr_dispatch_ptr 0
		.amdhsa_user_sgpr_queue_ptr 0
		.amdhsa_user_sgpr_kernarg_segment_ptr 1
		.amdhsa_user_sgpr_dispatch_id 0
		.amdhsa_user_sgpr_private_segment_size 0
		.amdhsa_wavefront_size32 1
		.amdhsa_uses_dynamic_stack 0
		.amdhsa_enable_private_segment 0
		.amdhsa_system_sgpr_workgroup_id_x 1
		.amdhsa_system_sgpr_workgroup_id_y 1
		.amdhsa_system_sgpr_workgroup_id_z 0
		.amdhsa_system_sgpr_workgroup_info 0
		.amdhsa_system_vgpr_workitem_id 1
		.amdhsa_next_free_vgpr 174
		.amdhsa_next_free_sgpr 18
		.amdhsa_reserve_vcc 1
		.amdhsa_float_round_mode_32 0
		.amdhsa_float_round_mode_16_64 0
		.amdhsa_float_denorm_mode_32 3
		.amdhsa_float_denorm_mode_16_64 3
		.amdhsa_fp16_overflow 0
		.amdhsa_workgroup_processor_mode 1
		.amdhsa_memory_ordered 1
		.amdhsa_forward_progress 1
		.amdhsa_inst_pref_size 85
		.amdhsa_round_robin_scheduling 0
		.amdhsa_exception_fp_ieee_invalid_op 0
		.amdhsa_exception_fp_denorm_src 0
		.amdhsa_exception_fp_ieee_div_zero 0
		.amdhsa_exception_fp_ieee_overflow 0
		.amdhsa_exception_fp_ieee_underflow 0
		.amdhsa_exception_fp_ieee_inexact 0
		.amdhsa_exception_int_div_zero 0
	.end_amdhsa_kernel
	.section	.text._ZL12mul_mat_q8_0IN3c104HalfELb1EEvPKvS3_PT_iiiii,"axG",@progbits,_ZL12mul_mat_q8_0IN3c104HalfELb1EEvPKvS3_PT_iiiii,comdat
.Lfunc_end146:
	.size	_ZL12mul_mat_q8_0IN3c104HalfELb1EEvPKvS3_PT_iiiii, .Lfunc_end146-_ZL12mul_mat_q8_0IN3c104HalfELb1EEvPKvS3_PT_iiiii
                                        ; -- End function
	.set _ZL12mul_mat_q8_0IN3c104HalfELb1EEvPKvS3_PT_iiiii.num_vgpr, 174
	.set _ZL12mul_mat_q8_0IN3c104HalfELb1EEvPKvS3_PT_iiiii.num_agpr, 0
	.set _ZL12mul_mat_q8_0IN3c104HalfELb1EEvPKvS3_PT_iiiii.numbered_sgpr, 18
	.set _ZL12mul_mat_q8_0IN3c104HalfELb1EEvPKvS3_PT_iiiii.num_named_barrier, 0
	.set _ZL12mul_mat_q8_0IN3c104HalfELb1EEvPKvS3_PT_iiiii.private_seg_size, 0
	.set _ZL12mul_mat_q8_0IN3c104HalfELb1EEvPKvS3_PT_iiiii.uses_vcc, 1
	.set _ZL12mul_mat_q8_0IN3c104HalfELb1EEvPKvS3_PT_iiiii.uses_flat_scratch, 0
	.set _ZL12mul_mat_q8_0IN3c104HalfELb1EEvPKvS3_PT_iiiii.has_dyn_sized_stack, 0
	.set _ZL12mul_mat_q8_0IN3c104HalfELb1EEvPKvS3_PT_iiiii.has_recursion, 0
	.set _ZL12mul_mat_q8_0IN3c104HalfELb1EEvPKvS3_PT_iiiii.has_indirect_call, 0
	.section	.AMDGPU.csdata,"",@progbits
; Kernel info:
; codeLenInByte = 10792
; TotalNumSgprs: 20
; NumVgprs: 174
; ScratchSize: 0
; MemoryBound: 0
; FloatMode: 240
; IeeeMode: 1
; LDSByteSize: 28224 bytes/workgroup (compile time only)
; SGPRBlocks: 0
; VGPRBlocks: 21
; NumSGPRsForWavesPerEU: 20
; NumVGPRsForWavesPerEU: 174
; Occupancy: 8
; WaveLimiterHint : 0
; COMPUTE_PGM_RSRC2:SCRATCH_EN: 0
; COMPUTE_PGM_RSRC2:USER_SGPR: 2
; COMPUTE_PGM_RSRC2:TRAP_HANDLER: 0
; COMPUTE_PGM_RSRC2:TGID_X_EN: 1
; COMPUTE_PGM_RSRC2:TGID_Y_EN: 1
; COMPUTE_PGM_RSRC2:TGID_Z_EN: 0
; COMPUTE_PGM_RSRC2:TIDIG_COMP_CNT: 1
	.section	.text._ZL12mul_mat_q2_KIN3c104HalfELb0EEvPKvS3_PT_iiiii,"axG",@progbits,_ZL12mul_mat_q2_KIN3c104HalfELb0EEvPKvS3_PT_iiiii,comdat
	.globl	_ZL12mul_mat_q2_KIN3c104HalfELb0EEvPKvS3_PT_iiiii ; -- Begin function _ZL12mul_mat_q2_KIN3c104HalfELb0EEvPKvS3_PT_iiiii
	.p2align	8
	.type	_ZL12mul_mat_q2_KIN3c104HalfELb0EEvPKvS3_PT_iiiii,@function
_ZL12mul_mat_q2_KIN3c104HalfELb0EEvPKvS3_PT_iiiii: ; @_ZL12mul_mat_q2_KIN3c104HalfELb0EEvPKvS3_PT_iiiii
; %bb.0:
	s_clause 0x1
	s_load_b32 s2, s[0:1], 0x18
	s_load_b96 s[4:6], s[0:1], 0x20
	v_bfe_u32 v1, v0, 10, 10
	s_lshl_b32 s7, ttmp7, 6
	scratch_store_b32 off, v1, off offset:776 ; 4-byte Folded Spill
	v_and_b32_e32 v1, 0x3ff, v0
	scratch_store_b32 off, v1, off offset:696 ; 4-byte Folded Spill
	s_wait_kmcnt 0x0
	s_cmp_gt_i32 s2, 0xff
	s_cbranch_scc1 .LBB147_2
; %bb.1:
	v_bfe_u32 v4, v0, 10, 10
	v_and_b32_e32 v11, 0x3ff, v0
	s_mov_b32 s3, 0
	s_delay_alu instid0(VALU_DEP_2)
	v_add_nc_u32_e32 v1, s7, v4
	s_branch .LBB147_3
.LBB147_2:
	s_mov_b32 s3, -1
                                        ; implicit-def: $vgpr4
                                        ; implicit-def: $vgpr11
                                        ; implicit-def: $vgpr1
.LBB147_3:
	s_load_b64 s[8:9], s[0:1], 0x10
	s_lshl_b32 s14, ttmp9, 7
	s_and_not1_b32 vcc_lo, exec_lo, s3
	s_mov_b32 s11, 0
	s_cbranch_vccnz .LBB147_14
; %bb.4:
	s_ashr_i32 s3, s2, 31
	v_bfe_u32 v32, v0, 10, 10
	s_lshr_b32 s3, s3, 24
	s_add_co_i32 s10, s4, -1
	s_add_co_i32 s2, s2, s3
	s_delay_alu instid0(VALU_DEP_1) | instskip(SKIP_3) | instid1(VALU_DEP_2)
	v_dual_mov_b32 v37, 0 :: v_dual_add_nc_u32 v14, s7, v32
	s_ashr_i32 s15, s2, 8
	v_cvt_f64_i32_e32 v[1:2], s10
	s_lshl_b32 s16, s15, 3
	v_dual_mov_b32 v38, v37 :: v_dual_add_nc_u32 v5, 8, v14
	v_mad_i32_i24 v6, s15, v32, s16
	v_dual_mov_b32 v72, v37 :: v_dual_add_nc_u32 v7, 16, v14
	v_dual_mov_b32 v70, v37 :: v_dual_add_nc_u32 v9, 24, v14
	s_delay_alu instid0(VALU_DEP_3) | instskip(SKIP_3) | instid1(VALU_DEP_4)
	v_dual_mov_b32 v67, v37 :: v_dual_add_nc_u32 v12, s16, v6
	v_add_nc_u32_e32 v11, 32, v14
	v_dual_mov_b32 v76, v37 :: v_dual_add_nc_u32 v13, 40, v14
	v_dual_mov_b32 v222, v37 :: v_dual_add_nc_u32 v15, 48, v14
	;; [unrolled: 1-line block ×4, first 2 shown]
	v_cvt_f64_u32_e32 v[3:4], v14
	s_clause 0x1
	scratch_store_b32 off, v6, off offset:780
	scratch_store_b32 off, v12, off offset:784
	v_cvt_f64_u32_e32 v[5:6], v5
	v_cvt_f64_u32_e32 v[7:8], v7
	;; [unrolled: 1-line block ×4, first 2 shown]
	scratch_store_b32 off, v14, off offset:912 ; 4-byte Folded Spill
	v_cvt_f64_u32_e32 v[13:14], v13
	v_cvt_f64_u32_e32 v[15:16], v15
	v_dual_mov_b32 v78, v37 :: v_dual_add_nc_u32 v19, s16, v18
	scratch_store_b32 off, v18, off offset:788 ; 4-byte Folded Spill
	v_cvt_f64_u32_e32 v[17:18], v17
	v_dual_mov_b32 v90, v37 :: v_dual_and_b32 v35, 0x3ff, v0
	v_dual_mov_b32 v71, v37 :: v_dual_add_nc_u32 v22, s16, v19
	v_bfe_u32 v27, v0, 1, 9
	scratch_store_b32 off, v19, off offset:792 ; 4-byte Folded Spill
	v_dual_mov_b32 v82, v37 :: v_dual_lshlrev_b32 v19, 2, v35
	v_dual_mov_b32 v81, v37 :: v_dual_add_nc_u32 v26, s16, v22
	v_dual_mov_b32 v55, v37 :: v_dual_and_b32 v30, 1, v0
	v_lshl_add_u32 v27, v32, 4, v27
	s_delay_alu instid0(VALU_DEP_3)
	v_add_nc_u32_e32 v29, s16, v26
	s_clause 0x2
	scratch_store_b32 off, v22, off offset:800
	scratch_store_b32 off, v26, off offset:804
	;; [unrolled: 1-line block ×3, first 2 shown]
	v_and_b32_e32 v33, 60, v19
	scratch_store_b32 off, v29, off offset:808 ; 4-byte Folded Spill
	v_add_nc_u32_e32 v31, s16, v29
	v_lshlrev_b32_e32 v30, 2, v30
	v_dual_mov_b32 v88, v38 :: v_dual_add_nc_u32 v23, 32, v32
	v_dual_mov_b32 v74, v38 :: v_dual_add_nc_u32 v25, 48, v32
	v_min_num_f64_e32 v[3:4], v[3:4], v[1:2]
	scratch_store_b32 off, v31, off offset:816 ; 4-byte Folded Spill
	v_min_num_f64_e32 v[5:6], v[5:6], v[1:2]
	v_min_num_f64_e32 v[7:8], v[7:8], v[1:2]
	;; [unrolled: 1-line block ×4, first 2 shown]
	v_add_nc_u32_e32 v31, s16, v31
	v_min_num_f64_e32 v[13:14], v[13:14], v[1:2]
	v_min_num_f64_e32 v[15:16], v[15:16], v[1:2]
	v_mov_b32_e32 v87, v37
	v_mov_b32_e32 v73, v37
	scratch_store_b32 off, v31, off offset:820 ; 4-byte Folded Spill
	v_min_num_f64_e32 v[1:2], v[17:18], v[1:2]
	v_and_b32_e32 v18, 0x7f, v27
	v_add_nc_u32_e32 v31, s16, v31
	v_lshrrev_b32_e32 v27, 2, v27
	v_bfe_u32 v28, v0, 3, 7
	v_and_b32_e32 v29, 7, v0
	v_lshl_or_b32 v30, v18, 3, v30
	v_mul_i32_i24_e32 v18, s15, v18
	scratch_store_b32 off, v33, off offset:824 ; 4-byte Folded Spill
	v_mad_u32_u24 v33, 0x84, v32, v19
	scratch_store_b32 off, v31, off offset:832 ; 4-byte Folded Spill
	v_add_nc_u32_e32 v31, s16, v31
	v_and_b32_e32 v27, 28, v27
	s_clause 0x1
	scratch_store_b32 off, v18, off offset:852
	scratch_store_b32 off, v33, off offset:828
	v_lshl_add_u32 v28, v32, 2, v28
	scratch_store_b32 off, v31, off offset:836 ; 4-byte Folded Spill
	v_add_nc_u32_e32 v31, s16, v31
	v_add3_u32 v18, v30, v27, 0x7280
	v_cmp_lt_u32_e32 vcc_lo, 3, v29
	v_lshlrev_b32_e32 v17, 2, v29
	v_add_nc_u32_e32 v27, 32, v28
	scratch_store_b32 off, v31, off offset:840 ; 4-byte Folded Spill
	v_add_nc_u32_e32 v31, s16, v31
	v_lshlrev_b32_e32 v29, 5, v28
	s_ashr_i32 s12, s5, 31
	v_cvt_i32_f64_e32 v3, v[3:4]
	s_lshr_b32 s12, s12, 27
	v_add_nc_u32_e32 v33, s16, v31
	s_clause 0x2
	scratch_store_b32 off, v31, off offset:844
	scratch_store_b32 off, v18, off offset:856
	;; [unrolled: 1-line block ×3, first 2 shown]
	v_add_nc_u32_e32 v18, s16, v33
	s_lshl_b32 s16, s15, 5
	v_cvt_i32_f64_e32 v4, v[5:6]
	s_wait_alu 0xfffe
	v_mad_i32_i24 v30, s15, v28, s16
	v_cvt_i32_f64_e32 v6, v[7:8]
	v_cvt_i32_f64_e32 v2, v[1:2]
	scratch_store_b32 off, v18, off offset:860 ; 4-byte Folded Spill
	v_cndmask_b32_e64 v18, 0, 1, vcc_lo
	v_cvt_i32_f64_e32 v7, v[9:10]
	v_cvt_i32_f64_e32 v9, v[11:12]
	v_bfe_u32 v11, v0, 2, 8
	v_and_b32_e32 v31, 0x7fc, v28
	scratch_store_b32 off, v18, off offset:864 ; 4-byte Folded Spill
	v_and_b32_e32 v18, 12, v19
	v_add_nc_u32_e32 v8, 64, v28
	v_cvt_i32_f64_e32 v10, v[13:14]
	v_add_nc_u32_e32 v14, 0x60, v28
	v_lshl_add_u32 v1, v32, 3, v11
	scratch_store_b32 off, v18, off offset:868 ; 4-byte Folded Spill
	v_mul_i32_i24_e32 v18, s15, v28
	v_add_nc_u32_e32 v28, s16, v30
	v_and_b32_e32 v5, 0xffc, v27
	v_cvt_i32_f64_e32 v12, v[15:16]
	v_and_b32_e32 v13, 0xffc, v8
	s_clause 0x1
	scratch_store_b32 off, v18, off offset:872
	scratch_store_b32 off, v28, off offset:880
	v_lshlrev_b32_e32 v15, 5, v27
	v_and_b32_e32 v16, 0xffc, v14
	v_and_b32_e32 v27, 63, v1
	;; [unrolled: 1-line block ×3, first 2 shown]
	v_add_nc_u32_e32 v28, s16, v28
	v_add3_u32 v18, v31, v17, 0x6200
	v_add3_u32 v5, v5, v17, 0x6200
	scratch_store_b32 off, v30, off offset:876 ; 4-byte Folded Spill
	v_add3_u32 v13, v13, v17, 0x6200
	scratch_store_b32 off, v28, off offset:884 ; 4-byte Folded Spill
	v_add3_u32 v16, v16, v17, 0x6200
	v_or_b32_e32 v17, s7, v27
	v_lshlrev_b32_e32 v28, 2, v1
	s_add_co_i32 s5, s5, s12
	v_bfe_u32 v36, v0, 4, 6
	s_ashr_i32 s5, s5, 5
	v_min_i32_e32 v17, s10, v17
	v_lshl_or_b32 v27, v27, 4, v28
	v_and_b32_e32 v0, 31, v0
	v_dual_mov_b32 v65, v37 :: v_dual_add_nc_u32 v20, 8, v32
	s_delay_alu instid0(VALU_DEP_4) | instskip(NEXT) | instid1(VALU_DEP_4)
	v_mad_co_u64_u32 v[30:31], null, v17, s5, v[1:2]
	v_add_nc_u32_e32 v1, 0x76a0, v27
	v_mul_lo_u32 v2, s5, v2
	v_lshl_or_b32 v0, v0, 2, 0x4200
	v_dual_mov_b32 v66, v37 :: v_dual_add_nc_u32 v21, 16, v32
	s_clause 0x1
	scratch_store_b32 off, v1, off offset:700
	scratch_store_b32 off, v36, off offset:796
	v_mul_lo_u32 v1, s5, v3
	v_mul_lo_u32 v3, s5, v4
	;; [unrolled: 1-line block ×4, first 2 shown]
	s_load_b128 s[0:3], s[0:1], 0x0
	v_dual_mov_b32 v77, v37 :: v_dual_add_nc_u32 v22, 24, v32
	v_mul_lo_u32 v7, s5, v9
	s_clause 0x3
	scratch_store_b32 off, v1, off offset:704
	scratch_store_b32 off, v3, off offset:708
	;; [unrolled: 1-line block ×4, first 2 shown]
	v_lshlrev_b32_e32 v1, 7, v32
	v_lshlrev_b32_e32 v3, 7, v20
	;; [unrolled: 1-line block ×4, first 2 shown]
	v_mul_lo_u32 v9, s5, v10
	v_add_nc_u32_e32 v1, v0, v1
	scratch_store_b32 off, v2, off offset:732 ; 4-byte Folded Spill
	v_add_nc_u32_e32 v2, 32, v35
	v_dual_mov_b32 v83, v37 :: v_dual_add_nc_u32 v24, 40, v32
	scratch_store_b32 off, v1, off offset:744 ; 4-byte Folded Spill
	v_add_nc_u32_e32 v1, v0, v3
	scratch_store_b64 off, v[30:31], off offset:888 ; 8-byte Folded Spill
	v_lshrrev_b32_e32 v28, 2, v2
	v_lshrrev_b32_e32 v30, 4, v2
	v_lshlrev_b32_e32 v46, 5, v2
	v_lshlrev_b32_e32 v47, 3, v2
	v_add_nc_u32_e32 v2, v18, v29
	scratch_store_b32 off, v1, off offset:748 ; 4-byte Folded Spill
	v_add_nc_u32_e32 v1, v0, v4
	v_lshlrev_b32_e32 v8, 5, v8
	scratch_store_b32 off, v7, off offset:720 ; 4-byte Folded Spill
	v_lshlrev_b32_e32 v7, 7, v23
	s_clause 0x1
	scratch_store_b32 off, v2, off offset:896
	scratch_store_b32 off, v1, off offset:752
	v_add_nc_u32_e32 v2, v5, v15
	v_add_nc_u32_e32 v1, v0, v6
	v_mul_lo_u32 v10, s5, v12
	v_and_b32_e32 v19, 28, v19
	v_dual_mov_b32 v79, v37 :: v_dual_add_nc_u32 v26, 56, v32
	v_lshlrev_b32_e32 v14, 5, v14
	scratch_store_b32 off, v9, off offset:724 ; 4-byte Folded Spill
	v_lshlrev_b32_e32 v9, 7, v24
	s_clause 0x1
	scratch_store_b32 off, v2, off offset:900
	scratch_store_b32 off, v1, off offset:756
	v_add_nc_u32_e32 v2, v13, v8
	v_add_nc_u32_e32 v1, v0, v7
	s_wait_kmcnt 0x0
	v_add_co_u32 v19, s5, s2, v19
	v_lshlrev_b32_e32 v12, 7, v26
	v_add_nc_u32_e32 v17, 64, v35
	v_add_nc_u32_e32 v27, 0x60, v35
	v_lshlrev_b32_e32 v42, 5, v20
	s_wait_alu 0xf1ff
	v_add_co_ci_u32_e64 v20, null, s3, 0, s5
	scratch_store_b32 off, v10, off offset:728 ; 4-byte Folded Spill
	v_lshlrev_b32_e32 v10, 7, v25
	s_clause 0x1
	scratch_store_b32 off, v2, off offset:904
	scratch_store_b32 off, v1, off offset:760
	v_add_nc_u32_e32 v2, v16, v14
	v_add_nc_u32_e32 v1, v0, v9
	v_lshlrev_b32_e32 v40, 5, v32
	v_lshrrev_b32_e32 v31, 2, v17
	v_lshrrev_b32_e32 v32, 4, v17
	;; [unrolled: 1-line block ×4, first 2 shown]
	s_clause 0x1
	scratch_store_b32 off, v2, off offset:908
	scratch_store_b32 off, v1, off offset:764
	v_add_nc_u32_e32 v1, v0, v10
	v_add_nc_u32_e32 v0, v0, v12
	s_mul_i32 s12, s15, s14
	v_lshlrev_b32_e32 v43, 5, v21
	s_ashr_i32 s13, s12, 31
	v_lshlrev_b32_e32 v50, 5, v22
	v_lshlrev_b32_e32 v235, 5, v23
	;; [unrolled: 1-line block ×5, first 2 shown]
	v_mul_u32_u24_e32 v41, 0x84, v35
	v_lshlrev_b32_e32 v44, 5, v35
	v_lshlrev_b32_e32 v45, 3, v35
	;; [unrolled: 1-line block ×6, first 2 shown]
	s_clause 0x1
	scratch_store_b32 off, v1, off offset:768
	scratch_store_b32 off, v0, off offset:772
	v_lshlrev_b32_e32 v57, 2, v11
	v_lshlrev_b32_e32 v58, 2, v36
	;; [unrolled: 1-line block ×8, first 2 shown]
	v_mov_b32_e32 v0, v37
	s_mul_u64 s[12:13], s[12:13], 0x54
	s_mov_b32 s10, s11
	s_add_nc_u64 s[0:1], s[0:1], s[12:13]
	s_clause 0x1f
	scratch_store_b64 off, v[19:20], off offset:736
	scratch_store_b32 off, v0, off offset:72
	scratch_store_b32 off, v0, off offset:80
	;; [unrolled: 1-line block ×31, first 2 shown]
	s_clause 0x2
	scratch_store_b32 off, v60, off offset:248
	scratch_store_b32 off, v63, off offset:252
	;; [unrolled: 1-line block ×3, first 2 shown]
	s_branch .LBB147_6
.LBB147_5:                              ;   in Loop: Header=BB147_6 Depth=1
	s_add_co_i32 s10, s10, 2
	s_wait_alu 0xfffe
	s_cmp_ge_i32 s10, s15
	s_cbranch_scc1 .LBB147_16
.LBB147_6:                              ; =>This Loop Header: Depth=1
                                        ;     Child Loop BB147_8 Depth 2
                                        ;       Child Loop BB147_10 Depth 3
                                        ;       Child Loop BB147_12 Depth 3
	s_clause 0xa
	scratch_load_b32 v0, off, off offset:796
	scratch_load_b32 v2, off, off offset:776
	;; [unrolled: 1-line block ×11, first 2 shown]
	s_wait_alu 0xfffe
	s_mul_u64 s[12:13], s[10:11], 0x54
	s_lshl_b32 s5, s10, 3
	s_wait_alu 0xfffe
	s_add_nc_u64 s[12:13], s[0:1], s[12:13]
	s_wait_loadcnt 0xa
	s_wait_alu 0xfffe
	v_mad_co_u64_u32 v[0:1], null, 0x54, v0, s[12:13]
	s_wait_loadcnt 0x9
	v_mul_i32_i24_e32 v2, s15, v2
	s_delay_alu instid0(VALU_DEP_1)
	v_mad_co_u64_u32 v[2:3], null, 0x54, v2, v[0:1]
	s_wait_loadcnt 0x8
	v_mad_co_u64_u32 v[4:5], null, 0x54, v4, v[0:1]
	s_wait_loadcnt 0x7
	;; [unrolled: 2-line block ×4, first 2 shown]
	v_add_co_u32 v2, vcc_lo, v2, v20
	v_mad_co_u64_u32 v[10:11], null, 0x54, v10, v[0:1]
	s_wait_alu 0xfffd
	v_add_co_ci_u32_e64 v3, null, 0, v3, vcc_lo
	v_add_co_u32 v4, vcc_lo, v4, v20
	v_mad_co_u64_u32 v[12:13], null, 0x54, v12, v[0:1]
	s_wait_alu 0xfffd
	v_add_co_ci_u32_e64 v5, null, 0, v5, vcc_lo
	;; [unrolled: 4-line block ×3, first 2 shown]
	v_add_co_u32 v8, vcc_lo, v8, v20
	s_wait_loadcnt 0x1
	v_mad_co_u64_u32 v[16:17], null, 0x54, v16, v[0:1]
	s_wait_alu 0xfffd
	v_add_co_ci_u32_e64 v9, null, 0, v9, vcc_lo
	v_add_co_u32 v10, vcc_lo, v10, v20
	s_wait_alu 0xfffd
	v_add_co_ci_u32_e64 v11, null, 0, v11, vcc_lo
	v_add_co_u32 v12, vcc_lo, v12, v20
	;; [unrolled: 3-line block ×4, first 2 shown]
	s_wait_alu 0xfffd
	v_add_co_ci_u32_e64 v17, null, 0, v17, vcc_lo
	s_clause 0x7
	global_load_b32 v26, v[2:3], off offset:16
	global_load_b32 v27, v[4:5], off offset:16
	;; [unrolled: 1-line block ×8, first 2 shown]
	s_clause 0x7
	scratch_load_b32 v2, off, off offset:820
	scratch_load_b32 v6, off, off offset:832
	;; [unrolled: 1-line block ×8, first 2 shown]
	s_wait_loadcnt 0x10
	v_mad_co_u64_u32 v[18:19], null, 0x54, v18, v[0:1]
	s_clause 0x2
	scratch_load_b32 v16, off, off offset:864
	scratch_load_b32 v22, off, off offset:876
	scratch_load_b32 v34, off, off offset:884
	v_add_co_u32 v4, vcc_lo, v18, v20
	scratch_load_b32 v18, off, off offset:860 ; 4-byte Folded Reload
	s_wait_alu 0xfffd
	v_add_co_ci_u32_e64 v5, null, 0, v19, vcc_lo
	s_wait_loadcnt 0xb
	v_mad_co_u64_u32 v[2:3], null, 0x54, v2, v[0:1]
	s_wait_loadcnt 0xa
	v_mad_co_u64_u32 v[6:7], null, 0x54, v6, v[0:1]
	;; [unrolled: 2-line block ×4, first 2 shown]
	s_delay_alu instid0(VALU_DEP_4)
	v_add_co_u32 v2, vcc_lo, v2, v20
	s_wait_loadcnt 0x7
	v_mad_co_u64_u32 v[12:13], null, 0x54, v12, v[0:1]
	s_wait_alu 0xfffd
	v_add_co_ci_u32_e64 v3, null, 0, v3, vcc_lo
	v_add_co_u32 v6, vcc_lo, v6, v20
	s_wait_loadcnt 0x6
	v_mad_co_u64_u32 v[14:15], null, 0x54, v14, v[0:1]
	s_wait_alu 0xfffd
	v_add_co_ci_u32_e64 v7, null, 0, v7, vcc_lo
	v_add_co_u32 v8, vcc_lo, v8, v20
	s_wait_loadcnt 0x0
	v_mad_co_u64_u32 v[0:1], null, 0x54, v18, v[0:1]
	scratch_load_b32 v18, off, off offset:852 ; 4-byte Folded Reload
	v_mad_co_u64_u32 v[16:17], null, 0x54, v16, s[12:13]
	s_wait_alu 0xfffd
	v_add_co_ci_u32_e64 v9, null, 0, v9, vcc_lo
	v_add_co_u32 v10, vcc_lo, v10, v20
	s_wait_alu 0xfffd
	v_add_co_ci_u32_e64 v11, null, 0, v11, vcc_lo
	v_add_co_u32 v12, vcc_lo, v12, v20
	;; [unrolled: 3-line block ×5, first 2 shown]
	scratch_load_b32 v20, off, off offset:812 ; 4-byte Folded Reload
	s_wait_alu 0xfffd
	v_add_co_ci_u32_e64 v1, null, 0, v1, vcc_lo
	v_mad_co_u64_u32 v[22:23], null, 0x54, v22, v[16:17]
	v_mad_co_u64_u32 v[24:25], null, 0x54, v24, v[16:17]
	s_wait_loadcnt 0x1
	v_mad_co_u64_u32 v[18:19], null, 0x54, v18, s[12:13]
	s_mov_b32 s12, 0
	s_wait_loadcnt 0x0
	v_mad_co_u64_u32 v[18:19], null, 0x54, v20, v[18:19]
	scratch_load_b32 v20, off, off offset:872 ; 4-byte Folded Reload
	s_wait_loadcnt 0x0
	v_mad_co_u64_u32 v[20:21], null, 0x54, v20, v[16:17]
	v_mad_co_u64_u32 v[16:17], null, 0x54, v34, v[16:17]
	s_clause 0xc
	global_load_b32 v4, v[4:5], off offset:16
	global_load_b32 v2, v[2:3], off offset:16
	;; [unrolled: 1-line block ×9, first 2 shown]
	global_load_b32 v9, v[20:21], off
	global_load_b32 v10, v[22:23], off
	global_load_b32 v11, v[24:25], off
	global_load_b32 v12, v[16:17], off
	s_clause 0x1
	scratch_load_b32 v36, off, off offset:828
	scratch_load_b64 v[38:39], off, off offset:888
	s_wait_loadcnt 0x1
	v_add_nc_u32_e32 v13, 0x420, v36
	s_wait_loadcnt 0x0
	v_add_nc_u32_e32 v38, s5, v38
	v_add_nc_u32_e32 v14, 0x840, v36
	;; [unrolled: 1-line block ×15, first 2 shown]
	scratch_store_b32 off, v38, off offset:692 ; 4-byte Folded Spill
	ds_store_b32 v36, v26
	ds_store_b32 v13, v27
	;; [unrolled: 1-line block ×16, first 2 shown]
	scratch_load_b32 v0, off, off offset:856 ; 4-byte Folded Reload
	s_wait_loadcnt 0x0
	ds_store_b32 v0, v1
	scratch_load_b32 v0, off, off offset:896 ; 4-byte Folded Reload
	s_wait_loadcnt 0x0
	ds_store_b32 v0, v9
	;; [unrolled: 3-line block ×5, first 2 shown]
	s_branch .LBB147_8
.LBB147_7:                              ;   in Loop: Header=BB147_8 Depth=2
                                        ; implicit-def: $sgpr12
	s_wait_alu 0xfffe
	s_and_b32 vcc_lo, exec_lo, s13
	s_wait_alu 0xfffe
	s_cbranch_vccnz .LBB147_5
.LBB147_8:                              ;   Parent Loop BB147_6 Depth=1
                                        ; =>  This Loop Header: Depth=2
                                        ;       Child Loop BB147_10 Depth 3
                                        ;       Child Loop BB147_12 Depth 3
	s_wait_alu 0xfffe
	s_lshr_b32 s13, s12, 1
	s_wait_alu 0xfffe
	s_or_b32 s13, s13, s10
	s_wait_alu 0xfffe
	s_cmp_lt_i32 s13, s15
	s_mov_b32 s13, -1
	s_cbranch_scc0 .LBB147_7
; %bb.9:                                ;   in Loop: Header=BB147_8 Depth=2
	s_clause 0x3
	scratch_load_b32 v0, off, off offset:696
	scratch_load_b32 v2, off, off offset:708
	scratch_load_b64 v[17:18], off, off offset:736
	scratch_load_b32 v1, off, off offset:692
	s_or_b32 s16, s12, 1
	s_lshl_b32 s17, s12, 3
	s_wait_alu 0xfffe
	s_lshl_b32 s13, s16, 3
	scratch_load_b32 v3, off, off offset:712 ; 4-byte Folded Reload
	s_wait_loadcnt 0x4
	v_lshl_add_u32 v0, s12, 5, v0
	s_wait_loadcnt 0x1
	v_lshl_add_u32 v8, s12, 2, v1
	scratch_load_b32 v1, off, off offset:704 ; 4-byte Folded Reload
	v_lshrrev_b32_e32 v0, 3, v0
	v_mad_co_u64_u32 v[8:9], null, v8, 36, s[2:3]
	s_delay_alu instid0(VALU_DEP_2) | instskip(NEXT) | instid1(VALU_DEP_1)
	v_add_nc_u32_e32 v0, s5, v0
	v_add_nc_u32_e32 v2, v0, v2
	s_wait_loadcnt 0x1
	v_add_nc_u32_e32 v4, v0, v3
	scratch_load_b32 v3, off, off offset:716 ; 4-byte Folded Reload
	v_mad_co_i64_i32 v[4:5], null, v4, 36, v[17:18]
	s_wait_loadcnt 0x1
	v_add_nc_u32_e32 v1, v0, v1
	s_wait_loadcnt 0x0
	v_add_nc_u32_e32 v6, v0, v3
	scratch_load_b32 v3, off, off offset:720 ; 4-byte Folded Reload
	v_mad_co_i64_i32 v[6:7], null, v6, 36, v[17:18]
	s_wait_loadcnt 0x0
	v_add_nc_u32_e32 v12, v0, v3
	scratch_load_b32 v3, off, off offset:724 ; 4-byte Folded Reload
	v_mad_co_i64_i32 v[12:13], null, v12, 36, v[17:18]
	;; [unrolled: 4-line block ×3, first 2 shown]
	s_wait_loadcnt 0x0
	v_add_nc_u32_e32 v16, v0, v3
	scratch_load_b32 v3, off, off offset:732 ; 4-byte Folded Reload
	s_wait_loadcnt 0x0
	v_add_nc_u32_e32 v10, v0, v3
	v_mad_co_i64_i32 v[0:1], null, v1, 36, v[17:18]
	v_mad_co_i64_i32 v[2:3], null, v2, 36, v[17:18]
	s_delay_alu instid0(VALU_DEP_3)
	v_mad_co_i64_i32 v[10:11], null, v10, 36, v[17:18]
	v_mad_co_i64_i32 v[16:17], null, v16, 36, v[17:18]
	s_clause 0x8
	global_load_b32 v8, v[8:9], off
	global_load_b32 v9, v[10:11], off offset:4
	global_load_b32 v0, v[0:1], off offset:4
	;; [unrolled: 1-line block ×8, first 2 shown]
	s_wait_loadcnt 0x8
	v_cvt_f32_f16_e32 v7, v8
	scratch_load_b32 v8, off, off offset:772 ; 4-byte Folded Reload
	s_wait_loadcnt 0x0
	ds_store_b32 v8, v9
	scratch_load_b32 v8, off, off offset:744 ; 4-byte Folded Reload
	s_wait_loadcnt 0x0
	ds_store_b32 v8, v0
	;; [unrolled: 3-line block ×9, first 2 shown]
	s_wait_storecnt_dscnt 0x0
	s_barrier_signal -1
	s_barrier_wait -1
	global_inv scope:SCOPE_SE
	s_clause 0xd
	scratch_store_b64 off, v[37:38], off offset:48
	scratch_store_b32 off, v67, off offset:56
	scratch_store_b32 off, v70, off offset:60
	;; [unrolled: 1-line block ×13, first 2 shown]
.LBB147_10:                             ;   Parent Loop BB147_6 Depth=1
                                        ;     Parent Loop BB147_8 Depth=2
                                        ; =>    This Inner Loop Header: Depth=3
	s_lshl_b32 s18, s17, 2
	s_clause 0x6
	scratch_store_b64 off, v[87:88], off offset:124
	scratch_store_b64 off, v[73:74], off
	scratch_store_b32 off, v55, off offset:120
	scratch_store_b32 off, v66, off offset:116
	;; [unrolled: 1-line block ×5, first 2 shown]
	s_wait_alu 0xfffe
	s_and_b32 s18, s18, 24
	s_and_b32 s20, s17, 0x3ffffff8
	s_wait_alu 0xfffe
	v_or_b32_e32 v0, s18, v40
	v_lshl_add_u32 v26, s20, 2, v41
	s_and_b32 s19, s17, 6
	s_and_b32 s21, s17, 0x7ffffffe
	s_wait_alu 0xfffe
	s_add_co_i32 s20, s21, 0x6200
	v_lshlrev_b32_e32 v4, 2, v0
	v_lshrrev_b32_e32 v0, 1, v0
	s_lshr_b32 s21, s17, 2
	s_wait_alu 0xfffe
	v_add3_u32 v20, s20, v57, v44
	ds_load_b32 v117, v0 offset:30368
	ds_load_b128 v[0:3], v4 offset:16896
	ds_load_b128 v[4:7], v4 offset:16912
	s_and_b32 s21, s21, 0x3ffffffc
	v_add3_u32 v109, s20, v113, v46
	s_wait_alu 0xfffe
	s_addk_co_i32 s21, 0x7280
	s_add_co_i32 s17, s17, 2
	s_wait_loadcnt 0x1
	s_wait_alu 0xfffe
	v_add3_u32 v31, s21, v58, v45
	s_cmp_lt_u32 s17, s13
	ds_load_b32 v167, v31
	s_wait_dscnt 0x2
	v_ashrrev_i32_e32 v129, 24, v3
	s_wait_dscnt 0x1
	v_bfe_i32 v10, v4, 0, 8
	v_bfe_i32 v14, v5, 0, 8
	;; [unrolled: 1-line block ×4, first 2 shown]
	v_ashrrev_i32_e32 v13, 24, v4
	v_bfe_i32 v15, v5, 8, 8
	v_bfe_i32 v23, v6, 0, 8
	;; [unrolled: 1-line block ×4, first 2 shown]
	v_ashrrev_i32_e32 v19, 24, v6
	v_bfe_i32 v6, v7, 0, 8
	v_add_nc_u32_e32 v4, v14, v10
	v_bfe_i32 v25, v7, 8, 8
	v_bfe_i32 v21, v5, 16, 8
	v_ashrrev_i32_e32 v22, 24, v5
	v_bfe_i32 v17, v7, 16, 8
	v_add3_u32 v166, v4, v23, v6
	v_add_nc_u32_e32 v4, v15, v11
	v_ashrrev_i32_e32 v128, 24, v7
	s_delay_alu instid0(VALU_DEP_2)
	v_add3_u32 v127, v4, v24, v25
	ds_load_2addr_b32 v[4:5], v26 offset1:1
	s_wait_dscnt 0x0
	v_ashrrev_i32_e32 v8, s19, v4
	v_ashrrev_i32_e32 v9, s19, v5
	ds_load_2addr_b32 v[4:5], v26 offset0:2 offset1:3
	v_dual_mov_b32 v72, v183 :: v_dual_and_b32 v103, 3, v8
	v_bfe_u32 v186, v8, 8, 2
	v_bfe_u32 v82, v8, 16, 2
	;; [unrolled: 1-line block ×3, first 2 shown]
	v_and_b32_e32 v92, 3, v9
	v_bfe_u32 v94, v9, 8, 2
	v_bfe_u32 v95, v9, 16, 2
	;; [unrolled: 1-line block ×3, first 2 shown]
	s_wait_dscnt 0x0
	v_ashrrev_i32_e32 v27, s19, v4
	v_ashrrev_i32_e32 v28, s19, v5
	ds_load_2addr_b32 v[4:5], v26 offset0:4 offset1:5
	s_wait_loadcnt 0x0
	v_dual_mov_b32 v74, v235 :: v_dual_and_b32 v101, 3, v27
	v_bfe_u32 v102, v27, 8, 2
	v_bfe_u32 v218, v27, 16, 2
	;; [unrolled: 1-line block ×3, first 2 shown]
	v_and_b32_e32 v154, 3, v28
	v_bfe_u32 v148, v28, 8, 2
	v_bfe_u32 v152, v28, 16, 2
	;; [unrolled: 1-line block ×3, first 2 shown]
	s_delay_alu instid0(VALU_DEP_1)
	v_dual_mov_b32 v178, v152 :: v_dual_mov_b32 v169, v137
	v_mov_b32_e32 v150, v137
	s_wait_dscnt 0x0
	v_ashrrev_i32_e32 v29, s19, v4
	v_ashrrev_i32_e32 v30, s19, v5
	ds_load_2addr_b32 v[4:5], v26 offset0:6 offset1:7
	v_and_b32_e32 v172, 3, v29
	v_bfe_u32 v171, v29, 8, 2
	v_bfe_u32 v27, v29, 16, 2
	;; [unrolled: 1-line block ×3, first 2 shown]
	v_and_b32_e32 v198, 3, v30
	v_mul_i32_i24_e32 v8, v172, v10
	v_bfe_u32 v199, v30, 8, 2
	v_mul_i32_i24_e32 v9, v27, v12
	v_mov_b32_e32 v106, v27
	v_mul_i32_i24_e32 v27, v29, v13
	v_mad_i32_i24 v8, v171, v11, v8
	v_bfe_u32 v201, v30, 16, 2
	v_bfe_u32 v220, v30, 24, 2
	v_mov_b32_e32 v157, v29
	s_delay_alu instid0(VALU_DEP_4)
	v_add3_u32 v8, v8, v9, v27
	v_mul_i32_i24_e32 v9, v198, v14
	s_wait_dscnt 0x0
	v_ashrrev_i32_e32 v5, s19, v5
	v_mul_i32_i24_e32 v27, v199, v15
	v_ashrrev_i32_e32 v4, s19, v4
	v_mul_i32_i24_e32 v28, v201, v21
	v_mul_i32_i24_e32 v29, v220, v22
	v_and_b32_e32 v226, 3, v5
	v_bfe_u32 v227, v5, 8, 2
	v_bfe_u32 v34, v5, 16, 2
	;; [unrolled: 1-line block ×3, first 2 shown]
	v_add3_u32 v5, v8, v9, v27
	v_add_nc_u32_e32 v8, 0x1080, v26
	v_and_b32_e32 v222, 3, v4
	v_bfe_u32 v32, v4, 8, 2
	v_bfe_u32 v33, v4, 16, 2
	v_add3_u32 v5, v5, v28, v29
	ds_load_2addr_b32 v[8:9], v8 offset1:1
	v_mul_i32_i24_e32 v30, v222, v23
	v_mul_i32_i24_e32 v31, v32, v24
	v_bfe_u32 v4, v4, 24, 2
	v_dual_mov_b32 v141, v33 :: v_dual_add_nc_u32 v118, v22, v13
	v_mov_b32_e32 v230, v32
	v_mul_i32_i24_e32 v32, v33, v16
	s_delay_alu instid0(VALU_DEP_4)
	v_mul_i32_i24_e32 v33, v4, v19
	v_add3_u32 v5, v5, v30, v31
	v_mul_i32_i24_e32 v35, v226, v6
	v_mul_i32_i24_e32 v36, v227, v25
	v_mov_b32_e32 v217, v157
	v_dual_mov_b32 v145, v34 :: v_dual_add_nc_u32 v18, v21, v12
	v_add3_u32 v5, v5, v32, v33
	v_add3_u32 v33, s21, v59, v47
	v_mul_i32_i24_e32 v7, v138, v128
	s_delay_alu instid0(VALU_DEP_4)
	v_mov_b32_e32 v175, v145
	s_wait_dscnt 0x0
	v_ashrrev_i32_e32 v27, s19, v8
	v_add_nc_u32_e32 v8, 0x1088, v26
	v_ashrrev_i32_e32 v28, s19, v9
	ds_load_b32 v130, v33
	v_add3_u32 v5, v5, v35, v36
	v_and_b32_e32 v174, 3, v27
	ds_load_2addr_b32 v[8:9], v8 offset1:1
	v_and_b32_e32 v86, 3, v28
	v_bfe_u32 v125, v28, 8, 2
	v_bfe_u32 v131, v28, 16, 2
	;; [unrolled: 1-line block ×6, first 2 shown]
	s_wait_dscnt 0x0
	v_ashrrev_i32_e32 v29, s19, v8
	v_add_nc_u32_e32 v8, 0x1090, v26
	v_ashrrev_i32_e32 v30, s19, v9
	s_delay_alu instid0(VALU_DEP_3)
	v_and_b32_e32 v134, 3, v29
	ds_load_2addr_b32 v[8:9], v8 offset1:1
	v_bfe_u32 v135, v29, 8, 2
	v_bfe_u32 v177, v29, 16, 2
	;; [unrolled: 1-line block ×3, first 2 shown]
	v_and_b32_e32 v173, 3, v30
	v_mov_b32_e32 v221, v106
	v_bfe_u32 v116, v30, 8, 2
	v_bfe_u32 v225, v30, 16, 2
	;; [unrolled: 1-line block ×3, first 2 shown]
	s_delay_alu instid0(VALU_DEP_1) | instskip(SKIP_4) | instid1(VALU_DEP_3)
	v_mov_b32_e32 v181, v100
	s_wait_dscnt 0x0
	v_ashrrev_i32_e32 v31, s19, v8
	v_add_nc_u32_e32 v8, 0x1098, v26
	v_ashrrev_i32_e32 v32, s19, v9
	v_and_b32_e32 v28, 3, v31
	ds_load_2addr_b32 v[8:9], v8 offset1:1
	v_bfe_u32 v120, v31, 8, 2
	v_bfe_u32 v108, v31, 16, 2
	;; [unrolled: 1-line block ×3, first 2 shown]
	v_mul_i32_i24_e32 v27, v28, v10
	v_dual_mov_b32 v231, v28 :: v_dual_and_b32 v234, 3, v32
	s_delay_alu instid0(VALU_DEP_4) | instskip(NEXT) | instid1(VALU_DEP_4)
	v_mul_i32_i24_e32 v28, v108, v12
	v_mul_i32_i24_e32 v29, v213, v13
	s_delay_alu instid0(VALU_DEP_4)
	v_mad_i32_i24 v27, v120, v11, v27
	v_bfe_u32 v235, v32, 8, 2
	v_bfe_u32 v214, v32, 16, 2
	;; [unrolled: 1-line block ×3, first 2 shown]
	v_mov_b32_e32 v119, v231
	v_add3_u32 v27, v27, v28, v29
	v_mul_i32_i24_e32 v28, v234, v14
	v_mul_i32_i24_e32 v29, v235, v15
	;; [unrolled: 1-line block ×4, first 2 shown]
	s_wait_dscnt 0x0
	v_ashrrev_i32_e32 v8, s19, v8
	v_ashrrev_i32_e32 v9, s19, v9
	s_delay_alu instid0(VALU_DEP_2) | instskip(SKIP_1) | instid1(VALU_DEP_3)
	v_and_b32_e32 v236, 3, v8
	v_bfe_u32 v237, v8, 8, 2
	v_and_b32_e32 v238, 3, v9
	v_bfe_u32 v122, v9, 8, 2
	v_bfe_u32 v196, v9, 16, 2
	;; [unrolled: 1-line block ×3, first 2 shown]
	v_add3_u32 v9, v27, v28, v29
	v_mul_i32_i24_e32 v32, v236, v23
	v_mul_i32_i24_e32 v33, v237, v24
	v_bfe_u32 v215, v8, 16, 2
	v_bfe_u32 v216, v8, 24, 2
	v_add3_u32 v9, v9, v30, v31
	v_mul_i32_i24_e32 v36, v238, v6
	v_mul_i32_i24_e32 v37, v122, v25
	v_mul_i32_i24_e32 v35, v215, v16
	v_mul_i32_i24_e32 v8, v216, v19
	v_add3_u32 v9, v9, v32, v33
	v_mul_i32_i24_e32 v38, v196, v17
	v_add3_u32 v33, s20, v68, v48
	s_delay_alu instid0(VALU_DEP_3)
	v_add3_u32 v8, v9, v35, v8
	scratch_store_b32 off, v33, off offset:388 ; 4-byte Folded Spill
	v_add3_u32 v33, s21, v60, v49
	v_add3_u32 v8, v8, v36, v37
	scratch_store_b32 off, v38, off offset:376 ; 4-byte Folded Spill
	ds_load_b32 v33, v33
	scratch_store_b32 off, v8, off offset:380 ; 4-byte Folded Spill
	v_add_nc_u32_e32 v8, 0x2100, v26
	ds_load_2addr_b32 v[8:9], v8 offset1:1
	s_wait_dscnt 0x1
	scratch_store_b32 off, v33, off offset:452 ; 4-byte Folded Spill
	s_wait_dscnt 0x0
	v_ashrrev_i32_e32 v27, s19, v8
	v_add_nc_u32_e32 v8, 0x2108, v26
	v_ashrrev_i32_e32 v28, s19, v9
	s_delay_alu instid0(VALU_DEP_3)
	v_and_b32_e32 v107, 3, v27
	ds_load_2addr_b32 v[8:9], v8 offset1:1
	v_and_b32_e32 v164, 3, v28
	v_bfe_u32 v76, v28, 8, 2
	v_bfe_u32 v89, v28, 16, 2
	;; [unrolled: 1-line block ×6, first 2 shown]
	s_delay_alu instid0(VALU_DEP_1)
	v_mov_b32_e32 v98, v70
	s_wait_dscnt 0x0
	v_ashrrev_i32_e32 v29, s19, v8
	v_add_nc_u32_e32 v8, 0x2110, v26
	v_ashrrev_i32_e32 v30, s19, v9
	v_mov_b32_e32 v142, v4
	v_mul_i32_i24_e32 v4, v34, v17
	v_and_b32_e32 v111, 3, v29
	ds_load_2addr_b32 v[8:9], v8 offset1:1
	v_bfe_u32 v179, v30, 16, 2
	v_and_b32_e32 v180, 3, v30
	v_bfe_u32 v205, v30, 8, 2
	v_bfe_u32 v159, v30, 24, 2
	;; [unrolled: 1-line block ×5, first 2 shown]
	s_delay_alu instid0(VALU_DEP_4) | instskip(SKIP_4) | instid1(VALU_DEP_3)
	v_mul_i32_i24_e32 v68, v159, v129
	s_wait_dscnt 0x0
	v_ashrrev_i32_e32 v31, s19, v8
	v_add_nc_u32_e32 v8, 0x2118, v26
	v_ashrrev_i32_e32 v32, s19, v9
	v_and_b32_e32 v28, 3, v31
	ds_load_2addr_b32 v[8:9], v8 offset1:1
	v_bfe_u32 v30, v31, 8, 2
	v_bfe_u32 v184, v31, 16, 2
	;; [unrolled: 1-line block ×3, first 2 shown]
	v_mul_i32_i24_e32 v27, v28, v10
	s_delay_alu instid0(VALU_DEP_4)
	v_dual_mov_b32 v79, v28 :: v_dual_mov_b32 v80, v30
	v_and_b32_e32 v91, 3, v32
	v_mul_i32_i24_e32 v28, v184, v12
	v_mul_i32_i24_e32 v29, v197, v13
	v_mad_i32_i24 v27, v30, v11, v27
	v_bfe_u32 v183, v32, 8, 2
	v_bfe_u32 v185, v32, 16, 2
	v_bfe_u32 v189, v32, 24, 2
	v_mov_b32_e32 v144, v79
	v_add3_u32 v27, v27, v28, v29
	v_mul_i32_i24_e32 v28, v91, v14
	v_mul_i32_i24_e32 v29, v183, v15
	;; [unrolled: 1-line block ×4, first 2 shown]
	s_wait_dscnt 0x0
	v_ashrrev_i32_e32 v8, s19, v8
	v_ashrrev_i32_e32 v9, s19, v9
	v_mov_b32_e32 v139, v80
	v_mov_b32_e32 v147, v144
	s_delay_alu instid0(VALU_DEP_4)
	v_and_b32_e32 v187, 3, v8
	v_bfe_u32 v188, v8, 8, 2
	v_and_b32_e32 v191, 3, v9
	v_bfe_u32 v192, v9, 8, 2
	v_bfe_u32 v193, v9, 16, 2
	;; [unrolled: 1-line block ×3, first 2 shown]
	v_add3_u32 v9, v27, v28, v29
	v_mul_i32_i24_e32 v32, v187, v23
	v_mul_i32_i24_e32 v33, v188, v24
	v_bfe_u32 v190, v8, 16, 2
	v_bfe_u32 v156, v8, 24, 2
	v_add3_u32 v9, v9, v30, v31
	v_mul_i32_i24_e32 v36, v191, v6
	v_mul_i32_i24_e32 v37, v192, v25
	;; [unrolled: 1-line block ×4, first 2 shown]
	v_add3_u32 v9, v9, v32, v33
	v_mul_i32_i24_e32 v83, v193, v17
	s_delay_alu instid0(VALU_DEP_2) | instskip(NEXT) | instid1(VALU_DEP_1)
	v_add3_u32 v8, v9, v35, v8
	v_add3_u32 v84, v8, v36, v37
	v_add_nc_u32_e32 v8, 0x3180, v26
	ds_load_2addr_b32 v[8:9], v8 offset1:1
	s_wait_dscnt 0x0
	v_ashrrev_i32_e32 v27, s19, v8
	v_add_nc_u32_e32 v8, 0x3188, v26
	v_ashrrev_i32_e32 v28, s19, v9
	s_delay_alu instid0(VALU_DEP_3)
	v_and_b32_e32 v58, 3, v27
	ds_load_2addr_b32 v[8:9], v8 offset1:1
	v_bfe_u32 v47, v27, 8, 2
	v_bfe_u32 v65, v27, 16, 2
	;; [unrolled: 1-line block ×6, first 2 shown]
	v_mov_b32_e32 v113, v58
	v_mov_b32_e32 v67, v66
	s_wait_dscnt 0x0
	v_ashrrev_i32_e32 v29, s19, v8
	v_add_nc_u32_e32 v8, 0x3190, v26
	v_ashrrev_i32_e32 v30, s19, v9
	s_delay_alu instid0(VALU_DEP_3)
	v_bfe_u32 v110, v29, 8, 2
	ds_load_2addr_b32 v[8:9], v8 offset1:1
	v_bfe_u32 v224, v29, 16, 2
	v_bfe_u32 v219, v29, 24, 2
	v_and_b32_e32 v160, 3, v30
	v_bfe_u32 v168, v30, 8, 2
	v_bfe_u32 v153, v30, 16, 2
	v_bfe_u32 v99, v30, 24, 2
	s_delay_alu instid0(VALU_DEP_1)
	v_mov_b32_e32 v143, v99
	s_wait_dscnt 0x0
	v_ashrrev_i32_e32 v31, s19, v8
	v_add_nc_u32_e32 v8, 0x3198, v26
	v_add3_u32 v26, s20, v63, v51
	scratch_store_b32 off, v127, off offset:628 ; 4-byte Folded Spill
	v_ashrrev_i32_e32 v32, s19, v9
	v_bfe_u32 v27, v31, 16, 2
	ds_load_2addr_b32 v[8:9], v8 offset1:1
	scratch_store_b32 off, v26, off offset:384 ; 4-byte Folded Spill
	v_add3_u32 v26, s21, v64, v56
	v_bfe_u32 v244, v31, 24, 2
	v_mul_i32_i24_e32 v12, v27, v12
	v_bfe_u32 v246, v32, 8, 2
	v_bfe_u32 v105, v32, 16, 2
	ds_load_b32 v26, v26
	v_mul_i32_i24_e32 v13, v244, v13
	v_mov_b32_e32 v242, v27
	s_wait_dscnt 0x1
	v_ashrrev_i32_e32 v8, s19, v8
	v_ashrrev_i32_e32 v9, s19, v9
	s_delay_alu instid0(VALU_DEP_2)
	v_bfe_u32 v212, v8, 8, 2
	v_and_b32_e32 v211, 3, v8
	s_wait_dscnt 0x0
	scratch_store_b32 off, v26, off offset:456 ; 4-byte Folded Spill
	v_and_b32_e32 v26, 3, v31
	v_bfe_u32 v206, v9, 16, 2
	v_bfe_u32 v140, v9, 24, 2
	v_and_b32_e32 v34, 3, v28
	s_delay_alu instid0(VALU_DEP_4) | instskip(SKIP_3) | instid1(VALU_DEP_2)
	v_mul_i32_i24_e32 v10, v26, v10
	v_mov_b32_e32 v241, v26
	v_bfe_u32 v26, v31, 8, 2
	v_mov_b32_e32 v151, v140
	v_mad_i32_i24 v10, v26, v11, v10
	v_dual_mov_b32 v243, v26 :: v_dual_mov_b32 v182, v154
	s_delay_alu instid0(VALU_DEP_2)
	v_add3_u32 v10, v10, v12, v13
	v_mul_i32_i24_e32 v12, v246, v15
	v_mul_i32_i24_e32 v13, v105, v21
	v_bfe_u32 v15, v32, 24, 2
	v_mul_i32_i24_e32 v21, v212, v24
	v_bfe_u32 v24, v9, 8, 2
	v_and_b32_e32 v245, 3, v32
	s_delay_alu instid0(VALU_DEP_4) | instskip(NEXT) | instid1(VALU_DEP_3)
	v_dual_mov_b32 v149, v182 :: v_dual_mov_b32 v248, v15
	v_mov_b32_e32 v254, v24
	s_delay_alu instid0(VALU_DEP_3) | instskip(SKIP_3) | instid1(VALU_DEP_1)
	v_mul_i32_i24_e32 v11, v245, v14
	v_mul_i32_i24_e32 v14, v15, v22
	;; [unrolled: 1-line block ×3, first 2 shown]
	v_bfe_u32 v23, v8, 16, 2
	v_mul_i32_i24_e32 v22, v23, v16
	v_mov_b32_e32 v251, v23
	v_bfe_u32 v23, v8, 24, 2
	v_and_b32_e32 v165, 3, v29
	s_delay_alu instid0(VALU_DEP_3) | instskip(NEXT) | instid1(VALU_DEP_3)
	v_mov_b32_e32 v97, v251
	v_mul_i32_i24_e32 v8, v23, v19
	v_dual_mov_b32 v252, v23 :: v_dual_and_b32 v23, 3, v9
	v_add3_u32 v9, v10, v11, v12
	s_delay_alu instid0(VALU_DEP_2) | instskip(NEXT) | instid1(VALU_DEP_2)
	v_mul_i32_i24_e32 v6, v23, v6
	v_add3_u32 v9, v9, v13, v14
	v_mov_b32_e32 v253, v23
	v_mul_i32_i24_e32 v23, v24, v25
	v_mul_i32_i24_e32 v25, v206, v17
	s_delay_alu instid0(VALU_DEP_4) | instskip(NEXT) | instid1(VALU_DEP_4)
	v_add3_u32 v9, v9, v15, v21
	v_mov_b32_e32 v239, v253
	s_delay_alu instid0(VALU_DEP_2) | instskip(NEXT) | instid1(VALU_DEP_1)
	v_add3_u32 v8, v9, v22, v8
	v_add3_u32 v6, v8, v6, v23
	scratch_store_b32 off, v6, off offset:448 ; 4-byte Folded Spill
	v_or_b32_e32 v6, s18, v42
	s_delay_alu instid0(VALU_DEP_1)
	v_lshlrev_b32_e32 v75, 2, v6
	v_lshrrev_b32_e32 v6, 1, v6
	ds_load_b32 v6, v6 offset:30368
	scratch_store_b32 off, v25, off offset:444 ; 4-byte Folded Spill
	s_wait_dscnt 0x0
	scratch_store_b32 off, v6, off offset:396 ; 4-byte Folded Spill
	v_or_b32_e32 v6, s18, v43
	s_delay_alu instid0(VALU_DEP_1)
	v_lshlrev_b32_e32 v12, 2, v6
	v_lshrrev_b32_e32 v6, 1, v6
	ds_load_b32 v6, v6 offset:30368
	s_wait_dscnt 0x0
	scratch_store_b32 off, v6, off offset:420 ; 4-byte Folded Spill
	ds_load_b128 v[8:11], v12 offset:16896
	ds_load_b128 v[12:15], v12 offset:16912
	scratch_store_b32 off, v143, off offset:632 ; 4-byte Folded Spill
	s_wait_dscnt 0x1
	v_bfe_i32 v31, v11, 16, 8
	s_wait_dscnt 0x0
	v_bfe_i32 v32, v12, 0, 8
	v_bfe_i32 v33, v12, 8, 8
	v_bfe_i32 v35, v12, 16, 8
	v_ashrrev_i32_e32 v12, 24, v12
	v_bfe_i32 v36, v13, 0, 8
	v_bfe_i32 v37, v13, 8, 8
	v_bfe_i32 v38, v13, 16, 8
	v_ashrrev_i32_e32 v13, 24, v13
	;; [unrolled: 4-line block ×4, first 2 shown]
	v_add_nc_u32_e32 v45, v13, v12
	v_bfe_i32 v6, v8, 0, 8
	v_bfe_i32 v21, v8, 8, 8
	v_bfe_i32 v22, v8, 16, 8
	v_ashrrev_i32_e32 v8, 24, v8
	v_add3_u32 v45, v45, v14, v15
	v_bfe_i32 v23, v9, 0, 8
	v_bfe_i32 v24, v9, 8, 8
	;; [unrolled: 1-line block ×3, first 2 shown]
	v_ashrrev_i32_e32 v9, 24, v9
	scratch_store_b32 off, v45, off offset:424 ; 4-byte Folded Spill
	v_add_nc_u32_e32 v45, v38, v35
	v_mul_i32_i24_e32 v63, v152, v31
	v_mov_b32_e32 v152, v115
	v_bfe_i32 v26, v10, 0, 8
	v_bfe_i32 v27, v10, 8, 8
	v_add3_u32 v45, v45, v41, v44
	v_bfe_i32 v28, v10, 16, 8
	v_ashrrev_i32_e32 v10, 24, v10
	v_bfe_i32 v29, v11, 0, 8
	v_bfe_i32 v30, v11, 8, 8
	scratch_store_b32 off, v45, off offset:428 ; 4-byte Folded Spill
	v_add_nc_u32_e32 v45, v36, v32
	v_ashrrev_i32_e32 v11, 24, v11
	v_mul_i32_i24_e32 v61, v154, v29
	v_mov_b32_e32 v154, v116
	v_mul_i32_i24_e32 v46, v22, v82
	v_add3_u32 v45, v45, v39, v42
	v_mul_i32_i24_e32 v48, v8, v136
	v_mul_i32_i24_e32 v49, v95, v25
	;; [unrolled: 1-line block ×4, first 2 shown]
	scratch_store_b32 off, v45, off offset:432 ; 4-byte Folded Spill
	v_add_nc_u32_e32 v45, v37, v33
	v_mul_i32_i24_e32 v57, v102, v27
	v_mul_i32_i24_e32 v59, v218, v28
	;; [unrolled: 1-line block ×4, first 2 shown]
	v_add3_u32 v45, v45, v40, v43
	v_mul_i32_i24_e32 v64, v137, v11
	v_mov_b32_e32 v137, v248
	scratch_store_b32 off, v45, off offset:436 ; 4-byte Folded Spill
	v_add_nc_u32_e32 v45, v9, v8
	s_delay_alu instid0(VALU_DEP_1) | instskip(SKIP_2) | instid1(VALU_DEP_1)
	v_add3_u32 v45, v45, v10, v11
	scratch_store_b32 off, v45, off offset:440 ; 4-byte Folded Spill
	v_add_nc_u32_e32 v45, v25, v22
	v_add3_u32 v45, v45, v28, v31
	scratch_store_b32 off, v45, off offset:460 ; 4-byte Folded Spill
	v_add_nc_u32_e32 v45, v24, v21
	s_delay_alu instid0(VALU_DEP_1) | instskip(SKIP_2) | instid1(VALU_DEP_1)
	v_add3_u32 v45, v45, v27, v30
	scratch_store_b32 off, v45, off offset:464 ; 4-byte Folded Spill
	v_add_nc_u32_e32 v45, v23, v6
	v_add3_u32 v240, v45, v26, v29
	v_mul_i32_i24_e32 v45, v6, v103
	s_delay_alu instid0(VALU_DEP_1) | instskip(NEXT) | instid1(VALU_DEP_1)
	v_mad_i32_i24 v45, v21, v186, v45
	v_add3_u32 v45, v45, v46, v48
	v_mul_i32_i24_e32 v46, v92, v23
	v_mul_i32_i24_e32 v48, v94, v24
	s_delay_alu instid0(VALU_DEP_1) | instskip(SKIP_3) | instid1(VALU_DEP_4)
	v_add3_u32 v45, v45, v46, v48
	v_mul_i32_i24_e32 v46, v106, v35
	v_mul_i32_i24_e32 v48, v157, v12
	v_dual_mov_b32 v106, v252 :: v_dual_mov_b32 v157, v179
	v_add3_u32 v45, v45, v49, v51
	v_mul_i32_i24_e32 v49, v201, v38
	v_mul_i32_i24_e32 v51, v220, v13
	s_delay_alu instid0(VALU_DEP_3) | instskip(SKIP_2) | instid1(VALU_DEP_3)
	v_add3_u32 v45, v45, v56, v57
	v_mul_i32_i24_e32 v56, v222, v39
	v_mul_i32_i24_e32 v57, v230, v40
	v_add3_u32 v45, v45, v59, v60
	v_mul_i32_i24_e32 v59, v141, v41
	v_mul_i32_i24_e32 v60, v142, v14
	s_delay_alu instid0(VALU_DEP_3) | instskip(SKIP_2) | instid1(VALU_DEP_3)
	v_add3_u32 v45, v45, v61, v62
	v_mul_i32_i24_e32 v61, v226, v42
	v_mul_i32_i24_e32 v62, v227, v43
	v_add3_u32 v45, v45, v63, v64
	v_mul_i32_i24_e32 v63, v145, v44
	v_mul_i32_i24_e32 v64, v138, v15
	scratch_store_b32 off, v45, off offset:328 ; 4-byte Folded Spill
	v_mul_i32_i24_e32 v45, v172, v32
	s_delay_alu instid0(VALU_DEP_1) | instskip(NEXT) | instid1(VALU_DEP_1)
	v_mad_i32_i24 v45, v171, v33, v45
	v_add3_u32 v45, v45, v46, v48
	v_mul_i32_i24_e32 v46, v198, v36
	v_mul_i32_i24_e32 v48, v199, v37
	s_delay_alu instid0(VALU_DEP_1) | instskip(SKIP_2) | instid1(VALU_DEP_3)
	v_add3_u32 v45, v45, v46, v48
	v_mul_i32_i24_e32 v46, v22, v53
	v_mul_i32_i24_e32 v48, v8, v52
	v_add3_u32 v45, v45, v49, v51
	v_mul_i32_i24_e32 v49, v131, v25
	v_mul_i32_i24_e32 v51, v133, v9
	s_delay_alu instid0(VALU_DEP_3) | instskip(SKIP_2) | instid1(VALU_DEP_3)
	v_add3_u32 v45, v45, v56, v57
	v_mul_i32_i24_e32 v56, v134, v26
	v_mul_i32_i24_e32 v57, v135, v27
	v_add3_u32 v45, v45, v59, v60
	v_mul_i32_i24_e32 v59, v177, v28
	v_mul_i32_i24_e32 v60, v115, v10
	s_delay_alu instid0(VALU_DEP_3) | instskip(SKIP_3) | instid1(VALU_DEP_4)
	v_add3_u32 v45, v45, v61, v62
	v_mul_i32_i24_e32 v61, v173, v29
	v_mul_i32_i24_e32 v62, v116, v30
	v_mov_b32_e32 v116, v67
	v_add3_u32 v45, v45, v63, v64
	v_mul_i32_i24_e32 v63, v225, v31
	v_mul_i32_i24_e32 v64, v100, v11
	scratch_store_b32 off, v45, off offset:316 ; 4-byte Folded Spill
	v_mul_i32_i24_e32 v45, v6, v174
	s_delay_alu instid0(VALU_DEP_1) | instskip(NEXT) | instid1(VALU_DEP_1)
	v_mad_i32_i24 v45, v21, v55, v45
	v_add3_u32 v45, v45, v46, v48
	v_mul_i32_i24_e32 v46, v86, v23
	v_mul_i32_i24_e32 v48, v125, v24
	s_delay_alu instid0(VALU_DEP_1) | instskip(SKIP_2) | instid1(VALU_DEP_3)
	v_add3_u32 v45, v45, v46, v48
	v_mul_i32_i24_e32 v46, v108, v35
	v_mul_i32_i24_e32 v48, v213, v12
	v_add3_u32 v45, v45, v49, v51
	v_mul_i32_i24_e32 v49, v214, v38
	v_mul_i32_i24_e32 v51, v195, v13
	s_delay_alu instid0(VALU_DEP_3) | instskip(SKIP_2) | instid1(VALU_DEP_3)
	v_add3_u32 v45, v45, v56, v57
	v_mul_i32_i24_e32 v56, v236, v39
	v_mul_i32_i24_e32 v57, v237, v40
	v_add3_u32 v45, v45, v59, v60
	v_mul_i32_i24_e32 v59, v215, v41
	v_mul_i32_i24_e32 v60, v216, v14
	s_delay_alu instid0(VALU_DEP_3) | instskip(SKIP_2) | instid1(VALU_DEP_3)
	v_add3_u32 v45, v45, v61, v62
	v_mul_i32_i24_e32 v61, v238, v42
	v_mul_i32_i24_e32 v62, v122, v43
	v_add3_u32 v45, v45, v63, v64
	v_mul_i32_i24_e32 v63, v196, v44
	v_mul_i32_i24_e32 v64, v155, v15
	scratch_store_b32 off, v45, off offset:320 ; 4-byte Folded Spill
	v_mul_i32_i24_e32 v45, v231, v32
	s_delay_alu instid0(VALU_DEP_1) | instskip(NEXT) | instid1(VALU_DEP_1)
	v_mad_i32_i24 v45, v120, v33, v45
	v_add3_u32 v45, v45, v46, v48
	v_mul_i32_i24_e32 v46, v234, v36
	v_mul_i32_i24_e32 v48, v235, v37
	s_delay_alu instid0(VALU_DEP_1)
	v_add3_u32 v45, v45, v46, v48
	v_mul_i32_i24_e32 v46, v22, v71
	v_mul_i32_i24_e32 v48, v8, v70
	;; [unrolled: 1-line block ×4, first 2 shown]
	v_add3_u32 v45, v45, v49, v51
	v_mul_i32_i24_e32 v49, v89, v25
	v_mul_i32_i24_e32 v51, v90, v9
	v_mul_i32_i24_e32 v9, v81, v9
	s_delay_alu instid0(VALU_DEP_4) | instskip(SKIP_2) | instid1(VALU_DEP_3)
	v_add3_u32 v45, v45, v56, v57
	v_mul_i32_i24_e32 v56, v111, v26
	v_mul_i32_i24_e32 v57, v112, v27
	v_add3_u32 v45, v45, v59, v60
	v_mul_i32_i24_e32 v59, v162, v28
	v_mul_i32_i24_e32 v60, v203, v10
	;; [unrolled: 1-line block ×3, first 2 shown]
	s_delay_alu instid0(VALU_DEP_4) | instskip(SKIP_2) | instid1(VALU_DEP_3)
	v_add3_u32 v45, v45, v61, v62
	v_mul_i32_i24_e32 v61, v180, v29
	v_mul_i32_i24_e32 v62, v205, v30
	v_add3_u32 v45, v45, v63, v64
	v_mul_i32_i24_e32 v63, v179, v31
	v_mul_i32_i24_e32 v64, v159, v11
	;; [unrolled: 1-line block ×3, first 2 shown]
	v_mov_b32_e32 v99, v71
	scratch_store_b32 off, v45, off offset:324 ; 4-byte Folded Spill
	v_mul_i32_i24_e32 v45, v6, v107
	v_mul_i32_i24_e32 v6, v6, v58
	s_delay_alu instid0(VALU_DEP_2) | instskip(NEXT) | instid1(VALU_DEP_2)
	v_mad_i32_i24 v45, v21, v161, v45
	v_mad_i32_i24 v6, v21, v47, v6
	v_mul_i32_i24_e32 v21, v77, v24
	s_delay_alu instid0(VALU_DEP_3)
	v_add3_u32 v45, v45, v46, v48
	v_mul_i32_i24_e32 v46, v164, v23
	v_mul_i32_i24_e32 v48, v76, v24
	v_add3_u32 v6, v6, v22, v8
	v_mul_i32_i24_e32 v8, v34, v23
	v_mul_i32_i24_e32 v22, v78, v25
	;; [unrolled: 1-line block ×3, first 2 shown]
	v_add3_u32 v45, v45, v46, v48
	v_mul_i32_i24_e32 v24, v110, v27
	v_add3_u32 v6, v6, v8, v21
	v_mul_i32_i24_e32 v25, v224, v28
	v_mul_i32_i24_e32 v26, v160, v29
	v_add3_u32 v45, v45, v49, v51
	v_mul_i32_i24_e32 v27, v168, v30
	v_add3_u32 v6, v6, v22, v9
	v_mul_i32_i24_e32 v28, v153, v31
	v_mul_i32_i24_e32 v46, v184, v35
	;; [unrolled: 5-line block ×6, first 2 shown]
	scratch_store_b32 off, v45, off offset:400 ; 4-byte Folded Spill
	v_mul_i32_i24_e32 v45, v144, v32
	scratch_store_b32 off, v6, off offset:408 ; 4-byte Folded Spill
	v_mul_i32_i24_e32 v6, v241, v32
	v_mul_i32_i24_e32 v60, v156, v14
	;; [unrolled: 1-line block ×3, first 2 shown]
	v_mad_i32_i24 v45, v139, v33, v45
	v_mul_i32_i24_e32 v14, v252, v14
	v_mad_i32_i24 v6, v243, v33, v6
	v_mul_i32_i24_e32 v61, v191, v42
	v_mul_i32_i24_e32 v62, v192, v43
	v_add3_u32 v45, v45, v46, v48
	v_mul_i32_i24_e32 v46, v91, v36
	v_mul_i32_i24_e32 v48, v183, v37
	v_add3_u32 v6, v6, v8, v9
	v_mul_i32_i24_e32 v8, v245, v36
	v_mul_i32_i24_e32 v9, v246, v37
	v_mul_i32_i24_e32 v22, v253, v42
	v_add3_u32 v45, v45, v46, v48
	v_mul_i32_i24_e32 v23, v254, v43
	v_mul_i32_i24_e32 v63, v193, v44
	v_add3_u32 v6, v6, v8, v9
	v_mul_i32_i24_e32 v64, v124, v15
	v_add3_u32 v45, v45, v49, v51
	v_mul_i32_i24_e32 v24, v206, v44
	v_mul_i32_i24_e32 v15, v140, v15
	v_add3_u32 v6, v6, v10, v11
	v_add3_u32 v48, v5, v4, v7
	;; [unrolled: 1-line block ×3, first 2 shown]
	v_lshrrev_b16 v5, 8, v1
	v_bfe_i32 v29, v1, 0, 8
	v_add3_u32 v6, v6, v12, v13
	v_bfe_i32 v28, v0, 16, 8
	v_add3_u32 v45, v45, v59, v60
	v_bfe_i32 v5, v5, 0, 8
	v_ashrrev_i32_e32 v30, 24, v1
	v_add3_u32 v6, v6, v21, v14
	v_bfe_i32 v1, v1, 16, 8
	v_add3_u32 v45, v45, v61, v62
	v_mul_i32_i24_e32 v49, v92, v29
	v_lshrrev_b16 v4, 8, v0
	v_add3_u32 v6, v6, v22, v23
	v_lshrrev_b16 v7, 8, v2
	v_add3_u32 v45, v45, v63, v64
	v_bfe_i32 v41, v2, 16, 8
	v_ashrrev_i32_e32 v42, 24, v2
	v_add3_u32 v6, v6, v24, v15
	v_bfe_i32 v2, v2, 0, 8
	scratch_store_b32 off, v45, off offset:404 ; 4-byte Folded Spill
	v_bfe_i32 v43, v3, 16, 8
	v_mul_i32_i24_e32 v51, v95, v1
	scratch_store_b32 off, v6, off offset:412 ; 4-byte Folded Spill
	v_or_b32_e32 v6, s18, v50
	v_mov_b32_e32 v50, v65
	v_mul_i32_i24_e32 v56, v96, v30
	v_mad_i32_i24 v49, v94, v5, v49
	v_mul_i32_i24_e32 v57, v101, v2
	v_lshlrev_b32_e32 v8, 2, v6
	v_lshrrev_b32_e32 v6, 1, v6
	ds_load_b32 v229, v6 offset:30368
	ds_load_b128 v[12:15], v8 offset:16896
	ds_load_b128 v[8:11], v8 offset:16912
	v_mov_b32_e32 v114, v50
	v_mov_b32_e32 v50, v153
	v_add3_u32 v49, v49, v51, v56
	v_mul_i32_i24_e32 v51, v86, v29
	v_bfe_i32 v4, v4, 0, 8
	v_mul_i32_i24_e32 v56, v131, v1
	v_bfe_i32 v7, v7, 0, 8
	v_mul_i32_i24_e32 v60, v218, v41
	v_mad_i32_i24 v51, v125, v5, v51
	v_add_nc_u32_e32 v46, v5, v4
	v_mul_i32_i24_e32 v61, v146, v42
	v_mul_i32_i24_e32 v59, v102, v7
	;; [unrolled: 1-line block ×3, first 2 shown]
	v_mov_b32_e32 v153, v141
	v_mov_b32_e32 v163, v50
	s_wait_dscnt 0x1
	v_bfe_i32 v6, v12, 0, 8
	v_bfe_i32 v21, v12, 8, 8
	;; [unrolled: 1-line block ×3, first 2 shown]
	v_ashrrev_i32_e32 v23, 24, v12
	v_bfe_i32 v12, v13, 0, 8
	v_mul_i32_i24_e32 v24, v6, v103
	v_mov_b32_e32 v233, v153
	v_mul_i32_i24_e32 v25, v22, v82
	v_mul_i32_i24_e32 v26, v23, v136
	v_add_nc_u32_e32 v40, v12, v6
	v_mad_i32_i24 v24, v21, v186, v24
	v_mul_i32_i24_e32 v31, v34, v12
	v_mul_i32_i24_e32 v39, v92, v12
	;; [unrolled: 1-line block ×4, first 2 shown]
	v_add3_u32 v38, v24, v25, v26
	v_mul_i32_i24_e32 v24, v6, v174
	v_mul_i32_i24_e32 v25, v22, v53
	v_mul_i32_i24_e32 v26, v23, v52
	s_delay_alu instid0(VALU_DEP_3) | instskip(NEXT) | instid1(VALU_DEP_1)
	v_mad_i32_i24 v24, v21, v55, v24
	v_add3_u32 v36, v24, v25, v26
	v_mul_i32_i24_e32 v24, v6, v107
	v_mul_i32_i24_e32 v25, v22, v71
	;; [unrolled: 1-line block ×4, first 2 shown]
	s_delay_alu instid0(VALU_DEP_4) | instskip(NEXT) | instid1(VALU_DEP_2)
	v_mad_i32_i24 v24, v21, v161, v24
	v_mad_i32_i24 v6, v21, v47, v6
	s_delay_alu instid0(VALU_DEP_2)
	v_add3_u32 v32, v24, v25, v26
	v_mul_i32_i24_e32 v24, v22, v65
	v_mul_i32_i24_e32 v25, v23, v66
	v_ashrrev_i32_e32 v26, 24, v0
	v_mov_b32_e32 v66, v34
	v_mul_i32_i24_e32 v34, v225, v43
	v_mul_i32_i24_e32 v65, v169, v129
	v_add3_u32 v27, v6, v24, v25
	v_or_b32_e32 v24, s18, v54
	v_add_nc_u32_e32 v44, v30, v26
	v_dual_mov_b32 v115, v66 :: v_dual_mov_b32 v66, v81
	scratch_store_b32 off, v34, off offset:484 ; 4-byte Folded Spill
	v_lshlrev_b32_e32 v25, 2, v24
	v_lshrrev_b32_e32 v24, 1, v24
	v_add3_u32 v100, v44, v42, v129
	v_mul_i32_i24_e32 v44, v4, v186
	v_or_b32_e32 v6, s18, v74
	s_clause 0x1
	scratch_store_b32 off, v25, off offset:468
	scratch_store_b32 off, v24, off offset:472
	v_or_b32_e32 v24, s18, v72
	v_lshlrev_b32_e32 v12, 2, v6
	v_lshrrev_b32_e32 v6, 1, v6
	s_delay_alu instid0(VALU_DEP_3)
	v_lshlrev_b32_e32 v25, 2, v24
	v_lshrrev_b32_e32 v24, 1, v24
	s_clause 0x1
	scratch_store_b32 off, v25, off offset:136
	scratch_store_b32 off, v24, off offset:280
	v_bfe_i32 v25, v0, 0, 8
	v_add_nc_u32_e32 v0, v1, v28
	v_or_b32_e32 v24, s18, v176
	s_delay_alu instid0(VALU_DEP_3) | instskip(NEXT) | instid1(VALU_DEP_3)
	v_add_nc_u32_e32 v45, v29, v25
	v_add3_u32 v232, v0, v41, v43
	v_mul_i32_i24_e32 v0, v25, v103
	s_delay_alu instid0(VALU_DEP_4)
	v_lshlrev_b32_e32 v35, 2, v24
	v_lshrrev_b32_e32 v79, 1, v24
	v_lshrrev_b16 v24, 8, v3
	v_bfe_i32 v3, v3, 0, 8
	v_add3_u32 v0, v49, v57, v0
	v_mul_i32_i24_e32 v57, v133, v30
	v_mul_i32_i24_e32 v49, v26, v52
	v_bfe_i32 v24, v24, 0, 8
	v_mul_i32_i24_e32 v62, v182, v3
	s_delay_alu instid0(VALU_DEP_4)
	v_add3_u32 v51, v51, v56, v57
	v_mul_i32_i24_e32 v57, v90, v30
	v_mul_i32_i24_e32 v30, v81, v30
	v_dual_mov_b32 v81, v103 :: v_dual_mov_b32 v58, v160
	v_mov_b32_e32 v160, v152
	v_add3_u32 v123, v45, v2, v3
	v_mul_i32_i24_e32 v45, v28, v82
	v_add3_u32 v126, v46, v7, v24
	v_mul_i32_i24_e32 v46, v26, v136
	v_mul_i32_i24_e32 v63, v148, v24
	;; [unrolled: 1-line block ×3, first 2 shown]
	v_add3_u32 v0, v0, v44, v45
	v_mul_i32_i24_e32 v44, v25, v174
	v_mul_i32_i24_e32 v45, v4, v55
	;; [unrolled: 1-line block ×3, first 2 shown]
	s_delay_alu instid0(VALU_DEP_4) | instskip(SKIP_2) | instid1(VALU_DEP_3)
	v_add3_u32 v0, v0, v46, v59
	v_mul_i32_i24_e32 v59, v134, v2
	v_mul_i32_i24_e32 v46, v28, v53
	v_add3_u32 v0, v0, v60, v61
	s_delay_alu instid0(VALU_DEP_3)
	v_add3_u32 v44, v51, v59, v44
	v_mul_i32_i24_e32 v60, v135, v7
	v_mul_i32_i24_e32 v61, v177, v41
	v_mul_i32_i24_e32 v51, v164, v29
	v_add3_u32 v0, v0, v62, v63
	v_add3_u32 v44, v44, v45, v46
	v_mul_i32_i24_e32 v62, v152, v42
	v_mul_i32_i24_e32 v63, v173, v3
	v_mad_i32_i24 v51, v76, v5, v51
	v_add3_u32 v0, v0, v64, v65
	v_add3_u32 v44, v44, v49, v60
	v_mul_i32_i24_e32 v64, v154, v24
	v_mul_i32_i24_e32 v59, v111, v2
	v_add3_u32 v51, v51, v56, v57
	v_mul_i32_i24_e32 v45, v4, v161
	v_add3_u32 v44, v44, v61, v62
	v_mul_i32_i24_e32 v46, v28, v99
	v_mul_i32_i24_e32 v49, v26, v98
	;; [unrolled: 1-line block ×4, first 2 shown]
	v_add3_u32 v34, v44, v63, v64
	v_mul_i32_i24_e32 v44, v25, v107
	v_mul_i32_i24_e32 v62, v203, v42
	;; [unrolled: 1-line block ×5, first 2 shown]
	v_add3_u32 v44, v51, v59, v44
	v_mul_i32_i24_e32 v29, v115, v29
	scratch_store_b32 off, v34, off offset:488 ; 4-byte Folded Spill
	v_mul_i32_i24_e32 v25, v25, v113
	v_mul_i32_i24_e32 v2, v165, v2
	v_add3_u32 v44, v44, v45, v46
	v_mad_i32_i24 v5, v77, v5, v29
	v_mul_i32_i24_e32 v28, v28, v114
	v_mul_i32_i24_e32 v26, v26, v116
	;; [unrolled: 1-line block ×3, first 2 shown]
	v_add3_u32 v44, v44, v49, v60
	v_add3_u32 v1, v5, v1, v30
	v_mul_i32_i24_e32 v41, v224, v41
	v_mul_i32_i24_e32 v42, v219, v42
	;; [unrolled: 1-line block ×3, first 2 shown]
	v_add3_u32 v44, v44, v61, v62
	v_add3_u32 v1, v1, v2, v25
	v_mul_i32_i24_e32 v24, v168, v24
	v_bfe_i32 v2, v13, 16, 8
	v_bfe_i32 v5, v14, 8, 8
	v_add3_u32 v44, v44, v63, v64
	v_mul_i32_i24_e32 v43, v50, v43
	s_wait_dscnt 0x0
	v_bfe_i32 v45, v8, 16, 8
	v_bfe_i32 v46, v9, 0, 8
	;; [unrolled: 1-line block ×3, first 2 shown]
	v_add3_u32 v34, v44, v65, v68
	v_mul_i32_i24_e32 v65, v102, v5
	v_bfe_i32 v44, v8, 8, 8
	v_bfe_i32 v51, v9, 16, 8
	v_ashrrev_i32_e32 v9, 24, v9
	scratch_store_b32 off, v34, off offset:416 ; 4-byte Folded Spill
	v_mov_b32_e32 v34, v47
	v_bfe_i32 v56, v10, 0, 8
	v_bfe_i32 v57, v10, 8, 8
	;; [unrolled: 1-line block ×3, first 2 shown]
	v_ashrrev_i32_e32 v10, 24, v10
	v_mul_i32_i24_e32 v4, v4, v34
	v_bfe_i32 v60, v11, 0, 8
	v_bfe_i32 v61, v11, 8, 8
	;; [unrolled: 1-line block ×3, first 2 shown]
	v_ashrrev_i32_e32 v11, 24, v11
	v_add3_u32 v1, v1, v4, v28
	v_bfe_i32 v4, v14, 0, 8
	v_add_nc_u32_e32 v22, v2, v22
	v_mov_b32_e32 v29, v110
	v_mov_b32_e32 v25, v94
	v_add3_u32 v1, v1, v26, v7
	v_bfe_i32 v7, v14, 16, 8
	v_mul_i32_i24_e32 v64, v101, v4
	v_mov_b32_e32 v28, v101
	s_delay_alu instid0(VALU_DEP_4) | instskip(SKIP_3) | instid1(VALU_DEP_4)
	v_add3_u32 v1, v1, v41, v42
	v_bfe_i32 v41, v15, 8, 8
	v_bfe_i32 v42, v15, 16, 8
	v_mul_i32_i24_e32 v68, v218, v7
	v_add3_u32 v1, v1, v3, v24
	v_ashrrev_i32_e32 v3, 24, v13
	s_delay_alu instid0(VALU_DEP_4)
	v_mul_i32_i24_e32 v72, v178, v42
	v_mul_i32_i24_e32 v71, v148, v41
	v_add3_u32 v132, v22, v7, v42
	scratch_store_b32 off, v1, off offset:480 ; 4-byte Folded Spill
	v_bfe_i32 v1, v13, 8, 8
	v_ashrrev_i32_e32 v13, 24, v14
	v_bfe_i32 v14, v15, 0, 8
	v_mul_i32_i24_e32 v63, v96, v3
	v_ashrrev_i32_e32 v15, 24, v15
	v_add_nc_u32_e32 v21, v1, v21
	v_mul_i32_i24_e32 v69, v146, v13
	v_mul_i32_i24_e32 v70, v182, v14
	v_mov_b32_e32 v182, v178
	v_mov_b32_e32 v178, v154
	v_add3_u32 v74, v21, v5, v41
	v_mul_i32_i24_e32 v21, v94, v1
	v_add3_u32 v54, v40, v4, v14
	v_mul_i32_i24_e32 v40, v95, v2
	v_mul_i32_i24_e32 v73, v169, v15
	v_mov_b32_e32 v169, v142
	v_add3_u32 v21, v38, v39, v21
	v_mul_i32_i24_e32 v38, v221, v45
	v_dual_mov_b32 v22, v125 :: v_dual_add_nc_u32 v23, v3, v23
	v_mov_b32_e32 v125, v241
	s_delay_alu instid0(VALU_DEP_4)
	v_add3_u32 v21, v21, v40, v63
	v_mul_i32_i24_e32 v40, v201, v51
	v_mul_i32_i24_e32 v63, v220, v9
	v_add3_u32 v80, v23, v13, v15
	v_mov_b32_e32 v23, v186
	v_add3_u32 v21, v21, v64, v65
	v_mul_i32_i24_e32 v64, v222, v56
	v_mul_i32_i24_e32 v65, v230, v57
	v_mov_b32_e32 v176, v178
	v_mov_b32_e32 v178, v225
	v_add3_u32 v21, v21, v68, v69
	v_mul_i32_i24_e32 v68, v153, v59
	v_mul_i32_i24_e32 v69, v169, v10
	s_delay_alu instid0(VALU_DEP_3) | instskip(SKIP_2) | instid1(VALU_DEP_3)
	v_add3_u32 v21, v21, v70, v71
	v_mul_i32_i24_e32 v70, v226, v60
	v_mul_i32_i24_e32 v71, v227, v61
	v_add3_u32 v21, v21, v72, v73
	scratch_store_b32 off, v43, off offset:476 ; 4-byte Folded Spill
	v_bfe_i32 v43, v8, 0, 8
	v_ashrrev_i32_e32 v8, 24, v8
	v_mul_i32_i24_e32 v72, v175, v62
	scratch_store_b32 off, v21, off offset:332 ; 4-byte Folded Spill
	v_mul_i32_i24_e32 v73, v138, v11
	v_mul_i32_i24_e32 v21, v172, v43
	;; [unrolled: 1-line block ×3, first 2 shown]
	v_add_nc_u32_e32 v24, v9, v8
	s_delay_alu instid0(VALU_DEP_3) | instskip(NEXT) | instid1(VALU_DEP_2)
	v_mad_i32_i24 v21, v171, v44, v21
	v_add3_u32 v104, v24, v10, v11
	v_add_nc_u32_e32 v24, v51, v45
	s_delay_alu instid0(VALU_DEP_3) | instskip(SKIP_2) | instid1(VALU_DEP_4)
	v_add3_u32 v21, v21, v38, v39
	v_mul_i32_i24_e32 v38, v198, v46
	v_mul_i32_i24_e32 v39, v199, v49
	v_add3_u32 v93, v24, v59, v62
	v_add_nc_u32_e32 v24, v46, v43
	s_delay_alu instid0(VALU_DEP_3) | instskip(SKIP_2) | instid1(VALU_DEP_4)
	v_add3_u32 v21, v21, v38, v39
	v_mul_i32_i24_e32 v38, v131, v2
	v_mul_i32_i24_e32 v39, v133, v3
	v_add3_u32 v87, v24, v56, v60
	v_add_nc_u32_e32 v24, v49, v44
	v_add3_u32 v21, v21, v40, v63
	v_mul_i32_i24_e32 v40, v134, v4
	v_mul_i32_i24_e32 v63, v135, v5
	s_delay_alu instid0(VALU_DEP_4) | instskip(NEXT) | instid1(VALU_DEP_4)
	v_add3_u32 v85, v24, v57, v61
	v_add3_u32 v21, v21, v64, v65
	v_mul_i32_i24_e32 v64, v177, v7
	v_mul_i32_i24_e32 v65, v152, v13
	v_mov_b32_e32 v152, v243
	s_delay_alu instid0(VALU_DEP_4) | instskip(SKIP_2) | instid1(VALU_DEP_3)
	v_add3_u32 v21, v21, v68, v69
	v_mul_i32_i24_e32 v68, v173, v14
	v_mul_i32_i24_e32 v69, v154, v41
	v_add3_u32 v21, v21, v70, v71
	v_mul_i32_i24_e32 v70, v225, v42
	v_mul_i32_i24_e32 v71, v181, v15
	s_delay_alu instid0(VALU_DEP_3)
	v_add3_u32 v21, v21, v72, v73
	scratch_store_b32 off, v58, off offset:636 ; 4-byte Folded Spill
	v_dual_mov_b32 v72, v95 :: v_dual_mov_b32 v73, v96
	v_mov_b32_e32 v95, v130
	scratch_store_b32 off, v21, off offset:336 ; 4-byte Folded Spill
	v_mul_i32_i24_e32 v21, v22, v1
	s_delay_alu instid0(VALU_DEP_1) | instskip(SKIP_2) | instid1(VALU_DEP_3)
	v_add3_u32 v21, v36, v37, v21
	v_mul_i32_i24_e32 v36, v108, v45
	v_mul_i32_i24_e32 v37, v213, v8
	v_add3_u32 v21, v21, v38, v39
	v_mul_i32_i24_e32 v38, v214, v51
	v_mul_i32_i24_e32 v39, v195, v9
	s_delay_alu instid0(VALU_DEP_3) | instskip(SKIP_2) | instid1(VALU_DEP_3)
	v_add3_u32 v21, v21, v40, v63
	v_mul_i32_i24_e32 v40, v236, v56
	v_mul_i32_i24_e32 v63, v237, v57
	v_add3_u32 v21, v21, v64, v65
	v_mul_i32_i24_e32 v64, v215, v59
	v_mul_i32_i24_e32 v65, v216, v10
	s_delay_alu instid0(VALU_DEP_3) | instskip(SKIP_2) | instid1(VALU_DEP_3)
	v_add3_u32 v21, v21, v68, v69
	v_mul_i32_i24_e32 v68, v238, v60
	v_mul_i32_i24_e32 v69, v122, v61
	v_add3_u32 v21, v21, v70, v71
	scratch_store_b32 off, v168, off offset:640 ; 4-byte Folded Spill
	v_mul_i32_i24_e32 v70, v196, v62
	v_mul_i32_i24_e32 v71, v155, v11
	scratch_store_b32 off, v21, off offset:340 ; 4-byte Folded Spill
	v_mul_i32_i24_e32 v21, v231, v43
	v_mov_b32_e32 v231, v221
	s_delay_alu instid0(VALU_DEP_2) | instskip(NEXT) | instid1(VALU_DEP_1)
	v_mad_i32_i24 v21, v120, v44, v21
	v_add3_u32 v21, v21, v36, v37
	v_mul_i32_i24_e32 v36, v234, v46
	v_mul_i32_i24_e32 v37, v235, v49
	s_delay_alu instid0(VALU_DEP_1) | instskip(SKIP_3) | instid1(VALU_DEP_4)
	v_add3_u32 v21, v21, v36, v37
	v_mul_i32_i24_e32 v36, v89, v2
	v_mul_i32_i24_e32 v37, v90, v3
	v_mul_i32_i24_e32 v3, v66, v3
	v_add3_u32 v21, v21, v38, v39
	v_mul_i32_i24_e32 v38, v111, v4
	v_mul_i32_i24_e32 v39, v112, v5
	v_mul_i32_i24_e32 v4, v165, v4
	v_mul_i32_i24_e32 v5, v29, v5
	v_add3_u32 v21, v21, v40, v63
	v_mul_i32_i24_e32 v40, v162, v7
	;; [unrolled: 5-line block ×3, first 2 shown]
	v_mul_i32_i24_e32 v65, v205, v41
	v_mul_i32_i24_e32 v14, v58, v14
	v_mov_b32_e32 v58, v89
	v_add3_u32 v21, v21, v68, v69
	v_mul_i32_i24_e32 v68, v179, v42
	v_mul_i32_i24_e32 v69, v159, v15
	v_mul_i32_i24_e32 v15, v143, v15
	v_mov_b32_e32 v143, v254
	v_add3_u32 v21, v21, v70, v71
	v_mul_i32_i24_e32 v70, v124, v11
	v_mul_i32_i24_e32 v11, v140, v11
	scratch_store_b32 off, v21, off offset:344 ; 4-byte Folded Spill
	v_mul_i32_i24_e32 v21, v76, v1
	v_mul_i32_i24_e32 v1, v77, v1
	s_delay_alu instid0(VALU_DEP_2) | instskip(SKIP_2) | instid1(VALU_DEP_4)
	v_add3_u32 v21, v32, v33, v21
	v_mul_i32_i24_e32 v32, v184, v45
	v_mul_i32_i24_e32 v33, v197, v8
	v_add3_u32 v1, v27, v31, v1
	s_delay_alu instid0(VALU_DEP_4) | instskip(SKIP_2) | instid1(VALU_DEP_3)
	v_add3_u32 v21, v21, v36, v37
	v_mul_i32_i24_e32 v36, v185, v51
	v_mul_i32_i24_e32 v37, v189, v9
	v_add3_u32 v21, v21, v38, v39
	v_mul_i32_i24_e32 v38, v187, v56
	v_mul_i32_i24_e32 v39, v188, v57
	s_delay_alu instid0(VALU_DEP_3) | instskip(SKIP_2) | instid1(VALU_DEP_3)
	v_add3_u32 v21, v21, v40, v63
	v_mul_i32_i24_e32 v63, v190, v59
	v_add3_u32 v40, v18, v16, v17
	v_add3_u32 v21, v21, v64, v65
	v_mul_i32_i24_e32 v64, v156, v10
	v_mul_i32_i24_e32 v65, v191, v60
	;; [unrolled: 1-line block ×3, first 2 shown]
	s_delay_alu instid0(VALU_DEP_4)
	v_add3_u32 v21, v21, v68, v69
	v_mul_i32_i24_e32 v68, v192, v61
	v_mul_i32_i24_e32 v69, v193, v62
	scratch_store_b32 off, v21, off offset:524 ; 4-byte Folded Spill
	v_mul_i32_i24_e32 v21, v144, v43
	v_mov_b32_e32 v144, v217
	s_delay_alu instid0(VALU_DEP_2) | instskip(NEXT) | instid1(VALU_DEP_1)
	v_mad_i32_i24 v21, v139, v44, v21
	v_add3_u32 v21, v21, v32, v33
	v_mul_i32_i24_e32 v32, v91, v46
	v_mul_i32_i24_e32 v33, v183, v49
	s_delay_alu instid0(VALU_DEP_1) | instskip(SKIP_2) | instid1(VALU_DEP_3)
	v_add3_u32 v21, v21, v32, v33
	v_mul_i32_i24_e32 v32, v50, v42
	v_mov_b32_e32 v50, v113
	v_add3_u32 v21, v21, v36, v37
	s_delay_alu instid0(VALU_DEP_1) | instskip(NEXT) | instid1(VALU_DEP_1)
	v_add3_u32 v21, v21, v38, v39
	v_add3_u32 v21, v21, v63, v64
	v_dual_mov_b32 v63, v78 :: v_dual_mov_b32 v78, v102
	v_add3_u32 v102, v118, v19, v128
	s_delay_alu instid0(VALU_DEP_3) | instskip(NEXT) | instid1(VALU_DEP_3)
	v_add3_u32 v21, v21, v65, v68
	v_mul_i32_i24_e32 v2, v63, v2
	v_dual_mov_b32 v65, v133 :: v_dual_mov_b32 v94, v63
	s_delay_alu instid0(VALU_DEP_3) | instskip(NEXT) | instid1(VALU_DEP_3)
	v_add3_u32 v21, v21, v69, v70
	v_add3_u32 v1, v1, v2, v3
	v_mul_i32_i24_e32 v2, v242, v45
	v_mul_i32_i24_e32 v3, v244, v8
	;; [unrolled: 1-line block ×3, first 2 shown]
	scratch_store_b32 off, v21, off offset:528 ; 4-byte Folded Spill
	v_add3_u32 v1, v1, v4, v5
	v_mul_i32_i24_e32 v21, v168, v41
	v_mul_i32_i24_e32 v4, v105, v51
	v_mul_i32_i24_e32 v5, v248, v9
	v_mul_i32_i24_e32 v9, v97, v59
	v_add3_u32 v1, v1, v7, v13
	v_mul_i32_i24_e32 v7, v211, v56
	v_mul_i32_i24_e32 v13, v239, v60
	v_dual_mov_b32 v69, v135 :: v_dual_mov_b32 v70, v92
	s_delay_alu instid0(VALU_DEP_4) | instskip(SKIP_3) | instid1(VALU_DEP_4)
	v_add3_u32 v1, v1, v14, v21
	v_mul_i32_i24_e32 v14, v143, v61
	v_dual_mov_b32 v92, v114 :: v_dual_mov_b32 v57, v47
	v_mov_b32_e32 v47, v115
	v_add3_u32 v1, v1, v32, v15
	v_mul_i32_i24_e32 v15, v206, v62
	v_dual_mov_b32 v97, v166 :: v_dual_mov_b32 v56, v76
	v_mov_b32_e32 v61, v112
	scratch_store_b32 off, v1, off offset:532 ; 4-byte Folded Spill
	v_mul_i32_i24_e32 v1, v241, v43
	v_mov_b32_e32 v241, v167
	v_dual_mov_b32 v59, v90 :: v_dual_mov_b32 v130, v147
	v_mov_b32_e32 v147, v149
	s_delay_alu instid0(VALU_DEP_4) | instskip(SKIP_2) | instid1(VALU_DEP_3)
	v_mad_i32_i24 v1, v152, v44, v1
	v_dual_mov_b32 v149, v182 :: v_dual_mov_b32 v182, v160
	v_mov_b32_e32 v225, v47
	v_add3_u32 v1, v1, v2, v3
	v_mul_i32_i24_e32 v2, v245, v46
	v_mul_i32_i24_e32 v3, v246, v49
	v_mov_b32_e32 v49, v67
	v_mov_b32_e32 v67, v25
	s_delay_alu instid0(VALU_DEP_3) | instskip(NEXT) | instid1(VALU_DEP_3)
	v_add3_u32 v1, v1, v2, v3
	v_mov_b32_e32 v51, v49
	v_mov_b32_e32 v49, v57
	;; [unrolled: 1-line block ×3, first 2 shown]
	s_delay_alu instid0(VALU_DEP_4) | instskip(NEXT) | instid1(VALU_DEP_1)
	v_add3_u32 v1, v1, v4, v5
	v_add3_u32 v1, v1, v7, v8
	s_delay_alu instid0(VALU_DEP_1) | instskip(NEXT) | instid1(VALU_DEP_1)
	v_add3_u32 v1, v1, v9, v10
	v_add3_u32 v1, v1, v13, v14
	s_delay_alu instid0(VALU_DEP_1)
	v_add3_u32 v1, v1, v15, v11
	scratch_store_b32 off, v1, off offset:536 ; 4-byte Folded Spill
	ds_load_b32 v145, v6 offset:30368
	ds_load_b128 v[36:39], v12 offset:16896
	ds_load_b128 v[41:44], v12 offset:16912
	s_wait_dscnt 0x1
	v_bfe_i32 v1, v36, 0, 8
	v_bfe_i32 v2, v36, 8, 8
	;; [unrolled: 1-line block ×3, first 2 shown]
	v_ashrrev_i32_e32 v4, 24, v36
	v_ashrrev_i32_e32 v11, 24, v37
	v_mul_i32_i24_e32 v12, v1, v81
	v_bfe_i32 v8, v37, 0, 8
	v_bfe_i32 v9, v37, 8, 8
	;; [unrolled: 1-line block ×3, first 2 shown]
	v_add_nc_u32_e32 v5, v11, v4
	v_mul_i32_i24_e32 v13, v3, v82
	v_mul_i32_i24_e32 v14, v4, v136
	v_mad_i32_i24 v12, v2, v23, v12
	v_mov_b32_e32 v204, v181
	scratch_store_b32 off, v5, off offset:504 ; 4-byte Folded Spill
	v_dual_mov_b32 v88, v180 :: v_dual_add_nc_u32 v5, v10, v3
	v_add3_u32 v12, v12, v13, v14
	v_mul_i32_i24_e32 v13, v70, v8
	v_mul_i32_i24_e32 v14, v25, v9
	v_bfe_i32 v71, v38, 0, 8
	v_bfe_i32 v45, v38, 8, 8
	scratch_store_b32 off, v5, off offset:508 ; 4-byte Folded Spill
	v_add_nc_u32_e32 v5, v9, v2
	v_mul_i32_i24_e32 v15, v72, v10
	v_mul_i32_i24_e32 v21, v73, v11
	v_add3_u32 v12, v12, v13, v14
	v_mov_b32_e32 v154, v139
	scratch_store_b32 off, v5, off offset:512 ; 4-byte Folded Spill
	v_add_nc_u32_e32 v5, v8, v1
	v_mul_i32_i24_e32 v31, v28, v71
	v_mul_i32_i24_e32 v32, v78, v45
	v_add3_u32 v12, v12, v15, v21
	v_mul_i32_i24_e32 v13, v3, v53
	scratch_store_b32 off, v5, off offset:516 ; 4-byte Folded Spill
	v_mul_i32_i24_e32 v14, v4, v52
	v_mul_i32_i24_e32 v15, v131, v10
	v_add3_u32 v5, v12, v31, v32
	v_mul_i32_i24_e32 v12, v1, v174
	v_mul_i32_i24_e32 v21, v133, v11
	;; [unrolled: 1-line block ×4, first 2 shown]
	scratch_store_b32 off, v5, off offset:520 ; 4-byte Folded Spill
	v_mad_i32_i24 v12, v2, v55, v12
	v_mov_b32_e32 v62, v22
	s_delay_alu instid0(VALU_DEP_2) | instskip(SKIP_2) | instid1(VALU_DEP_1)
	v_add3_u32 v12, v12, v13, v14
	v_mul_i32_i24_e32 v13, v86, v8
	v_mul_i32_i24_e32 v14, v22, v9
	v_add3_u32 v12, v12, v13, v14
	v_mul_i32_i24_e32 v13, v3, v99
	v_mul_i32_i24_e32 v14, v4, v98
	;; [unrolled: 1-line block ×4, first 2 shown]
	v_add3_u32 v12, v12, v15, v21
	v_mul_i32_i24_e32 v15, v89, v10
	v_mul_i32_i24_e32 v21, v90, v11
	v_mov_b32_e32 v90, v136
	s_delay_alu instid0(VALU_DEP_4)
	v_add3_u32 v5, v12, v31, v32
	v_mul_i32_i24_e32 v12, v1, v107
	v_mul_i32_i24_e32 v1, v1, v113
	;; [unrolled: 1-line block ×4, first 2 shown]
	scratch_store_b32 off, v5, off offset:500 ; 4-byte Folded Spill
	v_mad_i32_i24 v12, v2, v161, v12
	v_mad_i32_i24 v1, v2, v34, v1
	v_mul_i32_i24_e32 v2, v115, v8
	s_delay_alu instid0(VALU_DEP_3)
	v_add3_u32 v12, v12, v13, v14
	v_mul_i32_i24_e32 v13, v164, v8
	v_mul_i32_i24_e32 v14, v76, v9
	v_add3_u32 v1, v1, v3, v4
	v_mul_i32_i24_e32 v3, v77, v9
	v_mul_i32_i24_e32 v4, v63, v10
	;; [unrolled: 1-line block ×3, first 2 shown]
	v_add3_u32 v12, v12, v13, v14
	v_mul_i32_i24_e32 v9, v165, v71
	v_add3_u32 v1, v1, v2, v3
	v_mul_i32_i24_e32 v10, v29, v45
	ds_load_u16 v3, v109
	v_add3_u32 v12, v12, v15, v21
	v_add3_u32 v1, v1, v4, v8
	s_delay_alu instid0(VALU_DEP_2) | instskip(NEXT) | instid1(VALU_DEP_2)
	v_add3_u32 v5, v12, v31, v32
	v_add3_u32 v1, v1, v9, v10
	s_clause 0x1
	scratch_store_b32 off, v5, off offset:496
	scratch_store_b32 off, v1, off offset:492
	ds_load_u16 v1, v20
	ds_load_b128 v[139:142], v35 offset:16896
	ds_load_b128 v[113:116], v35 offset:16912
	s_wait_dscnt 0x3
	v_lshrrev_b16 v4, 8, v3
	s_wait_dscnt 0x2
	v_bfe_u32 v8, v1, 4, 4
	v_lshrrev_b16 v2, 8, v1
	v_and_b32_e32 v1, 15, v1
	s_wait_dscnt 0x0
	v_ashrrev_i32_e32 v5, 24, v114
	v_ashrrev_i32_e32 v6, 24, v116
	v_mul_lo_u32 v8, 0x1010101, v8
	v_ashrrev_i32_e32 v101, 24, v115
	v_and_b32_e32 v181, 0xffff, v1
	v_dual_mov_b32 v14, v5 :: v_dual_and_b32 v1, 0xffff, v4
	v_mov_b32_e32 v7, v6
	v_bfe_i32 v10, v113, 16, 8
	v_mov_b32_e32 v64, v131
	v_lshrrev_b32_e32 v210, 24, v8
	v_lshrrev_b16 v9, 8, v8
	v_bfe_i32 v209, v8, 0, 8
	v_bfe_i32 v208, v8, 16, 8
	v_and_b32_e32 v8, 15, v3
	v_lshrrev_b32_e32 v1, 4, v1
	v_bfe_i32 v228, v9, 0, 8
	v_bfe_i32 v9, v115, 16, 8
	v_mul_i32_i24_e32 v18, v232, v208
	v_and_b32_e32 v255, 0xffff, v8
	v_and_b32_e32 v8, 0xffff, v2
	v_mul_lo_u32 v35, 0x1010101, v1
	v_mul_lo_u32 v0, v0, v181
	v_mad_i32_i24 v18, v123, v209, v18
	v_mov_b32_e32 v131, v117
	v_lshrrev_b32_e32 v8, 4, v8
	v_ashrrev_i32_e32 v89, 24, v139
	v_bfe_i32 v96, v140, 16, 8
	v_ashrrev_i32_e32 v167, 24, v140
	v_bfe_i32 v253, v35, 0, 8
	v_mul_lo_u32 v20, 0x1010101, v8
	v_ashrrev_i32_e32 v8, 24, v113
	v_dual_mov_b32 v46, v77 :: v_dual_mov_b32 v21, v9
	v_bfe_i32 v76, v139, 8, 8
	v_bfe_i32 v112, v140, 8, 8
	s_delay_alu instid0(VALU_DEP_4)
	v_add_nc_u32_e32 v1, v5, v8
	v_mov_b32_e32 v15, v8
	v_bfe_i32 v8, v116, 16, 8
	v_bfe_i32 v207, v20, 0, 8
	;; [unrolled: 1-line block ×3, first 2 shown]
	v_add3_u32 v5, v1, v101, v6
	v_bfe_i32 v6, v114, 16, 8
	v_bfe_i32 v200, v20, 8, 8
	v_lshrrev_b32_e32 v194, 24, v20
	v_mul_i32_i24_e32 v16, v40, v186
	v_mul_i32_i24_e32 v17, v97, v207
	v_add_nc_u32_e32 v19, v6, v10
	v_mov_b32_e32 v22, v6
	v_mul_i32_i24_e32 v1, v102, v194
	v_mad_i32_i24 v16, v127, v200, v16
	v_mov_b32_e32 v20, v8
	v_add3_u32 v6, v19, v9, v8
	v_mul_i32_i24_e32 v19, v100, v210
	v_mul_i32_i24_e32 v8, v97, v253
	v_add_nc_u32_e32 v9, v167, v89
	v_bfe_i32 v170, v139, 0, 8
	v_mov_b32_e32 v127, v154
	v_mad_i32_i24 v19, v126, v228, v19
	v_bfe_i32 v12, v141, 0, 8
	v_mov_b32_e32 v31, v10
	v_lshrrev_b32_e32 v223, 24, v35
	v_bfe_i32 v103, v35, 16, 8
	v_add3_u32 v17, v18, v19, v17
	v_mul_i32_i24_e32 v12, v28, v12
	v_mov_b32_e32 v166, v6
	v_dual_mov_b32 v154, v242 :: v_dual_mov_b32 v77, v28
	s_delay_alu instid0(VALU_DEP_4)
	v_add3_u32 v16, v17, v16, v1
	v_and_b32_e32 v1, 15, v2
	v_and_b32_e32 v2, 15, v4
	v_lshrrev_b32_e32 v4, 16, v241
	v_mov_b32_e32 v68, v134
	v_bfe_i32 v17, v141, 16, 8
	v_and_b32_e32 v180, 0xffff, v1
	v_and_b32_e32 v243, 0xffff, v2
	v_cvt_f32_f16_e64 v179, v4
	v_lshrrev_b32_e32 v2, 16, v95
	v_mul_i32_i24_e32 v4, v73, v167
	v_mad_co_u64_u32 v[0:1], null, v48, v180, v[0:1]
	v_cvt_f32_i32_e32 v1, v16
	s_delay_alu instid0(VALU_DEP_4) | instskip(SKIP_2) | instid1(VALU_DEP_4)
	v_cvt_f32_f16_e64 v247, v2
	v_bfe_i32 v16, v141, 8, 8
	v_dual_mov_b32 v47, v46 :: v_dual_mov_b32 v202, v64
	v_mul_f32_e32 v1, v179, v1
	v_cvt_f32_i32_e32 v0, v0
	s_delay_alu instid0(VALU_DEP_4) | instskip(SKIP_2) | instid1(VALU_DEP_4)
	v_mul_i32_i24_e32 v13, v78, v16
	v_bfe_i32 v254, v35, 8, 8
	v_mov_b32_e32 v168, v96
	v_fma_mix_f32 v0, v241, v0, -v1 op_sel_hi:[1,0,0]
	scratch_load_b64 v[1:2], off, off offset:48 ; 8-byte Folded Reload
	v_mov_b32_e32 v60, v111
	v_bfe_i32 v111, v140, 0, 8
	v_mov_b32_e32 v140, v5
	s_wait_loadcnt 0x0
	v_fmac_f32_e32 v1, v117, v0
	v_bfe_u32 v0, v3, 4, 4
	s_clause 0x1
	scratch_store_b32 off, v131, off offset:392
	scratch_store_b64 off, v[1:2], off offset:48
	v_mul_i32_i24_e32 v3, v72, v96
	v_mul_lo_u32 v0, 0x1010101, v0
	s_delay_alu instid0(VALU_DEP_1) | instskip(SKIP_3) | instid1(VALU_DEP_4)
	v_bfe_i32 v249, v0, 0, 8
	v_bfe_i32 v248, v0, 8, 8
	;; [unrolled: 1-line block ×3, first 2 shown]
	v_lshrrev_b32_e32 v252, 24, v0
	v_mul_i32_i24_e32 v2, v123, v249
	s_delay_alu instid0(VALU_DEP_3) | instskip(NEXT) | instid1(VALU_DEP_3)
	v_mul_i32_i24_e32 v1, v232, v250
	v_mul_i32_i24_e32 v0, v100, v252
	s_delay_alu instid0(VALU_DEP_3) | instskip(NEXT) | instid1(VALU_DEP_1)
	v_mad_i32_i24 v2, v126, v248, v2
	v_add3_u32 v0, v2, v1, v0
	v_mul_i32_i24_e32 v2, v89, v136
	scratch_store_b32 off, v0, off offset:544 ; 4-byte Folded Spill
	ds_load_b32 v0, v79 offset:30368
	v_bfe_i32 v79, v139, 16, 8
	scratch_store_b32 off, v8, off offset:540 ; 4-byte Folded Spill
	v_mul_i32_i24_e32 v8, v218, v17
	v_mul_i32_i24_e32 v1, v79, v82
	s_wait_dscnt 0x0
	scratch_store_b32 off, v0, off offset:132 ; 4-byte Folded Spill
	v_add_nc_u32_e32 v0, v96, v79
	scratch_store_b32 off, v9, off offset:596 ; 4-byte Folded Spill
	v_mov_b32_e32 v96, v99
	scratch_store_b32 off, v0, off offset:600 ; 4-byte Folded Spill
	v_add_nc_u32_e32 v0, v112, v76
	scratch_store_b32 off, v0, off offset:604 ; 4-byte Folded Spill
	v_add_nc_u32_e32 v0, v111, v170
	scratch_store_b32 off, v0, off offset:608 ; 4-byte Folded Spill
	v_mul_i32_i24_e32 v0, v170, v81
	s_delay_alu instid0(VALU_DEP_1) | instskip(NEXT) | instid1(VALU_DEP_1)
	v_mad_i32_i24 v0, v76, v23, v0
	v_add3_u32 v0, v0, v1, v2
	v_mul_i32_i24_e32 v1, v70, v111
	v_mul_i32_i24_e32 v2, v25, v112
	s_delay_alu instid0(VALU_DEP_1) | instskip(NEXT) | instid1(VALU_DEP_1)
	v_add3_u32 v0, v0, v1, v2
	v_add3_u32 v0, v0, v3, v4
	s_delay_alu instid0(VALU_DEP_1)
	v_add3_u32 v0, v0, v12, v13
	scratch_store_b32 off, v0, off offset:624 ; 4-byte Folded Spill
	v_mul_i32_i24_e32 v0, v221, v31
	v_dual_mov_b32 v221, v230 :: v_dual_mov_b32 v230, v53
	v_dual_mov_b32 v53, v86 :: v_dual_mov_b32 v86, v107
	scratch_store_b32 off, v0, off offset:612 ; 4-byte Folded Spill
	v_mul_i32_i24_e32 v0, v217, v15
	v_mov_b32_e32 v217, v108
	v_dual_mov_b32 v107, v58 :: v_dual_mov_b32 v108, v204
	v_mov_b32_e32 v204, v88
	scratch_store_b32 off, v0, off offset:616 ; 4-byte Folded Spill
	v_mul_i32_i24_e32 v0, v201, v22
	v_dual_mov_b32 v88, v157 :: v_dual_mov_b32 v157, v219
	v_mov_b32_e32 v58, v66
	v_mov_b32_e32 v66, v29
	scratch_store_b32 off, v0, off offset:568 ; 4-byte Folded Spill
	v_mul_i32_i24_e32 v0, v220, v14
	scratch_store_b32 off, v0, off offset:584 ; 4-byte Folded Spill
	v_mul_i32_i24_e32 v0, v153, v21
	v_mov_b32_e32 v153, v125
	v_mov_b32_e32 v125, v137
	scratch_store_b32 off, v0, off offset:572 ; 4-byte Folded Spill
	v_mul_i32_i24_e32 v0, v169, v101
	scratch_store_b32 off, v0, off offset:588 ; 4-byte Folded Spill
	v_mul_i32_i24_e32 v0, v175, v20
	;; [unrolled: 2-line block ×9, first 2 shown]
	s_delay_alu instid0(VALU_DEP_1)
	v_add3_u32 v0, v84, v83, v0
	s_clause 0x1
	scratch_store_b32 off, v8, off offset:620
	scratch_store_b32 off, v0, off offset:548
	ds_load_b128 v[133:136], v75 offset:16896
	ds_load_b128 v[0:3], v75 offset:16912
	s_clause 0x2
	scratch_load_b32 v139, off, off offset:80
	scratch_load_b32 v158, off, off offset:636 th:TH_LOAD_LU
	scratch_load_b32 v160, off, off offset:640 th:TH_LOAD_LU
	s_wait_dscnt 0x0
	v_lshrrev_b16 v4, 8, v0
	v_lshrrev_b16 v12, 8, v1
	v_lshrrev_b16 v75, 8, v2
	v_lshrrev_b16 v83, 8, v3
	v_bfe_i32 v109, v0, 16, 8
	v_bfe_i32 v10, v4, 0, 8
	v_bfe_i32 v12, v12, 0, 8
	v_bfe_i32 v110, v0, 0, 8
	v_ashrrev_i32_e32 v118, 24, v0
	v_bfe_i32 v121, v1, 16, 8
	v_bfe_i32 v7, v1, 0, 8
	v_ashrrev_i32_e32 v8, 24, v1
	v_bfe_i32 v9, v75, 0, 8
	v_ashrrev_i32_e32 v22, 24, v2
	v_bfe_i32 v4, v2, 0, 8
	v_bfe_i32 v5, v2, 16, 8
	;; [unrolled: 1-line block ×3, first 2 shown]
	v_ashrrev_i32_e32 v2, 24, v3
	v_bfe_i32 v0, v3, 0, 8
	v_bfe_i32 v1, v3, 16, 8
	v_add_nc_u32_e32 v3, v12, v10
	v_mul_i32_i24_e32 v84, v231, v109
	v_mul_i32_i24_e32 v117, v144, v118
	v_add_nc_u32_e32 v20, v7, v110
	v_mul_i32_i24_e32 v16, v220, v8
	v_add3_u32 v33, v3, v9, v6
	v_mul_i32_i24_e32 v3, v172, v110
	v_dual_mov_b32 v48, v23 :: v_dual_add_nc_u32 v13, v8, v118
	v_add3_u32 v83, v20, v4, v0
	v_mul_i32_i24_e32 v20, v201, v121
	s_delay_alu instid0(VALU_DEP_4)
	v_mad_i32_i24 v3, v171, v10, v3
	v_mul_i32_i24_e32 v15, v222, v4
	v_mul_i32_i24_e32 v23, v221, v9
	v_add3_u32 v32, v13, v22, v2
	v_mul_i32_i24_e32 v14, v233, v5
	v_add3_u32 v3, v3, v84, v117
	v_mul_i32_i24_e32 v84, v198, v7
	v_mul_i32_i24_e32 v117, v199, v12
	;; [unrolled: 1-line block ×6, first 2 shown]
	v_add3_u32 v3, v3, v84, v117
	v_mul_i32_i24_e32 v11, v138, v2
	v_mul_i32_i24_e32 v21, v234, v7
	;; [unrolled: 1-line block ×4, first 2 shown]
	v_add3_u32 v3, v3, v20, v16
	v_mul_i32_i24_e32 v16, v236, v4
	v_mul_i32_i24_e32 v20, v238, v0
	;; [unrolled: 1-line block ×3, first 2 shown]
	v_add_nc_u32_e32 v75, v121, v109
	v_add3_u32 v3, v3, v15, v23
	v_mul_i32_i24_e32 v15, v195, v8
	v_mul_i32_i24_e32 v23, v122, v6
	;; [unrolled: 1-line block ×3, first 2 shown]
	v_add3_u32 v75, v75, v5, v1
	v_add3_u32 v3, v3, v14, v13
	v_mul_i32_i24_e32 v13, v213, v118
	v_mul_i32_i24_e32 v14, v214, v121
	s_delay_alu instid0(VALU_DEP_4) | instskip(NEXT) | instid1(VALU_DEP_4)
	v_mul_i32_i24_e32 v34, v75, v186
	v_add3_u32 v3, v3, v17, v18
	v_mul_i32_i24_e32 v17, v237, v9
	v_mul_i32_i24_e32 v18, v215, v5
	s_delay_alu instid0(VALU_DEP_3) | instskip(SKIP_3) | instid1(VALU_DEP_3)
	v_add3_u32 v84, v3, v19, v11
	v_mul_i32_i24_e32 v3, v119, v110
	v_mul_i32_i24_e32 v11, v217, v109
	;; [unrolled: 1-line block ×3, first 2 shown]
	v_mad_i32_i24 v3, v120, v10, v3
	s_delay_alu instid0(VALU_DEP_1) | instskip(SKIP_2) | instid1(VALU_DEP_2)
	v_add3_u32 v3, v3, v11, v13
	v_mul_i32_i24_e32 v13, v235, v12
	v_mul_i32_i24_e32 v11, v155, v2
	v_add3_u32 v3, v3, v21, v13
	v_mul_i32_i24_e32 v13, v197, v118
	v_mul_i32_i24_e32 v21, v192, v6
	v_mul_i32_i24_e32 v6, v143, v6
	s_delay_alu instid0(VALU_DEP_4)
	v_add3_u32 v3, v3, v14, v15
	v_mul_i32_i24_e32 v14, v185, v121
	v_mul_i32_i24_e32 v15, v189, v8
	;; [unrolled: 1-line block ×3, first 2 shown]
	v_mov_b32_e32 v137, v217
	v_add3_u32 v3, v3, v16, v17
	v_mul_i32_i24_e32 v16, v187, v4
	v_mul_i32_i24_e32 v17, v188, v9
	;; [unrolled: 1-line block ×4, first 2 shown]
	v_add3_u32 v3, v3, v18, v19
	v_mul_i32_i24_e32 v18, v190, v5
	v_mul_i32_i24_e32 v19, v156, v22
	;; [unrolled: 1-line block ×3, first 2 shown]
	v_mov_b32_e32 v217, v196
	v_add3_u32 v3, v3, v20, v23
	v_mul_i32_i24_e32 v20, v191, v0
	v_mul_i32_i24_e32 v23, v193, v1
	;; [unrolled: 1-line block ×4, first 2 shown]
	v_add3_u32 v117, v3, v117, v11
	v_mul_i32_i24_e32 v3, v130, v110
	v_mul_i32_i24_e32 v11, v184, v109
	s_delay_alu instid0(VALU_DEP_2) | instskip(NEXT) | instid1(VALU_DEP_1)
	v_mad_i32_i24 v3, v127, v10, v3
	v_add3_u32 v3, v3, v11, v13
	v_mul_i32_i24_e32 v13, v183, v12
	v_mul_i32_i24_e32 v11, v124, v2
	;; [unrolled: 1-line block ×3, first 2 shown]
	s_delay_alu instid0(VALU_DEP_3) | instskip(SKIP_1) | instid1(VALU_DEP_2)
	v_add3_u32 v3, v3, v24, v13
	v_mul_i32_i24_e32 v13, v154, v109
	v_add3_u32 v3, v3, v14, v15
	v_mul_i32_i24_e32 v14, v244, v118
	v_bfe_i32 v15, v135, 0, 8
	v_mul_i32_i24_e32 v118, v33, v200
	s_delay_alu instid0(VALU_DEP_4) | instskip(SKIP_2) | instid1(VALU_DEP_3)
	v_add3_u32 v3, v3, v16, v17
	v_ashrrev_i32_e32 v16, 24, v135
	v_bfe_i32 v17, v136, 16, 8
	v_add3_u32 v3, v3, v18, v19
	v_bfe_i32 v18, v136, 0, 8
	v_ashrrev_i32_e32 v19, 24, v136
	s_delay_alu instid0(VALU_DEP_3) | instskip(NEXT) | instid1(VALU_DEP_1)
	v_add3_u32 v3, v3, v20, v21
	v_add3_u32 v37, v3, v23, v11
	v_mul_i32_i24_e32 v11, v153, v110
	v_mul_i32_i24_e32 v3, v149, v17
	s_delay_alu instid0(VALU_DEP_2) | instskip(SKIP_3) | instid1(VALU_DEP_4)
	v_mad_i32_i24 v10, v152, v10, v11
	v_mul_i32_i24_e32 v11, v246, v12
	v_mul_i32_i24_e32 v12, v105, v121
	;; [unrolled: 1-line block ×3, first 2 shown]
	v_add3_u32 v10, v10, v13, v14
	v_mul_i32_i24_e32 v13, v106, v22
	v_bfe_i32 v14, v135, 16, 8
	s_delay_alu instid0(VALU_DEP_3) | instskip(SKIP_2) | instid1(VALU_DEP_3)
	v_add3_u32 v7, v10, v7, v11
	v_bfe_i32 v11, v134, 0, 8
	v_ashrrev_i32_e32 v10, 24, v134
	v_add3_u32 v7, v7, v12, v8
	v_bfe_i32 v8, v133, 0, 8
	s_delay_alu instid0(VALU_DEP_3) | instskip(SKIP_1) | instid1(VALU_DEP_4)
	v_mul_i32_i24_e32 v110, v73, v10
	v_mul_i32_i24_e32 v12, v147, v18
	v_add3_u32 v4, v7, v4, v9
	v_ashrrev_i32_e32 v7, 24, v133
	v_add_nc_u32_e32 v22, v11, v8
	v_bfe_i32 v9, v133, 16, 8
	s_delay_alu instid0(VALU_DEP_4)
	v_add3_u32 v4, v4, v5, v13
	v_bfe_i32 v13, v134, 16, 8
	v_add_nc_u32_e32 v23, v10, v7
	v_add3_u32 v28, v22, v15, v18
	v_mul_i32_i24_e32 v22, v8, v81
	v_add3_u32 v0, v4, v0, v6
	v_add_nc_u32_e32 v21, v13, v9
	v_add3_u32 v26, v23, v16, v19
	v_mul_i32_i24_e32 v23, v9, v82
	v_mul_i32_i24_e32 v27, v7, v90
	v_add3_u32 v36, v0, v1, v2
	v_lshrrev_b16 v1, 8, v133
	v_lshrrev_b16 v2, 8, v134
	;; [unrolled: 1-line block ×3, first 2 shown]
	v_mul_i32_i24_e32 v109, v72, v13
	v_lshrrev_b16 v6, 8, v136
	v_bfe_i32 v1, v1, 0, 8
	v_bfe_i32 v2, v2, 0, 8
	;; [unrolled: 1-line block ×3, first 2 shown]
	v_mul_i32_i24_e32 v133, v77, v15
	v_bfe_i32 v6, v6, 0, 8
	v_mad_i32_i24 v22, v1, v48, v22
	v_mul_i32_i24_e32 v135, v218, v14
	v_mul_i32_i24_e32 v134, v78, v5
	;; [unrolled: 1-line block ×4, first 2 shown]
	v_add3_u32 v22, v22, v23, v27
	v_mul_i32_i24_e32 v23, v70, v11
	v_mul_i32_i24_e32 v27, v67, v2
	;; [unrolled: 1-line block ×3, first 2 shown]
	v_add3_u32 v24, v21, v14, v17
	v_add_nc_u32_e32 v20, v2, v1
	s_delay_alu instid0(VALU_DEP_4) | instskip(SKIP_2) | instid1(VALU_DEP_4)
	v_add3_u32 v22, v22, v23, v27
	v_mul_i32_i24_e32 v23, v65, v10
	v_mul_i32_i24_e32 v27, v68, v15
	v_add3_u32 v25, v20, v5, v6
	s_delay_alu instid0(VALU_DEP_4) | instskip(SKIP_2) | instid1(VALU_DEP_3)
	v_add3_u32 v22, v22, v109, v110
	v_mul_i32_i24_e32 v109, v69, v5
	v_mul_i32_i24_e32 v110, v177, v14
	v_add3_u32 v22, v22, v133, v134
	v_mul_i32_i24_e32 v133, v182, v16
	v_mul_i32_i24_e32 v134, v173, v18
	s_delay_alu instid0(VALU_DEP_3) | instskip(SKIP_2) | instid1(VALU_DEP_3)
	v_add3_u32 v22, v22, v135, v136
	v_mul_i32_i24_e32 v135, v176, v6
	v_mul_i32_i24_e32 v136, v178, v17
	v_add3_u32 v4, v22, v12, v4
	v_mul_i32_i24_e32 v12, v7, v52
	v_mul_i32_i24_e32 v22, v202, v13
	s_delay_alu instid0(VALU_DEP_3) | instskip(SKIP_3) | instid1(VALU_DEP_3)
	v_add3_u32 v21, v4, v3, v0
	v_mul_i32_i24_e32 v3, v8, v174
	v_mul_i32_i24_e32 v4, v9, v230
	;; [unrolled: 1-line block ×3, first 2 shown]
	v_mad_i32_i24 v3, v1, v55, v3
	s_delay_alu instid0(VALU_DEP_1) | instskip(SKIP_2) | instid1(VALU_DEP_1)
	v_add3_u32 v3, v3, v4, v12
	v_mul_i32_i24_e32 v4, v53, v11
	v_mul_i32_i24_e32 v12, v62, v2
	v_add3_u32 v3, v3, v4, v12
	v_mul_i32_i24_e32 v4, v9, v99
	v_mul_i32_i24_e32 v12, v7, v98
	;; [unrolled: 1-line block ×3, first 2 shown]
	s_delay_alu instid0(VALU_DEP_4) | instskip(SKIP_2) | instid1(VALU_DEP_3)
	v_add3_u32 v3, v3, v22, v23
	v_mul_i32_i24_e32 v22, v107, v13
	v_mul_i32_i24_e32 v23, v59, v10
	v_add3_u32 v3, v3, v27, v109
	v_mul_i32_i24_e32 v27, v60, v15
	v_mul_i32_i24_e32 v109, v61, v5
	s_delay_alu instid0(VALU_DEP_3) | instskip(SKIP_2) | instid1(VALU_DEP_3)
	v_add3_u32 v3, v3, v110, v133
	v_mul_i32_i24_e32 v110, v162, v14
	v_mul_i32_i24_e32 v133, v203, v16
	v_add3_u32 v3, v3, v134, v135
	v_mul_i32_i24_e32 v134, v204, v18
	v_mul_i32_i24_e32 v135, v205, v6
	s_delay_alu instid0(VALU_DEP_3) | instskip(SKIP_3) | instid1(VALU_DEP_3)
	v_add3_u32 v20, v3, v136, v0
	v_mul_i32_i24_e32 v3, v8, v86
	v_mul_i32_i24_e32 v136, v88, v17
	;; [unrolled: 1-line block ×3, first 2 shown]
	v_mad_i32_i24 v3, v1, v161, v3
	s_delay_alu instid0(VALU_DEP_1) | instskip(SKIP_3) | instid1(VALU_DEP_2)
	v_add3_u32 v3, v3, v4, v12
	v_mul_i32_i24_e32 v4, v164, v11
	v_mul_i32_i24_e32 v12, v56, v2
	;; [unrolled: 1-line block ×3, first 2 shown]
	v_add3_u32 v3, v3, v4, v12
	v_mul_i32_i24_e32 v4, v9, v92
	v_mul_i32_i24_e32 v12, v163, v17
	;; [unrolled: 1-line block ×3, first 2 shown]
	s_wait_loadcnt 0x0
	v_mul_i32_i24_e32 v6, v160, v6
	v_add3_u32 v3, v3, v22, v23
	v_bfe_i32 v14, v113, 16, 8
	s_delay_alu instid0(VALU_DEP_2) | instskip(NEXT) | instid1(VALU_DEP_1)
	v_add3_u32 v3, v3, v27, v109
	v_add3_u32 v3, v3, v110, v133
	s_delay_alu instid0(VALU_DEP_1)
	v_add3_u32 v3, v3, v134, v135
	scratch_load_b32 v135, off, off offset:632 th:TH_LOAD_LU ; 4-byte Folded Reload
	v_add3_u32 v0, v3, v136, v0
	v_mul_i32_i24_e32 v3, v8, v50
	v_mul_i32_i24_e32 v8, v57, v15
	v_bfe_i32 v15, v141, 16, 8
	s_delay_alu instid0(VALU_DEP_3)
	v_mad_i32_i24 v1, v1, v49, v3
	v_mul_i32_i24_e32 v3, v225, v11
	v_mul_i32_i24_e32 v11, v158, v18
	v_bfe_i32 v18, v116, 16, 8
	v_mov_b32_e32 v63, v15
	v_add3_u32 v1, v1, v4, v7
	v_mul_i32_i24_e32 v4, v94, v13
	v_mul_i32_i24_e32 v7, v58, v10
	v_mul_i32_i24_e32 v10, v157, v16
	v_mul_lo_u32 v16, v21, v181
	v_add3_u32 v1, v1, v3, v2
	v_mul_i32_i24_e32 v2, v25, v228
	v_mad_i32_i24 v3, v24, v208, v34
	s_delay_alu instid0(VALU_DEP_3)
	v_add3_u32 v1, v1, v4, v7
	v_mad_i32_i24 v4, v28, v209, v35
	v_mad_co_u64_u32 v[16:17], null, v84, v180, v[16:17]
	v_mul_i32_i24_e32 v7, v26, v252
	v_dual_mov_b32 v84, v95 :: v_dual_mov_b32 v95, v98
	v_ashrrev_i32_e32 v35, 24, v116
	s_wait_loadcnt 0x0
	v_mul_i32_i24_e32 v13, v135, v19
	v_mov_b32_e32 v19, v101
	v_mul_i32_i24_e32 v5, v66, v5
	s_delay_alu instid0(VALU_DEP_1) | instskip(SKIP_2) | instid1(VALU_DEP_3)
	v_add3_u32 v1, v1, v8, v5
	v_mad_i32_i24 v5, v26, v210, v121
	v_mul_i32_i24_e32 v8, v24, v250
	v_add3_u32 v1, v1, v9, v10
	s_delay_alu instid0(VALU_DEP_3)
	v_add3_u32 v2, v2, v118, v5
	v_mul_i32_i24_e32 v9, v28, v249
	v_mul_i32_i24_e32 v5, v83, v253
	;; [unrolled: 1-line block ×3, first 2 shown]
	v_add3_u32 v1, v1, v11, v6
	v_add3_u32 v2, v4, v3, v2
	v_cvt_f32_i32_e32 v3, v16
	v_mad_i32_i24 v9, v25, v248, v9
	v_mul_i32_i24_e32 v6, v33, v254
	v_mul_lo_u32 v4, v20, v255
	v_cvt_f32_i32_e32 v2, v2
	v_add3_u32 v1, v1, v12, v13
	v_add3_u32 v7, v9, v8, v7
	v_mul_i32_i24_e32 v9, v240, v209
	v_ashrrev_i32_e32 v13, 24, v113
	v_mul_f32_e32 v2, v179, v2
	v_bfe_i32 v12, v114, 16, 8
	v_add3_u32 v5, v7, v5, v6
	v_bfe_i32 v11, v115, 16, 8
	s_delay_alu instid0(VALU_DEP_4)
	v_fma_mix_f32 v2, v241, v3, -v2 op_sel_hi:[1,0,0]
	s_clause 0x1
	scratch_load_b32 v3, off, off offset:40
	scratch_load_b32 v219, off, off offset:396 th:TH_LOAD_LU
	v_mad_co_u64_u32 v[16:17], null, v117, v243, v[4:5]
	s_clause 0x6
	scratch_load_b32 v27, off, off offset:424 th:TH_LOAD_LU
	scratch_load_b32 v22, off, off offset:432 th:TH_LOAD_LU
	;; [unrolled: 1-line block ×7, first 2 shown]
	s_wait_loadcnt 0x7
	v_dual_mov_b32 v196, v184 :: v_dual_fmac_f32 v3, v219, v2
	v_mul_i32_i24_e32 v2, v32, v223
	scratch_store_b32 off, v3, off offset:40 ; 4-byte Folded Spill
	v_mul_i32_i24_e32 v3, v75, v103
	s_wait_loadcnt 0x4
	v_mul_i32_i24_e32 v7, v29, v210
	s_wait_loadcnt 0x3
	v_mad_i32_i24 v9, v31, v228, v9
	s_wait_loadcnt 0x0
	v_mul_i32_i24_e32 v8, v30, v208
	v_mul_i32_i24_e32 v6, v23, v200
	v_add3_u32 v2, v5, v3, v2
	v_cvt_f32_i32_e32 v3, v16
	v_mul_i32_i24_e32 v5, v22, v207
	v_add3_u32 v7, v9, v8, v7
	v_mul_i32_i24_e32 v9, v240, v249
	v_cvt_f32_i32_e32 v2, v2
	v_mul_i32_i24_e32 v8, v30, v250
	s_delay_alu instid0(VALU_DEP_4) | instskip(SKIP_1) | instid1(VALU_DEP_4)
	v_add3_u32 v5, v7, v5, v6
	v_mul_i32_i24_e32 v7, v29, v252
	v_mul_f32_e32 v2, v247, v2
	v_mad_i32_i24 v9, v31, v248, v9
	v_mul_i32_i24_e32 v6, v23, v254
	s_delay_alu instid0(VALU_DEP_3) | instskip(SKIP_4) | instid1(VALU_DEP_2)
	v_fma_mix_f32 v2, v84, v3, -v2 op_sel_hi:[1,0,0]
	scratch_load_b32 v3, off, off offset:32 ; 4-byte Folded Reload
	v_add3_u32 v7, v9, v8, v7
	v_mul_i32_i24_e32 v9, v54, v209
	v_mul_i32_i24_e32 v8, v132, v208
	v_mad_i32_i24 v9, v74, v228, v9
	s_wait_loadcnt 0x0
	v_fmac_f32_e32 v3, v219, v2
	scratch_load_b32 v2, off, off offset:328 th:TH_LOAD_LU ; 4-byte Folded Reload
	scratch_store_b32 off, v3, off offset:32 ; 4-byte Folded Spill
	v_mul_i32_i24_e32 v3, v21, v186
	s_wait_loadcnt 0x0
	v_mul_lo_u32 v4, v2, v181
	v_mul_i32_i24_e32 v2, v27, v194
	s_delay_alu instid0(VALU_DEP_1) | instskip(SKIP_2) | instid1(VALU_DEP_1)
	v_add3_u32 v2, v5, v3, v2
	scratch_load_b32 v3, off, off offset:316 th:TH_LOAD_LU ; 4-byte Folded Reload
	v_cvt_f32_i32_e32 v2, v2
	v_mul_f32_e32 v2, v179, v2
	s_wait_loadcnt 0x0
	v_mad_co_u64_u32 v[16:17], null, v3, v180, v[4:5]
	v_mul_i32_i24_e32 v5, v22, v253
	s_delay_alu instid0(VALU_DEP_1) | instskip(NEXT) | instid1(VALU_DEP_3)
	v_add3_u32 v5, v7, v5, v6
	v_cvt_f32_i32_e32 v3, v16
	v_mul_i32_i24_e32 v7, v80, v210
	v_mul_i32_i24_e32 v6, v85, v200
	s_delay_alu instid0(VALU_DEP_3)
	v_fma_mix_f32 v2, v241, v3, -v2 op_sel_hi:[1,0,0]
	s_clause 0x1
	scratch_load_b32 v3, off, off offset:60
	scratch_load_b32 v20, off, off offset:420 th:TH_LOAD_LU
	v_add3_u32 v7, v9, v8, v7
	v_dual_mov_b32 v184, v185 :: v_dual_mov_b32 v185, v189
	v_mul_i32_i24_e32 v9, v54, v249
	v_mul_i32_i24_e32 v8, v132, v250
	v_dual_mov_b32 v189, v190 :: v_dual_mov_b32 v190, v156
	s_delay_alu instid0(VALU_DEP_3)
	v_mad_i32_i24 v9, v74, v248, v9
	s_wait_loadcnt 0x0
	v_fmac_f32_e32 v3, v20, v2
	scratch_load_b32 v2, off, off offset:320 th:TH_LOAD_LU ; 4-byte Folded Reload
	v_mov_b32_e32 v101, v86
	scratch_store_b32 off, v3, off offset:60 ; 4-byte Folded Spill
	v_mul_i32_i24_e32 v3, v21, v103
	s_wait_loadcnt 0x0
	v_mul_lo_u32 v4, v2, v255
	v_mul_i32_i24_e32 v2, v27, v223
	s_delay_alu instid0(VALU_DEP_1) | instskip(SKIP_2) | instid1(VALU_DEP_1)
	v_add3_u32 v2, v5, v3, v2
	scratch_load_b32 v3, off, off offset:324 th:TH_LOAD_LU ; 4-byte Folded Reload
	v_cvt_f32_i32_e32 v2, v2
	v_mul_f32_e32 v2, v247, v2
	s_wait_loadcnt 0x0
	v_mad_co_u64_u32 v[16:17], null, v3, v243, v[4:5]
	v_mul_i32_i24_e32 v5, v87, v207
	s_delay_alu instid0(VALU_DEP_1) | instskip(NEXT) | instid1(VALU_DEP_3)
	v_add3_u32 v5, v7, v5, v6
	v_cvt_f32_i32_e32 v3, v16
	v_mul_i32_i24_e32 v7, v80, v252
	v_mul_i32_i24_e32 v6, v85, v254
	s_delay_alu instid0(VALU_DEP_3) | instskip(SKIP_3) | instid1(VALU_DEP_1)
	v_fma_mix_f32 v2, v84, v3, -v2 op_sel_hi:[1,0,0]
	scratch_load_b32 v3, off, off offset:44 ; 4-byte Folded Reload
	v_add3_u32 v7, v9, v8, v7
	v_bfe_i32 v9, v141, 8, 8
	v_mul_i32_i24_e32 v8, v69, v9
	s_wait_loadcnt 0x0
	v_fmac_f32_e32 v3, v20, v2
	scratch_load_b32 v2, off, off offset:332 th:TH_LOAD_LU ; 4-byte Folded Reload
	scratch_store_b32 off, v3, off offset:44 ; 4-byte Folded Spill
	v_mul_i32_i24_e32 v3, v93, v186
	s_wait_loadcnt 0x0
	v_mul_lo_u32 v4, v2, v181
	v_mul_i32_i24_e32 v2, v104, v194
	s_delay_alu instid0(VALU_DEP_1) | instskip(SKIP_2) | instid1(VALU_DEP_1)
	v_add3_u32 v2, v5, v3, v2
	scratch_load_b32 v3, off, off offset:336 th:TH_LOAD_LU ; 4-byte Folded Reload
	v_cvt_f32_i32_e32 v2, v2
	v_mul_f32_e32 v2, v179, v2
	s_wait_loadcnt 0x0
	v_mad_co_u64_u32 v[16:17], null, v3, v180, v[4:5]
	v_mul_i32_i24_e32 v5, v87, v253
	s_delay_alu instid0(VALU_DEP_1) | instskip(NEXT) | instid1(VALU_DEP_3)
	v_add3_u32 v5, v7, v5, v6
	v_cvt_f32_i32_e32 v3, v16
	v_mul_i32_i24_e32 v6, v65, v167
	s_delay_alu instid0(VALU_DEP_2)
	v_fma_mix_f32 v2, v241, v3, -v2 op_sel_hi:[1,0,0]
	scratch_load_b32 v3, off, off offset:56 ; 4-byte Folded Reload
	s_wait_loadcnt 0x0
	v_fmac_f32_e32 v3, v229, v2
	scratch_load_b32 v2, off, off offset:340 th:TH_LOAD_LU ; 4-byte Folded Reload
	scratch_store_b32 off, v3, off offset:56 ; 4-byte Folded Spill
	v_mul_i32_i24_e32 v3, v93, v103
	s_wait_loadcnt 0x0
	v_mul_lo_u32 v4, v2, v255
	v_mul_i32_i24_e32 v2, v104, v223
	s_delay_alu instid0(VALU_DEP_1) | instskip(SKIP_2) | instid1(VALU_DEP_1)
	v_add3_u32 v2, v5, v3, v2
	scratch_load_b32 v3, off, off offset:344 th:TH_LOAD_LU ; 4-byte Folded Reload
	v_cvt_f32_i32_e32 v2, v2
	v_mul_f32_e32 v2, v247, v2
	s_wait_loadcnt 0x0
	v_mad_co_u64_u32 v[16:17], null, v3, v243, v[4:5]
	v_mul_i32_i24_e32 v4, v89, v52
	v_mul_i32_i24_e32 v5, v202, v168
	s_delay_alu instid0(VALU_DEP_3) | instskip(SKIP_2) | instid1(VALU_DEP_3)
	v_cvt_f32_i32_e32 v3, v16
	v_mov_b32_e32 v16, v79
	v_bfe_i32 v79, v141, 0, 8
	v_fma_mix_f32 v2, v84, v3, -v2 op_sel_hi:[1,0,0]
	scratch_load_b32 v3, off, off offset:64 ; 4-byte Folded Reload
	v_mul_i32_i24_e32 v7, v68, v79
	s_wait_loadcnt 0x0
	v_fmac_f32_e32 v3, v229, v2
	v_mul_i32_i24_e32 v2, v170, v174
	s_clause 0x1
	scratch_store_b32 off, v3, off offset:64
	scratch_store_b32 off, v170, off offset:304
	v_mul_i32_i24_e32 v3, v16, v230
	v_mad_i32_i24 v2, v76, v55, v2
	s_clause 0x5
	scratch_store_b32 off, v111, off offset:284
	scratch_store_b32 off, v112, off offset:288
	;; [unrolled: 1-line block ×6, first 2 shown]
	v_add3_u32 v2, v2, v3, v4
	v_mul_i32_i24_e32 v3, v53, v111
	v_mul_i32_i24_e32 v4, v62, v112
	s_clause 0x3
	scratch_store_b32 off, v11, off offset:148
	scratch_store_b32 off, v19, off offset:144
	;; [unrolled: 1-line block ×4, first 2 shown]
	v_add3_u32 v2, v2, v3, v4
	v_mul_i32_i24_e32 v3, v16, v99
	v_mul_i32_i24_e32 v4, v89, v98
	v_mov_b32_e32 v99, v162
	s_delay_alu instid0(VALU_DEP_4)
	v_add3_u32 v2, v2, v5, v6
	v_mul_i32_i24_e32 v5, v107, v168
	v_mul_i32_i24_e32 v6, v59, v167
	;; [unrolled: 1-line block ×4, first 2 shown]
	v_add3_u32 v2, v2, v7, v8
	v_mul_i32_i24_e32 v7, v60, v79
	v_mul_i32_i24_e32 v8, v61, v9
	scratch_store_b32 off, v2, off offset:372 ; 4-byte Folded Spill
	v_mul_i32_i24_e32 v2, v137, v14
	scratch_store_b32 off, v10, off offset:368 ; 4-byte Folded Spill
	v_ashrrev_i32_e32 v10, 24, v114
	s_clause 0x3
	scratch_store_b32 off, v12, off offset:156
	scratch_store_b32 off, v14, off offset:276
	;; [unrolled: 1-line block ×4, first 2 shown]
	v_mul_i32_i24_e32 v2, v213, v13
	s_clause 0x1
	scratch_store_b32 off, v10, off offset:152
	scratch_store_b32 off, v2, off offset:352
	v_mul_i32_i24_e32 v2, v214, v12
	scratch_store_b32 off, v89, off offset:312 ; 4-byte Folded Spill
	v_mov_b32_e32 v89, v56
	scratch_store_b32 off, v2, off offset:324 ; 4-byte Folded Spill
	v_mul_i32_i24_e32 v2, v195, v10
	scratch_store_b32 off, v2, off offset:336 ; 4-byte Folded Spill
	v_mul_i32_i24_e32 v2, v215, v11
	scratch_store_b32 off, v2, off offset:328 ; 4-byte Folded Spill
	v_mul_i32_i24_e32 v2, v216, v19
	scratch_store_b32 off, v2, off offset:340 ; 4-byte Folded Spill
	v_mul_i32_i24_e32 v2, v217, v18
	scratch_store_b32 off, v2, off offset:332 ; 4-byte Folded Spill
	v_mul_i32_i24_e32 v2, v155, v35
	s_clause 0x1
	scratch_store_b32 off, v2, off offset:344
	scratch_store_b32 off, v140, off offset:260
	v_mul_i32_i24_e32 v2, v140, v223
	s_clause 0x1
	scratch_store_b32 off, v2, off offset:316
	scratch_store_b32 off, v166, off offset:264
	v_mul_i32_i24_e32 v2, v166, v103
	s_clause 0x1
	scratch_load_b32 v134, off, off offset:456 th:TH_LOAD_LU
	scratch_load_b32 v133, off, off offset:628 th:TH_LOAD_LU
	scratch_store_b32 off, v2, off offset:320 ; 4-byte Folded Spill
	v_mul_i32_i24_e32 v2, v170, v86
	v_mul_i32_i24_e32 v170, v190, v19
	s_delay_alu instid0(VALU_DEP_2) | instskip(NEXT) | instid1(VALU_DEP_1)
	v_mad_i32_i24 v2, v76, v161, v2
	v_add3_u32 v2, v2, v3, v4
	v_mul_i32_i24_e32 v3, v164, v111
	v_mul_i32_i24_e32 v4, v56, v112
	v_mov_b32_e32 v56, v9
	v_mul_i32_i24_e32 v9, v162, v15
	s_delay_alu instid0(VALU_DEP_3) | instskip(SKIP_3) | instid1(VALU_DEP_2)
	v_add3_u32 v2, v2, v3, v4
	scratch_load_b32 v4, off, off offset:384 th:TH_LOAD_LU ; 4-byte Folded Reload
	v_add3_u32 v2, v2, v5, v6
	v_mul_i32_i24_e32 v6, v196, v14
	v_add3_u32 v5, v2, v7, v8
	scratch_load_b32 v2, off, off offset:388 th:TH_LOAD_LU ; 4-byte Folded Reload
	v_mul_i32_i24_e32 v7, v197, v13
	v_mul_i32_i24_e32 v13, v185, v10
	;; [unrolled: 1-line block ×3, first 2 shown]
	s_wait_loadcnt 0x1
	ds_load_u16 v10, v4
	s_wait_loadcnt 0x0
	ds_load_u16 v2, v2
	s_wait_dscnt 0x1
	v_lshrrev_b16 v11, 8, v10
	v_mov_b32_e32 v46, v79
	s_wait_dscnt 0x0
	v_lshrrev_b16 v3, 8, v2
	v_bfe_u32 v4, v2, 4, 4
	v_and_b32_e32 v2, 15, v2
	v_mov_b32_e32 v136, v177
	s_delay_alu instid0(VALU_DEP_4) | instskip(NEXT) | instid1(VALU_DEP_4)
	v_and_b32_e32 v12, 0xffff, v3
	v_mul_lo_u32 v4, 0x1010101, v4
	s_delay_alu instid0(VALU_DEP_4) | instskip(SKIP_3) | instid1(VALU_DEP_2)
	v_and_b32_e32 v121, 0xffff, v2
	scratch_load_b32 v2, off, off offset:416 th:TH_LOAD_LU ; 4-byte Folded Reload
	v_lshrrev_b32_e32 v12, 4, v12
	v_bfe_i32 v156, v4, 0, 8
	v_mul_lo_u32 v12, 0x1010101, v12
	v_bfe_i32 v165, v4, 8, 8
	v_bfe_i32 v112, v4, 16, 8
	v_lshrrev_b32_e32 v162, 24, v4
	v_mul_i32_i24_e32 v34, v123, v156
	v_and_b32_e32 v4, 15, v10
	v_bfe_u32 v10, v10, 4, 4
	v_mul_i32_i24_e32 v19, v232, v112
	v_bfe_i32 v111, v12, 0, 8
	v_bfe_i32 v79, v12, 8, 8
	v_mul_i32_i24_e32 v18, v100, v162
	v_mad_i32_i24 v34, v126, v165, v34
	v_and_b32_e32 v177, 0xffff, v4
	v_mul_lo_u32 v10, 0x1010101, v10
	v_mul_i32_i24_e32 v16, v97, v111
	v_lshrrev_b32_e32 v117, 24, v12
	v_add3_u32 v18, v34, v19, v18
	v_bfe_i32 v118, v12, 16, 8
	v_mul_i32_i24_e32 v110, v28, v156
	v_mul_i32_i24_e32 v109, v24, v112
	;; [unrolled: 1-line block ×3, first 2 shown]
	v_bfe_i32 v64, v10, 8, 8
	v_bfe_i32 v14, v10, 16, 8
	v_mov_b32_e32 v76, v107
	v_mad_i32_i24 v110, v25, v165, v110
	v_add3_u32 v34, v18, v16, v17
	v_bfe_i32 v16, v10, 0, 8
	v_lshrrev_b32_e32 v10, 24, v10
	s_delay_alu instid0(VALU_DEP_2) | instskip(NEXT) | instid1(VALU_DEP_1)
	v_mul_i32_i24_e32 v12, v123, v16
	v_mad_i32_i24 v12, v126, v64, v12
	s_wait_loadcnt 0x0
	v_mul_lo_u32 v4, v2, v121
	v_and_b32_e32 v2, 0xffff, v11
	s_delay_alu instid0(VALU_DEP_1) | instskip(NEXT) | instid1(VALU_DEP_1)
	v_lshrrev_b32_e32 v2, 4, v2
	v_mul_lo_u32 v2, 0x1010101, v2
	s_delay_alu instid0(VALU_DEP_1)
	v_bfe_i32 v17, v2, 0, 8
	v_bfe_i32 v86, v2, 8, 8
	v_lshrrev_b32_e32 v242, 24, v2
	v_bfe_i32 v19, v2, 16, 8
	v_mul_i32_i24_e32 v2, v100, v10
	v_mov_b32_e32 v100, v10
	v_mul_i32_i24_e32 v10, v232, v14
	v_mul_i32_i24_e32 v15, v97, v17
	v_dual_mov_b32 v107, v17 :: v_dual_mov_b32 v232, v14
	v_mov_b32_e32 v97, v64
	s_delay_alu instid0(VALU_DEP_4)
	v_add3_u32 v123, v12, v10, v2
	v_and_b32_e32 v2, 15, v3
	v_and_b32_e32 v3, 15, v11
	v_mul_i32_i24_e32 v11, v26, v162
	v_mul_i32_i24_e32 v10, v33, v79
	v_mul_lo_u32 v12, v0, v121
	v_and_b32_e32 v18, 0xffff, v2
	v_lshrrev_b32_e32 v2, 16, v134
	v_and_b32_e32 v98, 0xffff, v3
	v_add3_u32 v11, v110, v109, v11
	v_mul_i32_i24_e32 v0, v32, v117
	s_delay_alu instid0(VALU_DEP_4)
	v_cvt_f32_f16_e32 v64, v2
	v_mov_b32_e32 v14, v16
	scratch_load_b32 v16, off, off offset:452 th:TH_LOAD_LU ; 4-byte Folded Reload
	v_mul_i32_i24_e32 v2, v75, v118
	v_mad_co_u64_u32 v[109:110], null, v37, v18, v[12:13]
	v_mul_i32_i24_e32 v12, v24, v232
	v_mul_i32_i24_e32 v24, v28, v14
	s_delay_alu instid0(VALU_DEP_1) | instskip(SKIP_2) | instid1(VALU_DEP_1)
	v_mad_i32_i24 v24, v25, v97, v24
	s_wait_loadcnt 0x0
	v_lshrrev_b32_e32 v3, 16, v16
	v_cvt_f32_f16_e32 v17, v3
	v_mul_i32_i24_e32 v3, v83, v111
	s_delay_alu instid0(VALU_DEP_1) | instskip(SKIP_2) | instid1(VALU_DEP_3)
	v_add3_u32 v3, v11, v3, v10
	v_mul_i32_i24_e32 v11, v26, v100
	v_mul_i32_i24_e32 v10, v33, v86
	v_add3_u32 v0, v3, v2, v0
	v_cvt_f32_i32_e32 v2, v109
	s_delay_alu instid0(VALU_DEP_4)
	v_add3_u32 v11, v24, v12, v11
	v_mul_i32_i24_e32 v24, v240, v156
	v_mul_i32_i24_e32 v12, v30, v112
	v_cvt_f32_i32_e32 v0, v0
	v_mul_lo_u32 v3, v1, v177
	v_mul_i32_i24_e32 v1, v75, v19
	v_mad_i32_i24 v24, v31, v165, v24
	s_delay_alu instid0(VALU_DEP_4) | instskip(SKIP_1) | instid1(VALU_DEP_2)
	v_dual_mov_b32 v75, v86 :: v_dual_mul_f32 v0, v17, v0
	v_ashrrev_i32_e32 v109, 24, v142
	v_fma_mix_f32 v0, v16, v2, -v0 op_sel_hi:[1,0,0]
	scratch_load_b32 v2, off, off offset:16 ; 4-byte Folded Reload
	s_wait_loadcnt 0x0
	v_fmac_f32_e32 v2, v219, v0
	scratch_store_b32 off, v46, off offset:364 ; 4-byte Folded Spill
	v_mul_i32_i24_e32 v0, v32, v242
	scratch_store_b32 off, v2, off offset:16 ; 4-byte Folded Spill
	v_mul_i32_i24_e32 v2, v83, v107
	v_bfe_i32 v83, v142, 8, 8
	s_delay_alu instid0(VALU_DEP_2) | instskip(SKIP_2) | instid1(VALU_DEP_3)
	v_add3_u32 v2, v11, v2, v10
	v_mul_i32_i24_e32 v11, v29, v162
	v_mul_i32_i24_e32 v10, v23, v79
	v_add3_u32 v2, v2, v1, v0
	s_delay_alu instid0(VALU_DEP_3) | instskip(SKIP_2) | instid1(VALU_DEP_2)
	v_add3_u32 v11, v24, v12, v11
	v_mul_i32_i24_e32 v24, v240, v14
	v_mov_b32_e32 v240, v97
	v_mad_i32_i24 v24, v31, v97, v24
	v_mov_b32_e32 v31, v134
	v_mad_co_u64_u32 v[0:1], null, v36, v98, v[3:4]
	v_cvt_f32_i32_e32 v1, v2
	v_mul_i32_i24_e32 v3, v22, v111
	v_mul_i32_i24_e32 v2, v21, v118
	v_mov_b32_e32 v97, v159
	v_mov_b32_e32 v159, v88
	v_mul_f32_e32 v1, v64, v1
	v_cvt_f32_i32_e32 v0, v0
	v_add3_u32 v3, v11, v3, v10
	v_mul_i32_i24_e32 v10, v23, v86
	v_mul_i32_i24_e32 v11, v29, v100
	v_mov_b32_e32 v23, v107
	v_fma_mix_f32 v0, v134, v0, -v1 op_sel_hi:[1,0,0]
	scratch_load_b32 v1, off, off offset:12 ; 4-byte Folded Reload
	v_mul_i32_i24_e32 v12, v30, v232
	s_delay_alu instid0(VALU_DEP_1) | instskip(SKIP_2) | instid1(VALU_DEP_2)
	v_add3_u32 v11, v24, v12, v11
	v_mul_i32_i24_e32 v24, v54, v156
	v_mul_i32_i24_e32 v12, v132, v112
	v_mad_i32_i24 v24, v74, v165, v24
	s_wait_loadcnt 0x0
	v_fmac_f32_e32 v1, v219, v0
	scratch_load_b32 v0, off, off offset:400 th:TH_LOAD_LU ; 4-byte Folded Reload
	scratch_store_b32 off, v56, off offset:360 ; 4-byte Folded Spill
	v_bfe_i32 v219, v142, 16, 8
	scratch_store_b32 off, v1, off offset:12 ; 4-byte Folded Spill
	v_mul_i32_i24_e32 v1, v27, v117
	s_delay_alu instid0(VALU_DEP_1) | instskip(SKIP_2) | instid1(VALU_DEP_1)
	v_add3_u32 v2, v3, v2, v1
	scratch_load_b32 v1, off, off offset:404 th:TH_LOAD_LU ; 4-byte Folded Reload
	v_mul_i32_i24_e32 v3, v22, v107
	v_add3_u32 v3, v11, v3, v10
	v_mul_i32_i24_e32 v11, v80, v162
	v_mul_i32_i24_e32 v10, v85, v79
	s_delay_alu instid0(VALU_DEP_2) | instskip(SKIP_4) | instid1(VALU_DEP_1)
	v_add3_u32 v11, v24, v12, v11
	v_mul_i32_i24_e32 v12, v132, v232
	s_wait_loadcnt 0x1
	v_mul_lo_u32 v0, v0, v121
	s_wait_loadcnt 0x0
	v_mad_co_u64_u32 v[0:1], null, v1, v18, v[0:1]
	v_cvt_f32_i32_e32 v1, v2
	v_mul_i32_i24_e32 v2, v21, v19
	s_delay_alu instid0(VALU_DEP_2) | instskip(NEXT) | instid1(VALU_DEP_4)
	v_mul_f32_e32 v1, v17, v1
	v_cvt_f32_i32_e32 v0, v0
	s_delay_alu instid0(VALU_DEP_1)
	v_fma_mix_f32 v0, v16, v0, -v1 op_sel_hi:[1,0,0]
	scratch_load_b32 v1, off, off offset:24 ; 4-byte Folded Reload
	s_wait_loadcnt 0x0
	v_fmac_f32_e32 v1, v20, v0
	scratch_load_b32 v0, off, off offset:408 th:TH_LOAD_LU ; 4-byte Folded Reload
	scratch_store_b32 off, v1, off offset:24 ; 4-byte Folded Spill
	v_mul_i32_i24_e32 v1, v27, v242
	v_bfe_i32 v27, v43, 0, 8
	s_delay_alu instid0(VALU_DEP_2) | instskip(SKIP_2) | instid1(VALU_DEP_1)
	v_add3_u32 v2, v3, v2, v1
	scratch_load_b32 v1, off, off offset:412 th:TH_LOAD_LU ; 4-byte Folded Reload
	v_mul_i32_i24_e32 v3, v87, v111
	v_add3_u32 v3, v11, v3, v10
	v_mul_i32_i24_e32 v10, v85, v75
	v_mov_b32_e32 v85, v64
	v_mul_i32_i24_e32 v24, v54, v14
	v_mov_b32_e32 v132, v14
	s_delay_alu instid0(VALU_DEP_3) | instskip(NEXT) | instid1(VALU_DEP_3)
	v_mov_b32_e32 v126, v85
	v_mad_i32_i24 v24, v74, v240, v24
	s_wait_loadcnt 0x1
	v_mul_lo_u32 v0, v0, v177
	s_wait_loadcnt 0x0
	s_delay_alu instid0(VALU_DEP_1) | instskip(SKIP_2) | instid1(VALU_DEP_2)
	v_mad_co_u64_u32 v[0:1], null, v1, v98, v[0:1]
	v_cvt_f32_i32_e32 v1, v2
	v_mul_i32_i24_e32 v2, v93, v118
	v_mul_f32_e32 v1, v64, v1
	s_delay_alu instid0(VALU_DEP_4) | instskip(NEXT) | instid1(VALU_DEP_1)
	v_cvt_f32_i32_e32 v0, v0
	v_fma_mix_f32 v0, v134, v0, -v1 op_sel_hi:[1,0,0]
	scratch_load_b32 v1, off, off offset:8  ; 4-byte Folded Reload
	s_wait_loadcnt 0x0
	v_fmac_f32_e32 v1, v20, v0
	scratch_load_b32 v0, off, off offset:524 th:TH_LOAD_LU ; 4-byte Folded Reload
	s_clause 0x1
	scratch_store_b32 off, v63, off offset:356
	scratch_store_b32 off, v1, off offset:8
	v_mul_i32_i24_e32 v1, v104, v117
	s_delay_alu instid0(VALU_DEP_1)
	v_add3_u32 v2, v3, v2, v1
	scratch_load_b32 v1, off, off offset:528 th:TH_LOAD_LU ; 4-byte Folded Reload
	v_mul_i32_i24_e32 v3, v87, v107
	s_wait_loadcnt 0x1
	v_mul_lo_u32 v0, v0, v121
	s_wait_loadcnt 0x0
	s_delay_alu instid0(VALU_DEP_1) | instskip(SKIP_3) | instid1(VALU_DEP_3)
	v_mad_co_u64_u32 v[0:1], null, v1, v18, v[0:1]
	v_cvt_f32_i32_e32 v1, v2
	v_mul_i32_i24_e32 v2, v93, v19
	v_bfe_i32 v93, v114, 8, 8
	v_mul_f32_e32 v1, v17, v1
	v_cvt_f32_i32_e32 v0, v0
	s_delay_alu instid0(VALU_DEP_3) | instskip(NEXT) | instid1(VALU_DEP_2)
	v_mov_b32_e32 v110, v93
	v_fma_mix_f32 v0, v16, v0, -v1 op_sel_hi:[1,0,0]
	scratch_load_b32 v1, off, off offset:36 ; 4-byte Folded Reload
	s_wait_loadcnt 0x0
	v_dual_fmac_f32 v1, v229, v0 :: v_dual_mov_b32 v22, v100
	scratch_load_b32 v0, off, off offset:532 th:TH_LOAD_LU ; 4-byte Folded Reload
	v_mov_b32_e32 v100, v135
	scratch_store_b32 off, v1, off offset:36 ; 4-byte Folded Spill
	v_mul_i32_i24_e32 v11, v80, v22
	v_mul_i32_i24_e32 v1, v104, v242
	s_delay_alu instid0(VALU_DEP_2) | instskip(SKIP_2) | instid1(VALU_DEP_3)
	v_add3_u32 v11, v24, v12, v11
	v_bfe_i32 v24, v113, 0, 8
	v_bfe_i32 v12, v115, 8, 8
	v_add3_u32 v3, v11, v3, v10
	v_bfe_i32 v10, v114, 0, 8
	v_bfe_i32 v11, v113, 8, 8
	v_mov_b32_e32 v80, v24
	v_mov_b32_e32 v26, v12
	v_add3_u32 v2, v3, v2, v1
	scratch_load_b32 v1, off, off offset:536 th:TH_LOAD_LU ; 4-byte Folded Reload
	v_bfe_i32 v3, v115, 0, 8
	v_mov_b32_e32 v113, v80
	v_mov_b32_e32 v87, v26
	s_delay_alu instid0(VALU_DEP_3) | instskip(NEXT) | instid1(VALU_DEP_1)
	v_mov_b32_e32 v25, v3
	v_mov_b32_e32 v107, v25
	s_wait_loadcnt 0x1
	v_mul_lo_u32 v0, v0, v177
	s_wait_loadcnt 0x0
	s_delay_alu instid0(VALU_DEP_1) | instskip(SKIP_2) | instid1(VALU_DEP_2)
	v_mad_co_u64_u32 v[0:1], null, v1, v98, v[0:1]
	v_cvt_f32_i32_e32 v1, v2
	v_bfe_i32 v2, v116, 8, 8
	v_mul_f32_e32 v1, v64, v1
	s_delay_alu instid0(VALU_DEP_4) | instskip(NEXT) | instid1(VALU_DEP_3)
	v_cvt_f32_i32_e32 v0, v0
	v_mov_b32_e32 v54, v2
	s_delay_alu instid0(VALU_DEP_2)
	v_fma_mix_f32 v0, v134, v0, -v1 op_sel_hi:[1,0,0]
	scratch_load_b32 v1, off, off offset:28 ; 4-byte Folded Reload
	v_ashrrev_i32_e32 v134, 24, v141
	v_mov_b32_e32 v141, v151
	s_wait_loadcnt 0x0
	v_fmac_f32_e32 v1, v229, v0
	v_add_nc_u32_e32 v0, v10, v24
	v_bfe_i32 v229, v142, 0, 8
	v_mul_i32_i24_e32 v24, v108, v129
	scratch_store_b32 off, v1, off offset:28 ; 4-byte Folded Spill
	v_bfe_i32 v1, v116, 0, 8
	s_delay_alu instid0(VALU_DEP_1) | instskip(SKIP_4) | instid1(VALU_DEP_4)
	v_add3_u32 v30, v0, v3, v1
	v_add_nc_u32_e32 v0, v93, v11
	v_mov_b32_e32 v28, v1
	v_mul_i32_i24_e32 v1, v147, v229
	v_mul_i32_i24_e32 v3, v149, v219
	v_add3_u32 v74, v0, v12, v2
	scratch_load_b32 v0, off, off offset:596 th:TH_LOAD_LU ; 4-byte Folded Reload
	v_mul_i32_i24_e32 v2, v148, v83
	v_mul_i32_i24_e32 v12, v150, v109
	s_wait_loadcnt 0x0
	v_add3_u32 v64, v0, v134, v109
	scratch_load_b32 v0, off, off offset:600 th:TH_LOAD_LU ; 4-byte Folded Reload
	s_wait_loadcnt 0x0
	v_add3_u32 v63, v0, v63, v219
	scratch_load_b32 v0, off, off offset:604 th:TH_LOAD_LU ; 4-byte Folded Reload
	s_wait_loadcnt 0x0
	v_add3_u32 v32, v0, v56, v83
	s_clause 0x2
	scratch_load_b32 v0, off, off offset:608 th:TH_LOAD_LU
	scratch_load_b32 v14, off, off offset:620 th:TH_LOAD_LU
	;; [unrolled: 1-line block ×3, first 2 shown]
	v_mov_b32_e32 v56, v54
	s_wait_loadcnt 0x2
	v_add3_u32 v33, v0, v46, v229
	v_mul_i32_i24_e32 v0, v146, v134
	s_delay_alu instid0(VALU_DEP_2) | instskip(SKIP_1) | instid1(VALU_DEP_2)
	v_mov_b32_e32 v46, v33
	s_wait_loadcnt 0x0
	v_add3_u32 v0, v20, v14, v0
	s_delay_alu instid0(VALU_DEP_1)
	v_add3_u32 v0, v0, v1, v2
	s_clause 0x1
	scratch_load_b32 v1, off, off offset:484 th:TH_LOAD_LU
	scratch_load_b32 v2, off, off offset:488 th:TH_LOAD_LU
	s_clause 0x1
	scratch_store_b32 off, v113, off offset:464
	scratch_store_b32 off, v11, off offset:460
	v_add3_u32 v0, v0, v3, v12
	s_clause 0x1
	scratch_load_b32 v3, off, off offset:612 th:TH_LOAD_LU
	scratch_load_b32 v12, off, off offset:616 th:TH_LOAD_LU
	s_clause 0x1
	scratch_store_b32 off, v110, off offset:440
	scratch_store_b32 off, v56, off offset:412
	v_mul_lo_u32 v0, v0, v181
	s_wait_loadcnt 0x2
	v_add3_u32 v1, v2, v1, v24
	v_mul_i32_i24_e32 v2, v172, v80
	v_mov_b32_e32 v80, v28
	s_clause 0x2
	scratch_store_b32 off, v10, off offset:436
	scratch_store_b32 off, v107, off offset:432
	;; [unrolled: 1-line block ×3, first 2 shown]
	v_mad_i32_i24 v2, v171, v11, v2
	scratch_store_b32 off, v80, off offset:424 ; 4-byte Folded Spill
	v_mul_i32_i24_e32 v24, v222, v25
	v_mul_i32_i24_e32 v25, v221, v26
	;; [unrolled: 1-line block ×3, first 2 shown]
	s_wait_loadcnt 0x0
	v_add3_u32 v2, v2, v3, v12
	v_mul_i32_i24_e32 v3, v198, v10
	v_mul_i32_i24_e32 v12, v199, v93
	;; [unrolled: 1-line block ×3, first 2 shown]
	v_dual_mov_b32 v54, v30 :: v_dual_mov_b32 v93, v133
	v_mul_lo_u32 v1, v1, v255
	s_delay_alu instid0(VALU_DEP_4)
	v_add3_u32 v2, v2, v3, v12
	s_clause 0x1
	scratch_load_b32 v3, off, off offset:568 th:TH_LOAD_LU
	scratch_load_b32 v12, off, off offset:584 th:TH_LOAD_LU
	v_mov_b32_e32 v133, v231
	v_mov_b32_e32 v231, v81
	s_wait_loadcnt 0x0
	v_add3_u32 v2, v2, v3, v12
	s_clause 0x1
	scratch_load_b32 v3, off, off offset:572 th:TH_LOAD_LU
	scratch_load_b32 v12, off, off offset:588 th:TH_LOAD_LU
	v_add3_u32 v2, v2, v24, v25
	v_mul_i32_i24_e32 v25, v93, v254
	v_mul_i32_i24_e32 v24, v74, v200
	s_wait_loadcnt 0x0
	s_delay_alu instid0(VALU_DEP_3)
	v_add3_u32 v2, v2, v3, v12
	s_clause 0x1
	scratch_load_b32 v3, off, off offset:576 th:TH_LOAD_LU
	scratch_load_b32 v12, off, off offset:592 th:TH_LOAD_LU
	v_add3_u32 v2, v2, v26, v28
	v_mul_i32_i24_e32 v26, v64, v210
	v_mul_i32_i24_e32 v28, v63, v208
	s_wait_loadcnt 0x0
	s_delay_alu instid0(VALU_DEP_3)
	v_add3_u32 v3, v2, v3, v12
	s_clause 0x2
	scratch_load_b32 v2, off, off offset:376 th:TH_LOAD_LU
	scratch_load_b32 v12, off, off offset:380 th:TH_LOAD_LU
	scratch_load_b32 v14, off, off offset:580 th:TH_LOAD_LU
	s_clause 0x1
	scratch_store_b32 off, v64, off offset:420
	scratch_store_b32 off, v63, off offset:408
	s_wait_loadcnt 0x0
	v_add3_u32 v2, v12, v2, v14
	v_mul_i32_i24_e32 v12, v30, v207
	v_mul_i32_i24_e32 v30, v33, v209
	v_mov_b32_e32 v33, v32
	s_clause 0x2
	scratch_store_b32 off, v54, off offset:404
	scratch_store_b32 off, v74, off offset:416
	;; [unrolled: 1-line block ×3, first 2 shown]
	v_mad_i32_i24 v30, v32, v228, v30
	scratch_store_b32 off, v33, off offset:396 ; 4-byte Folded Spill
	s_clause 0x1
	scratch_load_b32 v14, off, off offset:540 th:TH_LOAD_LU
	scratch_load_b32 v20, off, off offset:544 th:TH_LOAD_LU
	v_mad_co_u64_u32 v[1:2], null, v2, v243, v[1:2]
	v_add3_u32 v26, v30, v28, v26
	v_bfe_i32 v30, v43, 16, 8
	v_bfe_i32 v28, v43, 8, 8
	v_mov_b32_e32 v32, v91
	s_delay_alu instid0(VALU_DEP_4) | instskip(SKIP_3) | instid1(VALU_DEP_3)
	v_add3_u32 v12, v26, v12, v24
	v_mad_co_u64_u32 v[2:3], null, v3, v180, v[0:1]
	v_cvt_f32_i32_e32 v1, v1
	v_ashrrev_i32_e32 v26, 24, v42
	v_cvt_f32_i32_e32 v0, v2
	s_wait_loadcnt 0x0
	v_add3_u32 v25, v20, v14, v25
	s_clause 0x1
	scratch_load_b32 v14, off, off offset:556 th:TH_LOAD_LU
	scratch_load_b32 v20, off, off offset:564 th:TH_LOAD_LU
	s_wait_loadcnt 0x0
	v_add3_u32 v12, v12, v20, v14
	s_clause 0x1
	scratch_load_b32 v14, off, off offset:552 th:TH_LOAD_LU
	scratch_load_b32 v20, off, off offset:560 th:TH_LOAD_LU
	v_cvt_f32_i32_e32 v3, v12
	v_mul_i32_i24_e32 v12, v100, v129
	v_mov_b32_e32 v129, v98
	s_delay_alu instid0(VALU_DEP_3) | instskip(NEXT) | instid1(VALU_DEP_1)
	v_mul_f32_e32 v3, v179, v3
	v_fma_mix_f32 v0, v241, v0, -v3 op_sel_hi:[1,0,0]
	v_mul_i32_i24_e32 v3, v88, v219
	scratch_store_b32 off, v0, off offset:388 ; 4-byte Folded Spill
	v_mul_i32_i24_e32 v0, v102, v117
	s_wait_loadcnt 0x0
	v_add3_u32 v24, v25, v20, v14
	v_mul_i32_i24_e32 v20, v63, v112
	v_bfe_i32 v25, v42, 16, 8
	v_mul_i32_i24_e32 v63, v222, v27
	v_mov_b32_e32 v14, v221
	v_cvt_f32_i32_e32 v2, v24
	s_delay_alu instid0(VALU_DEP_1) | instskip(NEXT) | instid1(VALU_DEP_1)
	v_mul_f32_e32 v2, v247, v2
	v_fma_mix_f32 v1, v84, v1, -v2 op_sel_hi:[1,0,0]
	scratch_store_b32 off, v1, off offset:384 ; 4-byte Folded Spill
	v_mul_i32_i24_e32 v1, v40, v118
	s_delay_alu instid0(VALU_DEP_1) | instskip(SKIP_2) | instid1(VALU_DEP_1)
	v_add3_u32 v2, v34, v1, v0
	scratch_load_b32 v0, off, off offset:548 th:TH_LOAD_LU ; 4-byte Folded Reload
	v_bfe_i32 v34, v44, 8, 8
	v_mul_i32_i24_e32 v114, v227, v34
	s_wait_loadcnt 0x0
	v_mad_co_u64_u32 v[0:1], null, v0, v18, v[4:5]
	v_cvt_f32_i32_e32 v1, v2
	v_mul_i32_i24_e32 v2, v205, v83
	v_mul_i32_i24_e32 v4, v97, v109
	s_delay_alu instid0(VALU_DEP_3) | instskip(SKIP_1) | instid1(VALU_DEP_1)
	v_mul_f32_e32 v1, v17, v1
	v_cvt_f32_i32_e32 v0, v0
	v_fma_mix_f32 v0, v16, v0, -v1 op_sel_hi:[1,0,0]
	scratch_load_b32 v1, off, off offset:20 ; 4-byte Folded Reload
	s_wait_loadcnt 0x0
	v_fmac_f32_e32 v1, v131, v0
	v_mul_i32_i24_e32 v0, v203, v134
	v_dual_mov_b32 v131, v218 :: v_dual_mov_b32 v218, v171
	scratch_store_b32 off, v1, off offset:20 ; 4-byte Folded Spill
	v_mul_i32_i24_e32 v1, v204, v229
	v_add3_u32 v0, v5, v9, v0
	v_mul_i32_i24_e32 v5, v187, v107
	v_mul_i32_i24_e32 v9, v192, v56
	v_dual_mov_b32 v56, v31 :: v_dual_mov_b32 v107, v239
	s_delay_alu instid0(VALU_DEP_4)
	v_add3_u32 v0, v0, v1, v2
	s_clause 0x1
	scratch_load_b32 v1, off, off offset:476 th:TH_LOAD_LU
	scratch_load_b32 v2, off, off offset:480 th:TH_LOAD_LU
	v_mov_b32_e32 v239, v136
	v_add3_u32 v0, v0, v3, v4
	v_mul_i32_i24_e32 v3, v91, v10
	v_mul_i32_i24_e32 v4, v183, v110
	s_delay_alu instid0(VALU_DEP_3) | instskip(SKIP_4) | instid1(VALU_DEP_3)
	v_mul_lo_u32 v0, v0, v121
	s_wait_loadcnt 0x0
	v_add3_u32 v1, v2, v1, v12
	v_mul_i32_i24_e32 v2, v130, v113
	v_mul_i32_i24_e32 v12, v141, v128
	v_mul_lo_u32 v1, v1, v177
	s_delay_alu instid0(VALU_DEP_3) | instskip(SKIP_1) | instid1(VALU_DEP_2)
	v_mad_i32_i24 v2, v127, v11, v2
	v_mov_b32_e32 v11, v172
	v_add3_u32 v2, v2, v6, v7
	v_mul_i32_i24_e32 v6, v188, v87
	v_mul_i32_i24_e32 v7, v191, v80
	v_mov_b32_e32 v80, v124
	s_delay_alu instid0(VALU_DEP_4) | instskip(NEXT) | instid1(VALU_DEP_2)
	v_add3_u32 v2, v2, v3, v4
	v_mul_i32_i24_e32 v24, v80, v35
	v_bfe_i32 v35, v44, 16, 8
	s_delay_alu instid0(VALU_DEP_3) | instskip(SKIP_2) | instid1(VALU_DEP_4)
	v_add3_u32 v2, v2, v8, v13
	v_mul_i32_i24_e32 v13, v64, v162
	v_mov_b32_e32 v64, v147
	v_mul_i32_i24_e32 v115, v175, v35
	s_delay_alu instid0(VALU_DEP_4) | instskip(SKIP_2) | instid1(VALU_DEP_3)
	v_add3_u32 v2, v2, v5, v6
	v_mul_i32_i24_e32 v5, v140, v117
	v_mul_i32_i24_e32 v6, v40, v19
	v_add3_u32 v2, v2, v167, v170
	v_mov_b32_e32 v167, v235
	v_dual_mov_b32 v235, v247 :: v_dual_mov_b32 v170, v237
	v_mov_b32_e32 v237, v90
	s_delay_alu instid0(VALU_DEP_4)
	v_add3_u32 v2, v2, v7, v9
	v_mul_i32_i24_e32 v9, v74, v79
	v_mul_i32_i24_e32 v7, v166, v118
	v_mov_b32_e32 v166, v234
	v_mov_b32_e32 v74, v214
	v_add3_u32 v3, v2, v168, v24
	s_clause 0x1
	scratch_load_b32 v2, off, off offset:444 th:TH_LOAD_LU
	scratch_load_b32 v4, off, off offset:448 th:TH_LOAD_LU
	v_bfe_i32 v24, v42, 8, 8
	v_mov_b32_e32 v168, v236
	v_mov_b32_e32 v214, v127
	;; [unrolled: 1-line block ×3, first 2 shown]
	s_wait_loadcnt 0x0
	v_add3_u32 v2, v4, v2, v12
	v_mul_i32_i24_e32 v12, v93, v75
	v_mov_b32_e32 v93, v150
	v_mul_i32_i24_e32 v21, v46, v156
	v_mul_i32_i24_e32 v4, v102, v242
	v_mad_co_u64_u32 v[1:2], null, v2, v98, v[1:2]
	v_add3_u32 v12, v123, v15, v12
	s_delay_alu instid0(VALU_DEP_4) | instskip(SKIP_2) | instid1(VALU_DEP_4)
	v_mad_i32_i24 v21, v33, v165, v21
	v_bfe_i32 v33, v44, 0, 8
	v_dual_mov_b32 v15, v23 :: v_dual_mov_b32 v98, v125
	v_add3_u32 v4, v12, v6, v4
	s_delay_alu instid0(VALU_DEP_4)
	v_add3_u32 v13, v21, v20, v13
	v_mov_b32_e32 v21, v146
	v_mul_i32_i24_e32 v8, v54, v111
	v_mad_co_u64_u32 v[2:3], null, v3, v18, v[0:1]
	v_cvt_f32_i32_e32 v1, v1
	v_bfe_i32 v12, v41, 16, 8
	s_delay_alu instid0(VALU_DEP_4)
	v_add3_u32 v8, v13, v8, v9
	v_ashrrev_i32_e32 v13, 24, v41
	v_bfe_i32 v6, v39, 16, 8
	v_bfe_i32 v20, v42, 0, 8
	v_cvt_f32_i32_e32 v0, v2
	v_add3_u32 v5, v8, v7, v5
	v_cvt_f32_i32_e32 v2, v4
	v_bfe_i32 v4, v39, 0, 8
	v_ashrrev_i32_e32 v7, 24, v39
	v_bfe_i32 v8, v41, 0, 8
	v_cvt_f32_i32_e32 v3, v5
	v_mul_f32_e32 v2, v85, v2
	v_bfe_i32 v5, v39, 8, 8
	v_bfe_i32 v9, v41, 8, 8
	v_mul_i32_i24_e32 v46, v149, v6
	v_mul_f32_e32 v3, v17, v3
	v_fma_mix_f32 v1, v31, v1, -v2 op_sel_hi:[1,0,0]
	v_bfe_i32 v2, v38, 16, 8
	v_ashrrev_i32_e32 v31, 24, v43
	v_mul_i32_i24_e32 v54, v150, v7
	v_fma_mix_f32 v0, v16, v0, -v3 op_sel_hi:[1,0,0]
	scratch_store_b32 off, v1, off offset:376 ; 4-byte Folded Spill
	v_ashrrev_i32_e32 v3, 24, v38
	v_ashrrev_i32_e32 v38, 24, v44
	v_mul_i32_i24_e32 v44, v147, v4
	scratch_store_b32 off, v0, off offset:380 ; 4-byte Folded Spill
	v_add_nc_u32_e32 v0, v26, v13
	v_mul_i32_i24_e32 v1, v146, v3
	v_mul_i32_i24_e32 v85, v221, v28
	v_mov_b32_e32 v221, v233
	v_mul_i32_i24_e32 v110, v169, v31
	v_add3_u32 v39, v0, v31, v38
	v_add_nc_u32_e32 v0, v25, v12
	v_mul_i32_i24_e32 v113, v226, v33
	v_mul_i32_i24_e32 v86, v221, v30
	v_mov_b32_e32 v104, v138
	v_mov_b32_e32 v150, v213
	v_add3_u32 v40, v0, v30, v35
	v_add_nc_u32_e32 v0, v20, v8
	v_mov_b32_e32 v146, v120
	v_mul_i32_i24_e32 v116, v104, v38
	v_mov_b32_e32 v233, v99
	v_mov_b32_e32 v99, v211
	v_add3_u32 v41, v0, v27, v33
	v_dual_mov_b32 v147, v129 :: v_dual_add_nc_u32 v0, v24, v9
	v_mov_b32_e32 v213, v11
	v_mov_b32_e32 v211, v169
	;; [unrolled: 1-line block ×3, first 2 shown]
	s_delay_alu instid0(VALU_DEP_4)
	v_add3_u32 v42, v0, v28, v34
	scratch_load_b32 v0, off, off offset:504 th:TH_LOAD_LU ; 4-byte Folded Reload
	s_wait_loadcnt 0x0
	v_add3_u32 v29, v0, v3, v7
	scratch_load_b32 v0, off, off offset:508 th:TH_LOAD_LU ; 4-byte Folded Reload
	s_wait_loadcnt 0x0
	;; [unrolled: 3-line block ×3, first 2 shown]
	v_add3_u32 v37, v0, v45, v5
	s_clause 0x8
	scratch_load_b32 v135, off, off offset:76
	scratch_load_b32 v123, off, off offset:72
	scratch_load_b32 v0, off, off offset:516 th:TH_LOAD_LU
	scratch_load_b32 v128, off, off offset:100
	scratch_load_b32 v151, off, off offset:96
	;; [unrolled: 1-line block ×5, first 2 shown]
	scratch_load_b32 v10, off, off offset:520 th:TH_LOAD_LU
	v_mul_i32_i24_e32 v45, v148, v5
	s_wait_loadcnt 0x6
	v_add3_u32 v36, v0, v71, v4
	v_mul_i32_i24_e32 v0, v131, v2
	v_mov_b32_e32 v71, v155
	v_dual_mov_b32 v155, v244 :: v_dual_mov_b32 v244, v144
	s_wait_loadcnt 0x0
	s_delay_alu instid0(VALU_DEP_3)
	v_add3_u32 v0, v10, v0, v1
	scratch_load_b32 v10, off, off offset:500 th:TH_LOAD_LU ; 4-byte Folded Reload
	v_mul_i32_i24_e32 v1, v172, v8
	v_mov_b32_e32 v172, v122
	v_mov_b32_e32 v122, v201
	v_add3_u32 v0, v0, v44, v45
	v_mul_i32_i24_e32 v44, v133, v12
	v_mul_i32_i24_e32 v45, v144, v13
	v_mad_i32_i24 v1, v171, v9, v1
	v_mov_b32_e32 v171, v238
	v_add3_u32 v0, v0, v46, v54
	v_mul_i32_i24_e32 v46, v201, v25
	v_mul_i32_i24_e32 v54, v220, v26
	v_add3_u32 v1, v1, v44, v45
	v_mul_i32_i24_e32 v44, v198, v20
	v_mul_i32_i24_e32 v45, v199, v24
	v_mul_lo_u32 v0, v0, v181
	s_delay_alu instid0(VALU_DEP_2) | instskip(SKIP_2) | instid1(VALU_DEP_3)
	v_add3_u32 v1, v1, v44, v45
	v_mul_i32_i24_e32 v44, v39, v194
	v_mul_i32_i24_e32 v45, v40, v186
	v_add3_u32 v1, v1, v46, v54
	v_mul_i32_i24_e32 v46, v41, v207
	v_mul_i32_i24_e32 v54, v42, v200
	s_delay_alu instid0(VALU_DEP_3) | instskip(SKIP_2) | instid1(VALU_DEP_3)
	v_add3_u32 v1, v1, v63, v85
	v_mul_i32_i24_e32 v63, v29, v210
	v_mul_i32_i24_e32 v85, v43, v208
	v_add3_u32 v1, v1, v86, v110
	v_mul_i32_i24_e32 v86, v36, v209
	v_mul_i32_i24_e32 v110, v216, v31
	s_delay_alu instid0(VALU_DEP_3) | instskip(NEXT) | instid1(VALU_DEP_3)
	v_add3_u32 v1, v1, v113, v114
	v_mad_i32_i24 v86, v37, v228, v86
	v_mul_i32_i24_e32 v113, v171, v33
	v_mul_i32_i24_e32 v114, v172, v34
	s_delay_alu instid0(VALU_DEP_4) | instskip(NEXT) | instid1(VALU_DEP_4)
	v_add3_u32 v1, v1, v115, v116
	v_add3_u32 v63, v86, v85, v63
	v_mul_i32_i24_e32 v85, v170, v28
	v_mul_i32_i24_e32 v86, v215, v30
	;; [unrolled: 1-line block ×3, first 2 shown]
	v_mad_co_u64_u32 v[0:1], null, v1, v180, v[0:1]
	v_add3_u32 v46, v63, v46, v54
	v_mul_i32_i24_e32 v54, v108, v7
	v_mul_i32_i24_e32 v63, v168, v27
	;; [unrolled: 1-line block ×3, first 2 shown]
	s_delay_alu instid0(VALU_DEP_4) | instskip(SKIP_3) | instid1(VALU_DEP_4)
	v_add3_u32 v44, v46, v45, v44
	v_cvt_f32_i32_e32 v0, v0
	v_mul_i32_i24_e32 v45, v176, v5
	v_mul_i32_i24_e32 v46, v178, v6
	v_cvt_f32_i32_e32 v1, v44
	v_mul_i32_i24_e32 v44, v173, v4
	s_delay_alu instid0(VALU_DEP_2) | instskip(NEXT) | instid1(VALU_DEP_1)
	v_mul_f32_e32 v1, v179, v1
	v_fma_mix_f32 v0, v241, v0, -v1 op_sel_hi:[1,0,0]
	v_mul_i32_i24_e32 v1, v182, v3
	s_delay_alu instid0(VALU_DEP_2) | instskip(SKIP_2) | instid1(VALU_DEP_1)
	v_fmac_f32_e32 v123, v145, v0
	v_mul_i32_i24_e32 v0, v136, v2
	s_wait_loadcnt 0x0
	v_add3_u32 v0, v10, v0, v1
	v_dual_mov_b32 v10, v119 :: v_dual_mov_b32 v119, v84
	s_delay_alu instid0(VALU_DEP_2) | instskip(NEXT) | instid1(VALU_DEP_2)
	v_add3_u32 v0, v0, v44, v45
	v_mul_i32_i24_e32 v1, v10, v8
	v_mul_i32_i24_e32 v44, v137, v12
	;; [unrolled: 1-line block ×3, first 2 shown]
	s_delay_alu instid0(VALU_DEP_4) | instskip(NEXT) | instid1(VALU_DEP_4)
	v_add3_u32 v0, v0, v46, v54
	v_mad_i32_i24 v1, v146, v9, v1
	v_mul_i32_i24_e32 v46, v74, v25
	v_mul_i32_i24_e32 v54, v195, v26
	s_delay_alu instid0(VALU_DEP_4) | instskip(NEXT) | instid1(VALU_DEP_4)
	v_mul_lo_u32 v0, v0, v255
	v_add3_u32 v1, v1, v44, v45
	v_mul_i32_i24_e32 v44, v166, v20
	v_mul_i32_i24_e32 v45, v167, v24
	s_delay_alu instid0(VALU_DEP_1) | instskip(SKIP_2) | instid1(VALU_DEP_3)
	v_add3_u32 v1, v1, v44, v45
	v_mul_i32_i24_e32 v44, v39, v223
	v_mul_i32_i24_e32 v45, v40, v103
	v_add3_u32 v1, v1, v46, v54
	v_mul_i32_i24_e32 v46, v41, v253
	v_mul_i32_i24_e32 v54, v42, v254
	s_delay_alu instid0(VALU_DEP_3) | instskip(SKIP_2) | instid1(VALU_DEP_3)
	v_add3_u32 v1, v1, v63, v85
	v_mul_i32_i24_e32 v63, v29, v252
	v_mul_i32_i24_e32 v85, v43, v250
	v_add3_u32 v1, v1, v86, v110
	v_mul_i32_i24_e32 v86, v36, v249
	v_mul_i32_i24_e32 v110, v190, v31
	s_delay_alu instid0(VALU_DEP_3) | instskip(NEXT) | instid1(VALU_DEP_3)
	v_add3_u32 v1, v1, v113, v114
	v_mad_i32_i24 v86, v37, v248, v86
	v_mul_i32_i24_e32 v113, v191, v33
	v_mul_i32_i24_e32 v114, v192, v34
	s_delay_alu instid0(VALU_DEP_4) | instskip(NEXT) | instid1(VALU_DEP_4)
	v_add3_u32 v1, v1, v115, v116
	v_add3_u32 v63, v86, v85, v63
	v_mul_i32_i24_e32 v85, v188, v28
	v_mul_i32_i24_e32 v86, v189, v30
	v_mul_i32_i24_e32 v115, v193, v35
	v_mad_co_u64_u32 v[0:1], null, v1, v243, v[0:1]
	v_add3_u32 v46, v63, v46, v54
	scratch_load_b32 v63, off, off offset:496 th:TH_LOAD_LU ; 4-byte Folded Reload
	v_mul_i32_i24_e32 v54, v97, v7
	v_mul_i32_i24_e32 v116, v80, v38
	v_add3_u32 v44, v46, v45, v44
	v_cvt_f32_i32_e32 v0, v0
	v_mul_i32_i24_e32 v45, v205, v5
	v_mul_i32_i24_e32 v46, v88, v6
	s_delay_alu instid0(VALU_DEP_4) | instskip(SKIP_1) | instid1(VALU_DEP_2)
	v_cvt_f32_i32_e32 v1, v44
	v_mul_i32_i24_e32 v44, v204, v4
	v_mul_f32_e32 v1, v247, v1
	v_mov_b32_e32 v247, v80
	s_delay_alu instid0(VALU_DEP_2) | instskip(SKIP_2) | instid1(VALU_DEP_3)
	v_fma_mix_f32 v0, v84, v0, -v1 op_sel_hi:[1,0,0]
	v_mul_i32_i24_e32 v1, v203, v3
	v_mov_b32_e32 v84, v100
	v_fmac_f32_e32 v124, v145, v0
	v_mul_i32_i24_e32 v0, v233, v2
	s_wait_loadcnt 0x0
	s_delay_alu instid0(VALU_DEP_1) | instskip(SKIP_2) | instid1(VALU_DEP_3)
	v_add3_u32 v0, v63, v0, v1
	v_mul_i32_i24_e32 v1, v130, v8
	v_mul_i32_i24_e32 v63, v187, v27
	v_add3_u32 v0, v0, v44, v45
	v_mul_i32_i24_e32 v44, v196, v12
	v_mul_i32_i24_e32 v45, v197, v13
	v_mad_i32_i24 v1, v127, v9, v1
	s_delay_alu instid0(VALU_DEP_4) | instskip(SKIP_2) | instid1(VALU_DEP_4)
	v_add3_u32 v0, v0, v46, v54
	v_mul_i32_i24_e32 v46, v184, v25
	v_mul_i32_i24_e32 v54, v185, v26
	v_add3_u32 v1, v1, v44, v45
	v_mul_i32_i24_e32 v44, v91, v20
	v_mul_i32_i24_e32 v45, v183, v24
	v_mul_lo_u32 v0, v0, v121
	v_mov_b32_e32 v91, v132
	s_delay_alu instid0(VALU_DEP_3) | instskip(SKIP_2) | instid1(VALU_DEP_3)
	v_add3_u32 v1, v1, v44, v45
	v_mul_i32_i24_e32 v44, v39, v117
	v_mul_i32_i24_e32 v45, v40, v118
	v_add3_u32 v1, v1, v46, v54
	v_mul_i32_i24_e32 v46, v41, v111
	v_mul_i32_i24_e32 v54, v42, v79
	s_delay_alu instid0(VALU_DEP_3) | instskip(SKIP_2) | instid1(VALU_DEP_3)
	v_add3_u32 v1, v1, v63, v85
	v_mul_i32_i24_e32 v63, v29, v162
	v_mul_i32_i24_e32 v85, v43, v112
	v_add3_u32 v1, v1, v86, v110
	v_mul_i32_i24_e32 v86, v36, v156
	s_delay_alu instid0(VALU_DEP_2) | instskip(NEXT) | instid1(VALU_DEP_2)
	v_add3_u32 v1, v1, v113, v114
	v_mad_i32_i24 v86, v37, v165, v86
	s_delay_alu instid0(VALU_DEP_2) | instskip(NEXT) | instid1(VALU_DEP_2)
	v_add3_u32 v1, v1, v115, v116
	v_add3_u32 v63, v86, v85, v63
	s_delay_alu instid0(VALU_DEP_2) | instskip(NEXT) | instid1(VALU_DEP_2)
	v_mad_co_u64_u32 v[0:1], null, v1, v18, v[0:1]
	v_add3_u32 v46, v63, v46, v54
	s_delay_alu instid0(VALU_DEP_1) | instskip(NEXT) | instid1(VALU_DEP_3)
	v_add3_u32 v44, v46, v45, v44
	v_cvt_f32_i32_e32 v0, v0
	s_delay_alu instid0(VALU_DEP_2) | instskip(SKIP_4) | instid1(VALU_DEP_1)
	v_cvt_f32_i32_e32 v1, v44
	v_mov_b32_e32 v138, v108
	v_dual_mov_b32 v108, v143 :: v_dual_mov_b32 v143, v126
	scratch_store_b32 off, v123, off offset:72 ; 4-byte Folded Spill
	v_mul_f32_e32 v1, v17, v1
	v_fma_mix_f32 v0, v16, v0, -v1 op_sel_hi:[1,0,0]
	v_mul_i32_i24_e32 v1, v157, v3
	v_mul_i32_i24_e32 v3, v160, v5
	;; [unrolled: 1-line block ×3, first 2 shown]
	s_delay_alu instid0(VALU_DEP_4)
	v_dual_mov_b32 v100, v212 :: v_dual_fmac_f32 v87, v145, v0
	v_mul_i32_i24_e32 v0, v224, v2
	v_mul_i32_i24_e32 v2, v158, v4
	;; [unrolled: 1-line block ×3, first 2 shown]
	scratch_load_b32 v6, off, off offset:492 th:TH_LOAD_LU ; 4-byte Folded Reload
	s_clause 0x1
	scratch_store_b32 off, v124, off offset:84
	scratch_store_b32 off, v87, off offset:92
	v_mov_b32_e32 v87, v105
	v_mul_i32_i24_e32 v7, v100, v28
	v_dual_mov_b32 v105, v223 :: v_dual_mov_b32 v212, v68
	s_wait_loadcnt 0x0
	v_add3_u32 v0, v6, v0, v1
	v_mul_i32_i24_e32 v1, v153, v8
	v_mul_i32_i24_e32 v6, v99, v27
	;; [unrolled: 1-line block ×3, first 2 shown]
	s_delay_alu instid0(VALU_DEP_4)
	v_add3_u32 v0, v0, v2, v3
	v_mul_i32_i24_e32 v2, v154, v12
	v_mul_i32_i24_e32 v3, v155, v13
	v_mad_i32_i24 v1, v152, v9, v1
	v_mul_i32_i24_e32 v9, v106, v31
	v_add3_u32 v0, v0, v4, v5
	v_mul_i32_i24_e32 v4, v87, v25
	v_mul_i32_i24_e32 v5, v98, v26
	v_add3_u32 v1, v1, v2, v3
	v_mul_i32_i24_e32 v2, v245, v20
	v_mul_i32_i24_e32 v3, v246, v24
	;; [unrolled: 1-line block ×6, first 2 shown]
	v_add3_u32 v1, v1, v2, v3
	v_mul_lo_u32 v0, v0, v177
	v_mul_i32_i24_e32 v2, v39, v242
	v_mul_i32_i24_e32 v3, v40, v19
	s_delay_alu instid0(VALU_DEP_4) | instskip(SKIP_2) | instid1(VALU_DEP_3)
	v_add3_u32 v1, v1, v4, v5
	v_mul_i32_i24_e32 v4, v41, v15
	v_mul_i32_i24_e32 v5, v42, v75
	v_add3_u32 v1, v1, v6, v7
	v_mul_i32_i24_e32 v6, v29, v22
	v_mul_i32_i24_e32 v7, v43, v232
	s_delay_alu instid0(VALU_DEP_3) | instskip(SKIP_1) | instid1(VALU_DEP_2)
	v_add3_u32 v1, v1, v8, v9
	v_mul_i32_i24_e32 v8, v36, v91
	v_add3_u32 v1, v1, v12, v13
	s_delay_alu instid0(VALU_DEP_2) | instskip(NEXT) | instid1(VALU_DEP_2)
	v_mad_i32_i24 v8, v37, v240, v8
	v_add3_u32 v1, v1, v20, v24
	s_delay_alu instid0(VALU_DEP_2) | instskip(NEXT) | instid1(VALU_DEP_2)
	v_add3_u32 v6, v8, v7, v6
	v_mad_co_u64_u32 v[0:1], null, v1, v147, v[0:1]
	s_delay_alu instid0(VALU_DEP_2) | instskip(NEXT) | instid1(VALU_DEP_1)
	v_add3_u32 v4, v6, v4, v5
	v_add3_u32 v2, v4, v3, v2
	s_delay_alu instid0(VALU_DEP_3) | instskip(SKIP_2) | instid1(VALU_DEP_1)
	v_cvt_f32_i32_e32 v0, v0
	scratch_load_b32 v4, off, off offset:468 th:TH_LOAD_LU ; 4-byte Folded Reload
	v_cvt_f32_i32_e32 v1, v2
	v_dual_mov_b32 v236, v97 :: v_dual_mul_f32 v1, v143, v1
	s_delay_alu instid0(VALU_DEP_1) | instskip(NEXT) | instid1(VALU_DEP_1)
	v_fma_mix_f32 v0, v56, v0, -v1 op_sel_hi:[1,0,0]
	v_fmac_f32_e32 v128, v145, v0
	scratch_load_b32 v0, off, off offset:472 th:TH_LOAD_LU ; 4-byte Folded Reload
	v_mov_b32_e32 v145, v82
	scratch_store_b32 off, v128, off offset:100 ; 4-byte Folded Spill
	s_wait_loadcnt 0x0
	ds_load_b32 v8, v0 offset:30368
	ds_load_b128 v[0:3], v4 offset:16896
	ds_load_b128 v[4:7], v4 offset:16912
	v_mov_b32_e32 v120, v133
	s_wait_dscnt 0x1
	v_bfe_i32 v9, v0, 0, 8
	s_wait_dscnt 0x0
	v_bfe_i32 v35, v4, 0, 8
	v_bfe_i32 v36, v4, 8, 8
	;; [unrolled: 1-line block ×3, first 2 shown]
	v_ashrrev_i32_e32 v4, 24, v4
	v_bfe_i32 v38, v5, 0, 8
	v_bfe_i32 v39, v5, 8, 8
	;; [unrolled: 1-line block ×3, first 2 shown]
	v_ashrrev_i32_e32 v5, 24, v5
	v_bfe_i32 v12, v0, 8, 8
	v_bfe_i32 v13, v0, 16, 8
	v_ashrrev_i32_e32 v20, 24, v0
	v_bfe_i32 v41, v6, 0, 8
	v_bfe_i32 v42, v6, 8, 8
	;; [unrolled: 1-line block ×3, first 2 shown]
	v_ashrrev_i32_e32 v6, 24, v6
	v_bfe_i32 v44, v7, 0, 8
	v_bfe_i32 v45, v7, 8, 8
	;; [unrolled: 1-line block ×3, first 2 shown]
	v_ashrrev_i32_e32 v7, 24, v7
	v_add_nc_u32_e32 v0, v5, v4
	v_ashrrev_i32_e32 v27, 24, v1
	v_bfe_i32 v26, v1, 16, 8
	v_bfe_i32 v28, v2, 0, 8
	;; [unrolled: 1-line block ×3, first 2 shown]
	v_add3_u32 v54, v0, v6, v7
	v_add_nc_u32_e32 v0, v40, v37
	v_bfe_i32 v30, v2, 16, 8
	v_ashrrev_i32_e32 v2, 24, v2
	v_bfe_i32 v31, v3, 0, 8
	v_bfe_i32 v33, v3, 8, 8
	v_add3_u32 v63, v0, v43, v46
	v_add_nc_u32_e32 v0, v38, v35
	v_bfe_i32 v34, v3, 16, 8
	v_ashrrev_i32_e32 v3, 24, v3
	v_bfe_i32 v25, v1, 8, 8
	v_bfe_i32 v24, v1, 0, 8
	v_add3_u32 v85, v0, v41, v44
	v_add_nc_u32_e32 v0, v39, v36
	v_mul_i32_i24_e32 v1, v13, v82
	v_mul_i32_i24_e32 v116, v20, v90
	;; [unrolled: 1-line block ×4, first 2 shown]
	v_add3_u32 v86, v0, v42, v45
	v_add_nc_u32_e32 v0, v27, v20
	v_mul_i32_i24_e32 v125, v77, v28
	v_mul_i32_i24_e32 v126, v78, v29
	;; [unrolled: 1-line block ×4, first 2 shown]
	v_add3_u32 v110, v0, v2, v3
	v_add_nc_u32_e32 v0, v26, v13
	v_mul_i32_i24_e32 v129, v64, v31
	v_mul_i32_i24_e32 v130, v148, v33
	v_mov_b32_e32 v82, v72
	v_mov_b32_e32 v72, v73
	v_add3_u32 v113, v0, v30, v34
	v_add_nc_u32_e32 v0, v25, v12
	v_mov_b32_e32 v73, v77
	v_mov_b32_e32 v77, v131
	v_mul_i32_i24_e32 v131, v149, v34
	v_mul_i32_i24_e32 v132, v93, v3
	v_add3_u32 v114, v0, v29, v33
	v_add_nc_u32_e32 v0, v24, v9
	v_mov_b32_e32 v90, v221
	s_delay_alu instid0(VALU_DEP_2) | instskip(SKIP_2) | instid1(VALU_DEP_2)
	v_add3_u32 v115, v0, v28, v31
	v_mul_i32_i24_e32 v0, v9, v81
	v_mov_b32_e32 v81, v48
	v_mad_i32_i24 v0, v12, v48, v0
	s_delay_alu instid0(VALU_DEP_1) | instskip(SKIP_2) | instid1(VALU_DEP_1)
	v_add3_u32 v0, v0, v1, v116
	v_mul_i32_i24_e32 v1, v70, v24
	v_mul_i32_i24_e32 v116, v67, v25
	v_add3_u32 v0, v0, v1, v116
	v_mul_i32_i24_e32 v1, v11, v35
	v_mul_i32_i24_e32 v116, v133, v37
	;; [unrolled: 1-line block ×3, first 2 shown]
	v_mov_b32_e32 v11, v182
	v_add3_u32 v0, v0, v123, v124
	v_mul_i32_i24_e32 v123, v144, v4
	v_mad_i32_i24 v1, v218, v36, v1
	v_mul_i32_i24_e32 v124, v201, v40
	v_mov_b32_e32 v201, v166
	v_add3_u32 v0, v0, v125, v126
	v_mul_i32_i24_e32 v125, v220, v5
	v_add3_u32 v1, v1, v116, v123
	v_mul_i32_i24_e32 v116, v198, v38
	v_mul_i32_i24_e32 v123, v199, v39
	v_add3_u32 v0, v0, v127, v128
	v_mul_i32_i24_e32 v126, v222, v41
	v_mul_i32_i24_e32 v127, v14, v42
	v_mul_i32_i24_e32 v128, v221, v43
	v_add3_u32 v1, v1, v116, v123
	v_add3_u32 v0, v0, v129, v130
	v_mul_i32_i24_e32 v129, v169, v6
	v_mul_i32_i24_e32 v130, v226, v44
	v_mul_i32_i24_e32 v116, v54, v194
	v_add3_u32 v1, v1, v124, v125
	;; [unrolled: 5-line block ×3, first 2 shown]
	v_mul_i32_i24_e32 v126, v110, v210
	v_mul_i32_i24_e32 v127, v113, v208
	;; [unrolled: 1-line block ×3, first 2 shown]
	v_mul_lo_u32 v0, v0, v181
	v_add3_u32 v1, v1, v128, v129
	v_mul_i32_i24_e32 v128, v115, v209
	v_mul_i32_i24_e32 v123, v63, v186
	;; [unrolled: 1-line block ×3, first 2 shown]
	v_mov_b32_e32 v221, v138
	v_add3_u32 v1, v1, v130, v131
	v_mad_i32_i24 v128, v114, v228, v128
	v_mul_i32_i24_e32 v130, v176, v33
	v_mul_i32_i24_e32 v131, v178, v34
	v_mov_b32_e32 v169, v150
	v_add3_u32 v1, v1, v132, v133
	v_add3_u32 v126, v128, v127, v126
	v_mul_i32_i24_e32 v127, v136, v30
	v_mul_i32_i24_e32 v128, v182, v2
	;; [unrolled: 1-line block ×3, first 2 shown]
	v_mad_co_u64_u32 v[0:1], null, v1, v180, v[0:1]
	v_add3_u32 v124, v126, v124, v125
	v_mul_i32_i24_e32 v125, v68, v28
	v_mul_i32_i24_e32 v126, v69, v29
	;; [unrolled: 1-line block ×3, first 2 shown]
	v_mov_b32_e32 v136, v10
	v_add3_u32 v116, v124, v123, v116
	v_cvt_f32_i32_e32 v0, v0
	v_mul_i32_i24_e32 v123, v202, v26
	v_mul_i32_i24_e32 v124, v65, v27
	v_mov_b32_e32 v144, v178
	v_cvt_f32_i32_e32 v1, v116
	v_mul_i32_i24_e32 v116, v20, v52
	s_delay_alu instid0(VALU_DEP_2) | instskip(NEXT) | instid1(VALU_DEP_1)
	v_mul_f32_e32 v1, v179, v1
	v_fma_mix_f32 v0, v241, v0, -v1 op_sel_hi:[1,0,0]
	v_mov_b32_e32 v48, v70
	v_mul_i32_i24_e32 v1, v13, v230
	v_dual_mov_b32 v70, v67 :: v_dual_mov_b32 v67, v195
	s_delay_alu instid0(VALU_DEP_4) | instskip(SKIP_1) | instid1(VALU_DEP_1)
	v_fmac_f32_e32 v139, v8, v0
	v_mul_i32_i24_e32 v0, v9, v174
	v_mad_i32_i24 v0, v12, v55, v0
	s_delay_alu instid0(VALU_DEP_1) | instskip(SKIP_2) | instid1(VALU_DEP_1)
	v_add3_u32 v0, v0, v1, v116
	v_mul_i32_i24_e32 v1, v53, v24
	v_mul_i32_i24_e32 v116, v62, v25
	v_add3_u32 v0, v0, v1, v116
	v_mul_i32_i24_e32 v1, v10, v35
	v_mul_i32_i24_e32 v116, v137, v37
	v_dual_mov_b32 v10, v137 :: v_dual_mov_b32 v137, v167
	s_delay_alu instid0(VALU_DEP_4) | instskip(SKIP_3) | instid1(VALU_DEP_4)
	v_add3_u32 v0, v0, v123, v124
	v_mul_i32_i24_e32 v123, v150, v4
	v_mad_i32_i24 v1, v146, v36, v1
	v_mul_i32_i24_e32 v124, v74, v40
	v_add3_u32 v0, v0, v125, v126
	v_mul_i32_i24_e32 v125, v195, v5
	s_delay_alu instid0(VALU_DEP_4)
	v_add3_u32 v1, v1, v116, v123
	v_mul_i32_i24_e32 v116, v166, v38
	v_mul_i32_i24_e32 v123, v167, v39
	v_add3_u32 v0, v0, v127, v128
	v_mul_i32_i24_e32 v126, v168, v41
	v_mul_i32_i24_e32 v127, v170, v42
	v_mul_i32_i24_e32 v128, v215, v43
	v_add3_u32 v1, v1, v116, v123
	v_add3_u32 v0, v0, v129, v130
	v_mul_i32_i24_e32 v129, v216, v6
	v_mul_i32_i24_e32 v130, v171, v44
	v_mul_i32_i24_e32 v116, v54, v223
	v_add3_u32 v1, v1, v124, v125
	;; [unrolled: 5-line block ×3, first 2 shown]
	v_mul_i32_i24_e32 v126, v110, v252
	v_mul_i32_i24_e32 v127, v113, v250
	v_mul_i32_i24_e32 v132, v217, v46
	v_mul_lo_u32 v0, v0, v255
	v_add3_u32 v1, v1, v128, v129
	v_mul_i32_i24_e32 v128, v115, v249
	v_mul_i32_i24_e32 v123, v63, v103
	;; [unrolled: 1-line block ×3, first 2 shown]
	v_mov_b32_e32 v167, v170
	v_add3_u32 v1, v1, v130, v131
	v_mad_i32_i24 v128, v114, v248, v128
	v_mul_i32_i24_e32 v130, v205, v33
	v_mul_i32_i24_e32 v131, v159, v34
	v_mov_b32_e32 v195, v189
	v_add3_u32 v1, v1, v132, v133
	v_add3_u32 v126, v128, v127, v126
	v_mul_i32_i24_e32 v127, v233, v30
	v_mul_i32_i24_e32 v128, v203, v2
	;; [unrolled: 1-line block ×3, first 2 shown]
	v_mad_co_u64_u32 v[0:1], null, v1, v243, v[0:1]
	v_add3_u32 v124, v126, v124, v125
	v_mul_i32_i24_e32 v125, v60, v28
	v_mul_i32_i24_e32 v126, v61, v29
	;; [unrolled: 1-line block ×4, first 2 shown]
	v_add3_u32 v116, v124, v123, v116
	v_cvt_f32_i32_e32 v0, v0
	v_mul_i32_i24_e32 v123, v76, v26
	v_mul_i32_i24_e32 v124, v59, v27
	;; [unrolled: 1-line block ×3, first 2 shown]
	v_cvt_f32_i32_e32 v1, v116
	v_mov_b32_e32 v102, v78
	v_mul_i32_i24_e32 v116, v20, v95
	v_mul_i32_i24_e32 v7, v141, v7
	s_delay_alu instid0(VALU_DEP_4) | instskip(SKIP_1) | instid1(VALU_DEP_2)
	v_dual_mov_b32 v166, v168 :: v_dual_mul_f32 v1, v235, v1
	v_dual_mov_b32 v168, v171 :: v_dual_mov_b32 v171, v190
	v_fma_mix_f32 v0, v119, v0, -v1 op_sel_hi:[1,0,0]
	v_mul_i32_i24_e32 v1, v13, v96
	s_delay_alu instid0(VALU_DEP_2) | instskip(SKIP_4) | instid1(VALU_DEP_2)
	v_fmac_f32_e32 v135, v8, v0
	v_mul_i32_i24_e32 v0, v9, v101
	scratch_store_b32 off, v135, off offset:76 ; 4-byte Folded Spill
	v_mad_i32_i24 v0, v12, v161, v0
	v_mov_b32_e32 v135, v99
	v_add3_u32 v0, v0, v1, v116
	v_mul_i32_i24_e32 v1, v164, v24
	v_mul_i32_i24_e32 v116, v89, v25
	s_delay_alu instid0(VALU_DEP_1) | instskip(SKIP_2) | instid1(VALU_DEP_3)
	v_add3_u32 v0, v0, v1, v116
	v_mul_i32_i24_e32 v1, v234, v35
	v_mul_i32_i24_e32 v116, v196, v37
	v_add3_u32 v0, v0, v123, v124
	v_mul_i32_i24_e32 v123, v197, v4
	s_delay_alu instid0(VALU_DEP_4) | instskip(SKIP_1) | instid1(VALU_DEP_4)
	v_mad_i32_i24 v1, v214, v36, v1
	v_mul_i32_i24_e32 v124, v184, v40
	v_add3_u32 v0, v0, v125, v126
	v_mul_i32_i24_e32 v125, v185, v5
	s_delay_alu instid0(VALU_DEP_4)
	v_add3_u32 v1, v1, v116, v123
	v_mul_i32_i24_e32 v116, v32, v38
	v_mul_i32_i24_e32 v123, v183, v39
	v_add3_u32 v0, v0, v127, v128
	v_mul_i32_i24_e32 v126, v187, v41
	v_mul_i32_i24_e32 v127, v188, v42
	v_mul_i32_i24_e32 v128, v189, v43
	v_add3_u32 v1, v1, v116, v123
	v_add3_u32 v0, v0, v129, v130
	v_mul_i32_i24_e32 v129, v190, v6
	v_mul_i32_i24_e32 v130, v191, v44
	v_mul_i32_i24_e32 v116, v54, v117
	v_add3_u32 v1, v1, v124, v125
	;; [unrolled: 5-line block ×3, first 2 shown]
	v_mul_i32_i24_e32 v126, v110, v162
	v_mul_i32_i24_e32 v127, v113, v112
	;; [unrolled: 1-line block ×3, first 2 shown]
	v_mul_lo_u32 v0, v0, v121
	v_add3_u32 v1, v1, v128, v129
	v_mul_i32_i24_e32 v128, v115, v156
	v_mul_i32_i24_e32 v123, v63, v118
	v_mul_i32_i24_e32 v5, v98, v5
	v_mul_i32_i24_e32 v6, v106, v6
	v_add3_u32 v1, v1, v130, v131
	v_mad_i32_i24 v128, v114, v165, v128
	v_dual_mov_b32 v189, v51 :: v_dual_mov_b32 v182, v94
	s_delay_alu instid0(VALU_DEP_3) | instskip(NEXT) | instid1(VALU_DEP_3)
	v_add3_u32 v1, v1, v132, v133
	v_add3_u32 v126, v128, v127, v126
	v_mov_b32_e32 v133, v98
	s_delay_alu instid0(VALU_DEP_3) | instskip(NEXT) | instid1(VALU_DEP_3)
	v_mad_co_u64_u32 v[0:1], null, v1, v18, v[0:1]
	v_add3_u32 v124, v126, v124, v125
	s_delay_alu instid0(VALU_DEP_1) | instskip(NEXT) | instid1(VALU_DEP_3)
	v_add3_u32 v116, v124, v123, v116
	v_cvt_f32_i32_e32 v0, v0
	s_delay_alu instid0(VALU_DEP_2) | instskip(SKIP_1) | instid1(VALU_DEP_2)
	v_cvt_f32_i32_e32 v1, v116
	v_mov_b32_e32 v238, v220
	v_dual_mov_b32 v116, v87 :: v_dual_mul_f32 v1, v17, v1
	s_delay_alu instid0(VALU_DEP_1) | instskip(SKIP_3) | instid1(VALU_DEP_4)
	v_fma_mix_f32 v0, v16, v0, -v1 op_sel_hi:[1,0,0]
	v_mul_i32_i24_e32 v1, v13, v92
	v_mul_i32_i24_e32 v13, v58, v27
	;; [unrolled: 1-line block ×3, first 2 shown]
	v_fmac_f32_e32 v140, v8, v0
	v_mul_i32_i24_e32 v0, v9, v50
	v_mul_i32_i24_e32 v9, v20, v51
	;; [unrolled: 1-line block ×4, first 2 shown]
	scratch_store_b32 off, v139, off offset:80 ; 4-byte Folded Spill
	v_mad_i32_i24 v0, v12, v49, v0
	v_mul_i32_i24_e32 v12, v94, v26
	v_mul_i32_i24_e32 v26, v158, v31
	v_dual_mov_b32 v139, v100 :: v_dual_mov_b32 v94, v22
	s_delay_alu instid0(VALU_DEP_4) | instskip(SKIP_4) | instid1(VALU_DEP_3)
	v_add3_u32 v0, v0, v1, v9
	v_mul_i32_i24_e32 v1, v225, v24
	v_mul_i32_i24_e32 v9, v47, v25
	;; [unrolled: 1-line block ×4, first 2 shown]
	v_add3_u32 v0, v0, v1, v9
	v_mul_i32_i24_e32 v1, v153, v35
	v_mul_i32_i24_e32 v9, v99, v41
	s_delay_alu instid0(VALU_DEP_3) | instskip(NEXT) | instid1(VALU_DEP_3)
	v_add3_u32 v0, v0, v12, v13
	v_mad_i32_i24 v1, v152, v36, v1
	v_mul_i32_i24_e32 v12, v100, v42
	v_mul_i32_i24_e32 v13, v251, v43
	s_delay_alu instid0(VALU_DEP_4) | instskip(SKIP_2) | instid1(VALU_DEP_3)
	v_add3_u32 v0, v0, v20, v24
	v_mul_i32_i24_e32 v20, v107, v44
	v_mul_i32_i24_e32 v24, v108, v45
	v_add3_u32 v0, v0, v25, v2
	v_mul_i32_i24_e32 v2, v154, v37
	v_mul_i32_i24_e32 v25, v206, v46
	s_delay_alu instid0(VALU_DEP_3) | instskip(NEXT) | instid1(VALU_DEP_1)
	v_add3_u32 v0, v0, v26, v27
	v_add3_u32 v0, v0, v28, v3
	v_mul_i32_i24_e32 v3, v155, v4
	v_mul_i32_i24_e32 v4, v87, v40
	s_delay_alu instid0(VALU_DEP_3) | instskip(NEXT) | instid1(VALU_DEP_3)
	v_mul_lo_u32 v0, v0, v177
	v_add3_u32 v1, v1, v2, v3
	v_mul_i32_i24_e32 v2, v245, v38
	v_mul_i32_i24_e32 v3, v246, v39
	s_delay_alu instid0(VALU_DEP_1) | instskip(SKIP_2) | instid1(VALU_DEP_3)
	v_add3_u32 v1, v1, v2, v3
	v_mul_i32_i24_e32 v2, v54, v242
	v_mul_i32_i24_e32 v3, v63, v19
	v_add3_u32 v1, v1, v4, v5
	v_mul_i32_i24_e32 v4, v85, v15
	v_mul_i32_i24_e32 v5, v86, v75
	s_delay_alu instid0(VALU_DEP_3) | instskip(SKIP_1) | instid1(VALU_DEP_2)
	v_add3_u32 v1, v1, v9, v12
	v_mul_i32_i24_e32 v9, v115, v91
	v_add3_u32 v1, v1, v13, v6
	v_mul_i32_i24_e32 v6, v110, v22
	s_delay_alu instid0(VALU_DEP_3) | instskip(NEXT) | instid1(VALU_DEP_3)
	v_mad_i32_i24 v9, v114, v240, v9
	v_add3_u32 v1, v1, v20, v24
	s_delay_alu instid0(VALU_DEP_1) | instskip(SKIP_1) | instid1(VALU_DEP_2)
	v_add3_u32 v1, v1, v25, v7
	v_mul_i32_i24_e32 v7, v113, v232
	v_mad_co_u64_u32 v[0:1], null, v1, v147, v[0:1]
	s_delay_alu instid0(VALU_DEP_2) | instskip(NEXT) | instid1(VALU_DEP_1)
	v_add3_u32 v6, v9, v7, v6
	v_add3_u32 v4, v6, v4, v5
	s_delay_alu instid0(VALU_DEP_3) | instskip(NEXT) | instid1(VALU_DEP_2)
	v_cvt_f32_i32_e32 v0, v0
	v_add3_u32 v2, v4, v3, v2
	s_delay_alu instid0(VALU_DEP_1) | instskip(NEXT) | instid1(VALU_DEP_1)
	v_cvt_f32_i32_e32 v1, v2
	v_dual_mov_b32 v170, v172 :: v_dual_mul_f32 v1, v143, v1
	s_delay_alu instid0(VALU_DEP_1) | instskip(NEXT) | instid1(VALU_DEP_1)
	v_fma_mix_f32 v0, v56, v0, -v1 op_sel_hi:[1,0,0]
	v_dual_mov_b32 v138, v71 :: v_dual_fmac_f32 v151, v8, v0
	scratch_load_b32 v0, off, off offset:280 th:TH_LOAD_LU ; 4-byte Folded Reload
	s_clause 0x1
	scratch_store_b32 off, v140, off offset:88
	scratch_store_b32 off, v151, off offset:96
	s_wait_loadcnt 0x0
	ds_load_b32 v9, v0 offset:30368
	scratch_load_b32 v0, off, off offset:136 th:TH_LOAD_LU ; 4-byte Folded Reload
	s_wait_loadcnt 0x0
	ds_load_b128 v[1:4], v0 offset:16896
	ds_load_b128 v[24:27], v0 offset:16912
	s_wait_dscnt 0x1
	v_bfe_i32 v0, v1, 16, 8
	v_bfe_i32 v44, v2, 16, 8
	;; [unrolled: 1-line block ×6, first 2 shown]
	v_add_nc_u32_e32 v30, v44, v0
	v_bfe_i32 v131, v1, 0, 8
	v_bfe_i32 v42, v2, 0, 8
	;; [unrolled: 1-line block ×4, first 2 shown]
	v_add3_u32 v35, v30, v124, v128
	v_add_nc_u32_e32 v30, v43, v130
	v_bfe_i32 v46, v3, 0, 8
	v_bfe_i32 v126, v4, 0, 8
	v_ashrrev_i32_e32 v1, 24, v1
	v_mul_i32_i24_e32 v31, v0, v145
	v_add3_u32 v36, v30, v63, v127
	v_add_nc_u32_e32 v30, v42, v131
	v_ashrrev_i32_e32 v45, 24, v2
	v_mul_i32_i24_e32 v33, v1, v237
	s_wait_dscnt 0x0
	v_bfe_i32 v39, v24, 0, 8
	v_bfe_i32 v38, v24, 8, 8
	v_add3_u32 v37, v30, v46, v126
	v_mul_i32_i24_e32 v30, v131, v231
	v_bfe_i32 v40, v24, 16, 8
	v_ashrrev_i32_e32 v41, 24, v24
	v_mul_i32_i24_e32 v54, v82, v44
	v_mul_i32_i24_e32 v85, v72, v45
	v_mad_i32_i24 v30, v130, v81, v30
	v_ashrrev_i32_e32 v125, 24, v3
	v_ashrrev_i32_e32 v129, 24, v4
	v_bfe_i32 v3, v25, 0, 8
	v_bfe_i32 v4, v25, 8, 8
	v_add3_u32 v30, v30, v31, v33
	v_mul_i32_i24_e32 v31, v48, v42
	v_mul_i32_i24_e32 v33, v70, v43
	v_bfe_i32 v5, v25, 16, 8
	v_ashrrev_i32_e32 v6, 24, v25
	v_mul_i32_i24_e32 v86, v73, v46
	v_mul_i32_i24_e32 v87, v102, v63
	v_add3_u32 v30, v30, v31, v33
	v_mul_i32_i24_e32 v31, v213, v39
	v_mul_i32_i24_e32 v33, v120, v40
	v_bfe_i32 v7, v26, 0, 8
	v_bfe_i32 v12, v26, 8, 8
	v_add3_u32 v30, v30, v54, v85
	v_mul_i32_i24_e32 v54, v244, v41
	v_mad_i32_i24 v31, v218, v38, v31
	v_mul_i32_i24_e32 v72, v122, v5
	v_mul_i32_i24_e32 v85, v238, v6
	;; [unrolled: 1-line block ×4, first 2 shown]
	v_add3_u32 v31, v31, v33, v54
	v_mul_i32_i24_e32 v33, v198, v3
	v_mul_i32_i24_e32 v54, v199, v4
	v_add3_u32 v30, v30, v86, v87
	v_add_nc_u32_e32 v29, v45, v1
	v_bfe_i32 v13, v26, 16, 8
	v_ashrrev_i32_e32 v20, 24, v26
	v_add3_u32 v31, v31, v33, v54
	v_mul_i32_i24_e32 v86, v222, v7
	v_mul_i32_i24_e32 v87, v14, v12
	;; [unrolled: 1-line block ×4, first 2 shown]
	v_add3_u32 v31, v31, v72, v85
	v_add3_u32 v30, v30, v88, v97
	v_mov_b32_e32 v150, v185
	v_bfe_i32 v24, v27, 0, 8
	v_bfe_i32 v25, v27, 8, 8
	;; [unrolled: 1-line block ×3, first 2 shown]
	v_ashrrev_i32_e32 v34, 24, v27
	v_add_nc_u32_e32 v2, v6, v41
	v_add_nc_u32_e32 v27, v3, v39
	v_add_nc_u32_e32 v28, v4, v38
	v_add3_u32 v29, v29, v125, v129
	v_mul_i32_i24_e32 v51, v37, v209
	v_mul_i32_i24_e32 v88, v90, v13
	;; [unrolled: 1-line block ×3, first 2 shown]
	v_add3_u32 v31, v31, v86, v87
	v_mul_i32_i24_e32 v114, v149, v128
	v_mul_i32_i24_e32 v115, v93, v129
	v_add3_u32 v30, v30, v110, v113
	v_dual_mov_b32 v185, v49 :: v_dual_mov_b32 v178, v160
	v_dual_mov_b32 v160, v163 :: v_dual_mov_b32 v163, v56
	v_add3_u32 v8, v2, v20, v34
	v_add_nc_u32_e32 v2, v5, v40
	v_add3_u32 v27, v27, v7, v24
	v_add3_u32 v28, v28, v12, v25
	v_mul_i32_i24_e32 v56, v29, v210
	v_mul_i32_i24_e32 v49, v35, v208
	v_mad_i32_i24 v51, v36, v228, v51
	v_mul_i32_i24_e32 v98, v226, v24
	v_mul_i32_i24_e32 v99, v227, v25
	v_add3_u32 v31, v31, v88, v97
	v_add3_u32 v30, v30, v114, v115
	;; [unrolled: 1-line block ×3, first 2 shown]
	v_mul_i32_i24_e32 v68, v27, v207
	v_mul_i32_i24_e32 v69, v28, v200
	v_add3_u32 v49, v51, v49, v56
	v_mul_i32_i24_e32 v100, v175, v26
	v_mul_i32_i24_e32 v104, v104, v34
	v_add3_u32 v31, v31, v98, v99
	v_mul_lo_u32 v30, v30, v181
	v_mul_i32_i24_e32 v33, v8, v194
	v_mul_i32_i24_e32 v54, v2, v186
	v_add3_u32 v49, v49, v68, v69
	v_add3_u32 v31, v31, v100, v104
	s_clause 0x1
	scratch_load_b64 v[87:88], off, off offset:124 th:TH_LOAD_LU
	scratch_load_b32 v222, off, off offset:112 th:TH_LOAD_LU
	v_mul_i32_i24_e32 v51, v65, v45
	v_add3_u32 v33, v49, v54, v33
	v_mad_co_u64_u32 v[30:31], null, v31, v180, v[30:31]
	v_mul_i32_i24_e32 v49, v202, v44
	v_mul_i32_i24_e32 v54, v212, v46
	s_delay_alu instid0(VALU_DEP_4)
	v_cvt_f32_i32_e32 v31, v33
	v_mov_b32_e32 v172, v193
	v_mul_i32_i24_e32 v33, v1, v52
	v_mul_i32_i24_e32 v56, v23, v63
	v_cvt_f32_i32_e32 v30, v30
	v_mul_f32_e32 v31, v179, v31
	v_mov_b32_e32 v193, v57
	v_mul_i32_i24_e32 v57, v239, v124
	v_mul_i32_i24_e32 v68, v11, v125
	;; [unrolled: 1-line block ×3, first 2 shown]
	v_fma_mix_f32 v30, v241, v30, -v31 op_sel_hi:[1,0,0]
	scratch_load_b32 v31, off, off offset:68 ; 4-byte Folded Reload
	v_mov_b32_e32 v190, v50
	v_mul_i32_i24_e32 v70, v176, v127
	v_mul_i32_i24_e32 v64, v37, v249
	;; [unrolled: 1-line block ×6, first 2 shown]
	v_mad_i32_i24 v64, v36, v248, v64
	v_mul_i32_i24_e32 v22, v29, v162
	v_mul_i32_i24_e32 v23, v27, v111
	;; [unrolled: 1-line block ×3, first 2 shown]
	v_mov_b32_e32 v99, v185
	v_dual_mov_b32 v97, v193 :: v_dual_mov_b32 v78, v147
	s_wait_loadcnt 0x0
	v_fmac_f32_e32 v31, v9, v30
	v_mul_i32_i24_e32 v30, v131, v174
	v_mov_b32_e32 v100, v190
	scratch_store_b32 off, v31, off offset:68 ; 4-byte Folded Spill
	v_mul_i32_i24_e32 v31, v0, v230
	v_mad_i32_i24 v30, v130, v55, v30
	s_delay_alu instid0(VALU_DEP_1) | instskip(SKIP_2) | instid1(VALU_DEP_1)
	v_add3_u32 v30, v30, v31, v33
	v_mul_i32_i24_e32 v31, v53, v42
	v_mul_i32_i24_e32 v33, v62, v43
	v_add3_u32 v30, v30, v31, v33
	v_mul_i32_i24_e32 v31, v136, v39
	v_mul_i32_i24_e32 v33, v10, v40
	s_delay_alu instid0(VALU_DEP_3) | instskip(SKIP_1) | instid1(VALU_DEP_4)
	v_add3_u32 v30, v30, v49, v51
	v_mul_i32_i24_e32 v49, v169, v41
	v_mad_i32_i24 v31, v146, v38, v31
	v_mul_i32_i24_e32 v51, v74, v5
	s_delay_alu instid0(VALU_DEP_4) | instskip(SKIP_1) | instid1(VALU_DEP_4)
	v_add3_u32 v30, v30, v54, v56
	v_mul_i32_i24_e32 v54, v67, v6
	v_add3_u32 v31, v31, v33, v49
	v_mul_i32_i24_e32 v33, v201, v3
	v_mul_i32_i24_e32 v49, v137, v4
	v_add3_u32 v30, v30, v57, v68
	v_mul_i32_i24_e32 v56, v166, v7
	v_mul_i32_i24_e32 v57, v167, v12
	v_mul_i32_i24_e32 v68, v215, v13
	v_add3_u32 v31, v31, v33, v49
	v_add3_u32 v30, v30, v69, v70
	v_mul_i32_i24_e32 v69, v216, v20
	v_mul_i32_i24_e32 v70, v168, v24
	v_mul_i32_i24_e32 v33, v8, v105
	v_add3_u32 v31, v31, v51, v54
	;; [unrolled: 5-line block ×3, first 2 shown]
	v_mul_i32_i24_e32 v56, v29, v252
	v_mul_i32_i24_e32 v57, v35, v250
	;; [unrolled: 1-line block ×3, first 2 shown]
	v_mul_lo_u32 v30, v30, v255
	v_add3_u32 v31, v31, v68, v69
	v_mul_i32_i24_e32 v49, v2, v103
	v_add3_u32 v56, v64, v57, v56
	v_mul_i32_i24_e32 v57, v233, v124
	v_mul_i32_i24_e32 v64, v203, v125
	v_add3_u32 v31, v31, v70, v71
	v_mul_i32_i24_e32 v68, v205, v127
	v_add3_u32 v51, v56, v51, v54
	v_mul_i32_i24_e32 v54, v60, v46
	v_mul_i32_i24_e32 v56, v61, v63
	v_add3_u32 v31, v31, v72, v73
	scratch_load_b64 v[73:74], off, off th:TH_LOAD_LU ; 8-byte Folded Reload
	v_add3_u32 v33, v51, v49, v33
	v_mul_i32_i24_e32 v49, v76, v44
	v_mul_i32_i24_e32 v51, v59, v45
	v_mad_co_u64_u32 v[30:31], null, v31, v243, v[30:31]
	s_delay_alu instid0(VALU_DEP_4)
	v_cvt_f32_i32_e32 v31, v33
	v_mov_b32_e32 v50, v92
	v_mul_i32_i24_e32 v33, v1, v95
	v_mul_i32_i24_e32 v69, v159, v128
	;; [unrolled: 1-line block ×3, first 2 shown]
	v_mul_f32_e32 v31, v235, v31
	v_cvt_f32_i32_e32 v30, v30
	v_mul_i32_i24_e32 v71, v247, v34
	v_mov_b32_e32 v104, v50
	s_delay_alu instid0(VALU_DEP_3) | instskip(SKIP_1) | instid1(VALU_DEP_3)
	v_fma_mix_f32 v30, v119, v30, -v31 op_sel_hi:[1,0,0]
	v_mul_i32_i24_e32 v31, v0, v96
	v_mul_i32_i24_e32 v0, v0, v104
	s_delay_alu instid0(VALU_DEP_3) | instskip(SKIP_1) | instid1(VALU_DEP_1)
	v_fmac_f32_e32 v222, v9, v30
	v_mul_i32_i24_e32 v30, v131, v101
	v_mad_i32_i24 v30, v130, v161, v30
	s_delay_alu instid0(VALU_DEP_1) | instskip(SKIP_2) | instid1(VALU_DEP_1)
	v_add3_u32 v30, v30, v31, v33
	v_mul_i32_i24_e32 v31, v164, v42
	v_mul_i32_i24_e32 v33, v89, v43
	v_add3_u32 v30, v30, v31, v33
	v_mul_i32_i24_e32 v31, v234, v39
	v_mul_i32_i24_e32 v33, v196, v40
	s_delay_alu instid0(VALU_DEP_3) | instskip(SKIP_1) | instid1(VALU_DEP_4)
	v_add3_u32 v30, v30, v49, v51
	v_mul_i32_i24_e32 v49, v197, v41
	v_mad_i32_i24 v31, v214, v38, v31
	v_mul_i32_i24_e32 v51, v184, v5
	v_mul_i32_i24_e32 v5, v116, v5
	v_add3_u32 v30, v30, v54, v56
	v_mul_i32_i24_e32 v54, v150, v6
	v_add3_u32 v31, v31, v33, v49
	v_mul_i32_i24_e32 v33, v32, v3
	v_mul_i32_i24_e32 v49, v183, v4
	v_add3_u32 v30, v30, v57, v64
	v_mul_i32_i24_e32 v56, v187, v7
	v_mul_i32_i24_e32 v57, v188, v12
	v_mul_i32_i24_e32 v64, v195, v13
	v_add3_u32 v31, v31, v33, v49
	v_add3_u32 v30, v30, v65, v68
	v_mul_i32_i24_e32 v65, v171, v20
	scratch_load_b32 v183, off, off offset:184 ; 4-byte Folded Reload
	v_mul_i32_i24_e32 v68, v191, v24
	v_add3_u32 v31, v31, v51, v54
	v_mul_i32_i24_e32 v51, v37, v156
	v_add3_u32 v30, v30, v69, v70
	v_mul_i32_i24_e32 v69, v192, v25
	v_mul_i32_i24_e32 v70, v172, v26
	v_add3_u32 v31, v31, v56, v57
	s_clause 0x1
	scratch_load_b32 v57, off, off offset:228
	scratch_load_b32 v56, off, off offset:224
	v_mad_i32_i24 v51, v36, v165, v51
	v_mul_lo_u32 v30, v30, v121
	v_mul_i32_i24_e32 v33, v8, v117
	v_add3_u32 v31, v31, v64, v65
	s_clause 0x3
	scratch_load_b32 v65, off, off offset:104 th:TH_LOAD_LU
	scratch_load_b32 v64, off, off offset:256
	scratch_load_b32 v55, off, off offset:120 th:TH_LOAD_LU
	scratch_load_b32 v90, off, off offset:108 th:TH_LOAD_LU
	v_mov_b32_e32 v92, v15
	v_mul_i32_i24_e32 v15, v35, v112
	v_add3_u32 v31, v31, v68, v69
	v_mul_i32_i24_e32 v49, v2, v118
	v_mul_i32_i24_e32 v3, v245, v3
	;; [unrolled: 1-line block ×3, first 2 shown]
	v_add3_u32 v15, v51, v15, v22
	v_add3_u32 v31, v31, v70, v71
	v_mov_b32_e32 v71, v189
	v_mov_b32_e32 v85, v182
	v_mul_i32_i24_e32 v22, v58, v45
	v_add3_u32 v14, v15, v23, v14
	v_mad_co_u64_u32 v[30:31], null, v31, v18, v[30:31]
	v_mul_i32_i24_e32 v1, v1, v71
	v_mul_i32_i24_e32 v23, v97, v46
	s_delay_alu instid0(VALU_DEP_4)
	v_add3_u32 v14, v14, v49, v33
	v_mul_i32_i24_e32 v6, v133, v6
	v_mul_i32_i24_e32 v31, v224, v124
	v_mul_i32_i24_e32 v33, v157, v125
	v_cvt_f32_i32_e32 v15, v30
	v_cvt_f32_i32_e32 v14, v14
	v_mul_i32_i24_e32 v30, v66, v63
	v_mul_i32_i24_e32 v7, v135, v7
	;; [unrolled: 1-line block ×4, first 2 shown]
	v_mul_f32_e32 v14, v17, v14
	v_mul_i32_i24_e32 v45, v84, v129
	v_mul_i32_i24_e32 v2, v2, v19
	s_clause 0x3
	scratch_load_b32 v51, off, off offset:220
	scratch_load_b32 v46, off, off offset:204
	scratch_load_b32 v63, off, off offset:252
	scratch_load_b32 v49, off, off offset:216
	v_fma_mix_f32 v14, v16, v15, -v14 op_sel_hi:[1,0,0]
	v_mul_i32_i24_e32 v15, v85, v44
	v_mul_i32_i24_e32 v44, v160, v128
	s_wait_loadcnt 0x4
	s_delay_alu instid0(VALU_DEP_3) | instskip(SKIP_1) | instid1(VALU_DEP_1)
	v_fmac_f32_e32 v90, v9, v14
	v_mul_i32_i24_e32 v14, v131, v100
	v_mad_i32_i24 v14, v130, v99, v14
	s_delay_alu instid0(VALU_DEP_1) | instskip(SKIP_4) | instid1(VALU_DEP_3)
	v_add3_u32 v0, v14, v0, v1
	v_mul_i32_i24_e32 v1, v225, v42
	v_mul_i32_i24_e32 v14, v47, v43
	;; [unrolled: 1-line block ×4, first 2 shown]
	v_add3_u32 v0, v0, v1, v14
	v_mul_i32_i24_e32 v1, v153, v39
	v_mul_i32_i24_e32 v14, v154, v40
	s_delay_alu instid0(VALU_DEP_3) | instskip(SKIP_1) | instid1(VALU_DEP_4)
	v_add3_u32 v0, v0, v15, v22
	v_mul_i32_i24_e32 v15, v155, v41
	v_mad_i32_i24 v1, v152, v38, v1
	v_mul_i32_i24_e32 v22, v206, v26
	s_delay_alu instid0(VALU_DEP_4) | instskip(SKIP_1) | instid1(VALU_DEP_4)
	v_add3_u32 v0, v0, v23, v30
	v_mul_i32_i24_e32 v23, v141, v34
	v_add3_u32 v1, v1, v14, v15
	v_mul_i32_i24_e32 v14, v106, v20
	v_mul_i32_i24_e32 v15, v107, v24
	v_add3_u32 v0, v0, v31, v33
	v_mul_i32_i24_e32 v20, v108, v25
	v_add3_u32 v1, v1, v3, v4
	v_mul_i32_i24_e32 v3, v8, v242
	v_mul_i32_i24_e32 v8, v37, v91
	v_add3_u32 v0, v0, v42, v43
	v_mul_i32_i24_e32 v4, v27, v92
	v_add3_u32 v1, v1, v5, v6
	v_mul_i32_i24_e32 v6, v29, v94
	v_mad_i32_i24 v8, v36, v240, v8
	v_add3_u32 v0, v0, v44, v45
	v_mul_i32_i24_e32 v5, v28, v75
	v_add3_u32 v1, v1, v7, v12
	v_mul_i32_i24_e32 v7, v35, v232
	s_clause 0x1
	scratch_load_b32 v43, off, off offset:168
	scratch_load_b32 v42, off, off offset:164
	v_mul_lo_u32 v0, v0, v177
	s_clause 0x1
	scratch_load_b32 v45, off, off offset:200
	scratch_load_b32 v44, off, off offset:196
	v_add3_u32 v1, v1, v13, v14
	v_add3_u32 v6, v8, v7, v6
	s_clause 0x1
	scratch_load_b32 v40, off, off offset:160
	scratch_load_b32 v41, off, off offset:192
	v_mul_i32_i24_e32 v12, v178, v83
	v_add3_u32 v1, v1, v15, v20
	v_add3_u32 v4, v6, v4, v5
	v_mul_i32_i24_e32 v13, v160, v219
	v_mul_i32_i24_e32 v14, v84, v109
	s_delay_alu instid0(VALU_DEP_4) | instskip(NEXT) | instid1(VALU_DEP_4)
	v_add3_u32 v1, v1, v22, v23
	v_add3_u32 v2, v4, v2, v3
	v_mul_i32_i24_e32 v3, v144, v219
	v_mul_i32_i24_e32 v4, v221, v109
	s_delay_alu instid0(VALU_DEP_4) | instskip(NEXT) | instid1(VALU_DEP_4)
	v_mad_co_u64_u32 v[0:1], null, v1, v78, v[0:1]
	v_cvt_f32_i32_e32 v1, v2
	v_mul_i32_i24_e32 v2, v176, v83
	s_delay_alu instid0(VALU_DEP_2) | instskip(NEXT) | instid1(VALU_DEP_4)
	v_mul_f32_e32 v1, v143, v1
	v_cvt_f32_i32_e32 v0, v0
	s_delay_alu instid0(VALU_DEP_1) | instskip(SKIP_1) | instid1(VALU_DEP_2)
	v_fma_mix_f32 v0, v163, v0, -v1 op_sel_hi:[1,0,0]
	v_mul_i32_i24_e32 v1, v173, v229
	v_fmac_f32_e32 v55, v9, v0
	s_clause 0x1
	scratch_load_b32 v15, off, off offset:132 th:TH_LOAD_LU
	scratch_load_b32 v0, off, off offset:388 th:TH_LOAD_LU
	v_mul_i32_i24_e32 v9, v158, v229
	s_wait_loadcnt 0x0
	v_fma_f32 v88, v15, v0, v88
	s_clause 0x6
	scratch_load_b32 v54, off, off offset:180
	scratch_load_b32 v8, off, off offset:392 th:TH_LOAD_LU
	scratch_load_b32 v0, off, off offset:384 th:TH_LOAD_LU
	;; [unrolled: 1-line block ×4, first 2 shown]
	scratch_load_b32 v60, off, off offset:248
	scratch_load_b32 v30, off, off offset:464 th:TH_LOAD_LU
	s_wait_loadcnt 0x4
	v_fmac_f32_e32 v87, v8, v0
	v_mul_i32_i24_e32 v0, v11, v134
	scratch_load_b32 v11, off, off offset:460 th:TH_LOAD_LU ; 4-byte Folded Reload
	s_wait_loadcnt 0x3
	v_add3_u32 v0, v6, v5, v0
	s_delay_alu instid0(VALU_DEP_1) | instskip(SKIP_2) | instid1(VALU_DEP_2)
	v_add3_u32 v0, v0, v1, v2
	s_wait_loadcnt 0x1
	v_mul_i32_i24_e32 v1, v136, v30
	v_add3_u32 v0, v0, v3, v4
	s_clause 0x7
	scratch_load_b32 v2, off, off offset:348 th:TH_LOAD_LU
	scratch_load_b32 v3, off, off offset:352 th:TH_LOAD_LU
	;; [unrolled: 1-line block ×8, first 2 shown]
	v_mul_lo_u32 v0, v0, v255
	s_wait_loadcnt 0x8
	v_mad_i32_i24 v1, v146, v11, v1
	s_wait_loadcnt 0x6
	s_delay_alu instid0(VALU_DEP_1)
	v_add3_u32 v1, v1, v2, v3
	s_wait_loadcnt 0x5
	v_mul_i32_i24_e32 v2, v201, v10
	s_wait_loadcnt 0x4
	v_mul_i32_i24_e32 v3, v137, v29
	;; [unrolled: 2-line block ×6, first 2 shown]
	v_add3_u32 v1, v1, v2, v3
	s_clause 0x1
	scratch_load_b32 v2, off, off offset:324 th:TH_LOAD_LU
	scratch_load_b32 v3, off, off offset:336 th:TH_LOAD_LU
	s_wait_loadcnt 0x0
	v_add3_u32 v1, v1, v2, v3
	s_clause 0x1
	scratch_load_b32 v2, off, off offset:328 th:TH_LOAD_LU
	scratch_load_b32 v3, off, off offset:340 th:TH_LOAD_LU
	v_add3_u32 v1, v1, v4, v5
	s_wait_loadcnt 0x0
	s_delay_alu instid0(VALU_DEP_1)
	v_add3_u32 v1, v1, v2, v3
	s_clause 0xb
	scratch_load_b32 v2, off, off offset:332 th:TH_LOAD_LU
	scratch_load_b32 v3, off, off offset:344 th:TH_LOAD_LU
	scratch_load_b32 v21, off, off offset:404 th:TH_LOAD_LU
	scratch_load_b32 v59, off, off offset:240
	scratch_load_b32 v23, off, off offset:416 th:TH_LOAD_LU
	scratch_load_b32 v68, off, off offset:244
	scratch_load_b32 v24, off, off offset:420 th:TH_LOAD_LU
	;; [unrolled: 2-line block ×4, first 2 shown]
	scratch_load_b32 v16, off, off offset:396 th:TH_LOAD_LU
	v_add3_u32 v1, v1, v6, v7
	s_wait_loadcnt 0xa
	s_delay_alu instid0(VALU_DEP_1)
	v_add3_u32 v1, v1, v2, v3
	s_wait_loadcnt 0x9
	v_mul_i32_i24_e32 v2, v21, v253
	s_wait_loadcnt 0x7
	v_mul_i32_i24_e32 v3, v23, v254
	;; [unrolled: 2-line block ×5, first 2 shown]
	v_mad_co_u64_u32 v[0:1], null, v1, v243, v[0:1]
	s_wait_loadcnt 0x0
	s_delay_alu instid0(VALU_DEP_2) | instskip(NEXT) | instid1(VALU_DEP_2)
	v_mad_i32_i24 v6, v16, v248, v6
	v_cvt_f32_i32_e32 v0, v0
	s_delay_alu instid0(VALU_DEP_2) | instskip(NEXT) | instid1(VALU_DEP_1)
	v_add3_u32 v4, v6, v5, v4
	v_add3_u32 v2, v4, v2, v3
	s_clause 0x5
	scratch_load_b32 v3, off, off offset:316 th:TH_LOAD_LU
	scratch_load_b32 v4, off, off offset:320 th:TH_LOAD_LU
	scratch_load_b32 v50, off, off offset:172
	scratch_load_b32 v6, off, off offset:360 th:TH_LOAD_LU
	scratch_load_b32 v5, off, off offset:364 th:TH_LOAD_LU
	;; [unrolled: 1-line block ×3, first 2 shown]
	s_wait_loadcnt 0x4
	v_add3_u32 v2, v2, v4, v3
	scratch_load_b32 v4, off, off offset:296 th:TH_LOAD_LU ; 4-byte Folded Reload
	s_wait_loadcnt 0x3
	v_mul_i32_i24_e32 v6, v66, v6
	s_wait_loadcnt 0x2
	v_mul_i32_i24_e32 v5, v97, v5
	;; [unrolled: 2-line block ×3, first 2 shown]
	v_cvt_f32_i32_e32 v1, v2
	s_clause 0x1
	scratch_load_b32 v2, off, off offset:312 th:TH_LOAD_LU
	scratch_load_b32 v3, off, off offset:300 th:TH_LOAD_LU
	v_mul_f32_e32 v1, v235, v1
	s_delay_alu instid0(VALU_DEP_1)
	v_fma_mix_f32 v0, v119, v0, -v1 op_sel_hi:[1,0,0]
	scratch_load_b32 v1, off, off offset:308 th:TH_LOAD_LU ; 4-byte Folded Reload
	v_fmac_f32_e32 v65, v15, v0
	scratch_load_b32 v0, off, off offset:380 th:TH_LOAD_LU ; 4-byte Folded Reload
	s_wait_loadcnt 0x4
	v_mul_i32_i24_e32 v4, v58, v4
	s_wait_loadcnt 0x3
	v_mul_i32_i24_e32 v2, v2, v71
	s_wait_loadcnt 0x0
	v_fma_f32 v74, v15, v0, v74
	scratch_load_b32 v0, off, off offset:376 th:TH_LOAD_LU ; 4-byte Folded Reload
	s_wait_loadcnt 0x0
	v_fmac_f32_e32 v73, v8, v0
	scratch_load_b32 v0, off, off offset:304 th:TH_LOAD_LU ; 4-byte Folded Reload
	v_mul_i32_i24_e32 v8, v157, v134
	s_wait_loadcnt 0x0
	v_mul_i32_i24_e32 v0, v0, v100
	s_delay_alu instid0(VALU_DEP_1) | instskip(SKIP_2) | instid1(VALU_DEP_1)
	v_mad_i32_i24 v0, v3, v99, v0
	scratch_load_b32 v3, off, off offset:292 th:TH_LOAD_LU ; 4-byte Folded Reload
	v_mul_i32_i24_e32 v1, v1, v104
	v_add3_u32 v0, v0, v1, v2
	s_clause 0x1
	scratch_load_b32 v1, off, off offset:284 th:TH_LOAD_LU
	scratch_load_b32 v2, off, off offset:288 th:TH_LOAD_LU
	s_wait_loadcnt 0x1
	v_mul_i32_i24_e32 v1, v225, v1
	s_wait_loadcnt 0x0
	v_mul_i32_i24_e32 v2, v47, v2
	s_delay_alu instid0(VALU_DEP_1) | instskip(SKIP_3) | instid1(VALU_DEP_2)
	v_add3_u32 v0, v0, v1, v2
	scratch_load_b32 v2, off, off offset:276 th:TH_LOAD_LU ; 4-byte Folded Reload
	v_mul_i32_i24_e32 v3, v85, v3
	v_mul_i32_i24_e32 v1, v153, v30
	v_add3_u32 v0, v0, v3, v4
	scratch_load_b32 v3, off, off offset:272 th:TH_LOAD_LU ; 4-byte Folded Reload
	v_mad_i32_i24 v1, v152, v11, v1
	v_mul_i32_i24_e32 v11, v108, v25
	v_add3_u32 v0, v0, v5, v6
	scratch_load_b32 v5, off, off offset:152 th:TH_LOAD_LU ; 4-byte Folded Reload
	v_mul_i32_i24_e32 v6, v135, v28
	v_add3_u32 v0, v0, v7, v8
	scratch_load_b32 v8, off, off offset:148 th:TH_LOAD_LU ; 4-byte Folded Reload
	v_mul_i32_i24_e32 v7, v139, v27
	v_add3_u32 v0, v0, v9, v12
	s_clause 0x1
	scratch_load_b32 v9, off, off offset:144 th:TH_LOAD_LU
	scratch_load_b32 v12, off, off offset:140 th:TH_LOAD_LU
	v_add3_u32 v0, v0, v13, v14
	scratch_load_b32 v13, off, off offset:268 th:TH_LOAD_LU ; 4-byte Folded Reload
	v_mul_lo_u32 v0, v0, v177
	s_wait_loadcnt 0x6
	v_mul_i32_i24_e32 v2, v154, v2
	s_wait_loadcnt 0x5
	v_mul_i32_i24_e32 v3, v155, v3
	s_delay_alu instid0(VALU_DEP_1)
	v_add3_u32 v1, v1, v2, v3
	v_mul_i32_i24_e32 v2, v245, v10
	v_mul_i32_i24_e32 v3, v246, v29
	s_wait_loadcnt 0x4
	v_mul_i32_i24_e32 v5, v133, v5
	v_mul_i32_i24_e32 v10, v107, v26
	s_wait_loadcnt 0x3
	v_mul_i32_i24_e32 v8, v251, v8
	v_add3_u32 v1, v1, v2, v3
	s_clause 0x7
	scratch_load_b32 v2, off, off offset:260 th:TH_LOAD_LU
	scratch_load_b32 v3, off, off offset:264 th:TH_LOAD_LU
	;; [unrolled: 1-line block ×4, first 2 shown]
	scratch_load_b32 v176, off, off offset:188
	scratch_load_b32 v47, off, off offset:208
	;; [unrolled: 1-line block ×4, first 2 shown]
	s_wait_loadcnt 0xa
	v_mul_i32_i24_e32 v9, v106, v9
	s_wait_loadcnt 0x9
	v_mul_i32_i24_e32 v12, v206, v12
	;; [unrolled: 2-line block ×6, first 2 shown]
	s_delay_alu instid0(VALU_DEP_1) | instskip(SKIP_2) | instid1(VALU_DEP_3)
	v_add3_u32 v1, v1, v4, v5
	v_mul_i32_i24_e32 v4, v21, v92
	v_mul_i32_i24_e32 v5, v23, v75
	v_add3_u32 v1, v1, v6, v7
	v_mul_i32_i24_e32 v6, v24, v94
	v_mul_i32_i24_e32 v7, v22, v232
	s_delay_alu instid0(VALU_DEP_3) | instskip(SKIP_1) | instid1(VALU_DEP_2)
	v_add3_u32 v1, v1, v8, v9
	v_mul_i32_i24_e32 v8, v20, v91
	v_add3_u32 v1, v1, v10, v11
	s_delay_alu instid0(VALU_DEP_2) | instskip(NEXT) | instid1(VALU_DEP_2)
	v_mad_i32_i24 v8, v16, v240, v8
	v_add3_u32 v1, v1, v12, v13
	s_delay_alu instid0(VALU_DEP_2) | instskip(NEXT) | instid1(VALU_DEP_2)
	v_add3_u32 v6, v8, v7, v6
	v_mad_co_u64_u32 v[0:1], null, v1, v78, v[0:1]
	s_delay_alu instid0(VALU_DEP_2) | instskip(NEXT) | instid1(VALU_DEP_1)
	v_add3_u32 v4, v6, v4, v5
	v_add3_u32 v2, v4, v3, v2
	s_delay_alu instid0(VALU_DEP_3) | instskip(NEXT) | instid1(VALU_DEP_2)
	v_cvt_f32_i32_e32 v0, v0
	v_cvt_f32_i32_e32 v1, v2
	s_delay_alu instid0(VALU_DEP_1) | instskip(NEXT) | instid1(VALU_DEP_1)
	v_mul_f32_e32 v1, v143, v1
	v_fma_mix_f32 v0, v163, v0, -v1 op_sel_hi:[1,0,0]
	s_wait_loadcnt 0x4
	s_delay_alu instid0(VALU_DEP_1)
	v_fmac_f32_e32 v66, v15, v0
	s_cbranch_scc1 .LBB147_10
; %bb.11:                               ;   in Loop: Header=BB147_8 Depth=2
	scratch_load_b32 v0, off, off offset:696 ; 4-byte Folded Reload
	s_wait_loadcnt 0x0
	s_wait_storecnt 0x0
	s_barrier_signal -1
	s_barrier_wait -1
	global_inv scope:SCOPE_SE
	s_add_co_i32 s12, s12, 2
	s_clause 0x3
	scratch_load_b32 v1, off, off offset:708
	scratch_load_b32 v10, off, off offset:724
	;; [unrolled: 1-line block ×3, first 2 shown]
	scratch_load_b64 v[17:18], off, off offset:736
	v_lshl_add_u32 v0, s16, 5, v0
	s_delay_alu instid0(VALU_DEP_1) | instskip(NEXT) | instid1(VALU_DEP_1)
	v_lshrrev_b32_e32 v0, 3, v0
	v_add_nc_u32_e32 v8, s5, v0
	scratch_load_b32 v0, off, off offset:692 ; 4-byte Folded Reload
	s_wait_loadcnt 0x4
	v_add_nc_u32_e32 v2, v8, v1
	scratch_load_b32 v1, off, off offset:712 ; 4-byte Folded Reload
	s_wait_loadcnt 0x4
	;; [unrolled: 3-line block ×3, first 2 shown]
	v_add_nc_u32_e32 v16, v8, v11
	s_wait_loadcnt 0x3
	v_mad_co_i64_i32 v[2:3], null, v2, 36, v[17:18]
	v_mad_co_i64_i32 v[14:15], null, v14, 36, v[17:18]
	s_wait_loadcnt 0x2
	v_lshl_add_u32 v9, s16, 2, v0
	scratch_load_b32 v0, off, off offset:704 ; 4-byte Folded Reload
	s_wait_alu 0xfffe
	s_lshl_b32 s16, s12, 3
	s_wait_loadcnt 0x2
	v_add_nc_u32_e32 v4, v8, v1
	scratch_load_b32 v1, off, off offset:716 ; 4-byte Folded Reload
	s_wait_loadcnt 0x2
	v_add_nc_u32_e32 v10, v8, v10
	v_mad_co_i64_i32 v[4:5], null, v4, 36, v[17:18]
	s_delay_alu instid0(VALU_DEP_2)
	v_mad_co_i64_i32 v[10:11], null, v10, 36, v[17:18]
	s_wait_loadcnt 0x1
	v_add_nc_u32_e32 v0, v8, v0
	s_wait_loadcnt 0x0
	v_add_nc_u32_e32 v6, v8, v1
	scratch_load_b32 v1, off, off offset:720 ; 4-byte Folded Reload
	v_mad_co_i64_i32 v[6:7], null, v6, 36, v[17:18]
	s_wait_loadcnt 0x0
	v_add_nc_u32_e32 v12, v8, v1
	v_mad_co_u64_u32 v[8:9], null, v9, 36, s[2:3]
	v_mad_co_i64_i32 v[0:1], null, v0, 36, v[17:18]
	s_delay_alu instid0(VALU_DEP_3)
	v_mad_co_i64_i32 v[12:13], null, v12, 36, v[17:18]
	v_mad_co_i64_i32 v[16:17], null, v16, 36, v[17:18]
	s_clause 0x8
	global_load_b32 v8, v[8:9], off
	global_load_b32 v9, v[10:11], off offset:4
	global_load_b32 v0, v[0:1], off offset:4
	;; [unrolled: 1-line block ×8, first 2 shown]
	s_wait_loadcnt 0x8
	v_cvt_f32_f16_e32 v7, v8
	scratch_load_b32 v8, off, off offset:772 ; 4-byte Folded Reload
	s_wait_loadcnt 0x0
	ds_store_b32 v8, v9
	scratch_load_b32 v8, off, off offset:744 ; 4-byte Folded Reload
	s_wait_loadcnt 0x0
	ds_store_b32 v8, v0
	;; [unrolled: 3-line block ×9, first 2 shown]
	s_wait_dscnt 0x0
	s_barrier_signal -1
	s_barrier_wait -1
	global_inv scope:SCOPE_SE
.LBB147_12:                             ;   Parent Loop BB147_6 Depth=1
                                        ;     Parent Loop BB147_8 Depth=2
                                        ; =>    This Inner Loop Header: Depth=3
	s_lshl_b32 s17, s13, 2
	s_clause 0x6
	scratch_store_b32 off, v222, off offset:112
	scratch_store_b64 off, v[87:88], off offset:124
	scratch_store_b64 off, v[73:74], off
	scratch_store_b32 off, v55, off offset:120
	scratch_store_b32 off, v66, off offset:116
	;; [unrolled: 1-line block ×4, first 2 shown]
	s_wait_alu 0xfffe
	s_and_b32 s17, s17, 24
	s_and_b32 s19, s13, 0x3ffffff8
	s_wait_alu 0xfffe
	v_or_b32_e32 v0, s17, v40
	v_lshl_add_u32 v25, s19, 2, v41
	s_and_b32 s18, s13, 6
	s_and_b32 s20, s13, 0x7ffffffe
	s_wait_alu 0xfffe
	s_add_co_i32 s19, s20, 0x6200
	v_lshlrev_b32_e32 v4, 2, v0
	v_lshrrev_b32_e32 v0, 1, v0
	s_lshr_b32 s20, s13, 2
	s_wait_alu 0xfffe
	v_add3_u32 v36, s19, v57, v44
	ds_load_b32 v234, v0 offset:30368
	ds_load_b128 v[0:3], v4 offset:16896
	ds_load_b128 v[4:7], v4 offset:16912
	s_and_b32 s20, s20, 0x3ffffffc
	v_add3_u32 v38, s19, v113, v46
	s_wait_alu 0xfffe
	s_addk_co_i32 s20, 0x7280
	s_add_co_i32 s13, s13, 2
	s_wait_alu 0xfffe
	v_add3_u32 v30, s20, v58, v45
	s_cmp_lt_u32 s13, s16
	ds_load_b32 v173, v30
	s_wait_dscnt 0x2
	v_ashrrev_i32_e32 v250, 24, v3
	s_wait_dscnt 0x1
	v_bfe_i32 v10, v4, 0, 8
	v_bfe_i32 v14, v5, 0, 8
	v_bfe_i32 v11, v4, 8, 8
	v_bfe_i32 v12, v4, 16, 8
	v_ashrrev_i32_e32 v13, 24, v4
	v_bfe_i32 v15, v5, 8, 8
	v_bfe_i32 v22, v6, 0, 8
	;; [unrolled: 1-line block ×4, first 2 shown]
	v_ashrrev_i32_e32 v19, 24, v6
	v_bfe_i32 v6, v7, 0, 8
	v_add_nc_u32_e32 v4, v14, v10
	v_bfe_i32 v24, v7, 8, 8
	v_bfe_i32 v20, v5, 16, 8
	v_ashrrev_i32_e32 v21, 24, v5
	v_bfe_i32 v17, v7, 16, 8
	v_add3_u32 v196, v4, v22, v6
	v_add_nc_u32_e32 v4, v15, v11
	s_delay_alu instid0(VALU_DEP_1)
	v_add3_u32 v133, v4, v23, v24
	ds_load_2addr_b32 v[4:5], v25 offset1:1
	s_wait_dscnt 0x0
	v_ashrrev_i32_e32 v8, s18, v4
	v_ashrrev_i32_e32 v9, s18, v5
	ds_load_2addr_b32 v[4:5], v25 offset0:2 offset1:3
	v_bfe_u32 v163, v8, 8, 2
	v_bfe_u32 v140, v9, 8, 2
	;; [unrolled: 1-line block ×6, first 2 shown]
	s_delay_alu instid0(VALU_DEP_2)
	v_mov_b32_e32 v230, v243
	s_wait_dscnt 0x0
	v_ashrrev_i32_e32 v26, s18, v4
	v_ashrrev_i32_e32 v27, s18, v5
	ds_load_2addr_b32 v[4:5], v25 offset0:4 offset1:5
	v_bfe_u32 v164, v26, 8, 2
	v_bfe_u32 v120, v26, 16, 2
	;; [unrolled: 1-line block ×6, first 2 shown]
	s_delay_alu instid0(VALU_DEP_4) | instskip(NEXT) | instid1(VALU_DEP_2)
	v_mov_b32_e32 v139, v213
	v_dual_mov_b32 v53, v224 :: v_dual_mov_b32 v114, v172
	s_wait_dscnt 0x0
	v_ashrrev_i32_e32 v28, s18, v4
	v_ashrrev_i32_e32 v29, s18, v5
	ds_load_2addr_b32 v[4:5], v25 offset0:6 offset1:7
	v_bfe_u32 v185, v28, 8, 2
	v_bfe_u32 v191, v29, 8, 2
	;; [unrolled: 1-line block ×5, first 2 shown]
	s_wait_dscnt 0x0
	v_ashrrev_i32_e32 v4, s18, v4
	v_ashrrev_i32_e32 v5, s18, v5
	s_delay_alu instid0(VALU_DEP_2)
	v_and_b32_e32 v210, 3, v4
	v_bfe_u32 v247, v4, 8, 2
	v_bfe_u32 v33, v4, 16, 2
	;; [unrolled: 1-line block ×3, first 2 shown]
	v_and_b32_e32 v4, 3, v5
	v_add_nc_u32_e32 v31, v21, v13
	s_delay_alu instid0(VALU_DEP_4) | instskip(SKIP_1) | instid1(VALU_DEP_4)
	v_dual_mov_b32 v168, v33 :: v_dual_and_b32 v205, 3, v26
	v_mul_i32_i24_e32 v26, v206, v13
	v_mul_i32_i24_e32 v34, v4, v6
	v_mov_b32_e32 v226, v4
	v_bfe_u32 v4, v5, 8, 2
	v_and_b32_e32 v190, 3, v29
	v_bfe_u32 v29, v29, 24, 2
	v_and_b32_e32 v137, 3, v9
	v_and_b32_e32 v9, 3, v28
	;; [unrolled: 1-line block ×3, first 2 shown]
	v_mov_b32_e32 v229, v4
	v_bfe_u32 v37, v5, 16, 2
	v_bfe_u32 v233, v5, 24, 2
	v_mul_i32_i24_e32 v8, v9, v10
	v_mov_b32_e32 v52, v9
	v_mul_i32_i24_e32 v9, v239, v12
	v_dual_mov_b32 v170, v37 :: v_dual_and_b32 v223, 3, v27
	s_delay_alu instid0(VALU_DEP_4)
	v_mad_i32_i24 v8, v185, v11, v8
	v_mul_i32_i24_e32 v27, v248, v20
	v_mul_i32_i24_e32 v28, v29, v21
	v_mov_b32_e32 v134, v29
	v_mul_i32_i24_e32 v29, v210, v22
	v_add3_u32 v8, v8, v9, v26
	v_mul_i32_i24_e32 v9, v190, v14
	v_mul_i32_i24_e32 v26, v191, v15
	;; [unrolled: 1-line block ×6, first 2 shown]
	v_add3_u32 v5, v8, v9, v26
	v_dual_mov_b32 v189, v226 :: v_dual_add_nc_u32 v8, 0x1080, v25
	v_mov_b32_e32 v197, v52
	s_delay_alu instid0(VALU_DEP_3) | instskip(SKIP_3) | instid1(VALU_DEP_2)
	v_add3_u32 v5, v5, v27, v28
	ds_load_2addr_b32 v[8:9], v8 offset1:1
	v_mul_i32_i24_e32 v30, v247, v23
	v_mov_b32_e32 v169, v189
	v_add3_u32 v5, v5, v29, v30
	s_delay_alu instid0(VALU_DEP_1) | instskip(SKIP_1) | instid1(VALU_DEP_2)
	v_add3_u32 v5, v5, v32, v33
	v_add3_u32 v33, s20, v59, v47
	v_add3_u32 v5, v5, v34, v35
	ds_load_b32 v179, v33
	s_wait_dscnt 0x1
	v_ashrrev_i32_e32 v26, s18, v8
	v_add_nc_u32_e32 v8, 0x1088, v25
	v_ashrrev_i32_e32 v27, s18, v9
	s_delay_alu instid0(VALU_DEP_3)
	v_bfe_u32 v84, v26, 8, 2
	ds_load_2addr_b32 v[8:9], v8 offset1:1
	v_bfe_u32 v86, v26, 16, 2
	v_bfe_u32 v87, v26, 24, 2
	;; [unrolled: 1-line block ×5, first 2 shown]
	s_wait_dscnt 0x0
	v_ashrrev_i32_e32 v28, s18, v8
	v_add_nc_u32_e32 v8, 0x1090, v25
	v_ashrrev_i32_e32 v29, s18, v9
	s_delay_alu instid0(VALU_DEP_3)
	v_and_b32_e32 v125, 3, v28
	ds_load_2addr_b32 v[8:9], v8 offset1:1
	v_bfe_u32 v131, v28, 8, 2
	v_bfe_u32 v117, v28, 16, 2
	;; [unrolled: 1-line block ×3, first 2 shown]
	v_and_b32_e32 v175, 3, v29
	v_bfe_u32 v136, v29, 8, 2
	v_bfe_u32 v127, v29, 16, 2
	;; [unrolled: 1-line block ×3, first 2 shown]
	s_delay_alu instid0(VALU_DEP_1) | instskip(SKIP_4) | instid1(VALU_DEP_3)
	v_mov_b32_e32 v144, v116
	s_wait_dscnt 0x0
	v_ashrrev_i32_e32 v30, s18, v8
	v_add_nc_u32_e32 v8, 0x1098, v25
	v_ashrrev_i32_e32 v32, s18, v9
	v_and_b32_e32 v135, 3, v30
	ds_load_2addr_b32 v[8:9], v8 offset1:1
	v_bfe_u32 v231, v30, 8, 2
	v_bfe_u32 v28, v30, 16, 2
	;; [unrolled: 1-line block ×3, first 2 shown]
	v_and_b32_e32 v219, 3, v32
	v_bfe_u32 v194, v32, 8, 2
	v_add_nc_u32_e32 v18, v20, v12
	v_mov_b32_e32 v119, v28
	v_mov_b32_e32 v121, v30
	s_delay_alu instid0(VALU_DEP_3) | instskip(NEXT) | instid1(VALU_DEP_2)
	v_add3_u32 v204, v18, v16, v17
	v_mov_b32_e32 v184, v121
	s_wait_dscnt 0x0
	v_ashrrev_i32_e32 v8, s18, v8
	v_ashrrev_i32_e32 v9, s18, v9
	s_delay_alu instid0(VALU_DEP_2)
	v_and_b32_e32 v33, 3, v8
	v_and_b32_e32 v85, 3, v26
	v_mul_i32_i24_e32 v26, v135, v10
	v_bfe_u32 v35, v8, 24, 2
	v_and_b32_e32 v37, 3, v9
	v_bfe_u32 v34, v8, 8, 2
	v_bfe_u32 v218, v8, 16, 2
	v_mad_i32_i24 v26, v231, v11, v26
	v_mul_i32_i24_e32 v8, v35, v19
	v_mov_b32_e32 v145, v35
	v_mul_i32_i24_e32 v35, v37, v6
	v_mov_b32_e32 v221, v37
	v_bfe_u32 v37, v9, 8, 2
	v_and_b32_e32 v83, 3, v27
	v_mul_i32_i24_e32 v27, v28, v12
	v_mul_i32_i24_e32 v28, v30, v13
	v_bfe_u32 v30, v32, 16, 2
	v_bfe_u32 v32, v32, 24, 2
	;; [unrolled: 1-line block ×4, first 2 shown]
	v_add3_u32 v26, v26, v27, v28
	v_mul_i32_i24_e32 v27, v219, v14
	v_mul_i32_i24_e32 v28, v194, v15
	;; [unrolled: 1-line block ×3, first 2 shown]
	v_mov_b32_e32 v129, v30
	v_mul_i32_i24_e32 v30, v32, v21
	v_mov_b32_e32 v118, v32
	v_add3_u32 v9, v26, v27, v28
	v_mul_i32_i24_e32 v32, v33, v22
	v_mov_b32_e32 v216, v33
	v_mul_i32_i24_e32 v33, v34, v23
	v_mov_b32_e32 v217, v34
	v_add3_u32 v9, v9, v29, v30
	v_mul_i32_i24_e32 v34, v218, v16
	v_mul_i32_i24_e32 v41, v37, v24
	;; [unrolled: 1-line block ×3, first 2 shown]
	v_mov_b32_e32 v222, v37
	v_add3_u32 v9, v9, v32, v33
	v_add3_u32 v33, s19, v68, v48
	v_mov_b32_e32 v162, v118
	v_mov_b32_e32 v202, v145
	s_delay_alu instid0(VALU_DEP_4)
	v_add3_u32 v8, v9, v34, v8
	scratch_store_b32 off, v33, off offset:376 ; 4-byte Folded Spill
	v_add3_u32 v33, s20, v60, v49
	v_mov_b32_e32 v99, v202
	v_add3_u32 v8, v8, v35, v41
	scratch_store_b32 off, v39, off offset:384 ; 4-byte Folded Spill
	ds_load_b32 v33, v33
	scratch_store_b32 off, v8, off offset:388 ; 4-byte Folded Spill
	v_add_nc_u32_e32 v8, 0x2100, v25
	ds_load_2addr_b32 v[8:9], v8 offset1:1
	s_wait_dscnt 0x1
	scratch_store_b32 off, v33, off offset:472 ; 4-byte Folded Spill
	s_wait_dscnt 0x0
	v_ashrrev_i32_e32 v26, s18, v8
	v_add_nc_u32_e32 v8, 0x2108, v25
	v_ashrrev_i32_e32 v27, s18, v9
	s_delay_alu instid0(VALU_DEP_3)
	v_and_b32_e32 v74, 3, v26
	ds_load_2addr_b32 v[8:9], v8 offset1:1
	v_bfe_u32 v124, v27, 8, 2
	v_bfe_u32 v79, v27, 16, 2
	;; [unrolled: 1-line block ×6, first 2 shown]
	s_delay_alu instid0(VALU_DEP_1) | instskip(SKIP_4) | instid1(VALU_DEP_3)
	v_mov_b32_e32 v91, v82
	s_wait_dscnt 0x0
	v_ashrrev_i32_e32 v28, s18, v8
	v_add_nc_u32_e32 v8, 0x2110, v25
	v_ashrrev_i32_e32 v29, s18, v9
	v_and_b32_e32 v122, 3, v28
	ds_load_2addr_b32 v[8:9], v8 offset1:1
	v_bfe_u32 v123, v28, 8, 2
	v_bfe_u32 v186, v28, 16, 2
	;; [unrolled: 1-line block ×3, first 2 shown]
	v_and_b32_e32 v238, 3, v29
	v_bfe_u32 v232, v29, 8, 2
	v_bfe_u32 v225, v29, 16, 2
	;; [unrolled: 1-line block ×3, first 2 shown]
	s_wait_dscnt 0x0
	v_ashrrev_i32_e32 v30, s18, v8
	v_add_nc_u32_e32 v8, 0x2118, v25
	v_ashrrev_i32_e32 v32, s18, v9
	s_delay_alu instid0(VALU_DEP_3) | instskip(SKIP_2) | instid1(VALU_DEP_1)
	v_bfe_u32 v29, v30, 8, 2
	ds_load_2addr_b32 v[8:9], v8 offset1:1
	v_bfe_u32 v28, v30, 16, 2
	v_dual_mov_b32 v105, v29 :: v_dual_mov_b32 v142, v28
	s_delay_alu instid0(VALU_DEP_1) | instskip(SKIP_3) | instid1(VALU_DEP_2)
	v_mov_b32_e32 v187, v142
	s_wait_dscnt 0x0
	v_ashrrev_i32_e32 v8, s18, v8
	v_ashrrev_i32_e32 v9, s18, v9
	v_bfe_u32 v35, v8, 24, 2
	v_and_b32_e32 v193, 3, v27
	s_delay_alu instid0(VALU_DEP_3)
	v_and_b32_e32 v37, 3, v9
	v_and_b32_e32 v27, 3, v30
	v_bfe_u32 v30, v30, 24, 2
	v_and_b32_e32 v33, 3, v8
	v_bfe_u32 v34, v8, 8, 2
	v_mov_b32_e32 v110, v37
	v_mul_i32_i24_e32 v26, v27, v10
	v_mov_b32_e32 v104, v27
	v_mul_i32_i24_e32 v27, v28, v12
	v_mul_i32_i24_e32 v28, v30, v13
	v_mov_b32_e32 v146, v30
	v_mad_i32_i24 v26, v29, v11, v26
	v_bfe_u32 v29, v32, 8, 2
	v_bfe_u32 v30, v32, 16, 2
	;; [unrolled: 1-line block ×3, first 2 shown]
	v_mul_i32_i24_e32 v8, v35, v19
	v_add3_u32 v26, v26, v27, v28
	v_and_b32_e32 v28, 3, v32
	v_bfe_u32 v32, v32, 24, 2
	v_mov_b32_e32 v158, v35
	v_mul_i32_i24_e32 v35, v37, v6
	v_bfe_u32 v37, v9, 8, 2
	v_mul_i32_i24_e32 v27, v28, v14
	v_mov_b32_e32 v106, v28
	v_mul_i32_i24_e32 v28, v29, v15
	v_mov_b32_e32 v107, v29
	;; [unrolled: 2-line block ×3, first 2 shown]
	v_mul_i32_i24_e32 v30, v32, v21
	v_mul_i32_i24_e32 v41, v37, v24
	v_mov_b32_e32 v111, v37
	v_bfe_u32 v37, v9, 16, 2
	v_bfe_u32 v246, v9, 24, 2
	v_add3_u32 v9, v26, v27, v28
	v_dual_mov_b32 v156, v32 :: v_dual_mov_b32 v109, v34
	s_delay_alu instid0(VALU_DEP_4)
	v_mov_b32_e32 v130, v37
	v_mul_i32_i24_e32 v32, v33, v22
	v_mov_b32_e32 v108, v33
	v_mul_i32_i24_e32 v33, v34, v23
	v_add3_u32 v9, v9, v29, v30
	v_mul_i32_i24_e32 v34, v208, v16
	v_mov_b32_e32 v165, v104
	v_mov_b32_e32 v211, v146
	;; [unrolled: 1-line block ×3, first 2 shown]
	v_add3_u32 v9, v9, v32, v33
	v_mul_i32_i24_e32 v89, v37, v17
	v_mov_b32_e32 v171, v110
	v_mov_b32_e32 v181, v111
	;; [unrolled: 1-line block ×3, first 2 shown]
	v_add3_u32 v8, v9, v34, v8
	v_dual_mov_b32 v148, v106 :: v_dual_mov_b32 v153, v107
	s_delay_alu instid0(VALU_DEP_2)
	v_add3_u32 v90, v8, v35, v41
	v_add_nc_u32_e32 v8, 0x3180, v25
	ds_load_2addr_b32 v[8:9], v8 offset1:1
	s_wait_dscnt 0x0
	v_ashrrev_i32_e32 v26, s18, v8
	v_add_nc_u32_e32 v8, 0x3188, v25
	v_ashrrev_i32_e32 v27, s18, v9
	s_delay_alu instid0(VALU_DEP_3)
	v_bfe_u32 v39, v26, 8, 2
	ds_load_2addr_b32 v[8:9], v8 offset1:1
	v_dual_mov_b32 v174, v119 :: v_dual_mov_b32 v119, v158
	v_bfe_u32 v76, v26, 16, 2
	v_bfe_u32 v77, v26, 24, 2
	;; [unrolled: 1-line block ×5, first 2 shown]
	s_delay_alu instid0(VALU_DEP_4) | instskip(SKIP_4) | instid1(VALU_DEP_3)
	v_mov_b32_e32 v103, v77
	s_wait_dscnt 0x0
	v_ashrrev_i32_e32 v28, s18, v8
	v_add_nc_u32_e32 v8, 0x3190, v25
	v_ashrrev_i32_e32 v29, s18, v9
	v_and_b32_e32 v72, 3, v28
	ds_load_2addr_b32 v[8:9], v8 offset1:1
	v_bfe_u32 v113, v28, 8, 2
	v_bfe_u32 v241, v28, 16, 2
	;; [unrolled: 1-line block ×3, first 2 shown]
	v_and_b32_e32 v182, 3, v29
	v_bfe_u32 v152, v29, 8, 2
	v_bfe_u32 v188, v29, 16, 2
	;; [unrolled: 1-line block ×3, first 2 shown]
	s_wait_dscnt 0x0
	v_ashrrev_i32_e32 v30, s18, v8
	v_add_nc_u32_e32 v8, 0x3198, v25
	v_add3_u32 v25, s19, v63, v51
	scratch_store_b32 off, v133, off offset:652 ; 4-byte Folded Spill
	v_ashrrev_i32_e32 v32, s18, v9
	v_and_b32_e32 v151, 3, v30
	ds_load_2addr_b32 v[8:9], v8 offset1:1
	scratch_store_b32 off, v25, off offset:380 ; 4-byte Folded Spill
	v_add3_u32 v25, s20, v64, v56
	v_bfe_u32 v180, v30, 24, 2
	v_mul_i32_i24_e32 v10, v151, v10
	v_mov_b32_e32 v55, v151
	v_bfe_u32 v151, v30, 16, 2
	ds_load_b32 v25, v25
	v_mul_i32_i24_e32 v13, v180, v13
	v_mul_i32_i24_e32 v12, v151, v12
	s_wait_dscnt 0x1
	v_ashrrev_i32_e32 v8, s18, v8
	v_ashrrev_i32_e32 v9, s18, v9
	s_delay_alu instid0(VALU_DEP_2) | instskip(NEXT) | instid1(VALU_DEP_2)
	v_and_b32_e32 v96, 3, v8
	v_bfe_u32 v102, v9, 8, 2
	s_wait_dscnt 0x0
	scratch_store_b32 off, v25, off offset:476 ; 4-byte Folded Spill
	v_bfe_u32 v25, v30, 8, 2
	v_bfe_u32 v203, v9, 16, 2
	;; [unrolled: 1-line block ×3, first 2 shown]
	s_delay_alu instid0(VALU_DEP_3) | instskip(SKIP_3) | instid1(VALU_DEP_4)
	v_mad_i32_i24 v10, v25, v11, v10
	v_mov_b32_e32 v88, v25
	v_mov_b32_e32 v214, v156
	;; [unrolled: 1-line block ×3, first 2 shown]
	v_add3_u32 v10, v10, v12, v13
	v_and_b32_e32 v12, 3, v32
	v_bfe_u32 v13, v32, 8, 2
	v_and_b32_e32 v51, 3, v26
	v_dual_mov_b32 v157, v88 :: v_dual_mov_b32 v154, v211
	s_delay_alu instid0(VALU_DEP_4)
	v_mul_i32_i24_e32 v11, v12, v14
	v_mov_b32_e32 v92, v12
	v_mul_i32_i24_e32 v12, v13, v15
	v_bfe_u32 v14, v32, 16, 2
	v_bfe_u32 v15, v32, 24, 2
	v_and_b32_e32 v37, 3, v27
	v_mov_b32_e32 v93, v13
	s_delay_alu instid0(VALU_DEP_4)
	v_mul_i32_i24_e32 v13, v14, v20
	v_mov_b32_e32 v94, v14
	v_mul_i32_i24_e32 v14, v15, v21
	v_mov_b32_e32 v95, v15
	v_mul_i32_i24_e32 v15, v96, v22
	v_bfe_u32 v21, v8, 8, 2
	v_bfe_u32 v22, v8, 16, 2
	v_mov_b32_e32 v142, v105
	s_delay_alu instid0(VALU_DEP_3) | instskip(SKIP_1) | instid1(VALU_DEP_4)
	v_mul_i32_i24_e32 v20, v21, v23
	v_mov_b32_e32 v97, v21
	v_mul_i32_i24_e32 v21, v22, v16
	v_mov_b32_e32 v98, v22
	v_bfe_u32 v22, v8, 24, 2
	s_delay_alu instid0(VALU_DEP_4) | instskip(NEXT) | instid1(VALU_DEP_3)
	v_mov_b32_e32 v192, v97
	v_mov_b32_e32 v198, v98
	s_delay_alu instid0(VALU_DEP_3) | instskip(SKIP_3) | instid1(VALU_DEP_2)
	v_mul_i32_i24_e32 v8, v22, v19
	v_mov_b32_e32 v100, v22
	v_and_b32_e32 v22, 3, v9
	v_add3_u32 v9, v10, v11, v12
	v_mul_i32_i24_e32 v6, v22, v6
	s_delay_alu instid0(VALU_DEP_2)
	v_add3_u32 v9, v9, v13, v14
	v_mov_b32_e32 v101, v22
	v_mul_i32_i24_e32 v22, v102, v24
	v_mul_i32_i24_e32 v24, v203, v17
	v_mov_b32_e32 v166, v108
	v_add3_u32 v9, v9, v15, v20
	v_mov_b32_e32 v201, v101
	s_delay_alu instid0(VALU_DEP_3) | instskip(NEXT) | instid1(VALU_DEP_3)
	v_dual_mov_b32 v101, v127 :: v_dual_mov_b32 v212, v166
	v_add3_u32 v8, v9, v21, v8
	s_delay_alu instid0(VALU_DEP_1) | instskip(SKIP_2) | instid1(VALU_DEP_1)
	v_add3_u32 v6, v8, v6, v22
	scratch_store_b32 off, v6, off offset:464 ; 4-byte Folded Spill
	v_or_b32_e32 v6, s17, v42
	v_lshlrev_b32_e32 v66, 2, v6
	v_lshrrev_b32_e32 v6, 1, v6
	ds_load_b32 v6, v6 offset:30368
	scratch_store_b32 off, v24, off offset:460 ; 4-byte Folded Spill
	s_wait_dscnt 0x0
	scratch_store_b32 off, v6, off offset:396 ; 4-byte Folded Spill
	v_or_b32_e32 v6, s17, v43
	s_delay_alu instid0(VALU_DEP_1)
	v_lshlrev_b32_e32 v12, 2, v6
	v_lshrrev_b32_e32 v6, 1, v6
	ds_load_b32 v6, v6 offset:30368
	s_wait_dscnt 0x0
	scratch_store_b32 off, v6, off offset:420 ; 4-byte Folded Spill
	ds_load_b128 v[8:11], v12 offset:16896
	ds_load_b128 v[12:15], v12 offset:16912
	scratch_store_b32 off, v144, off offset:656 ; 4-byte Folded Spill
	s_wait_dscnt 0x1
	v_bfe_i32 v6, v8, 0, 8
	s_wait_dscnt 0x0
	v_bfe_i32 v32, v12, 0, 8
	v_bfe_i32 v33, v12, 8, 8
	v_bfe_i32 v34, v12, 16, 8
	v_ashrrev_i32_e32 v12, 24, v12
	v_bfe_i32 v35, v13, 0, 8
	v_bfe_i32 v41, v13, 8, 8
	v_bfe_i32 v42, v13, 16, 8
	v_ashrrev_i32_e32 v13, 24, v13
	;; [unrolled: 4-line block ×4, first 2 shown]
	v_add_nc_u32_e32 v57, v13, v12
	v_bfe_i32 v20, v8, 8, 8
	v_bfe_i32 v21, v8, 16, 8
	v_ashrrev_i32_e32 v8, 24, v8
	v_bfe_i32 v22, v9, 0, 8
	v_add3_u32 v43, v57, v14, v15
	v_add_nc_u32_e32 v57, v42, v34
	v_bfe_i32 v23, v9, 8, 8
	v_bfe_i32 v24, v9, 16, 8
	v_ashrrev_i32_e32 v9, 24, v9
	scratch_store_b32 off, v43, off offset:428 ; 4-byte Folded Spill
	v_add3_u32 v255, v57, v47, v56
	v_add_nc_u32_e32 v57, v35, v32
	v_bfe_i32 v25, v10, 0, 8
	v_bfe_i32 v26, v10, 8, 8
	;; [unrolled: 1-line block ×3, first 2 shown]
	v_ashrrev_i32_e32 v10, 24, v10
	v_add3_u32 v43, v57, v45, v48
	v_add_nc_u32_e32 v57, v41, v33
	v_bfe_i32 v28, v11, 0, 8
	v_bfe_i32 v29, v11, 8, 8
	;; [unrolled: 1-line block ×3, first 2 shown]
	v_ashrrev_i32_e32 v11, 24, v11
	scratch_store_b32 off, v43, off offset:424 ; 4-byte Folded Spill
	v_add3_u32 v43, v57, v46, v49
	v_add_nc_u32_e32 v57, v9, v8
	v_mul_i32_i24_e32 v59, v21, v243
	v_mul_i32_i24_e32 v60, v8, v161
	v_mul_i32_i24_e32 v61, v141, v24
	scratch_store_b32 off, v43, off offset:432 ; 4-byte Folded Spill
	v_add3_u32 v43, v57, v10, v11
	v_add_nc_u32_e32 v57, v24, v21
	v_mul_i32_i24_e32 v62, v143, v9
	v_mul_i32_i24_e32 v63, v205, v25
	v_mul_i32_i24_e32 v64, v164, v26
	;; [unrolled: 6-line block ×4, first 2 shown]
	scratch_store_b32 off, v43, off offset:440 ; 4-byte Folded Spill
	v_add3_u32 v249, v57, v25, v28
	v_mul_i32_i24_e32 v57, v6, v237
	v_mul_i32_i24_e32 v73, v233, v15
	v_mov_b32_e32 v200, v100
	v_mov_b32_e32 v172, v216
	s_delay_alu instid0(VALU_DEP_4) | instskip(NEXT) | instid1(VALU_DEP_1)
	v_mad_i32_i24 v57, v20, v163, v57
	v_add3_u32 v57, v57, v59, v60
	v_mul_i32_i24_e32 v59, v137, v22
	v_mul_i32_i24_e32 v60, v140, v23
	s_delay_alu instid0(VALU_DEP_1) | instskip(SKIP_2) | instid1(VALU_DEP_3)
	v_add3_u32 v57, v57, v59, v60
	v_mul_i32_i24_e32 v59, v239, v34
	v_mul_i32_i24_e32 v60, v206, v12
	v_add3_u32 v57, v57, v61, v62
	v_mul_i32_i24_e32 v61, v248, v42
	v_mul_i32_i24_e32 v62, v134, v13
	s_delay_alu instid0(VALU_DEP_3) | instskip(SKIP_2) | instid1(VALU_DEP_3)
	v_add3_u32 v57, v57, v63, v64
	v_mul_i32_i24_e32 v63, v210, v45
	v_mul_i32_i24_e32 v64, v247, v46
	v_add3_u32 v57, v57, v65, v67
	v_mul_i32_i24_e32 v65, v168, v47
	v_mov_b32_e32 v67, v75
	v_mov_b32_e32 v75, v83
	s_delay_alu instid0(VALU_DEP_4) | instskip(SKIP_3) | instid1(VALU_DEP_4)
	v_add3_u32 v57, v57, v68, v69
	v_mul_i32_i24_e32 v68, v207, v14
	v_mul_i32_i24_e32 v69, v226, v48
	v_mov_b32_e32 v226, v229
	v_add3_u32 v43, v57, v70, v71
	v_mul_i32_i24_e32 v57, v52, v32
	v_mul_i32_i24_e32 v70, v229, v49
	;; [unrolled: 1-line block ×3, first 2 shown]
	v_mov_b32_e32 v52, v129
	scratch_store_b32 off, v43, off offset:312 ; 4-byte Folded Spill
	v_mad_i32_i24 v57, v185, v33, v57
	v_dual_mov_b32 v229, v147 :: v_dual_mov_b32 v88, v67
	v_mov_b32_e32 v253, v182
	s_delay_alu instid0(VALU_DEP_3) | instskip(SKIP_2) | instid1(VALU_DEP_1)
	v_add3_u32 v57, v57, v59, v60
	v_mul_i32_i24_e32 v59, v190, v35
	v_mul_i32_i24_e32 v60, v191, v41
	v_add3_u32 v57, v57, v59, v60
	v_mul_i32_i24_e32 v59, v21, v86
	v_mul_i32_i24_e32 v60, v8, v87
	s_delay_alu instid0(VALU_DEP_3) | instskip(SKIP_2) | instid1(VALU_DEP_3)
	v_add3_u32 v57, v57, v61, v62
	v_mul_i32_i24_e32 v61, v159, v24
	v_mul_i32_i24_e32 v62, v128, v9
	v_add3_u32 v57, v57, v63, v64
	v_mul_i32_i24_e32 v63, v125, v25
	v_mul_i32_i24_e32 v64, v131, v26
	s_delay_alu instid0(VALU_DEP_3) | instskip(SKIP_2) | instid1(VALU_DEP_3)
	v_add3_u32 v57, v57, v65, v68
	v_mul_i32_i24_e32 v65, v117, v27
	v_mul_i32_i24_e32 v68, v126, v10
	v_add3_u32 v57, v57, v69, v70
	v_mul_i32_i24_e32 v69, v175, v28
	v_mul_i32_i24_e32 v70, v136, v29
	s_delay_alu instid0(VALU_DEP_3)
	v_add3_u32 v43, v57, v71, v73
	v_mul_i32_i24_e32 v57, v6, v85
	v_mul_i32_i24_e32 v71, v127, v30
	v_mul_i32_i24_e32 v73, v116, v11
	v_ashrrev_i32_e32 v116, 24, v7
	scratch_store_b32 off, v43, off offset:316 ; 4-byte Folded Spill
	v_mad_i32_i24 v57, v20, v84, v57
	v_mul_i32_i24_e32 v7, v233, v116
	s_delay_alu instid0(VALU_DEP_2) | instskip(SKIP_2) | instid1(VALU_DEP_1)
	v_add3_u32 v57, v57, v59, v60
	v_mul_i32_i24_e32 v59, v83, v22
	v_mul_i32_i24_e32 v60, v138, v23
	v_add3_u32 v57, v57, v59, v60
	v_mul_i32_i24_e32 v59, v174, v34
	v_mul_i32_i24_e32 v60, v184, v12
	s_delay_alu instid0(VALU_DEP_3) | instskip(SKIP_2) | instid1(VALU_DEP_3)
	v_add3_u32 v57, v57, v61, v62
	v_mul_i32_i24_e32 v61, v52, v42
	v_mul_i32_i24_e32 v62, v162, v13
	v_add3_u32 v57, v57, v63, v64
	v_mul_i32_i24_e32 v63, v216, v45
	v_mul_i32_i24_e32 v64, v217, v46
	s_delay_alu instid0(VALU_DEP_3) | instskip(SKIP_2) | instid1(VALU_DEP_3)
	v_add3_u32 v57, v57, v65, v68
	v_mul_i32_i24_e32 v65, v218, v47
	v_mul_i32_i24_e32 v68, v202, v14
	v_add3_u32 v57, v57, v69, v70
	v_mul_i32_i24_e32 v69, v221, v48
	v_mul_i32_i24_e32 v70, v222, v49
	s_delay_alu instid0(VALU_DEP_3)
	v_add3_u32 v43, v57, v71, v73
	v_mul_i32_i24_e32 v57, v135, v32
	v_mul_i32_i24_e32 v71, v220, v56
	;; [unrolled: 1-line block ×3, first 2 shown]
	scratch_store_b32 off, v43, off offset:320 ; 4-byte Folded Spill
	v_mad_i32_i24 v57, v231, v33, v57
	s_delay_alu instid0(VALU_DEP_1) | instskip(SKIP_2) | instid1(VALU_DEP_1)
	v_add3_u32 v57, v57, v59, v60
	v_mul_i32_i24_e32 v59, v219, v35
	v_mul_i32_i24_e32 v60, v194, v41
	v_add3_u32 v57, v57, v59, v60
	v_mul_i32_i24_e32 v59, v21, v67
	v_mul_i32_i24_e32 v60, v8, v82
	v_mul_i32_i24_e32 v21, v21, v76
	v_mul_i32_i24_e32 v8, v8, v77
	v_add3_u32 v57, v57, v61, v62
	v_mul_i32_i24_e32 v61, v79, v24
	v_mul_i32_i24_e32 v62, v80, v9
	;; [unrolled: 1-line block ×3, first 2 shown]
	s_delay_alu instid0(VALU_DEP_4) | instskip(SKIP_2) | instid1(VALU_DEP_3)
	v_add3_u32 v57, v57, v63, v64
	v_mul_i32_i24_e32 v63, v122, v25
	v_mul_i32_i24_e32 v64, v123, v26
	v_add3_u32 v57, v57, v65, v68
	v_mul_i32_i24_e32 v65, v186, v27
	v_mul_i32_i24_e32 v68, v155, v10
	;; [unrolled: 1-line block ×3, first 2 shown]
	s_delay_alu instid0(VALU_DEP_4) | instskip(SKIP_2) | instid1(VALU_DEP_3)
	v_add3_u32 v57, v57, v69, v70
	v_mul_i32_i24_e32 v69, v238, v28
	v_mul_i32_i24_e32 v70, v232, v29
	v_add3_u32 v43, v57, v71, v73
	v_mul_i32_i24_e32 v57, v6, v74
	v_mul_i32_i24_e32 v71, v225, v30
	;; [unrolled: 1-line block ×4, first 2 shown]
	scratch_store_b32 off, v43, off offset:324 ; 4-byte Folded Spill
	v_mad_i32_i24 v57, v20, v81, v57
	v_mul_i32_i24_e32 v11, v112, v11
	s_delay_alu instid0(VALU_DEP_2) | instskip(SKIP_2) | instid1(VALU_DEP_1)
	v_add3_u32 v57, v57, v59, v60
	v_mul_i32_i24_e32 v59, v193, v22
	v_mul_i32_i24_e32 v60, v124, v23
	v_add3_u32 v57, v57, v59, v60
	v_mul_i32_i24_e32 v59, v187, v34
	v_mul_i32_i24_e32 v60, v211, v12
	s_delay_alu instid0(VALU_DEP_3) | instskip(SKIP_2) | instid1(VALU_DEP_3)
	v_add3_u32 v57, v57, v61, v62
	v_mul_i32_i24_e32 v61, v229, v42
	v_mul_i32_i24_e32 v62, v214, v13
	v_add3_u32 v57, v57, v63, v64
	v_mul_i32_i24_e32 v63, v166, v45
	v_mul_i32_i24_e32 v64, v167, v46
	s_delay_alu instid0(VALU_DEP_3) | instskip(SKIP_3) | instid1(VALU_DEP_4)
	v_add3_u32 v57, v57, v65, v68
	v_mul_i32_i24_e32 v65, v208, v47
	v_mul_i32_i24_e32 v68, v119, v14
	v_mul_i32_i24_e32 v14, v200, v14
	v_add3_u32 v57, v57, v69, v70
	v_mul_i32_i24_e32 v69, v171, v48
	v_mul_i32_i24_e32 v70, v181, v49
	s_delay_alu instid0(VALU_DEP_3)
	v_add3_u32 v43, v57, v71, v73
	v_mul_i32_i24_e32 v57, v165, v32
	v_mul_i32_i24_e32 v71, v111, v56
	;; [unrolled: 1-line block ×4, first 2 shown]
	scratch_store_b32 off, v43, off offset:400 ; 4-byte Folded Spill
	v_mad_i32_i24 v57, v142, v33, v57
	s_delay_alu instid0(VALU_DEP_1) | instskip(SKIP_2) | instid1(VALU_DEP_1)
	v_add3_u32 v57, v57, v59, v60
	v_mul_i32_i24_e32 v59, v148, v35
	v_mul_i32_i24_e32 v60, v153, v41
	v_add3_u32 v57, v57, v59, v60
	s_delay_alu instid0(VALU_DEP_1) | instskip(NEXT) | instid1(VALU_DEP_1)
	v_add3_u32 v57, v57, v61, v62
	v_add3_u32 v57, v57, v63, v64
	s_delay_alu instid0(VALU_DEP_1) | instskip(NEXT) | instid1(VALU_DEP_1)
	v_add3_u32 v57, v57, v65, v68
	v_add3_u32 v57, v57, v69, v70
	s_delay_alu instid0(VALU_DEP_1)
	v_add3_u32 v43, v57, v71, v73
	v_add3_u32 v57, v5, v4, v7
	v_lshrrev_b16 v5, 8, v1
	v_lshrrev_b16 v4, 8, v0
	v_lshrrev_b16 v7, 8, v2
	scratch_store_b32 off, v43, off offset:404 ; 4-byte Folded Spill
	v_mov_b32_e32 v43, v39
	v_mov_b32_e32 v39, v37
	v_bfe_i32 v5, v5, 0, 8
	v_bfe_i32 v4, v4, 0, 8
	;; [unrolled: 1-line block ×3, first 2 shown]
	v_mad_i32_i24 v6, v20, v43, v6
	v_mul_i32_i24_e32 v20, v40, v23
	v_mul_i32_i24_e32 v23, v113, v26
	;; [unrolled: 1-line block ×3, first 2 shown]
	v_bfe_i32 v29, v2, 16, 8
	v_add3_u32 v6, v6, v21, v8
	v_mul_i32_i24_e32 v8, v39, v22
	v_mul_i32_i24_e32 v21, v44, v24
	;; [unrolled: 1-line block ×5, first 2 shown]
	v_add3_u32 v6, v6, v8, v20
	v_mul_i32_i24_e32 v27, v188, v30
	v_mul_i32_i24_e32 v8, v156, v34
	v_mul_i32_i24_e32 v20, v198, v47
	v_ashrrev_i32_e32 v28, 24, v1
	v_add3_u32 v6, v6, v21, v9
	v_mul_i32_i24_e32 v9, v180, v12
	v_mul_i32_i24_e32 v12, v96, v45
	;; [unrolled: 1-line block ×4, first 2 shown]
	v_add3_u32 v6, v6, v22, v23
	v_mul_i32_i24_e32 v22, v102, v49
	v_mul_i32_i24_e32 v23, v203, v56
	v_bfe_i32 v49, v3, 16, 8
	v_add_nc_u32_e32 v60, v5, v4
	v_add3_u32 v6, v6, v24, v10
	v_mul_i32_i24_e32 v10, v94, v42
	v_mul_i32_i24_e32 v68, v164, v7
	;; [unrolled: 1-line block ×3, first 2 shown]
	v_mov_b32_e32 v254, v188
	v_add3_u32 v6, v6, v25, v26
	v_bfe_i32 v26, v0, 16, 8
	v_mov_b32_e32 v182, v168
	v_mov_b32_e32 v168, v121
	;; [unrolled: 1-line block ×3, first 2 shown]
	v_add3_u32 v6, v6, v27, v11
	v_mul_i32_i24_e32 v11, v95, v13
	v_mul_i32_i24_e32 v13, v192, v46
	v_bfe_i32 v27, v1, 0, 8
	v_bfe_i32 v1, v1, 16, 8
	scratch_store_b32 off, v6, off offset:408 ; 4-byte Folded Spill
	v_mul_i32_i24_e32 v6, v55, v32
	v_mul_i32_i24_e32 v32, v101, v49
	v_mul_i32_i24_e32 v61, v137, v27
	v_mul_i32_i24_e32 v62, v141, v1
	v_dual_mov_b32 v110, v118 :: v_dual_mov_b32 v121, v142
	v_mad_i32_i24 v6, v157, v33, v6
	s_delay_alu instid0(VALU_DEP_4) | instskip(NEXT) | instid1(VALU_DEP_2)
	v_mad_i32_i24 v61, v140, v5, v61
	v_add3_u32 v6, v6, v8, v9
	v_mul_i32_i24_e32 v8, v92, v35
	v_mul_i32_i24_e32 v9, v93, v41
	v_ashrrev_i32_e32 v35, 24, v2
	v_bfe_i32 v2, v2, 0, 8
	v_add3_u32 v61, v61, v62, v64
	v_mul_i32_i24_e32 v62, v75, v27
	v_add3_u32 v6, v6, v8, v9
	v_mul_i32_i24_e32 v64, v159, v1
	v_mul_i32_i24_e32 v65, v205, v2
	;; [unrolled: 1-line block ×3, first 2 shown]
	v_mad_i32_i24 v62, v138, v5, v62
	v_add3_u32 v6, v6, v10, v11
	s_delay_alu instid0(VALU_DEP_1) | instskip(NEXT) | instid1(VALU_DEP_1)
	v_add3_u32 v6, v6, v12, v13
	v_add3_u32 v6, v6, v20, v14
	s_delay_alu instid0(VALU_DEP_1) | instskip(NEXT) | instid1(VALU_DEP_1)
	v_add3_u32 v6, v6, v21, v22
	v_add3_u32 v6, v6, v23, v15
	scratch_store_b32 off, v6, off offset:412 ; 4-byte Folded Spill
	v_or_b32_e32 v6, s17, v50
	v_mov_b32_e32 v50, v51
	s_delay_alu instid0(VALU_DEP_2)
	v_lshlrev_b32_e32 v8, 2, v6
	v_lshrrev_b32_e32 v6, 1, v6
	ds_load_b32 v6, v6 offset:30368
	s_wait_dscnt 0x0
	scratch_store_b32 off, v6, off offset:468 ; 4-byte Folded Spill
	ds_load_b128 v[12:15], v8 offset:16896
	ds_load_b128 v[8:11], v8 offset:16912
	s_clause 0x1
	scratch_store_b32 off, v32, off offset:500
	scratch_store_b32 off, v232, off offset:676
	s_wait_dscnt 0x1
	v_bfe_i32 v6, v12, 0, 8
	v_bfe_i32 v20, v12, 8, 8
	v_bfe_i32 v21, v12, 16, 8
	v_ashrrev_i32_e32 v22, 24, v12
	v_bfe_i32 v12, v13, 0, 8
	v_mul_i32_i24_e32 v23, v6, v237
	s_delay_alu instid0(VALU_DEP_4) | instskip(NEXT) | instid1(VALU_DEP_4)
	v_mul_i32_i24_e32 v24, v21, v243
	v_mul_i32_i24_e32 v25, v22, v161
	s_delay_alu instid0(VALU_DEP_4) | instskip(NEXT) | instid1(VALU_DEP_4)
	v_add_nc_u32_e32 v48, v12, v6
	v_mad_i32_i24 v23, v20, v163, v23
	v_mul_i32_i24_e32 v45, v83, v12
	v_mul_i32_i24_e32 v83, v245, v250
	;; [unrolled: 1-line block ×4, first 2 shown]
	v_add3_u32 v46, v23, v24, v25
	v_mul_i32_i24_e32 v23, v6, v85
	v_mul_i32_i24_e32 v24, v21, v86
	;; [unrolled: 1-line block ×4, first 2 shown]
	s_delay_alu instid0(VALU_DEP_4) | instskip(NEXT) | instid1(VALU_DEP_1)
	v_mad_i32_i24 v23, v20, v84, v23
	v_add3_u32 v42, v23, v24, v25
	v_mul_i32_i24_e32 v23, v6, v74
	v_mul_i32_i24_e32 v24, v21, v67
	;; [unrolled: 1-line block ×4, first 2 shown]
	v_mov_b32_e32 v51, v128
	v_mad_i32_i24 v23, v20, v81, v23
	v_mov_b32_e32 v82, v197
	s_delay_alu instid0(VALU_DEP_4) | instskip(NEXT) | instid1(VALU_DEP_3)
	v_mad_i32_i24 v6, v20, v43, v6
	v_add3_u32 v34, v23, v24, v25
	v_mul_i32_i24_e32 v23, v21, v76
	v_mul_i32_i24_e32 v24, v22, v77
	v_ashrrev_i32_e32 v25, 24, v0
	v_mul_i32_i24_e32 v77, v114, v250
	s_delay_alu instid0(VALU_DEP_3) | instskip(SKIP_1) | instid1(VALU_DEP_4)
	v_add3_u32 v30, v6, v23, v24
	v_or_b32_e32 v23, s17, v54
	v_add_nc_u32_e32 v56, v28, v25
	v_or_b32_e32 v6, s17, v235
	s_delay_alu instid0(VALU_DEP_3) | instskip(SKIP_1) | instid1(VALU_DEP_4)
	v_lshlrev_b32_e32 v24, 2, v23
	v_lshrrev_b32_e32 v23, 1, v23
	v_add3_u32 v147, v56, v35, v250
	v_mul_i32_i24_e32 v56, v4, v163
	v_lshlrev_b32_e32 v12, 2, v6
	s_clause 0x1
	scratch_store_b32 off, v24, off offset:484
	scratch_store_b32 off, v23, off offset:488
	v_or_b32_e32 v23, s17, v183
	v_mov_b32_e32 v183, v174
	v_lshrrev_b32_e32 v6, 1, v6
	s_delay_alu instid0(VALU_DEP_3)
	v_lshlrev_b32_e32 v24, 2, v23
	v_lshrrev_b32_e32 v23, 1, v23
	s_clause 0x1
	scratch_store_b32 off, v24, off offset:264
	scratch_store_b32 off, v23, off offset:392
	v_or_b32_e32 v23, s17, v176
	v_bfe_i32 v24, v0, 0, 8
	v_add_nc_u32_e32 v0, v1, v26
	v_mov_b32_e32 v146, v84
	s_delay_alu instid0(VALU_DEP_4)
	v_dual_mov_b32 v84, v76 :: v_dual_lshlrev_b32 v33, 2, v23
	v_lshrrev_b32_e32 v63, 1, v23
	v_lshrrev_b16 v23, 8, v3
	v_bfe_i32 v3, v3, 0, 8
	v_add_nc_u32_e32 v59, v27, v24
	v_add3_u32 v129, v0, v29, v49
	v_mul_i32_i24_e32 v0, v24, v237
	v_bfe_i32 v23, v23, 0, 8
	v_mul_i32_i24_e32 v71, v223, v3
	v_add3_u32 v149, v59, v2, v3
	v_mul_i32_i24_e32 v59, v26, v243
	v_add3_u32 v0, v61, v65, v0
	v_add3_u32 v240, v60, v7, v23
	v_mul_i32_i24_e32 v60, v25, v161
	v_mul_i32_i24_e32 v65, v128, v28
	;; [unrolled: 1-line block ×3, first 2 shown]
	v_add3_u32 v0, v0, v56, v59
	v_mul_i32_i24_e32 v56, v24, v85
	v_mul_i32_i24_e32 v59, v4, v146
	v_add3_u32 v62, v62, v64, v65
	v_mul_i32_i24_e32 v61, v25, v87
	v_add3_u32 v0, v0, v60, v68
	v_mul_i32_i24_e32 v68, v125, v2
	v_mul_i32_i24_e32 v60, v26, v86
	v_mul_i32_i24_e32 v76, v209, v49
	v_mov_b32_e32 v98, v74
	v_add3_u32 v0, v0, v69, v70
	v_add3_u32 v56, v62, v68, v56
	v_mul_i32_i24_e32 v69, v131, v7
	v_mul_i32_i24_e32 v70, v117, v29
	;; [unrolled: 1-line block ×3, first 2 shown]
	v_add3_u32 v0, v0, v71, v73
	v_add3_u32 v56, v56, v59, v60
	v_mul_i32_i24_e32 v71, v126, v35
	v_mul_i32_i24_e32 v64, v79, v1
	;; [unrolled: 1-line block ×3, first 2 shown]
	v_add3_u32 v0, v0, v76, v77
	v_add3_u32 v56, v56, v61, v69
	v_mul_i32_i24_e32 v76, v175, v3
	v_mul_i32_i24_e32 v77, v136, v23
	v_mad_i32_i24 v62, v124, v5, v62
	v_mul_i32_i24_e32 v68, v122, v2
	v_add3_u32 v56, v56, v70, v71
	v_mov_b32_e32 v73, v84
	v_mul_i32_i24_e32 v60, v26, v88
	v_add3_u32 v62, v62, v64, v65
	s_wait_dscnt 0x0
	v_bfe_i32 v64, v9, 16, 8
	v_mov_b32_e32 v74, v81
	v_add3_u32 v32, v56, v76, v77
	v_mul_i32_i24_e32 v56, v24, v98
	v_mul_i32_i24_e32 v61, v25, v91
	;; [unrolled: 1-line block ×5, first 2 shown]
	v_add3_u32 v56, v62, v68, v56
	v_mul_i32_i24_e32 v76, v155, v35
	v_mul_i32_i24_e32 v77, v238, v3
	;; [unrolled: 1-line block ×4, first 2 shown]
	v_add3_u32 v56, v56, v59, v60
	v_mul_i32_i24_e32 v81, v225, v49
	v_mul_i32_i24_e32 v1, v44, v1
	;; [unrolled: 1-line block ×3, first 2 shown]
	v_mad_i32_i24 v5, v40, v5, v27
	v_add3_u32 v56, v56, v61, v69
	scratch_store_b32 off, v32, off offset:504 ; 4-byte Folded Spill
	v_mul_i32_i24_e32 v24, v24, v50
	v_mul_i32_i24_e32 v2, v72, v2
	v_add3_u32 v1, v5, v1, v28
	v_add3_u32 v56, v56, v70, v76
	v_mul_i32_i24_e32 v26, v26, v73
	v_mul_i32_i24_e32 v7, v113, v7
	v_mov_b32_e32 v27, v125
	v_add3_u32 v1, v1, v2, v24
	v_add3_u32 v56, v56, v77, v78
	v_bfe_i32 v2, v13, 16, 8
	v_mov_b32_e32 v78, v103
	v_mul_i32_i24_e32 v29, v241, v29
	v_mul_i32_i24_e32 v35, v242, v35
	v_add3_u32 v32, v56, v81, v83
	scratch_store_b32 off, v126, off offset:660 ; 4-byte Folded Spill
	v_add_nc_u32_e32 v21, v2, v21
	v_mul_i32_i24_e32 v25, v25, v78
	v_mul_i32_i24_e32 v3, v253, v3
	scratch_store_b32 off, v32, off offset:416 ; 4-byte Folded Spill
	v_mov_b32_e32 v32, v43
	v_mul_i32_i24_e32 v23, v152, v23
	v_bfe_i32 v5, v14, 8, 8
	v_mul_i32_i24_e32 v43, v254, v49
	v_bfe_i32 v49, v15, 16, 8
	;; [unrolled: 2-line block ×3, first 2 shown]
	v_bfe_i32 v59, v8, 8, 8
	v_bfe_i32 v60, v8, 16, 8
	v_ashrrev_i32_e32 v8, 24, v8
	v_add3_u32 v1, v1, v4, v26
	v_bfe_i32 v4, v14, 0, 8
	v_bfe_i32 v61, v9, 0, 8
	;; [unrolled: 1-line block ×3, first 2 shown]
	v_ashrrev_i32_e32 v9, 24, v9
	v_add3_u32 v1, v1, v25, v7
	v_bfe_i32 v7, v14, 16, 8
	v_mov_b32_e32 v25, v124
	v_mul_i32_i24_e32 v81, v205, v4
	v_mul_i32_i24_e32 v83, v164, v5
	v_add3_u32 v1, v1, v29, v35
	v_bfe_i32 v35, v15, 8, 8
	v_add3_u32 v108, v21, v7, v49
	v_mul_i32_i24_e32 v21, v141, v2
	v_bfe_i32 v65, v10, 0, 8
	v_add3_u32 v1, v1, v3, v23
	v_ashrrev_i32_e32 v3, 24, v13
	v_bfe_i32 v68, v10, 8, 8
	v_bfe_i32 v69, v10, 16, 8
	v_ashrrev_i32_e32 v10, 24, v10
	scratch_store_b32 off, v1, off offset:496 ; 4-byte Folded Spill
	v_bfe_i32 v1, v13, 8, 8
	v_ashrrev_i32_e32 v13, 24, v14
	v_bfe_i32 v14, v15, 0, 8
	v_bfe_i32 v70, v11, 0, 8
	;; [unrolled: 1-line block ×3, first 2 shown]
	v_add_nc_u32_e32 v20, v1, v20
	v_bfe_i32 v77, v11, 16, 8
	v_add3_u32 v97, v48, v4, v14
	v_mul_i32_i24_e32 v48, v143, v3
	v_ashrrev_i32_e32 v11, 24, v11
	v_add3_u32 v151, v20, v5, v35
	v_mul_i32_i24_e32 v20, v140, v1
	v_add_nc_u32_e32 v23, v9, v8
	v_mul_i32_i24_e32 v84, v120, v7
	v_mul_i32_i24_e32 v103, v213, v13
	v_ashrrev_i32_e32 v15, 24, v15
	v_add3_u32 v20, v46, v47, v20
	v_add3_u32 v145, v23, v10, v11
	v_add_nc_u32_e32 v23, v64, v60
	v_mul_i32_i24_e32 v104, v223, v14
	v_mul_i32_i24_e32 v105, v53, v35
	v_add3_u32 v20, v20, v21, v48
	v_mul_i32_i24_e32 v106, v209, v49
	v_add3_u32 v150, v23, v69, v77
	v_add_nc_u32_e32 v23, v61, v56
	v_mul_i32_i24_e32 v107, v114, v15
	v_add3_u32 v20, v20, v81, v83
	v_mul_i32_i24_e32 v21, v239, v60
	v_mul_i32_i24_e32 v46, v206, v8
	;; [unrolled: 1-line block ×3, first 2 shown]
	v_add3_u32 v127, v23, v65, v70
	v_add3_u32 v20, v20, v84, v103
	v_add_nc_u32_e32 v23, v62, v59
	v_mul_i32_i24_e32 v81, v210, v65
	v_mul_i32_i24_e32 v83, v247, v68
	;; [unrolled: 1-line block ×3, first 2 shown]
	v_add3_u32 v20, v20, v104, v105
	v_add3_u32 v252, v23, v68, v76
	v_mov_b32_e32 v23, v122
	v_mul_i32_i24_e32 v84, v182, v69
	v_mul_i32_i24_e32 v104, v189, v70
	v_add3_u32 v20, v20, v106, v107
	scratch_store_b32 off, v43, off offset:492 ; 4-byte Folded Spill
	v_mul_i32_i24_e32 v105, v226, v76
	v_mov_b32_e32 v189, v170
	v_mul_i32_i24_e32 v109, v233, v11
	scratch_store_b32 off, v20, off offset:328 ; 4-byte Folded Spill
	v_mul_i32_i24_e32 v20, v197, v56
	v_mov_b32_e32 v197, v134
	v_mul_i32_i24_e32 v107, v189, v77
	v_dual_mov_b32 v29, v159 :: v_dual_mov_b32 v28, v131
	s_delay_alu instid0(VALU_DEP_4) | instskip(NEXT) | instid1(VALU_DEP_4)
	v_mad_i32_i24 v20, v185, v59, v20
	v_mul_i32_i24_e32 v48, v197, v9
	v_mov_b32_e32 v26, v199
	v_mov_b32_e32 v24, v123
	;; [unrolled: 1-line block ×3, first 2 shown]
	v_add3_u32 v20, v20, v21, v46
	v_mul_i32_i24_e32 v21, v190, v61
	v_mul_i32_i24_e32 v46, v191, v62
	v_add_nc_u32_e32 v22, v3, v22
	v_mov_b32_e32 v128, v246
	v_mov_b32_e32 v176, v222
	;; [unrolled: 1-line block ×3, first 2 shown]
	v_add3_u32 v20, v20, v21, v46
	v_mul_i32_i24_e32 v21, v29, v2
	v_mul_i32_i24_e32 v46, v51, v3
	v_add3_u32 v251, v22, v13, v15
	v_mov_b32_e32 v131, v156
	v_add3_u32 v20, v20, v47, v48
	v_mul_i32_i24_e32 v47, v27, v4
	v_mul_i32_i24_e32 v48, v28, v5
	v_dual_mov_b32 v43, v140 :: v_dual_mov_b32 v178, v93
	s_delay_alu instid0(VALU_DEP_4) | instskip(SKIP_3) | instid1(VALU_DEP_4)
	v_add3_u32 v20, v20, v81, v83
	v_mul_i32_i24_e32 v81, v117, v7
	v_mul_i32_i24_e32 v83, v126, v13
	v_dual_mov_b32 v126, v181 :: v_dual_mov_b32 v71, v171
	v_add3_u32 v20, v20, v84, v103
	v_mul_i32_i24_e32 v84, v175, v14
	v_mul_i32_i24_e32 v103, v136, v35
	v_mov_b32_e32 v118, v226
	v_mov_b32_e32 v58, v238
	v_add3_u32 v20, v20, v104, v105
	v_mul_i32_i24_e32 v104, v101, v49
	v_mul_i32_i24_e32 v105, v144, v15
	v_mov_b32_e32 v144, v165
	s_delay_alu instid0(VALU_DEP_4)
	v_add3_u32 v20, v20, v107, v109
	scratch_store_b32 off, v209, off offset:640 ; 4-byte Folded Spill
	v_dual_mov_b32 v107, v44 :: v_dual_mov_b32 v44, v92
	v_add3_u32 v209, v31, v19, v116
	scratch_store_b32 off, v20, off offset:332 ; 4-byte Folded Spill
	v_mul_i32_i24_e32 v20, v138, v1
	v_mov_b32_e32 v109, v50
	s_delay_alu instid0(VALU_DEP_2) | instskip(SKIP_3) | instid1(VALU_DEP_4)
	v_add3_u32 v20, v42, v45, v20
	v_mul_i32_i24_e32 v42, v184, v8
	v_mul_i32_i24_e32 v45, v52, v64
	v_mov_b32_e32 v184, v214
	v_add3_u32 v20, v20, v21, v46
	v_mul_i32_i24_e32 v21, v174, v60
	v_mul_i32_i24_e32 v46, v162, v9
	v_mov_b32_e32 v174, v217
	s_delay_alu instid0(VALU_DEP_4) | instskip(SKIP_3) | instid1(VALU_DEP_4)
	v_add3_u32 v20, v20, v47, v48
	v_mul_i32_i24_e32 v47, v216, v65
	v_mul_i32_i24_e32 v48, v217, v68
	v_dual_mov_b32 v217, v155 :: v_dual_mov_b32 v246, v253
	v_add3_u32 v20, v20, v81, v83
	v_mul_i32_i24_e32 v81, v218, v69
	v_mul_i32_i24_e32 v83, v202, v10
	s_delay_alu instid0(VALU_DEP_3) | instskip(SKIP_3) | instid1(VALU_DEP_4)
	v_add3_u32 v20, v20, v84, v103
	v_mul_i32_i24_e32 v84, v221, v70
	v_mul_i32_i24_e32 v103, v222, v76
	v_mov_b32_e32 v222, v167
	v_add3_u32 v20, v20, v104, v105
	scratch_store_b32 off, v53, off offset:644 ; 4-byte Folded Spill
	v_mul_i32_i24_e32 v104, v220, v77
	v_mul_i32_i24_e32 v105, v26, v11
	scratch_store_b32 off, v20, off offset:336 ; 4-byte Folded Spill
	v_mul_i32_i24_e32 v20, v135, v56
	s_delay_alu instid0(VALU_DEP_1) | instskip(NEXT) | instid1(VALU_DEP_1)
	v_mad_i32_i24 v20, v231, v59, v20
	v_add3_u32 v20, v20, v21, v42
	v_mul_i32_i24_e32 v21, v219, v61
	v_mul_i32_i24_e32 v42, v194, v62
	s_delay_alu instid0(VALU_DEP_1) | instskip(SKIP_3) | instid1(VALU_DEP_4)
	v_add3_u32 v20, v20, v21, v42
	v_mul_i32_i24_e32 v21, v79, v2
	v_mul_i32_i24_e32 v42, v80, v3
	v_mul_i32_i24_e32 v2, v107, v2
	v_add3_u32 v20, v20, v45, v46
	v_mul_i32_i24_e32 v45, v23, v4
	v_mul_i32_i24_e32 v46, v24, v5
	v_mul_i32_i24_e32 v4, v72, v4
	v_mul_i32_i24_e32 v5, v113, v5
	v_add3_u32 v20, v20, v47, v48
	v_mul_i32_i24_e32 v47, v186, v7
	;; [unrolled: 5-line block ×3, first 2 shown]
	v_mul_i32_i24_e32 v83, v232, v35
	v_mul_i32_i24_e32 v14, v253, v14
	v_mov_b32_e32 v253, v157
	v_add3_u32 v20, v20, v84, v103
	v_mul_i32_i24_e32 v84, v225, v49
	v_mul_i32_i24_e32 v103, v245, v15
	;; [unrolled: 1-line block ×3, first 2 shown]
	v_mov_b32_e32 v232, v198
	v_add3_u32 v20, v20, v104, v105
	scratch_store_b32 off, v223, off offset:648 ; 4-byte Folded Spill
	v_mov_b32_e32 v105, v187
	v_mov_b32_e32 v155, v135
	;; [unrolled: 1-line block ×3, first 2 shown]
	scratch_store_b32 off, v20, off offset:340 ; 4-byte Folded Spill
	v_mul_i32_i24_e32 v20, v25, v1
	v_mul_i32_i24_e32 v1, v40, v1
	s_delay_alu instid0(VALU_DEP_2) | instskip(SKIP_2) | instid1(VALU_DEP_4)
	v_add3_u32 v20, v34, v41, v20
	v_mul_i32_i24_e32 v34, v211, v8
	v_mul_i32_i24_e32 v41, v229, v64
	v_add3_u32 v1, v30, v37, v1
	s_delay_alu instid0(VALU_DEP_4) | instskip(SKIP_3) | instid1(VALU_DEP_4)
	v_add3_u32 v20, v20, v21, v42
	v_mul_i32_i24_e32 v21, v187, v60
	v_mul_i32_i24_e32 v42, v214, v9
	v_mov_b32_e32 v187, v73
	v_add3_u32 v20, v20, v45, v46
	v_mul_i32_i24_e32 v45, v166, v65
	v_mov_b32_e32 v166, v32
	v_mov_b32_e32 v46, v130
	s_delay_alu instid0(VALU_DEP_4) | instskip(SKIP_3) | instid1(VALU_DEP_4)
	v_add3_u32 v20, v20, v47, v48
	v_mul_i32_i24_e32 v47, v167, v68
	v_mul_i32_i24_e32 v48, v208, v69
	v_mov_b32_e32 v167, v100
	v_add3_u32 v20, v20, v81, v83
	v_mul_i32_i24_e32 v81, v119, v10
	v_mul_i32_i24_e32 v83, v171, v70
	;; [unrolled: 1-line block ×3, first 2 shown]
	v_mov_b32_e32 v171, v188
	v_add3_u32 v20, v20, v84, v103
	scratch_store_b32 off, v101, off offset:664 ; 4-byte Folded Spill
	v_mul_i32_i24_e32 v84, v181, v76
	v_mul_i32_i24_e32 v103, v111, v77
	v_mov_b32_e32 v101, v55
	scratch_store_b32 off, v20, off offset:448 ; 4-byte Folded Spill
	v_mul_i32_i24_e32 v20, v165, v56
	v_mov_b32_e32 v55, v94
	v_mov_b32_e32 v181, v95
	scratch_store_b32 off, v101, off offset:684 ; 4-byte Folded Spill
	v_mov_b32_e32 v111, v39
	v_mad_i32_i24 v20, v142, v59, v20
	v_dual_mov_b32 v165, v173 :: v_dual_mov_b32 v142, v52
	v_mov_b32_e32 v52, v105
	v_mov_b32_e32 v100, v87
	s_delay_alu instid0(VALU_DEP_4) | instskip(SKIP_3) | instid1(VALU_DEP_2)
	v_add3_u32 v20, v20, v21, v34
	v_mul_i32_i24_e32 v21, v148, v61
	v_mul_i32_i24_e32 v34, v153, v62
	v_dual_mov_b32 v148, v153 :: v_dual_mov_b32 v153, v231
	v_add3_u32 v20, v20, v21, v34
	v_mul_i32_i24_e32 v21, v254, v49
	s_delay_alu instid0(VALU_DEP_2) | instskip(SKIP_1) | instid1(VALU_DEP_2)
	v_add3_u32 v20, v20, v41, v42
	v_mov_b32_e32 v42, v137
	v_add3_u32 v20, v20, v45, v47
	v_mov_b32_e32 v47, v154
	v_mov_b32_e32 v45, v25
	s_delay_alu instid0(VALU_DEP_3) | instskip(SKIP_2) | instid1(VALU_DEP_3)
	v_add3_u32 v20, v20, v48, v81
	v_dual_mov_b32 v48, v205 :: v_dual_mov_b32 v81, v138
	v_mov_b32_e32 v205, v24
	v_add3_u32 v20, v20, v83, v84
	v_mov_b32_e32 v83, v51
	v_mul_i32_i24_e32 v3, v106, v3
	v_mov_b32_e32 v84, v163
	v_dual_mov_b32 v162, v106 :: v_dual_mov_b32 v163, v183
	s_delay_alu instid0(VALU_DEP_3)
	v_add3_u32 v1, v1, v2, v3
	v_mul_i32_i24_e32 v2, v156, v60
	v_mul_i32_i24_e32 v3, v180, v8
	v_mul_i32_i24_e32 v8, v192, v68
	v_mov_b32_e32 v68, v141
	v_add3_u32 v1, v1, v4, v5
	v_mul_i32_i24_e32 v5, v95, v9
	v_mul_i32_i24_e32 v9, v198, v69
	v_mov_b32_e32 v69, v29
	v_mul_i32_i24_e32 v104, v128, v11
	v_add3_u32 v1, v1, v7, v13
	v_mul_i32_i24_e32 v4, v94, v64
	v_mul_i32_i24_e32 v7, v96, v65
	;; [unrolled: 1-line block ×3, first 2 shown]
	v_add3_u32 v20, v20, v103, v104
	scratch_store_b32 off, v136, off offset:668 ; 4-byte Folded Spill
	v_mul_i32_i24_e32 v11, v160, v11
	v_mov_b32_e32 v70, v80
	v_mov_b32_e32 v64, v192
	scratch_store_b32 off, v20, off offset:452 ; 4-byte Folded Spill
	v_mul_i32_i24_e32 v20, v152, v35
	v_dual_mov_b32 v35, v152 :: v_dual_mov_b32 v152, v201
	v_dual_mov_b32 v201, v96 :: v_dual_mov_b32 v136, v187
	s_delay_alu instid0(VALU_DEP_3)
	v_add3_u32 v1, v1, v14, v20
	v_mul_i32_i24_e32 v14, v102, v76
	scratch_store_b32 off, v152, off offset:688 ; 4-byte Folded Spill
	v_mov_b32_e32 v187, v166
	v_add3_u32 v1, v1, v21, v15
	scratch_store_b32 off, v175, off offset:672 ; 4-byte Folded Spill
	v_mul_i32_i24_e32 v15, v203, v77
	v_mov_b32_e32 v175, v221
	v_mov_b32_e32 v77, v28
	scratch_store_b32 off, v1, off offset:456 ; 4-byte Folded Spill
	v_mul_i32_i24_e32 v1, v101, v56
	v_dual_mov_b32 v56, v237 :: v_dual_mov_b32 v237, v143
	v_mov_b32_e32 v188, v82
	v_mov_b32_e32 v82, v69
	s_delay_alu instid0(VALU_DEP_4) | instskip(SKIP_1) | instid1(VALU_DEP_2)
	v_mad_i32_i24 v1, v157, v59, v1
	v_mov_b32_e32 v59, v229
	v_add3_u32 v1, v1, v2, v3
	v_mul_i32_i24_e32 v2, v92, v61
	v_mul_i32_i24_e32 v3, v93, v62
	v_dual_mov_b32 v62, v161 :: v_dual_mov_b32 v61, v164
	v_mov_b32_e32 v164, v44
	v_dual_mov_b32 v170, v194 :: v_dual_mov_b32 v121, v126
	s_delay_alu instid0(VALU_DEP_4) | instskip(SKIP_2) | instid1(VALU_DEP_3)
	v_add3_u32 v1, v1, v2, v3
	v_dual_mov_b32 v161, v102 :: v_dual_mov_b32 v126, v245
	v_mov_b32_e32 v203, v61
	v_add3_u32 v1, v1, v4, v5
	s_delay_alu instid0(VALU_DEP_1) | instskip(NEXT) | instid1(VALU_DEP_1)
	v_add3_u32 v1, v1, v7, v8
	v_add3_u32 v1, v1, v9, v10
	s_delay_alu instid0(VALU_DEP_1) | instskip(NEXT) | instid1(VALU_DEP_1)
	v_add3_u32 v1, v1, v13, v14
	v_add3_u32 v41, v1, v15, v11
	ds_load_b32 v1, v6 offset:30368
	scratch_store_b32 off, v55, off offset:680 ; 4-byte Folded Spill
	s_wait_dscnt 0x0
	scratch_store_b32 off, v1, off offset:540 ; 4-byte Folded Spill
	ds_load_b128 v[122:125], v12 offset:16896
	ds_load_b128 v[156:159], v12 offset:16912
	s_wait_dscnt 0x1
	v_bfe_i32 v1, v122, 0, 8
	v_bfe_i32 v2, v122, 8, 8
	;; [unrolled: 1-line block ×3, first 2 shown]
	v_ashrrev_i32_e32 v4, 24, v122
	v_ashrrev_i32_e32 v5, 24, v123
	v_mul_i32_i24_e32 v11, v1, v56
	v_bfe_i32 v8, v123, 0, 8
	v_bfe_i32 v9, v123, 8, 8
	;; [unrolled: 1-line block ×3, first 2 shown]
	v_add_nc_u32_e32 v6, v5, v4
	v_mul_i32_i24_e32 v12, v3, v230
	v_mul_i32_i24_e32 v13, v4, v62
	v_mad_i32_i24 v11, v2, v84, v11
	v_bfe_i32 v123, v124, 0, 8
	scratch_store_b32 off, v6, off offset:520 ; 4-byte Folded Spill
	v_add_nc_u32_e32 v6, v10, v3
	v_bfe_i32 v195, v124, 8, 8
	v_add3_u32 v11, v11, v12, v13
	v_mul_i32_i24_e32 v12, v42, v8
	v_mul_i32_i24_e32 v13, v43, v9
	scratch_store_b32 off, v6, off offset:524 ; 4-byte Folded Spill
	v_add_nc_u32_e32 v6, v9, v2
	v_mul_i32_i24_e32 v14, v68, v10
	v_mul_i32_i24_e32 v15, v237, v5
	v_add3_u32 v11, v11, v12, v13
	v_mul_i32_i24_e32 v20, v48, v123
	scratch_store_b32 off, v6, off offset:528 ; 4-byte Folded Spill
	v_add_nc_u32_e32 v6, v8, v1
	v_mul_i32_i24_e32 v21, v61, v195
	v_add3_u32 v11, v11, v14, v15
	v_mul_i32_i24_e32 v12, v3, v86
	v_mul_i32_i24_e32 v13, v4, v87
	scratch_store_b32 off, v6, off offset:532 ; 4-byte Folded Spill
	v_mul_i32_i24_e32 v14, v29, v10
	v_add3_u32 v6, v11, v20, v21
	v_mul_i32_i24_e32 v11, v1, v85
	v_mul_i32_i24_e32 v15, v51, v5
	;; [unrolled: 1-line block ×4, first 2 shown]
	scratch_store_b32 off, v6, off offset:544 ; 4-byte Folded Spill
	v_mad_i32_i24 v11, v2, v146, v11
	v_mov_b32_e32 v122, v128
	s_delay_alu instid0(VALU_DEP_2) | instskip(SKIP_2) | instid1(VALU_DEP_1)
	v_add3_u32 v11, v11, v12, v13
	v_mul_i32_i24_e32 v12, v75, v8
	v_mul_i32_i24_e32 v13, v138, v9
	v_add3_u32 v11, v11, v12, v13
	v_mul_i32_i24_e32 v12, v3, v88
	v_mul_i32_i24_e32 v13, v4, v91
	;; [unrolled: 1-line block ×4, first 2 shown]
	v_add3_u32 v11, v11, v14, v15
	v_mul_i32_i24_e32 v14, v79, v10
	v_mul_i32_i24_e32 v15, v80, v5
	;; [unrolled: 1-line block ×3, first 2 shown]
	v_mov_b32_e32 v80, v40
	v_add3_u32 v6, v11, v20, v21
	v_mul_i32_i24_e32 v11, v1, v98
	v_mul_i32_i24_e32 v1, v1, v50
	;; [unrolled: 1-line block ×4, first 2 shown]
	scratch_store_b32 off, v6, off offset:516 ; 4-byte Folded Spill
	v_mad_i32_i24 v11, v2, v74, v11
	v_mad_i32_i24 v1, v2, v32, v1
	v_mul_i32_i24_e32 v2, v39, v8
	v_mov_b32_e32 v73, v72
	s_delay_alu instid0(VALU_DEP_4)
	v_add3_u32 v11, v11, v12, v13
	v_mul_i32_i24_e32 v12, v193, v8
	v_mul_i32_i24_e32 v13, v25, v9
	v_add3_u32 v1, v1, v3, v4
	v_mul_i32_i24_e32 v3, v40, v9
	v_mul_i32_i24_e32 v4, v107, v10
	;; [unrolled: 1-line block ×3, first 2 shown]
	v_add3_u32 v11, v11, v12, v13
	v_mul_i32_i24_e32 v9, v113, v195
	v_add3_u32 v1, v1, v2, v3
	ds_load_u16 v3, v38
	v_mov_b32_e32 v183, v73
	v_add3_u32 v11, v11, v14, v15
	v_add3_u32 v1, v1, v4, v5
	s_delay_alu instid0(VALU_DEP_2) | instskip(NEXT) | instid1(VALU_DEP_2)
	v_add3_u32 v6, v11, v20, v21
	v_add3_u32 v1, v1, v8, v9
	s_clause 0x1
	scratch_store_b32 off, v6, off offset:512
	scratch_store_b32 off, v1, off offset:508
	ds_load_u16 v1, v36
	ds_load_b128 v[37:40], v33 offset:16896
	ds_load_b128 v[92:95], v33 offset:16912
	s_wait_dscnt 0x3
	v_lshrrev_b16 v4, 8, v3
	s_wait_dscnt 0x2
	v_bfe_u32 v5, v1, 4, 4
	v_lshrrev_b16 v2, 8, v1
	v_and_b32_e32 v1, 15, v1
	s_wait_dscnt 0x0
	v_ashrrev_i32_e32 v9, 24, v92
	v_ashrrev_i32_e32 v6, 24, v93
	v_mul_lo_u32 v5, 0x1010101, v5
	v_ashrrev_i32_e32 v7, 24, v95
	v_and_b32_e32 v228, 0xffff, v1
	v_and_b32_e32 v1, 0xffff, v4
	v_bfe_i32 v11, v92, 16, 8
	v_mov_b32_e32 v15, v9
	v_bfe_i32 v10, v94, 16, 8
	v_mov_b32_e32 v76, v27
	v_lshrrev_b32_e32 v198, 24, v5
	v_lshrrev_b16 v8, 8, v5
	v_bfe_i32 v200, v5, 0, 8
	v_bfe_i32 v202, v5, 16, 8
	v_and_b32_e32 v5, 15, v3
	v_lshrrev_b32_e32 v1, 4, v1
	v_bfe_i32 v192, v8, 0, 8
	v_ashrrev_i32_e32 v8, 24, v94
	v_mul_i32_i24_e32 v17, v129, v202
	v_and_b32_e32 v214, 0xffff, v5
	v_and_b32_e32 v5, 0xffff, v2
	v_mul_lo_u32 v33, 0x1010101, v1
	v_add_nc_u32_e32 v1, v6, v9
	v_mov_b32_e32 v13, v8
	v_bfe_i32 v9, v95, 16, 8
	v_lshrrev_b32_e32 v5, 4, v5
	v_mul_i32_i24_e32 v18, v147, v198
	v_add3_u32 v213, v1, v8, v7
	v_mov_b32_e32 v8, v7
	v_bfe_i32 v7, v93, 16, 8
	v_mul_lo_u32 v5, 0x1010101, v5
	v_mad_i32_i24 v17, v149, v200, v17
	v_mad_i32_i24 v18, v240, v192, v18
	v_mul_lo_u32 v0, v0, v228
	v_mov_b32_e32 v19, v9
	v_bfe_i32 v143, v33, 0, 8
	v_dual_mov_b32 v20, v10 :: v_dual_mov_b32 v67, v42
	v_bfe_i32 v211, v5, 0, 8
	v_bfe_i32 v221, v5, 8, 8
	v_lshrrev_b32_e32 v223, 24, v5
	v_bfe_i32 v224, v5, 16, 8
	v_add_nc_u32_e32 v5, v7, v11
	v_mul_i32_i24_e32 v16, v196, v211
	v_dual_mov_b32 v22, v11 :: v_dual_mov_b32 v227, v56
	v_mul_i32_i24_e32 v1, v209, v223
	s_delay_alu instid0(VALU_DEP_4)
	v_add3_u32 v177, v5, v10, v9
	v_mul_i32_i24_e32 v5, v204, v224
	v_add3_u32 v16, v17, v18, v16
	v_bfe_i32 v10, v37, 8, 8
	v_ashrrev_i32_e32 v11, 24, v37
	v_bfe_i32 v199, v38, 8, 8
	v_mad_i32_i24 v5, v133, v221, v5
	v_bfe_i32 v254, v37, 0, 8
	v_bfe_i32 v12, v39, 8, 8
	v_mov_b32_e32 v21, v7
	v_bfe_i32 v17, v39, 16, 8
	v_add3_u32 v5, v16, v5, v1
	v_and_b32_e32 v1, 15, v2
	v_and_b32_e32 v2, 15, v4
	v_lshrrev_b32_e32 v4, 16, v165
	v_mul_i32_i24_e32 v12, v61, v12
	scratch_store_b32 off, v11, off offset:152 ; 4-byte Folded Spill
	v_and_b32_e32 v243, 0xffff, v1
                                        ; kill: def $vgpr1 killed $sgpr0 killed $exec
	v_lshrrev_b32_e32 v215, 24, v33
	v_cvt_f32_f16_e64 v244, v4
	v_bfe_i32 v216, v33, 16, 8
	v_dual_mov_b32 v132, v212 :: v_dual_mov_b32 v229, v227
	v_mad_co_u64_u32 v[0:1], null, v57, v243, v[0:1]
	v_cvt_f32_i32_e32 v1, v5
	v_dual_mov_b32 v14, v6 :: v_dual_mov_b32 v57, v48
	v_dual_mov_b32 v34, v79 :: v_dual_and_b32 v103, 0xffff, v2
	v_lshrrev_b32_e32 v2, 16, v179
	v_cvt_f32_i32_e32 v0, v0
	v_mul_f32_e32 v1, v244, v1
	v_mul_i32_i24_e32 v5, v196, v143
	v_mov_b32_e32 v212, v64
	v_cvt_f32_f16_e32 v104, v2
	v_mov_b32_e32 v79, v23
	v_fma_mix_f32 v0, v165, v0, -v1 op_sel_hi:[1,0,0]
	scratch_load_b64 v[1:2], off, off offset:48 ; 8-byte Folded Reload
	scratch_store_b32 off, v5, off offset:552 ; 4-byte Folded Spill
	v_bfe_i32 v5, v38, 16, 8
	v_dual_mov_b32 v96, v68 :: v_dual_mov_b32 v65, v79
	v_dual_mov_b32 v133, v222 :: v_dual_mov_b32 v194, v119
	v_mov_b32_e32 v231, v62
	scratch_store_b32 off, v5, off offset:136 ; 4-byte Folded Spill
	v_mov_b32_e32 v119, v71
	v_mov_b32_e32 v227, v237
	;; [unrolled: 1-line block ×4, first 2 shown]
	v_bfe_i32 v173, v33, 8, 8
	s_wait_loadcnt 0x0
	v_fmac_f32_e32 v1, v234, v0
	v_bfe_u32 v0, v3, 4, 4
	v_mov_b32_e32 v102, v80
	v_bfe_i32 v80, v39, 8, 8
	s_clause 0x1
	scratch_store_b64 off, v[1:2], off offset:48
	scratch_store_b32 off, v10, off offset:144
	v_mul_lo_u32 v0, 0x1010101, v0
	s_delay_alu instid0(VALU_DEP_1) | instskip(SKIP_3) | instid1(VALU_DEP_4)
	v_bfe_i32 v138, v0, 0, 8
	v_bfe_i32 v3, v0, 8, 8
	;; [unrolled: 1-line block ×3, first 2 shown]
	v_lshrrev_b32_e32 v141, 24, v0
	v_mul_i32_i24_e32 v2, v149, v138
	s_delay_alu instid0(VALU_DEP_4) | instskip(NEXT) | instid1(VALU_DEP_4)
	v_mov_b32_e32 v137, v3
	v_mul_i32_i24_e32 v1, v129, v140
	s_delay_alu instid0(VALU_DEP_4) | instskip(NEXT) | instid1(VALU_DEP_4)
	v_mul_i32_i24_e32 v0, v147, v141
	v_mad_i32_i24 v2, v240, v3, v2
	v_bfe_i32 v3, v38, 0, 8
	s_delay_alu instid0(VALU_DEP_2)
	v_add3_u32 v0, v2, v1, v0
	v_bfe_i32 v2, v37, 16, 8
	v_mov_b32_e32 v37, v26
	scratch_store_b32 off, v0, off offset:556 ; 4-byte Folded Spill
	ds_load_b32 v0, v63 offset:30368
	v_mul_i32_i24_e32 v1, v2, v230
	s_wait_dscnt 0x0
	scratch_store_b32 off, v0, off offset:260 ; 4-byte Folded Spill
	v_ashrrev_i32_e32 v0, 24, v38
	s_delay_alu instid0(VALU_DEP_1)
	v_dual_mov_b32 v38, v7 :: v_dual_add_nc_u32 v9, v0, v11
	scratch_store_b32 off, v9, off offset:608 ; 4-byte Folded Spill
	v_dual_mov_b32 v9, v0 :: v_dual_add_nc_u32 v0, v5, v2
	s_clause 0x5
	scratch_store_b32 off, v3, off offset:132
	scratch_store_b32 off, v196, off offset:480
	;; [unrolled: 1-line block ×6, first 2 shown]
	v_add_nc_u32_e32 v0, v199, v10
	v_mul_i32_i24_e32 v2, v11, v62
	v_bfe_i32 v196, v39, 0, 8
	v_mul_i32_i24_e32 v4, v237, v9
	v_mul_i32_i24_e32 v9, v120, v17
	scratch_store_b32 off, v0, off offset:616 ; 4-byte Folded Spill
	v_dual_mov_b32 v237, v57 :: v_dual_add_nc_u32 v0, v3, v254
	v_mov_b32_e32 v57, v177
	scratch_store_b32 off, v0, off offset:620 ; 4-byte Folded Spill
	v_mul_i32_i24_e32 v0, v254, v56
	v_mov_b32_e32 v56, v22
	s_delay_alu instid0(VALU_DEP_2) | instskip(NEXT) | instid1(VALU_DEP_1)
	v_mad_i32_i24 v0, v10, v84, v0
	v_add3_u32 v0, v0, v1, v2
	v_mul_i32_i24_e32 v1, v42, v3
	v_mul_i32_i24_e32 v2, v43, v199
	;; [unrolled: 1-line block ×4, first 2 shown]
	v_mov_b32_e32 v68, v45
	s_delay_alu instid0(VALU_DEP_4) | instskip(NEXT) | instid1(VALU_DEP_1)
	v_add3_u32 v0, v0, v1, v2
	v_add3_u32 v0, v0, v3, v4
	s_delay_alu instid0(VALU_DEP_1)
	v_add3_u32 v0, v0, v5, v12
	scratch_store_b32 off, v0, off offset:636 ; 4-byte Folded Spill
	v_mul_i32_i24_e32 v0, v239, v22
	scratch_store_b32 off, v0, off offset:624 ; 4-byte Folded Spill
	v_mul_i32_i24_e32 v0, v206, v15
	;; [unrolled: 2-line block ×3, first 2 shown]
	s_clause 0x1
	scratch_store_b32 off, v9, off offset:632
	scratch_store_b32 off, v0, off offset:580
	v_mul_i32_i24_e32 v0, v197, v14
	scratch_store_b32 off, v0, off offset:596 ; 4-byte Folded Spill
	v_mul_i32_i24_e32 v0, v182, v20
	scratch_store_b32 off, v0, off offset:584 ; 4-byte Folded Spill
	;; [unrolled: 2-line block ×3, first 2 shown]
	v_mul_i32_i24_e32 v0, v189, v19
	s_clause 0x1
	scratch_store_b32 off, v0, off offset:588
	scratch_store_b32 off, v116, off offset:548
	v_mul_i32_i24_e32 v0, v26, v116
	scratch_store_b32 off, v0, off offset:592 ; 4-byte Folded Spill
	v_mul_i32_i24_e32 v0, v233, v8
	scratch_store_b32 off, v0, off offset:604 ; 4-byte Folded Spill
	;; [unrolled: 2-line block ×6, first 2 shown]
	v_mul_i32_i24_e32 v0, v128, v116
	v_dual_mov_b32 v116, v169 :: v_dual_mov_b32 v169, v219
	v_dual_mov_b32 v219, v99 :: v_dual_mov_b32 v128, v67
	s_delay_alu instid0(VALU_DEP_3)
	v_add3_u32 v0, v90, v89, v0
	scratch_store_b32 off, v0, off offset:560 ; 4-byte Folded Spill
	ds_load_b128 v[25:28], v66 offset:16896
	ds_load_b128 v[0:3], v66 offset:16912
	s_clause 0x5
	scratch_load_b32 v130, off, off offset:648 th:TH_LOAD_LU
	scratch_load_b32 v64, off, off offset:660 th:TH_LOAD_LU
	;; [unrolled: 1-line block ×6, first 2 shown]
	s_wait_dscnt 0x0
	v_lshrrev_b16 v4, 8, v0
	v_lshrrev_b16 v5, 8, v1
	v_ashrrev_i32_e32 v9, 24, v0
	v_ashrrev_i32_e32 v8, 24, v1
	v_mov_b32_e32 v72, v43
	v_bfe_i32 v234, v4, 0, 8
	v_bfe_i32 v22, v5, 0, 8
	v_lshrrev_b16 v31, 8, v2
	v_lshrrev_b16 v66, 8, v3
	v_bfe_i32 v89, v0, 16, 8
	v_bfe_i32 v90, v0, 0, 8
	;; [unrolled: 1-line block ×4, first 2 shown]
	v_mov_b32_e32 v60, v120
	v_ashrrev_i32_e32 v7, 24, v2
	v_bfe_i32 v4, v2, 0, 8
	v_bfe_i32 v5, v2, 16, 8
	v_ashrrev_i32_e32 v2, 24, v3
	v_bfe_i32 v0, v3, 0, 8
	v_bfe_i32 v1, v3, 16, 8
	v_add_nc_u32_e32 v12, v22, v234
	v_dual_mov_b32 v120, v134 :: v_dual_add_nc_u32 v3, v8, v9
	v_dual_mov_b32 v154, v131 :: v_dual_mov_b32 v99, v72
	v_mov_b32_e32 v134, v139
	s_clause 0x2
	scratch_load_b32 v72, off, off offset:664 th:TH_LOAD_LU
	scratch_load_b32 v105, off, off offset:656 th:TH_LOAD_LU
	;; [unrolled: 1-line block ×3, first 2 shown]
	v_mul_i32_i24_e32 v21, v188, v90
	v_bfe_i32 v23, v31, 0, 8
	v_bfe_i32 v6, v66, 0, 8
	v_mul_i32_i24_e32 v31, v239, v89
	v_mul_i32_i24_e32 v66, v206, v9
	v_mad_i32_i24 v21, v185, v234, v21
	v_add_nc_u32_e32 v13, v63, v90
	v_mul_i32_i24_e32 v16, v248, v235
	v_mul_i32_i24_e32 v15, v197, v8
	;; [unrolled: 1-line block ×3, first 2 shown]
	v_add3_u32 v21, v21, v31, v66
	v_mul_i32_i24_e32 v31, v190, v63
	v_mul_i32_i24_e32 v66, v191, v22
	v_add3_u32 v53, v13, v4, v0
	v_mul_i32_i24_e32 v13, v247, v23
	v_add3_u32 v50, v12, v23, v6
	;; [unrolled: 2-line block ×4, first 2 shown]
	v_mul_i32_i24_e32 v24, v116, v0
	v_mul_i32_i24_e32 v3, v118, v6
	v_add3_u32 v15, v18, v16, v15
	v_mul_i32_i24_e32 v10, v189, v1
	v_mul_i32_i24_e32 v17, v233, v2
	v_mul_i32_i24_e32 v16, v218, v5
	v_mul_i32_i24_e32 v18, v175, v0
	v_add3_u32 v13, v15, v14, v13
	v_mul_i32_i24_e32 v14, v172, v4
	v_mul_i32_i24_e32 v15, v174, v23
	;; [unrolled: 5-line block ×3, first 2 shown]
	v_add_nc_u32_e32 v20, v235, v89
	v_mul_i32_i24_e32 v19, v120, v63
	v_add3_u32 v3, v11, v24, v3
	v_mul_i32_i24_e32 v11, v168, v9
	v_mul_i32_i24_e32 v24, v220, v1
	v_add3_u32 v54, v20, v5, v1
	v_mov_b32_e32 v131, v171
	v_add3_u32 v226, v3, v10, v17
	v_mul_i32_i24_e32 v3, v155, v90
	v_mul_i32_i24_e32 v10, v163, v89
	;; [unrolled: 1-line block ×5, first 2 shown]
	v_mad_i32_i24 v3, v153, v234, v3
	v_mul_i32_i24_e32 v48, v54, v224
	s_delay_alu instid0(VALU_DEP_2) | instskip(SKIP_2) | instid1(VALU_DEP_1)
	v_add3_u32 v3, v3, v10, v11
	v_mul_i32_i24_e32 v10, v169, v63
	v_mul_i32_i24_e32 v11, v170, v22
	v_add3_u32 v3, v3, v10, v11
	v_mul_i32_i24_e32 v10, v52, v89
	v_mul_i32_i24_e32 v11, v47, v9
	v_mul_i32_i24_e32 v9, v180, v9
	s_delay_alu instid0(VALU_DEP_4) | instskip(SKIP_1) | instid1(VALU_DEP_2)
	v_add3_u32 v3, v3, v12, v13
	v_mul_i32_i24_e32 v12, v59, v235
	v_add3_u32 v3, v3, v14, v15
	v_mul_i32_i24_e32 v14, v132, v4
	v_mul_i32_i24_e32 v15, v133, v23
	;; [unrolled: 1-line block ×3, first 2 shown]
	s_delay_alu instid0(VALU_DEP_4)
	v_add3_u32 v3, v3, v16, v17
	v_mul_i32_i24_e32 v16, v208, v5
	v_mul_i32_i24_e32 v17, v194, v7
	;; [unrolled: 1-line block ×4, first 2 shown]
	v_add3_u32 v3, v3, v18, v21
	v_mul_i32_i24_e32 v18, v119, v0
	v_mul_i32_i24_e32 v21, v121, v6
	;; [unrolled: 1-line block ×4, first 2 shown]
	v_add3_u32 v43, v3, v24, v66
	v_mul_i32_i24_e32 v3, v144, v90
	v_mov_b32_e32 v66, v184
	v_mul_i32_i24_e32 v24, v46, v1
	v_mul_i32_i24_e32 v1, v236, v1
	v_mov_b32_e32 v152, v78
	v_mad_i32_i24 v3, v135, v234, v3
	v_mul_i32_i24_e32 v13, v66, v8
	v_mul_i32_i24_e32 v8, v181, v8
	v_dual_mov_b32 v184, v113 :: v_dual_mov_b32 v113, v103
	s_delay_alu instid0(VALU_DEP_4) | instskip(SKIP_4) | instid1(VALU_DEP_4)
	v_add3_u32 v3, v3, v10, v11
	v_mul_i32_i24_e32 v11, v148, v22
	v_mul_i32_i24_e32 v10, v122, v2
	;; [unrolled: 1-line block ×3, first 2 shown]
	v_mov_b32_e32 v78, v179
	v_add3_u32 v3, v3, v19, v11
	v_mul_i32_i24_e32 v11, v55, v235
	v_ashrrev_i32_e32 v19, 24, v28
	s_delay_alu instid0(VALU_DEP_3) | instskip(SKIP_2) | instid1(VALU_DEP_3)
	v_add3_u32 v3, v3, v12, v13
	v_mul_i32_i24_e32 v12, v212, v23
	v_bfe_i32 v13, v26, 16, 8
	v_add3_u32 v3, v3, v14, v15
	v_bfe_i32 v14, v27, 16, 8
	v_bfe_i32 v15, v27, 0, 8
	s_delay_alu instid0(VALU_DEP_3) | instskip(SKIP_2) | instid1(VALU_DEP_3)
	v_add3_u32 v3, v3, v16, v17
	v_ashrrev_i32_e32 v16, 24, v27
	v_bfe_i32 v17, v28, 16, 8
	v_add3_u32 v3, v3, v18, v21
	v_bfe_i32 v18, v28, 0, 8
	v_mul_i32_i24_e32 v21, v60, v14
	s_delay_alu instid0(VALU_DEP_3)
	v_add3_u32 v71, v3, v24, v10
	v_mul_i32_i24_e32 v3, v101, v90
	v_mul_i32_i24_e32 v10, v154, v89
	;; [unrolled: 1-line block ×3, first 2 shown]
	v_dual_mov_b32 v101, v107 :: v_dual_mov_b32 v222, v137
	v_mov_b32_e32 v171, v82
	v_mad_i32_i24 v3, v253, v234, v3
	v_mul_i32_i24_e32 v234, v237, v15
	s_delay_alu instid0(VALU_DEP_2) | instskip(SKIP_3) | instid1(VALU_DEP_2)
	v_add3_u32 v3, v3, v10, v9
	v_mul_i32_i24_e32 v9, v164, v63
	v_mul_i32_i24_e32 v10, v178, v22
	;; [unrolled: 1-line block ×3, first 2 shown]
	v_add3_u32 v3, v3, v9, v10
	v_bfe_i32 v9, v25, 0, 8
	v_bfe_i32 v10, v25, 16, 8
	s_delay_alu instid0(VALU_DEP_3) | instskip(SKIP_2) | instid1(VALU_DEP_4)
	v_add3_u32 v3, v3, v11, v8
	v_ashrrev_i32_e32 v8, 24, v25
	v_ashrrev_i32_e32 v11, 24, v26
	v_add_nc_u32_e32 v23, v13, v10
	s_delay_alu instid0(VALU_DEP_4)
	v_add3_u32 v3, v3, v4, v12
	v_lshrrev_b16 v4, 8, v25
	v_bfe_i32 v12, v26, 0, 8
	v_mul_i32_i24_e32 v90, v227, v11
	v_add3_u32 v29, v23, v14, v17
	v_add3_u32 v3, v3, v5, v7
	v_lshrrev_b16 v5, 8, v26
	v_bfe_i32 v4, v4, 0, 8
	v_mul_i32_i24_e32 v26, v9, v229
	v_lshrrev_b16 v7, 8, v28
	v_add3_u32 v0, v3, v0, v6
	v_lshrrev_b16 v6, 8, v27
	v_bfe_i32 v5, v5, 0, 8
	v_mul_i32_i24_e32 v27, v10, v230
	v_mul_i32_i24_e32 v28, v8, v231
	v_mad_i32_i24 v26, v4, v84, v26
	v_bfe_i32 v6, v6, 0, 8
	v_add_nc_u32_e32 v24, v12, v9
	v_bfe_i32 v7, v7, 0, 8
	v_add3_u32 v55, v0, v1, v2
	v_add3_u32 v26, v26, v27, v28
	v_mul_i32_i24_e32 v27, v128, v12
	v_mul_i32_i24_e32 v28, v99, v5
	;; [unrolled: 1-line block ×3, first 2 shown]
	v_add3_u32 v32, v24, v15, v18
	v_dual_mov_b32 v24, v193 :: v_dual_mov_b32 v193, v109
	s_delay_alu instid0(VALU_DEP_4)
	v_add3_u32 v26, v26, v27, v28
	v_mul_i32_i24_e32 v20, v134, v16
	v_mul_i32_i24_e32 v0, v114, v19
	;; [unrolled: 1-line block ×4, first 2 shown]
	v_add3_u32 v26, v26, v89, v90
	v_add_nc_u32_e32 v25, v11, v8
	v_add_nc_u32_e32 v22, v5, v4
	s_delay_alu instid0(VALU_DEP_3) | instskip(NEXT) | instid1(VALU_DEP_3)
	v_add3_u32 v26, v26, v234, v235
	v_add3_u32 v30, v25, v16, v19
	v_mov_b32_e32 v25, v98
	s_delay_alu instid0(VALU_DEP_4)
	v_add3_u32 v31, v22, v6, v7
	v_mov_b32_e32 v98, v186
	v_add3_u32 v20, v26, v21, v20
	v_mul_i32_i24_e32 v21, v83, v11
	v_mul_i32_i24_e32 v26, v76, v15
	v_dual_mov_b32 v186, v111 :: v_dual_mov_b32 v111, v77
	v_dual_mov_b32 v254, v85 :: v_dual_mov_b32 v137, v25
	s_wait_loadcnt 0x8
	v_mul_i32_i24_e32 v3, v130, v18
	s_wait_loadcnt 0x7
	v_mul_i32_i24_e32 v89, v64, v16
	s_wait_loadcnt 0x6
	v_mul_i32_i24_e32 v90, v67, v18
	s_wait_loadcnt 0x5
	v_mul_i32_i24_e32 v234, v115, v7
	s_wait_loadcnt 0x4
	v_mul_i32_i24_e32 v1, v44, v17
	s_wait_loadcnt 0x2
	v_mul_i32_i24_e32 v235, v72, v17
	s_wait_loadcnt 0x0
	v_mul_i32_i24_e32 v2, v139, v7
	s_delay_alu instid0(VALU_DEP_1) | instskip(SKIP_2) | instid1(VALU_DEP_3)
	v_add3_u32 v2, v20, v3, v2
	v_mul_i32_i24_e32 v3, v8, v100
	v_mul_i32_i24_e32 v20, v82, v13
	v_add3_u32 v23, v2, v1, v0
	v_mul_i32_i24_e32 v1, v9, v85
	v_mul_i32_i24_e32 v2, v10, v86
	;; [unrolled: 1-line block ×3, first 2 shown]
	s_delay_alu instid0(VALU_DEP_3) | instskip(NEXT) | instid1(VALU_DEP_1)
	v_mad_i32_i24 v1, v4, v146, v1
	v_add3_u32 v1, v1, v2, v3
	v_mul_i32_i24_e32 v2, v75, v12
	v_mul_i32_i24_e32 v3, v81, v5
	s_delay_alu instid0(VALU_DEP_1) | instskip(SKIP_2) | instid1(VALU_DEP_3)
	v_add3_u32 v1, v1, v2, v3
	v_mul_i32_i24_e32 v2, v10, v88
	v_mul_i32_i24_e32 v3, v8, v91
	v_add3_u32 v1, v1, v20, v21
	v_mul_i32_i24_e32 v20, v69, v13
	v_mul_i32_i24_e32 v21, v70, v11
	s_delay_alu instid0(VALU_DEP_3) | instskip(SKIP_3) | instid1(VALU_DEP_4)
	v_add3_u32 v1, v1, v26, v27
	v_mul_i32_i24_e32 v26, v65, v15
	v_mul_i32_i24_e32 v27, v205, v6
	;; [unrolled: 1-line block ×3, first 2 shown]
	v_add3_u32 v1, v1, v28, v89
	v_mul_i32_i24_e32 v28, v98, v14
	v_mul_i32_i24_e32 v89, v217, v16
	s_delay_alu instid0(VALU_DEP_3) | instskip(SKIP_2) | instid1(VALU_DEP_3)
	v_add3_u32 v1, v1, v90, v234
	v_mul_i32_i24_e32 v90, v58, v18
	v_mul_i32_i24_e32 v234, v45, v7
	v_add3_u32 v22, v1, v235, v0
	v_mul_i32_i24_e32 v1, v9, v25
	v_mul_i32_i24_e32 v235, v225, v17
	;; [unrolled: 1-line block ×3, first 2 shown]
	s_delay_alu instid0(VALU_DEP_3) | instskip(NEXT) | instid1(VALU_DEP_1)
	v_mad_i32_i24 v1, v4, v74, v1
	v_add3_u32 v1, v1, v2, v3
	v_mul_i32_i24_e32 v2, v24, v12
	v_mul_i32_i24_e32 v3, v68, v5
	s_delay_alu instid0(VALU_DEP_1)
	v_add3_u32 v1, v1, v2, v3
	v_mul_i32_i24_e32 v2, v10, v136
	v_mul_i32_i24_e32 v3, v8, v152
	;; [unrolled: 1-line block ×4, first 2 shown]
	v_add3_u32 v1, v1, v20, v21
	v_mul_lo_u32 v16, v23, v228
	v_bfe_i32 v15, v39, 16, 8
	s_delay_alu instid0(VALU_DEP_3) | instskip(NEXT) | instid1(VALU_DEP_1)
	v_add3_u32 v1, v1, v26, v27
	v_add3_u32 v1, v1, v28, v89
	v_dual_mov_b32 v89, v35 :: v_dual_mov_b32 v166, v81
	s_delay_alu instid0(VALU_DEP_2) | instskip(NEXT) | instid1(VALU_DEP_2)
	v_add3_u32 v1, v1, v90, v234
	v_mul_i32_i24_e32 v7, v89, v7
	v_mov_b32_e32 v90, v75
	s_delay_alu instid0(VALU_DEP_3) | instskip(SKIP_4) | instid1(VALU_DEP_4)
	v_add3_u32 v1, v1, v235, v0
	v_mul_i32_i24_e32 v0, v9, v193
	v_mul_i32_i24_e32 v9, v241, v14
	v_mov_b32_e32 v14, v56
	v_mov_b32_e32 v56, v163
	v_mad_i32_i24 v0, v4, v187, v0
	v_mul_i32_i24_e32 v4, v101, v13
	v_mul_i32_i24_e32 v13, v112, v19
	v_mov_b32_e32 v19, v199
	v_mov_b32_e32 v199, v110
	v_add3_u32 v0, v0, v2, v3
	v_mul_i32_i24_e32 v2, v186, v12
	v_mul_i32_i24_e32 v3, v102, v5
	;; [unrolled: 1-line block ×5, first 2 shown]
	v_mad_co_u64_u32 v[16:17], null, v226, v243, v[16:17]
	v_add3_u32 v0, v0, v2, v3
	v_mad_i32_i24 v3, v29, v202, v48
	v_ashrrev_i32_e32 v18, 24, v94
	s_delay_alu instid0(VALU_DEP_3)
	v_add3_u32 v0, v0, v4, v5
	v_mad_i32_i24 v5, v30, v198, v51
	v_mad_i32_i24 v4, v32, v200, v49
	v_mov_b32_e32 v51, v213
	v_mov_b32_e32 v49, v80
	v_add3_u32 v0, v0, v8, v6
	v_mul_i32_i24_e32 v8, v32, v138
	v_mul_i32_i24_e32 v6, v30, v141
	s_delay_alu instid0(VALU_DEP_3) | instskip(NEXT) | instid1(VALU_DEP_3)
	v_add3_u32 v0, v0, v9, v10
	v_mad_i32_i24 v8, v31, v222, v8
	v_mov_b32_e32 v9, v196
	v_mul_i32_i24_e32 v10, v117, v15
	v_mov_b32_e32 v196, v37
	v_add3_u32 v0, v0, v11, v7
	v_mul_i32_i24_e32 v7, v29, v140
	v_bfe_i32 v11, v94, 16, 8
	s_delay_alu instid0(VALU_DEP_3) | instskip(SKIP_1) | instid1(VALU_DEP_4)
	v_add3_u32 v2, v0, v12, v13
	v_mul_i32_i24_e32 v0, v31, v192
	v_add3_u32 v6, v8, v7, v6
	v_mul_i32_i24_e32 v8, v249, v200
	v_ashrrev_i32_e32 v12, 24, v92
	s_delay_alu instid0(VALU_DEP_4) | instskip(SKIP_2) | instid1(VALU_DEP_3)
	v_add3_u32 v0, v0, v63, v5
	v_mul_i32_i24_e32 v5, v50, v173
	v_mov_b32_e32 v63, v208
	v_add3_u32 v0, v4, v3, v0
	v_cvt_f32_i32_e32 v3, v16
	v_mul_i32_i24_e32 v4, v53, v143
	v_mul_lo_u32 v16, v22, v214
	s_delay_alu instid0(VALU_DEP_4) | instskip(NEXT) | instid1(VALU_DEP_3)
	v_cvt_f32_i32_e32 v0, v0
	v_add3_u32 v4, v6, v4, v5
	s_delay_alu instid0(VALU_DEP_2) | instskip(NEXT) | instid1(VALU_DEP_4)
	v_mul_f32_e32 v0, v244, v0
	v_mad_co_u64_u32 v[16:17], null, v43, v103, v[16:17]
	v_ashrrev_i32_e32 v43, 24, v95
	s_delay_alu instid0(VALU_DEP_3)
	v_fma_mix_f32 v0, v165, v3, -v0 op_sel_hi:[1,0,0]
	s_clause 0x7
	scratch_load_b32 v3, off, off offset:40
	scratch_load_b32 v21, off, off offset:396 th:TH_LOAD_LU
	scratch_load_b32 v245, off, off offset:428 th:TH_LOAD_LU
	;; [unrolled: 1-line block ×7, first 2 shown]
	s_wait_loadcnt 0x6
	v_fmac_f32_e32 v3, v21, v0
	v_mul_i32_i24_e32 v0, v42, v215
	s_wait_loadcnt 0x4
	v_mul_i32_i24_e32 v6, v33, v198
	s_wait_loadcnt 0x3
	v_mul_i32_i24_e32 v7, v35, v202
	scratch_store_b32 off, v3, off offset:40 ; 4-byte Folded Spill
	v_mul_i32_i24_e32 v3, v54, v216
	s_wait_loadcnt 0x0
	v_mad_i32_i24 v8, v34, v192, v8
	v_mul_i32_i24_e32 v5, v23, v221
	s_delay_alu instid0(VALU_DEP_3)
	v_add3_u32 v0, v4, v3, v0
	v_cvt_f32_i32_e32 v3, v16
	v_mul_i32_i24_e32 v4, v20, v211
	v_add3_u32 v6, v8, v7, v6
	v_mul_i32_i24_e32 v8, v249, v138
	v_cvt_f32_i32_e32 v0, v0
	v_mul_i32_i24_e32 v7, v35, v140
	s_delay_alu instid0(VALU_DEP_4) | instskip(SKIP_1) | instid1(VALU_DEP_4)
	v_add3_u32 v4, v6, v4, v5
	v_mul_i32_i24_e32 v6, v33, v141
	v_mul_f32_e32 v0, v104, v0
	v_mad_i32_i24 v8, v34, v222, v8
	v_mul_i32_i24_e32 v5, v23, v173
	s_delay_alu instid0(VALU_DEP_3) | instskip(SKIP_4) | instid1(VALU_DEP_2)
	v_fma_mix_f32 v0, v179, v3, -v0 op_sel_hi:[1,0,0]
	scratch_load_b32 v3, off, off offset:32 ; 4-byte Folded Reload
	v_add3_u32 v6, v8, v7, v6
	v_mul_i32_i24_e32 v8, v97, v200
	v_mul_i32_i24_e32 v7, v108, v202
	v_mad_i32_i24 v8, v151, v192, v8
	s_wait_loadcnt 0x0
	v_fmac_f32_e32 v3, v21, v0
	scratch_load_b32 v0, off, off offset:312 th:TH_LOAD_LU ; 4-byte Folded Reload
	scratch_store_b32 off, v3, off offset:32 ; 4-byte Folded Spill
	v_mul_i32_i24_e32 v3, v255, v224
	s_wait_loadcnt 0x0
	v_mul_lo_u32 v16, v0, v228
	v_mul_i32_i24_e32 v0, v245, v223
	s_delay_alu instid0(VALU_DEP_1) | instskip(SKIP_3) | instid1(VALU_DEP_2)
	v_add3_u32 v0, v4, v3, v0
	scratch_load_b32 v3, off, off offset:316 th:TH_LOAD_LU ; 4-byte Folded Reload
	v_mul_i32_i24_e32 v4, v20, v143
	v_cvt_f32_i32_e32 v0, v0
	v_add3_u32 v4, v6, v4, v5
	v_mul_i32_i24_e32 v6, v251, v198
	v_mul_i32_i24_e32 v5, v252, v221
	s_delay_alu instid0(VALU_DEP_4) | instskip(NEXT) | instid1(VALU_DEP_3)
	v_mul_f32_e32 v0, v244, v0
	v_add3_u32 v6, v8, v7, v6
	v_mul_i32_i24_e32 v8, v97, v138
	v_mul_i32_i24_e32 v7, v108, v140
	s_delay_alu instid0(VALU_DEP_2) | instskip(SKIP_2) | instid1(VALU_DEP_1)
	v_mad_i32_i24 v8, v151, v222, v8
	s_wait_loadcnt 0x0
	v_mad_co_u64_u32 v[16:17], null, v3, v243, v[16:17]
	v_cvt_f32_i32_e32 v3, v16
	s_delay_alu instid0(VALU_DEP_1)
	v_fma_mix_f32 v0, v165, v3, -v0 op_sel_hi:[1,0,0]
	s_clause 0x1
	scratch_load_b32 v3, off, off offset:60
	scratch_load_b32 v238, off, off offset:420 th:TH_LOAD_LU
	s_wait_loadcnt 0x0
	v_fmac_f32_e32 v3, v238, v0
	scratch_load_b32 v0, off, off offset:320 th:TH_LOAD_LU ; 4-byte Folded Reload
	scratch_store_b32 off, v3, off offset:60 ; 4-byte Folded Spill
	v_mul_i32_i24_e32 v3, v255, v216
	s_wait_loadcnt 0x0
	v_mul_lo_u32 v16, v0, v214
	v_mul_i32_i24_e32 v0, v245, v215
	s_delay_alu instid0(VALU_DEP_1) | instskip(SKIP_3) | instid1(VALU_DEP_2)
	v_add3_u32 v0, v4, v3, v0
	scratch_load_b32 v3, off, off offset:324 th:TH_LOAD_LU ; 4-byte Folded Reload
	v_mul_i32_i24_e32 v4, v127, v211
	v_cvt_f32_i32_e32 v0, v0
	v_add3_u32 v4, v6, v4, v5
	v_mul_i32_i24_e32 v6, v251, v141
	v_mul_i32_i24_e32 v5, v252, v173
	s_delay_alu instid0(VALU_DEP_4) | instskip(NEXT) | instid1(VALU_DEP_3)
	v_mul_f32_e32 v0, v104, v0
	v_add3_u32 v6, v8, v7, v6
	v_mul_i32_i24_e32 v7, v76, v9
	v_mul_i32_i24_e32 v8, v77, v80
	s_wait_loadcnt 0x0
	v_mad_co_u64_u32 v[16:17], null, v3, v103, v[16:17]
	s_delay_alu instid0(VALU_DEP_1) | instskip(NEXT) | instid1(VALU_DEP_1)
	v_cvt_f32_i32_e32 v3, v16
	v_fma_mix_f32 v0, v179, v3, -v0 op_sel_hi:[1,0,0]
	scratch_load_b32 v3, off, off offset:44 ; 4-byte Folded Reload
	s_wait_loadcnt 0x0
	v_fmac_f32_e32 v3, v238, v0
	scratch_load_b32 v0, off, off offset:328 th:TH_LOAD_LU ; 4-byte Folded Reload
	scratch_store_b32 off, v3, off offset:44 ; 4-byte Folded Spill
	v_mul_i32_i24_e32 v3, v150, v224
	s_wait_loadcnt 0x0
	v_mul_lo_u32 v16, v0, v228
	v_mul_i32_i24_e32 v0, v145, v223
	s_delay_alu instid0(VALU_DEP_1) | instskip(SKIP_3) | instid1(VALU_DEP_2)
	v_add3_u32 v0, v4, v3, v0
	scratch_load_b32 v3, off, off offset:332 th:TH_LOAD_LU ; 4-byte Folded Reload
	v_mul_i32_i24_e32 v4, v127, v143
	v_cvt_f32_i32_e32 v0, v0
	v_add3_u32 v4, v6, v4, v5
	s_delay_alu instid0(VALU_DEP_2) | instskip(SKIP_2) | instid1(VALU_DEP_1)
	v_mul_f32_e32 v0, v244, v0
	s_wait_loadcnt 0x0
	v_mad_co_u64_u32 v[16:17], null, v3, v243, v[16:17]
	v_cvt_f32_i32_e32 v3, v16
	s_delay_alu instid0(VALU_DEP_1)
	v_fma_mix_f32 v0, v165, v3, -v0 op_sel_hi:[1,0,0]
	s_clause 0x7
	scratch_load_b32 v3, off, off offset:56
	scratch_load_b32 v36, off, off offset:468 th:TH_LOAD_LU
	scratch_load_b32 v109, off, off offset:148
	scratch_load_b32 v79, off, off offset:152
	;; [unrolled: 1-line block ×6, first 2 shown]
	v_mov_b32_e32 v226, v86
	s_clause 0x1
	scratch_store_b32 off, v14, off offset:300
	scratch_store_b32 off, v12, off offset:296
	s_wait_loadcnt 0x6
	v_fmac_f32_e32 v3, v36, v0
	scratch_load_b32 v0, off, off offset:336 th:TH_LOAD_LU ; 4-byte Folded Reload
	scratch_store_b32 off, v3, off offset:56 ; 4-byte Folded Spill
	v_mul_i32_i24_e32 v3, v150, v216
	s_wait_loadcnt 0x2
	v_mul_i32_i24_e32 v5, v82, v61
	s_wait_loadcnt 0x1
	v_mul_i32_i24_e32 v6, v83, v62
	v_mov_b32_e32 v82, v76
	v_mov_b32_e32 v76, v142
	s_wait_loadcnt 0x0
	v_mul_lo_u32 v16, v0, v214
	v_mul_i32_i24_e32 v0, v145, v215
	s_delay_alu instid0(VALU_DEP_1) | instskip(SKIP_3) | instid1(VALU_DEP_1)
	v_add3_u32 v0, v4, v3, v0
	scratch_load_b32 v3, off, off offset:340 th:TH_LOAD_LU ; 4-byte Folded Reload
	v_mul_i32_i24_e32 v4, v79, v100
	v_cvt_f32_i32_e32 v0, v0
	v_mul_f32_e32 v0, v104, v0
	s_wait_loadcnt 0x0
	v_mad_co_u64_u32 v[16:17], null, v3, v103, v[16:17]
	v_bfe_i32 v17, v95, 16, 8
	v_mov_b32_e32 v103, v68
	s_delay_alu instid0(VALU_DEP_3) | instskip(NEXT) | instid1(VALU_DEP_1)
	v_cvt_f32_i32_e32 v3, v16
	v_fma_mix_f32 v0, v179, v3, -v0 op_sel_hi:[1,0,0]
	scratch_load_b32 v3, off, off offset:64 ; 4-byte Folded Reload
	s_wait_loadcnt 0x0
	v_fmac_f32_e32 v3, v36, v0
	v_mul_i32_i24_e32 v0, v73, v85
	s_clause 0x1
	scratch_store_b32 off, v3, off offset:64
	scratch_store_b32 off, v73, off offset:308
	v_mul_i32_i24_e32 v3, v109, v86
	v_mad_i32_i24 v0, v107, v146, v0
	s_delay_alu instid0(VALU_DEP_1) | instskip(SKIP_4) | instid1(VALU_DEP_3)
	v_add3_u32 v0, v0, v3, v4
	v_mul_i32_i24_e32 v3, v75, v106
	v_mul_i32_i24_e32 v4, v81, v19
	v_mov_b32_e32 v81, v98
	v_mov_b32_e32 v75, v117
	v_add3_u32 v0, v0, v3, v4
	v_mul_i32_i24_e32 v3, v109, v88
	v_mul_i32_i24_e32 v4, v79, v91
	v_mov_b32_e32 v109, v91
	v_mov_b32_e32 v79, v74
	v_add3_u32 v0, v0, v5, v6
	v_mul_i32_i24_e32 v5, v69, v61
	v_mul_i32_i24_e32 v6, v70, v62
	v_dual_mov_b32 v62, v59 :: v_dual_mov_b32 v59, v66
	s_delay_alu instid0(VALU_DEP_4)
	v_add3_u32 v0, v0, v7, v8
	scratch_store_b32 off, v10, off offset:368 ; 4-byte Folded Spill
	v_ashrrev_i32_e32 v10, 24, v93
	v_mul_i32_i24_e32 v7, v65, v9
	v_mul_i32_i24_e32 v8, v205, v80
	scratch_store_b32 off, v0, off offset:372 ; 4-byte Folded Spill
	v_mul_i32_i24_e32 v0, v56, v14
	scratch_store_b32 off, v19, off offset:304 ; 4-byte Folded Spill
	v_mul_i32_i24_e32 v13, v59, v10
	v_mov_b32_e32 v66, v46
	scratch_store_b32 off, v0, off offset:344 ; 4-byte Folded Spill
	v_mul_i32_i24_e32 v0, v168, v12
	s_clause 0x1
	scratch_store_b32 off, v0, off offset:348
	scratch_store_b32 off, v38, off offset:284
	v_mul_i32_i24_e32 v0, v142, v38
	s_clause 0x2
	scratch_load_b32 v27, off, off offset:480 th:TH_LOAD_LU
	scratch_load_b32 v61, off, off offset:652 th:TH_LOAD_LU
	;; [unrolled: 1-line block ×3, first 2 shown]
	s_clause 0x3
	scratch_store_b32 off, v11, off offset:276
	scratch_store_b32 off, v18, off offset:272
	;; [unrolled: 1-line block ×4, first 2 shown]
	v_mul_i32_i24_e32 v0, v199, v10
	v_mul_i32_i24_e32 v91, v66, v17
	scratch_store_b32 off, v0, off offset:332 ; 4-byte Folded Spill
	v_mul_i32_i24_e32 v0, v218, v11
	scratch_store_b32 off, v0, off offset:324 ; 4-byte Folded Spill
	;; [unrolled: 2-line block ×5, first 2 shown]
	v_mul_i32_i24_e32 v0, v51, v215
	s_clause 0x1
	scratch_store_b32 off, v10, off offset:280
	scratch_store_b32 off, v0, off offset:312
	v_mul_i32_i24_e32 v0, v57, v216
	scratch_store_b32 off, v0, off offset:316 ; 4-byte Folded Spill
	v_mul_i32_i24_e32 v0, v73, v25
	v_mov_b32_e32 v25, v15
	s_delay_alu instid0(VALU_DEP_2) | instskip(NEXT) | instid1(VALU_DEP_1)
	v_mad_i32_i24 v0, v107, v74, v0
	v_add3_u32 v0, v0, v3, v4
	v_mul_i32_i24_e32 v3, v24, v106
	v_mul_i32_i24_e32 v4, v68, v19
	;; [unrolled: 1-line block ×3, first 2 shown]
	s_delay_alu instid0(VALU_DEP_2) | instskip(SKIP_2) | instid1(VALU_DEP_1)
	v_add3_u32 v0, v0, v3, v4
	scratch_load_b32 v4, off, off offset:380 th:TH_LOAD_LU ; 4-byte Folded Reload
	v_add3_u32 v0, v0, v5, v6
	v_add3_u32 v6, v0, v7, v8
	scratch_load_b32 v0, off, off offset:376 th:TH_LOAD_LU ; 4-byte Folded Reload
	s_wait_loadcnt 0x1
	ds_load_u16 v4, v4
	s_wait_loadcnt 0x0
	ds_load_u16 v0, v0
	s_wait_dscnt 0x1
	v_lshrrev_b16 v5, 8, v4
	s_wait_dscnt 0x0
	v_lshrrev_b16 v3, 8, v0
	v_bfe_u32 v10, v0, 4, 4
	v_mov_b32_e32 v106, v24
	s_delay_alu instid0(VALU_DEP_3) | instskip(NEXT) | instid1(VALU_DEP_3)
	v_dual_mov_b32 v24, v47 :: v_dual_and_b32 v11, 0xffff, v3
	v_mul_lo_u32 v10, 0x1010101, v10
	v_and_b32_e32 v3, 15, v3
	s_delay_alu instid0(VALU_DEP_3) | instskip(SKIP_2) | instid1(VALU_DEP_4)
	v_mul_i32_i24_e32 v8, v24, v12
	v_mul_i32_i24_e32 v12, v194, v18
	v_lshrrev_b32_e32 v11, 4, v11
	v_and_b32_e32 v163, 0xffff, v3
	v_bfe_i32 v16, v10, 0, 8
	v_bfe_i32 v22, v10, 16, 8
	v_lshrrev_b32_e32 v18, 24, v10
	v_mul_lo_u32 v11, 0x1010101, v11
	v_mov_b32_e32 v68, v65
	s_delay_alu instid0(VALU_DEP_4)
	v_dual_mov_b32 v48, v9 :: v_dual_mov_b32 v117, v22
	v_bfe_i32 v26, v10, 8, 8
	v_mul_i32_i24_e32 v17, v147, v18
	v_mov_b32_e32 v177, v18
	v_mul_i32_i24_e32 v18, v129, v22
	v_mul_i32_i24_e32 v22, v149, v16
	v_and_b32_e32 v10, 15, v4
	v_bfe_u32 v4, v4, 4, 4
	v_dual_mov_b32 v142, v52 :: v_dual_mov_b32 v87, v16
	v_bfe_i32 v208, v11, 0, 8
	v_bfe_i32 v179, v11, 8, 8
	v_mad_i32_i24 v22, v240, v26, v22
	v_mul_lo_u32 v4, 0x1010101, v4
	v_dual_mov_b32 v110, v88 :: v_dual_and_b32 v47, 0xffff, v10
	v_mul_i32_i24_e32 v9, v98, v15
	v_mul_i32_i24_e32 v7, v142, v14
	v_and_b32_e32 v10, 0xffff, v5
	v_mul_i32_i24_e32 v14, v27, v208
	v_mul_i32_i24_e32 v15, v61, v179
	v_add3_u32 v17, v22, v18, v17
	v_mov_b32_e32 v88, v26
	v_lshrrev_b32_e32 v28, 24, v4
	v_lshrrev_b32_e32 v107, 24, v11
	v_bfe_i32 v22, v11, 16, 8
	v_add3_u32 v26, v17, v14, v15
	v_bfe_i32 v14, v4, 0, 8
	v_bfe_i32 v15, v4, 8, 8
	;; [unrolled: 1-line block ×3, first 2 shown]
	v_lshrrev_b32_e32 v4, 4, v10
	v_mov_b32_e32 v73, v28
	v_mul_i32_i24_e32 v11, v149, v14
	v_mov_b32_e32 v65, v14
	v_mov_b32_e32 v77, v17
	v_mul_lo_u32 v4, 0x1010101, v4
	v_mul_i32_i24_e32 v14, v32, v87
	v_mad_i32_i24 v11, v240, v15, v11
	v_mul_i32_i24_e32 v80, v62, v38
	s_delay_alu instid0(VALU_DEP_3)
	v_mad_i32_i24 v14, v31, v88, v14
	v_bfe_i32 v10, v4, 0, 8
	v_bfe_i32 v16, v4, 8, 8
	v_lshrrev_b32_e32 v85, 24, v4
	v_bfe_i32 v86, v4, 16, 8
	v_mul_i32_i24_e32 v4, v147, v28
	v_mul_i32_i24_e32 v27, v27, v10
	v_mov_b32_e32 v74, v10
	v_mul_i32_i24_e32 v10, v129, v17
	scratch_load_b32 v17, off, off offset:476 th:TH_LOAD_LU ; 4-byte Folded Reload
	v_mov_b32_e32 v240, v74
	v_add3_u32 v28, v11, v10, v4
	v_and_b32_e32 v4, 15, v5
	v_mul_i32_i24_e32 v10, v30, v177
	v_mul_i32_i24_e32 v11, v29, v117
	;; [unrolled: 1-line block ×3, first 2 shown]
	v_mov_b32_e32 v74, v122
	v_and_b32_e32 v52, 0xffff, v4
	v_lshrrev_b32_e32 v4, 16, v213
	v_add3_u32 v10, v14, v11, v10
	v_mul_i32_i24_e32 v14, v32, v65
	v_mul_i32_i24_e32 v11, v29, v77
	v_bfe_i32 v29, v92, 0, 8
	v_cvt_f32_f16_e32 v18, v4
	v_and_b32_e32 v0, 15, v0
	v_mul_i32_i24_e32 v4, v53, v208
	v_mad_i32_i24 v14, v31, v15, v14
	v_dual_mov_b32 v31, v85 :: v_dual_mov_b32 v122, v130
	s_delay_alu instid0(VALU_DEP_4)
	v_and_b32_e32 v98, 0xffff, v0
	scratch_load_b32 v0, off, off offset:416 th:TH_LOAD_LU ; 4-byte Folded Reload
	v_add3_u32 v4, v10, v4, v5
	v_mul_i32_i24_e32 v10, v30, v73
	v_mul_lo_u32 v5, v2, v47
	v_mul_lo_u32 v129, v1, v98
	v_mul_i32_i24_e32 v1, v42, v107
	s_delay_alu instid0(VALU_DEP_4) | instskip(SKIP_3) | instid1(VALU_DEP_3)
	v_add3_u32 v10, v14, v11, v10
	v_mul_i32_i24_e32 v14, v249, v87
	v_mul_i32_i24_e32 v11, v35, v117
	v_mad_co_u64_u32 v[234:235], null, v71, v163, v[129:130]
	v_mad_i32_i24 v14, v34, v88, v14
	scratch_load_b32 v129, off, off offset:76 ; 4-byte Folded Reload
	s_wait_loadcnt 0x2
	v_lshrrev_b32_e32 v3, 16, v17
	v_mov_b32_e32 v235, v17
	v_mov_b32_e32 v17, v15
	s_delay_alu instid0(VALU_DEP_3) | instskip(SKIP_1) | instid1(VALU_DEP_1)
	v_cvt_f32_f16_e32 v46, v3
	v_mul_i32_i24_e32 v3, v54, v22
	v_add3_u32 v1, v4, v3, v1
	v_cvt_f32_i32_e32 v3, v234
	v_mov_b32_e32 v234, v86
	v_mul_i32_i24_e32 v4, v50, v16
	s_delay_alu instid0(VALU_DEP_4) | instskip(NEXT) | instid1(VALU_DEP_3)
	v_cvt_f32_i32_e32 v1, v1
	v_mul_i32_i24_e32 v2, v54, v234
	v_mov_b32_e32 v54, v118
	s_delay_alu instid0(VALU_DEP_3) | instskip(NEXT) | instid1(VALU_DEP_1)
	v_dual_mov_b32 v118, v120 :: v_dual_mul_f32 v1, v18, v1
	v_fma_mix_f32 v1, v213, v3, -v1 op_sel_hi:[1,0,0]
	scratch_load_b32 v3, off, off offset:16 ; 4-byte Folded Reload
	s_wait_loadcnt 0x0
	v_fmac_f32_e32 v3, v21, v1
	scratch_store_b32 off, v25, off offset:352 ; 4-byte Folded Spill
	v_mul_i32_i24_e32 v1, v42, v85
	v_mov_b32_e32 v42, v29
	scratch_store_b32 off, v3, off offset:16 ; 4-byte Folded Spill
	v_mul_i32_i24_e32 v3, v53, v240
	v_mov_b32_e32 v53, v116
	s_delay_alu instid0(VALU_DEP_2) | instskip(SKIP_2) | instid1(VALU_DEP_3)
	v_add3_u32 v3, v10, v3, v4
	v_mul_i32_i24_e32 v10, v33, v177
	v_mul_i32_i24_e32 v4, v20, v208
	v_add3_u32 v3, v3, v2, v1
	s_delay_alu instid0(VALU_DEP_3) | instskip(SKIP_4) | instid1(VALU_DEP_4)
	v_add3_u32 v10, v14, v11, v10
	v_mul_i32_i24_e32 v14, v249, v65
	v_mov_b32_e32 v249, v177
	v_mad_co_u64_u32 v[1:2], null, v55, v52, v[5:6]
	v_cvt_f32_i32_e32 v2, v3
	v_mad_i32_i24 v14, v34, v15, v14
	v_mov_b32_e32 v15, v73
	v_mul_i32_i24_e32 v5, v23, v179
	v_mul_i32_i24_e32 v3, v255, v22
	v_mul_f32_e32 v2, v46, v2
	v_cvt_f32_i32_e32 v1, v1
	v_mul_i32_i24_e32 v11, v35, v77
	v_add3_u32 v4, v10, v4, v5
	v_mul_i32_i24_e32 v10, v33, v73
	v_mul_i32_i24_e32 v5, v23, v16
	v_fma_mix_f32 v1, v235, v1, -v2 op_sel_hi:[1,0,0]
	scratch_load_b32 v2, off, off offset:12 ; 4-byte Folded Reload
	v_ashrrev_i32_e32 v35, 24, v40
	v_add3_u32 v10, v14, v11, v10
	v_mul_i32_i24_e32 v14, v97, v87
	v_mul_i32_i24_e32 v11, v108, v117
	v_bfe_i32 v34, v40, 16, 8
	v_mov_b32_e32 v116, v78
	v_mul_lo_u32 v0, v0, v98
	v_mad_i32_i24 v14, v151, v88, v14
	s_wait_loadcnt 0x0
	v_fmac_f32_e32 v2, v21, v1
	scratch_load_b32 v1, off, off offset:400 th:TH_LOAD_LU ; 4-byte Folded Reload
	scratch_store_b32 off, v43, off offset:292 ; 4-byte Folded Spill
	v_ashrrev_i32_e32 v21, 24, v39
	scratch_store_b32 off, v2, off offset:12 ; 4-byte Folded Spill
	v_mul_i32_i24_e32 v2, v245, v107
	v_mov_b32_e32 v55, v21
	s_delay_alu instid0(VALU_DEP_2) | instskip(SKIP_4) | instid1(VALU_DEP_1)
	v_add3_u32 v3, v4, v3, v2
	scratch_load_b32 v2, off, off offset:404 th:TH_LOAD_LU ; 4-byte Folded Reload
	s_wait_loadcnt 0x1
	v_mul_lo_u32 v1, v1, v98
	s_wait_loadcnt 0x0
	v_mad_co_u64_u32 v[1:2], null, v2, v163, v[1:2]
	v_cvt_f32_i32_e32 v2, v3
	s_delay_alu instid0(VALU_DEP_1) | instskip(NEXT) | instid1(VALU_DEP_3)
	v_mul_f32_e32 v2, v18, v2
	v_cvt_f32_i32_e32 v1, v1
	s_delay_alu instid0(VALU_DEP_1)
	v_fma_mix_f32 v1, v213, v1, -v2 op_sel_hi:[1,0,0]
	scratch_load_b32 v2, off, off offset:24 ; 4-byte Folded Reload
	s_wait_loadcnt 0x0
	v_fmac_f32_e32 v2, v238, v1
	scratch_store_b32 off, v49, off offset:356 ; 4-byte Folded Spill
	scratch_load_b32 v1, off, off offset:408 th:TH_LOAD_LU ; 4-byte Folded Reload
	scratch_store_b32 off, v2, off offset:24 ; 4-byte Folded Spill
	v_mul_i32_i24_e32 v2, v245, v85
	v_mov_b32_e32 v245, v87
	v_mul_i32_i24_e32 v3, v255, v234
	v_mov_b32_e32 v255, v88
	v_mul_i32_i24_e32 v4, v20, v240
	v_dual_mov_b32 v88, v178 :: v_dual_mov_b32 v85, v217
	v_mov_b32_e32 v87, v45
	v_mov_b32_e32 v217, v202
	s_delay_alu instid0(VALU_DEP_4) | instskip(SKIP_2) | instid1(VALU_DEP_3)
	v_add3_u32 v4, v10, v4, v5
	v_mul_i32_i24_e32 v10, v251, v177
	v_mul_i32_i24_e32 v5, v252, v179
	v_add3_u32 v3, v4, v3, v2
	scratch_load_b32 v2, off, off offset:412 th:TH_LOAD_LU ; 4-byte Folded Reload
	v_mul_i32_i24_e32 v4, v127, v208
	v_add3_u32 v10, v14, v11, v10
	v_mul_i32_i24_e32 v14, v97, v65
	v_mul_i32_i24_e32 v11, v108, v77
	v_bfe_i32 v97, v93, 8, 8
	v_dual_mov_b32 v108, v65 :: v_dual_mov_b32 v65, v42
	v_add3_u32 v4, v10, v4, v5
	v_mul_i32_i24_e32 v10, v251, v73
	v_mad_i32_i24 v14, v151, v17, v14
	v_mul_i32_i24_e32 v5, v252, v16
	v_mov_b32_e32 v151, v113
	v_mov_b32_e32 v113, v119
	v_mov_b32_e32 v119, v52
	v_add3_u32 v10, v14, v11, v10
	v_bfe_i32 v11, v92, 8, 8
	v_bfe_i32 v14, v40, 0, 8
	v_dual_mov_b32 v252, v143 :: v_dual_mov_b32 v251, v141
	v_mov_b32_e32 v143, v173
	v_mov_b32_e32 v141, v85
	s_wait_loadcnt 0x1
	v_mul_lo_u32 v1, v1, v47
	s_wait_loadcnt 0x0
	s_delay_alu instid0(VALU_DEP_1) | instskip(SKIP_2) | instid1(VALU_DEP_2)
	v_mad_co_u64_u32 v[1:2], null, v2, v52, v[1:2]
	v_cvt_f32_i32_e32 v2, v3
	v_mul_i32_i24_e32 v3, v150, v22
	v_mul_f32_e32 v2, v46, v2
	s_delay_alu instid0(VALU_DEP_4) | instskip(NEXT) | instid1(VALU_DEP_1)
	v_cvt_f32_i32_e32 v1, v1
	v_fma_mix_f32 v1, v235, v1, -v2 op_sel_hi:[1,0,0]
	scratch_load_b32 v2, off, off offset:8  ; 4-byte Folded Reload
	s_wait_loadcnt 0x0
	v_fmac_f32_e32 v2, v238, v1
	scratch_load_b32 v1, off, off offset:448 th:TH_LOAD_LU ; 4-byte Folded Reload
	s_clause 0x1
	scratch_store_b32 off, v51, off offset:364
	scratch_store_b32 off, v57, off offset:288
	v_mov_b32_e32 v238, v117
	scratch_store_b32 off, v2, off offset:8 ; 4-byte Folded Spill
	v_mul_i32_i24_e32 v2, v145, v107
	v_mov_b32_e32 v117, v105
	v_mov_b32_e32 v105, v135
	;; [unrolled: 1-line block ×4, first 2 shown]
	v_add3_u32 v3, v4, v3, v2
	scratch_load_b32 v2, off, off offset:452 th:TH_LOAD_LU ; 4-byte Folded Reload
	v_mul_i32_i24_e32 v4, v127, v240
	s_delay_alu instid0(VALU_DEP_1)
	v_add3_u32 v4, v10, v4, v5
	v_bfe_i32 v10, v93, 0, 8
	v_mov_b32_e32 v30, v47
	v_bfe_i32 v5, v94, 0, 8
	v_bfe_i32 v47, v40, 8, 8
	s_wait_loadcnt 0x1
	v_mul_lo_u32 v1, v1, v98
	s_wait_loadcnt 0x0
	s_delay_alu instid0(VALU_DEP_1) | instskip(SKIP_2) | instid1(VALU_DEP_2)
	v_mad_co_u64_u32 v[1:2], null, v2, v163, v[1:2]
	v_cvt_f32_i32_e32 v2, v3
	v_mul_i32_i24_e32 v3, v150, v234
	v_mul_f32_e32 v2, v18, v2
	s_delay_alu instid0(VALU_DEP_4) | instskip(NEXT) | instid1(VALU_DEP_1)
	v_cvt_f32_i32_e32 v1, v1
	v_fma_mix_f32 v1, v213, v1, -v2 op_sel_hi:[1,0,0]
	scratch_load_b32 v2, off, off offset:36 ; 4-byte Folded Reload
	s_wait_loadcnt 0x0
	v_fmac_f32_e32 v2, v36, v1
	scratch_load_b32 v1, off, off offset:456 th:TH_LOAD_LU ; 4-byte Folded Reload
	s_clause 0x1
	scratch_store_b32 off, v48, off offset:360
	scratch_store_b32 off, v2, off offset:36
	v_mul_i32_i24_e32 v2, v145, v31
	s_clause 0x5
	scratch_load_b32 v127, off, off offset:80
	scratch_load_b32 v145, off, off offset:84
	;; [unrolled: 1-line block ×6, first 2 shown]
	v_add3_u32 v3, v4, v3, v2
                                        ; kill: def $vgpr2 killed $sgpr0 killed $exec
	v_bfe_i32 v4, v94, 8, 8
	v_dual_mov_b32 v94, v249 :: v_dual_mov_b32 v249, v140
	v_mov_b32_e32 v140, v144
	s_wait_loadcnt 0x6
	v_mul_lo_u32 v1, v1, v30
	s_delay_alu instid0(VALU_DEP_1) | instskip(SKIP_3) | instid1(VALU_DEP_3)
	v_mad_co_u64_u32 v[1:2], null, v41, v52, v[1:2]
	v_cvt_f32_i32_e32 v2, v3
	v_bfe_i32 v3, v95, 0, 8
	v_mov_b32_e32 v41, v10
	v_mul_f32_e32 v2, v46, v2
	v_cvt_f32_i32_e32 v1, v1
	s_delay_alu instid0(VALU_DEP_4) | instskip(SKIP_2) | instid1(VALU_DEP_4)
	v_mov_b32_e32 v32, v3
	v_mov_b32_e32 v40, v5
	;; [unrolled: 1-line block ×3, first 2 shown]
	v_fma_mix_f32 v1, v235, v1, -v2 op_sel_hi:[1,0,0]
	scratch_load_b32 v2, off, off offset:28 ; 4-byte Folded Reload
	s_wait_loadcnt 0x0
	v_fmac_f32_e32 v2, v36, v1
	v_dual_mov_b32 v10, v35 :: v_dual_add_nc_u32 v1, v10, v29
	v_dual_mov_b32 v20, v16 :: v_dual_mov_b32 v29, v4
	scratch_store_b32 off, v2, off offset:28 ; 4-byte Folded Spill
	v_bfe_i32 v2, v95, 8, 8
	v_add3_u32 v33, v1, v5, v3
	v_add_nc_u32_e32 v1, v97, v11
	v_mov_b32_e32 v5, v34
	s_delay_alu instid0(VALU_DEP_4) | instskip(SKIP_1) | instid1(VALU_DEP_4)
	v_dual_mov_b32 v73, v10 :: v_dual_mov_b32 v38, v2
	v_mul_i32_i24_e32 v3, v139, v47
	v_add3_u32 v39, v1, v4, v2
	scratch_load_b32 v1, off, off offset:608 th:TH_LOAD_LU ; 4-byte Folded Reload
	v_mov_b32_e32 v71, v5
	s_clause 0x1
	scratch_store_b32 off, v14, off offset:452
	scratch_store_b32 off, v73, off offset:468
	v_mul_i32_i24_e32 v2, v130, v14
	v_mov_b32_e32 v16, v77
	scratch_store_b32 off, v71, off offset:456 ; 4-byte Folded Spill
	v_dual_mov_b32 v95, v58 :: v_dual_mov_b32 v92, v20
	v_mov_b32_e32 v77, v207
	v_dual_mov_b32 v207, v54 :: v_dual_mov_b32 v58, v239
	v_mov_b32_e32 v239, v224
	s_wait_loadcnt 0x0
	v_add3_u32 v36, v1, v21, v10
	scratch_load_b32 v1, off, off offset:612 th:TH_LOAD_LU ; 4-byte Folded Reload
	s_wait_loadcnt 0x0
	v_add3_u32 v37, v1, v25, v5
	scratch_load_b32 v1, off, off offset:616 th:TH_LOAD_LU ; 4-byte Folded Reload
	;; [unrolled: 3-line block ×3, first 2 shown]
	v_mov_b32_e32 v49, v11
	s_wait_loadcnt 0x0
	v_add3_u32 v34, v1, v48, v14
	v_mul_i32_i24_e32 v1, v134, v21
	v_mov_b32_e32 v21, v47
	scratch_store_b32 off, v55, off offset:536 ; 4-byte Folded Spill
	v_dual_mov_b32 v47, v44 :: v_dual_mov_b32 v48, v114
	scratch_store_b32 off, v21, off offset:480 ; 4-byte Folded Spill
	s_clause 0x1
	scratch_load_b32 v23, off, off offset:632 th:TH_LOAD_LU
	scratch_load_b32 v25, off, off offset:636 th:TH_LOAD_LU
	v_mul_i32_i24_e32 v4, v47, v5
	v_mul_i32_i24_e32 v5, v48, v10
	;; [unrolled: 1-line block ×3, first 2 shown]
	s_wait_loadcnt 0x0
	v_add3_u32 v1, v25, v23, v1
	v_mul_i32_i24_e32 v25, v247, v29
	s_delay_alu instid0(VALU_DEP_2)
	v_add3_u32 v1, v1, v2, v3
	s_clause 0x1
	scratch_load_b32 v2, off, off offset:500 th:TH_LOAD_LU
	scratch_load_b32 v3, off, off offset:504 th:TH_LOAD_LU
	s_clause 0x1
	scratch_store_b32 off, v65, off offset:448
	scratch_store_b32 off, v49, off offset:436
	v_add3_u32 v1, v1, v4, v5
	s_clause 0x1
	scratch_load_b32 v4, off, off offset:624 th:TH_LOAD_LU
	scratch_load_b32 v5, off, off offset:628 th:TH_LOAD_LU
	scratch_store_b32 off, v97, off offset:444 ; 4-byte Folded Spill
	v_mul_lo_u32 v1, v1, v228
	s_wait_loadcnt 0x2
	v_add3_u32 v2, v3, v2, v10
	v_mul_i32_i24_e32 v3, v188, v42
	s_delay_alu instid0(VALU_DEP_2) | instskip(NEXT) | instid1(VALU_DEP_2)
	v_mul_lo_u32 v2, v2, v214
	v_mad_i32_i24 v3, v185, v11, v3
	v_mov_b32_e32 v11, v38
	s_wait_loadcnt 0x0
	s_delay_alu instid0(VALU_DEP_2)
	v_add3_u32 v3, v3, v4, v5
	v_mul_i32_i24_e32 v4, v190, v41
	v_mov_b32_e32 v41, v32
	v_mul_i32_i24_e32 v10, v210, v40
	v_mov_b32_e32 v42, v40
	v_mov_b32_e32 v40, v29
	v_mul_i32_i24_e32 v5, v191, v97
	s_clause 0x4
	scratch_store_b32 off, v41, off offset:420
	scratch_store_b32 off, v11, off offset:432
	;; [unrolled: 1-line block ×5, first 2 shown]
	v_add3_u32 v3, v3, v4, v5
	s_clause 0x1
	scratch_load_b32 v4, off, off offset:580 th:TH_LOAD_LU
	scratch_load_b32 v5, off, off offset:596 th:TH_LOAD_LU
	v_mul_i32_i24_e32 v29, v53, v32
	v_mul_i32_i24_e32 v32, v54, v38
	v_mov_b32_e32 v38, v33
	s_wait_loadcnt 0x0
	v_add3_u32 v3, v3, v4, v5
	s_clause 0x1
	scratch_load_b32 v4, off, off offset:584 th:TH_LOAD_LU
	scratch_load_b32 v5, off, off offset:600 th:TH_LOAD_LU
	v_add3_u32 v3, v3, v10, v25
	v_mul_i32_i24_e32 v25, v61, v173
	s_wait_loadcnt 0x0
	s_delay_alu instid0(VALU_DEP_2)
	v_add3_u32 v3, v3, v4, v5
	s_clause 0x1
	scratch_load_b32 v4, off, off offset:588 th:TH_LOAD_LU
	scratch_load_b32 v5, off, off offset:604 th:TH_LOAD_LU
	v_add3_u32 v3, v3, v29, v32
	v_mul_i32_i24_e32 v29, v36, v198
	v_mul_i32_i24_e32 v32, v37, v202
	s_wait_loadcnt 0x0
	s_delay_alu instid0(VALU_DEP_3)
	v_add3_u32 v4, v3, v4, v5
	s_clause 0x2
	scratch_load_b32 v3, off, off offset:384 th:TH_LOAD_LU
	scratch_load_b32 v5, off, off offset:388 th:TH_LOAD_LU
	;; [unrolled: 1-line block ×3, first 2 shown]
	s_clause 0x5
	scratch_store_b32 off, v36, off offset:408
	scratch_store_b32 off, v37, off offset:416
	;; [unrolled: 1-line block ×6, first 2 shown]
	s_wait_loadcnt 0x0
	v_add3_u32 v3, v5, v3, v10
	v_mul_i32_i24_e32 v5, v33, v211
	v_mul_i32_i24_e32 v33, v34, v200
	;; [unrolled: 1-line block ×3, first 2 shown]
	s_delay_alu instid0(VALU_DEP_4) | instskip(NEXT) | instid1(VALU_DEP_3)
	v_mad_co_u64_u32 v[2:3], null, v3, v151, v[2:3]
	v_mad_i32_i24 v33, v35, v192, v33
	s_delay_alu instid0(VALU_DEP_1)
	v_add3_u32 v29, v33, v32, v29
	s_clause 0x1
	scratch_load_b32 v23, off, off offset:552 th:TH_LOAD_LU
	scratch_load_b32 v32, off, off offset:556 th:TH_LOAD_LU
	v_mad_co_u64_u32 v[3:4], null, v4, v243, v[1:2]
	v_cvt_f32_i32_e32 v2, v2
	v_add3_u32 v5, v29, v5, v10
	v_ashrrev_i32_e32 v29, 24, v158
	v_bfe_i32 v33, v159, 8, 8
	v_cvt_f32_i32_e32 v1, v3
	s_wait_loadcnt 0x0
	v_add3_u32 v25, v32, v23, v25
	s_clause 0x1
	scratch_load_b32 v10, off, off offset:568 th:TH_LOAD_LU
	scratch_load_b32 v23, off, off offset:576 th:TH_LOAD_LU
	v_bfe_i32 v32, v159, 0, 8
	s_wait_loadcnt 0x0
	v_add3_u32 v5, v5, v23, v10
	s_clause 0x1
	scratch_load_b32 v10, off, off offset:564 th:TH_LOAD_LU
	scratch_load_b32 v23, off, off offset:572 th:TH_LOAD_LU
	v_cvt_f32_i32_e32 v4, v5
	v_mul_i32_i24_e32 v5, v112, v250
	v_mov_b32_e32 v250, v117
	s_delay_alu instid0(VALU_DEP_3) | instskip(NEXT) | instid1(VALU_DEP_1)
	v_mul_f32_e32 v4, v244, v4
	v_fma_mix_f32 v1, v165, v1, -v4 op_sel_hi:[1,0,0]
	v_mul_i32_i24_e32 v4, v126, v73
	v_dual_mov_b32 v73, v206 :: v_dual_mov_b32 v206, v53
	scratch_store_b32 off, v1, off offset:400 ; 4-byte Folded Spill
	v_mul_i32_i24_e32 v1, v209, v107
	s_wait_loadcnt 0x0
	v_add3_u32 v10, v25, v23, v10
	v_mov_b32_e32 v23, v126
	s_delay_alu instid0(VALU_DEP_2) | instskip(NEXT) | instid1(VALU_DEP_1)
	v_cvt_f32_i32_e32 v3, v10
	v_mul_f32_e32 v3, v104, v3
	s_delay_alu instid0(VALU_DEP_1) | instskip(SKIP_4) | instid1(VALU_DEP_1)
	v_fma_mix_f32 v2, v116, v2, -v3 op_sel_hi:[1,0,0]
	v_mul_i32_i24_e32 v3, v225, v71
	v_mov_b32_e32 v71, v46
	scratch_store_b32 off, v2, off offset:396 ; 4-byte Folded Spill
	v_mul_i32_i24_e32 v2, v204, v22
	v_add3_u32 v2, v26, v2, v1
	scratch_load_b32 v1, off, off offset:560 th:TH_LOAD_LU ; 4-byte Folded Reload
	v_bfe_i32 v26, v158, 0, 8
	s_wait_loadcnt 0x0
	v_mad_co_u64_u32 v[0:1], null, v1, v163, v[0:1]
	v_cvt_f32_i32_e32 v1, v2
	s_delay_alu instid0(VALU_DEP_1) | instskip(NEXT) | instid1(VALU_DEP_3)
	v_mul_f32_e32 v1, v18, v1
	v_cvt_f32_i32_e32 v0, v0
	s_delay_alu instid0(VALU_DEP_1)
	v_fma_mix_f32 v0, v213, v0, -v1 op_sel_hi:[1,0,0]
	s_clause 0x1
	scratch_load_b32 v1, off, off offset:20
	scratch_load_b32 v2, off, off offset:156
	s_wait_loadcnt 0x0
	v_fmac_f32_e32 v1, v2, v0
	v_mul_i32_i24_e32 v0, v85, v55
	v_mul_i32_i24_e32 v2, v87, v21
	v_bfe_i32 v21, v157, 16, 8
	scratch_store_b32 off, v1, off offset:20 ; 4-byte Folded Spill
	v_mul_i32_i24_e32 v1, v95, v14
	v_add3_u32 v0, v6, v9, v0
	v_mul_i32_i24_e32 v6, v133, v40
	s_delay_alu instid0(VALU_DEP_2)
	v_add3_u32 v0, v0, v1, v2
	s_clause 0x2
	scratch_load_b32 v1, off, off offset:492 th:TH_LOAD_LU
	scratch_load_b32 v2, off, off offset:496 th:TH_LOAD_LU
	;; [unrolled: 1-line block ×3, first 2 shown]
	v_add3_u32 v0, v0, v3, v4
	v_mul_i32_i24_e32 v3, v118, v50
	v_mul_i32_i24_e32 v4, v148, v97
	v_mov_b32_e32 v97, v47
	s_delay_alu instid0(VALU_DEP_4)
	v_mul_lo_u32 v0, v0, v98
	s_wait_loadcnt 0x1
	v_add3_u32 v1, v2, v1, v5
	v_mul_i32_i24_e32 v2, v144, v65
	v_mul_i32_i24_e32 v5, v132, v42
	v_mov_b32_e32 v65, v60
	v_mul_i32_i24_e32 v25, v74, v43
	s_wait_loadcnt 0x0
	v_mul_i32_i24_e32 v9, v160, v9
	v_mad_i32_i24 v2, v105, v49, v2
	v_mul_lo_u32 v1, v1, v30
	v_dual_mov_b32 v60, v75 :: v_dual_mov_b32 v75, v87
	s_delay_alu instid0(VALU_DEP_3) | instskip(SKIP_3) | instid1(VALU_DEP_4)
	v_add3_u32 v2, v2, v7, v8
	v_mul_i32_i24_e32 v7, v113, v41
	v_mul_i32_i24_e32 v8, v121, v11
	v_mov_b32_e32 v11, v139
	v_add3_u32 v2, v2, v3, v4
	s_delay_alu instid0(VALU_DEP_2) | instskip(NEXT) | instid1(VALU_DEP_2)
	v_mov_b32_e32 v181, v11
	v_add3_u32 v2, v2, v80, v13
	v_mul_i32_i24_e32 v13, v36, v94
	s_delay_alu instid0(VALU_DEP_2)
	v_add3_u32 v2, v2, v5, v6
	v_mul_i32_i24_e32 v5, v51, v107
	v_mul_i32_i24_e32 v6, v204, v234
	;; [unrolled: 1-line block ×3, first 2 shown]
	v_mov_b32_e32 v204, v114
	v_add3_u32 v2, v2, v19, v12
	v_mul_i32_i24_e32 v12, v61, v20
	v_mul_i32_i24_e32 v20, v34, v245
	;; [unrolled: 1-line block ×3, first 2 shown]
	v_bfe_i32 v34, v159, 16, 8
	v_add3_u32 v2, v2, v7, v8
	v_mul_i32_i24_e32 v8, v38, v208
	v_mad_i32_i24 v20, v35, v255, v20
	v_mul_i32_i24_e32 v7, v57, v22
	v_add3_u32 v12, v28, v27, v12
	v_add3_u32 v3, v2, v91, v25
	s_clause 0x1
	scratch_load_b32 v2, off, off offset:460 th:TH_LOAD_LU
	scratch_load_b32 v4, off, off offset:464 th:TH_LOAD_LU
	v_add3_u32 v13, v20, v19, v13
	v_ashrrev_i32_e32 v25, 24, v157
	v_ashrrev_i32_e32 v35, 24, v159
	v_bfe_i32 v19, v157, 0, 8
	v_bfe_i32 v28, v158, 16, 8
	;; [unrolled: 1-line block ×4, first 2 shown]
	s_clause 0x3
	scratch_load_b32 v10, off, off offset:544 th:TH_LOAD_LU
	scratch_load_b32 v158, off, off offset:688 th:TH_LOAD_LU
	scratch_load_b32 v78, off, off offset:72
	scratch_load_b32 v14, off, off offset:540 th:TH_LOAD_LU
	v_mul_i32_i24_e32 v49, v247, v27
	v_mul_i32_i24_e32 v50, v182, v28
	v_mov_b32_e32 v91, v64
	v_dual_mov_b32 v61, v56 :: v_dual_mov_b32 v64, v148
	v_mov_b32_e32 v157, v167
	v_dual_mov_b32 v159, v161 :: v_dual_mov_b32 v114, v115
	v_mov_b32_e32 v167, v220
	v_mov_b32_e32 v57, v142
	s_wait_loadcnt 0x4
	v_add3_u32 v2, v4, v2, v9
	v_mul_i32_i24_e32 v9, v39, v179
	v_mul_i32_i24_e32 v4, v209, v31
	v_mov_b32_e32 v209, v134
	s_delay_alu instid0(VALU_DEP_4) | instskip(NEXT) | instid1(VALU_DEP_4)
	v_mad_co_u64_u32 v[1:2], null, v2, v52, v[1:2]
	v_add3_u32 v8, v13, v8, v9
	s_delay_alu instid0(VALU_DEP_4)
	v_add3_u32 v4, v12, v6, v4
	v_ashrrev_i32_e32 v13, 24, v156
	v_bfe_i32 v12, v156, 16, 8
	v_bfe_i32 v9, v156, 8, 8
	v_add3_u32 v5, v8, v7, v5
	v_mad_co_u64_u32 v[2:3], null, v3, v163, v[0:1]
	v_cvt_f32_i32_e32 v1, v1
	v_bfe_i32 v8, v156, 0, 8
	s_delay_alu instid0(VALU_DEP_4)
	v_cvt_f32_i32_e32 v3, v5
	v_ashrrev_i32_e32 v7, 24, v125
	v_bfe_i32 v6, v125, 16, 8
	v_bfe_i32 v5, v125, 8, 8
	v_cvt_f32_i32_e32 v0, v2
	v_cvt_f32_i32_e32 v2, v4
	v_mul_f32_e32 v3, v18, v3
	v_bfe_i32 v4, v125, 0, 8
	v_mul_i32_i24_e32 v45, v139, v5
	v_mul_i32_i24_e32 v52, v53, v32
	v_mul_f32_e32 v2, v46, v2
	v_fma_mix_f32 v0, v213, v0, -v3 op_sel_hi:[1,0,0]
	v_ashrrev_i32_e32 v3, 24, v124
	v_mul_i32_i24_e32 v44, v130, v4
	v_mul_i32_i24_e32 v46, v47, v6
	v_fma_mix_f32 v1, v235, v1, -v2 op_sel_hi:[1,0,0]
	scratch_store_b32 off, v0, off offset:388 ; 4-byte Folded Spill
	v_add_nc_u32_e32 v0, v25, v13
	v_bfe_i32 v2, v124, 16, 8
	v_mul_i32_i24_e32 v47, v48, v7
	scratch_store_b32 off, v1, off offset:384 ; 4-byte Folded Spill
	v_mul_i32_i24_e32 v1, v134, v3
	v_add3_u32 v36, v0, v29, v35
	v_add_nc_u32_e32 v0, v21, v12
	v_mul_i32_i24_e32 v48, v210, v26
	v_mul_i32_i24_e32 v53, v54, v33
	v_mul_i32_i24_e32 v54, v189, v34
	v_mov_b32_e32 v134, v155
	v_add3_u32 v37, v0, v28, v34
	v_dual_mov_b32 v139, v72 :: v_dual_add_nc_u32 v0, v19, v8
	s_clause 0x1
	scratch_load_b32 v125, off, off offset:684 th:TH_LOAD_LU
	scratch_load_b32 v124, off, off offset:680 th:TH_LOAD_LU
	v_mov_b32_e32 v155, v212
	v_add3_u32 v38, v0, v26, v32
	v_add_nc_u32_e32 v0, v20, v9
	v_mov_b32_e32 v156, v232
	v_mov_b32_e32 v212, v16
	;; [unrolled: 1-line block ×4, first 2 shown]
	v_add3_u32 v39, v0, v27, v33
	scratch_load_b32 v0, off, off offset:520 th:TH_LOAD_LU ; 4-byte Folded Reload
	s_wait_loadcnt 0x0
	v_add3_u32 v40, v0, v3, v7
	scratch_load_b32 v0, off, off offset:524 th:TH_LOAD_LU ; 4-byte Folded Reload
	s_wait_loadcnt 0x0
	;; [unrolled: 3-line block ×3, first 2 shown]
	v_add3_u32 v42, v0, v195, v5
	scratch_load_b32 v0, off, off offset:532 th:TH_LOAD_LU ; 4-byte Folded Reload
	v_mov_b32_e32 v195, v233
	v_mov_b32_e32 v233, v81
	;; [unrolled: 1-line block ×3, first 2 shown]
	s_delay_alu instid0(VALU_DEP_3)
	v_mul_i32_i24_e32 v55, v195, v35
	s_wait_loadcnt 0x0
	v_add3_u32 v43, v0, v123, v4
	v_mul_i32_i24_e32 v0, v65, v2
	v_dual_mov_b32 v123, v248 :: v_dual_mov_b32 v248, v138
	v_mov_b32_e32 v138, v104
	s_delay_alu instid0(VALU_DEP_3)
	v_add3_u32 v0, v10, v0, v1
	scratch_load_b32 v10, off, off offset:516 th:TH_LOAD_LU ; 4-byte Folded Reload
	v_mul_i32_i24_e32 v1, v188, v8
	v_mov_b32_e32 v56, v14
	v_mov_b32_e32 v232, v71
	v_add3_u32 v0, v0, v44, v45
	v_mul_i32_i24_e32 v44, v58, v12
	v_mul_i32_i24_e32 v45, v73, v13
	v_mad_i32_i24 v1, v185, v9, v1
	v_mov_b32_e32 v16, v17
	v_add3_u32 v0, v0, v46, v47
	v_mul_i32_i24_e32 v46, v123, v21
	v_mul_i32_i24_e32 v47, v197, v25
	v_add3_u32 v1, v1, v44, v45
	v_mul_i32_i24_e32 v44, v190, v19
	v_mul_i32_i24_e32 v45, v191, v20
	v_mul_lo_u32 v0, v0, v228
	s_delay_alu instid0(VALU_DEP_2) | instskip(SKIP_2) | instid1(VALU_DEP_3)
	v_add3_u32 v1, v1, v44, v45
	v_mul_i32_i24_e32 v44, v36, v223
	v_mul_i32_i24_e32 v45, v37, v239
	v_add3_u32 v1, v1, v46, v47
	v_mul_i32_i24_e32 v46, v38, v211
	v_mul_i32_i24_e32 v47, v39, v221
	s_delay_alu instid0(VALU_DEP_3) | instskip(SKIP_3) | instid1(VALU_DEP_4)
	v_add3_u32 v1, v1, v48, v49
	v_mul_i32_i24_e32 v48, v40, v198
	v_mul_i32_i24_e32 v49, v41, v202
	v_mov_b32_e32 v202, v165
	v_add3_u32 v1, v1, v50, v51
	v_mul_i32_i24_e32 v50, v43, v200
	v_mul_i32_i24_e32 v51, v219, v29
	s_delay_alu instid0(VALU_DEP_3) | instskip(NEXT) | instid1(VALU_DEP_3)
	v_add3_u32 v1, v1, v52, v53
	v_mad_i32_i24 v50, v42, v192, v50
	v_mul_i32_i24_e32 v52, v175, v32
	v_mul_i32_i24_e32 v53, v176, v33
	s_delay_alu instid0(VALU_DEP_4) | instskip(NEXT) | instid1(VALU_DEP_4)
	v_add3_u32 v1, v1, v54, v55
	v_add3_u32 v48, v50, v49, v48
	v_mul_i32_i24_e32 v49, v174, v27
	v_mul_i32_i24_e32 v50, v218, v28
	;; [unrolled: 1-line block ×3, first 2 shown]
	v_mad_co_u64_u32 v[0:1], null, v1, v243, v[0:1]
	v_add3_u32 v46, v48, v46, v47
	v_mul_i32_i24_e32 v47, v117, v7
	v_mul_i32_i24_e32 v48, v172, v26
	;; [unrolled: 1-line block ×3, first 2 shown]
	v_mov_b32_e32 v117, v62
	v_add3_u32 v44, v46, v45, v44
	v_cvt_f32_i32_e32 v0, v0
	v_mul_i32_i24_e32 v45, v115, v5
	v_mul_i32_i24_e32 v46, v139, v6
	v_mov_b32_e32 v62, v113
	v_cvt_f32_i32_e32 v1, v44
	v_mov_b32_e32 v224, v211
	v_mul_i32_i24_e32 v44, v67, v4
	v_dual_mov_b32 v211, v198 :: v_dual_mov_b32 v198, v133
	s_delay_alu instid0(VALU_DEP_4) | instskip(NEXT) | instid1(VALU_DEP_1)
	v_mul_f32_e32 v1, v244, v1
	v_fma_mix_f32 v0, v165, v0, -v1 op_sel_hi:[1,0,0]
	v_mul_i32_i24_e32 v1, v91, v3
	s_delay_alu instid0(VALU_DEP_2) | instskip(SKIP_2) | instid1(VALU_DEP_1)
	v_dual_mov_b32 v165, v189 :: v_dual_fmac_f32 v78, v14, v0
	v_mul_i32_i24_e32 v0, v60, v2
	s_wait_loadcnt 0x0
	v_add3_u32 v0, v10, v0, v1
	v_mul_i32_i24_e32 v1, v134, v8
	s_delay_alu instid0(VALU_DEP_2) | instskip(SKIP_2) | instid1(VALU_DEP_4)
	v_add3_u32 v0, v0, v44, v45
	v_mul_i32_i24_e32 v44, v61, v12
	v_mul_i32_i24_e32 v45, v168, v13
	v_mad_i32_i24 v1, v135, v9, v1
	s_delay_alu instid0(VALU_DEP_4) | instskip(SKIP_2) | instid1(VALU_DEP_4)
	v_add3_u32 v0, v0, v46, v47
	v_mul_i32_i24_e32 v46, v76, v21
	v_mul_i32_i24_e32 v47, v199, v25
	v_add3_u32 v1, v1, v44, v45
	v_mul_i32_i24_e32 v44, v169, v19
	v_mul_i32_i24_e32 v45, v170, v20
	v_mul_lo_u32 v0, v0, v214
	s_delay_alu instid0(VALU_DEP_2) | instskip(SKIP_2) | instid1(VALU_DEP_3)
	v_add3_u32 v1, v1, v44, v45
	v_mul_i32_i24_e32 v44, v36, v215
	v_mul_i32_i24_e32 v45, v37, v216
	v_add3_u32 v1, v1, v46, v47
	v_mul_i32_i24_e32 v46, v38, v252
	v_mul_i32_i24_e32 v47, v39, v173
	v_mov_b32_e32 v173, v151
	s_delay_alu instid0(VALU_DEP_4) | instskip(SKIP_2) | instid1(VALU_DEP_3)
	v_add3_u32 v1, v1, v48, v49
	v_mul_i32_i24_e32 v48, v40, v251
	v_mul_i32_i24_e32 v49, v41, v249
	v_add3_u32 v1, v1, v50, v51
	v_mul_i32_i24_e32 v50, v43, v248
	v_mul_i32_i24_e32 v51, v194, v29
	s_delay_alu instid0(VALU_DEP_3) | instskip(NEXT) | instid1(VALU_DEP_3)
	v_add3_u32 v1, v1, v52, v53
	v_mad_i32_i24 v50, v42, v222, v50
	v_mul_i32_i24_e32 v52, v113, v32
	v_mul_i32_i24_e32 v53, v121, v33
	s_delay_alu instid0(VALU_DEP_4) | instskip(NEXT) | instid1(VALU_DEP_4)
	v_add3_u32 v1, v1, v54, v55
	v_add3_u32 v48, v50, v49, v48
	v_mul_i32_i24_e32 v49, v133, v27
	v_mul_i32_i24_e32 v54, v66, v34
	;; [unrolled: 1-line block ×3, first 2 shown]
	v_mad_co_u64_u32 v[0:1], null, v1, v151, v[0:1]
	v_add3_u32 v46, v48, v46, v47
	v_mul_i32_i24_e32 v47, v126, v7
	v_mul_i32_i24_e32 v48, v132, v26
	v_dual_mov_b32 v126, v89 :: v_dual_mov_b32 v151, v180
	s_delay_alu instid0(VALU_DEP_4)
	v_add3_u32 v44, v46, v45, v44
	v_cvt_f32_i32_e32 v0, v0
	v_mul_i32_i24_e32 v45, v87, v5
	v_mul_i32_i24_e32 v46, v225, v6
	v_mov_b32_e32 v89, v65
	v_cvt_f32_i32_e32 v1, v44
	v_mul_i32_i24_e32 v44, v95, v4
	v_mov_b32_e32 v225, v206
	v_dual_mov_b32 v133, v121 :: v_dual_mov_b32 v180, v84
	s_delay_alu instid0(VALU_DEP_4) | instskip(SKIP_1) | instid1(VALU_DEP_2)
	v_mul_f32_e32 v1, v104, v1
	v_mov_b32_e32 v17, v212
	v_fma_mix_f32 v0, v116, v0, -v1 op_sel_hi:[1,0,0]
	v_mov_b32_e32 v104, v116
	v_mul_i32_i24_e32 v1, v85, v3
	v_mov_b32_e32 v116, v242
	s_delay_alu instid0(VALU_DEP_4)
	v_dual_mov_b32 v242, v112 :: v_dual_fmac_f32 v145, v14, v0
	scratch_load_b32 v14, off, off offset:512 th:TH_LOAD_LU ; 4-byte Folded Reload
	v_mul_i32_i24_e32 v0, v233, v2
	s_clause 0x1
	scratch_store_b32 off, v78, off offset:72
	scratch_store_b32 off, v145, off offset:84
	v_mov_b32_e32 v145, v63
	v_dual_mov_b32 v63, v74 :: v_dual_mov_b32 v74, v164
	v_mov_b32_e32 v164, v207
	s_delay_alu instid0(VALU_DEP_3)
	v_mul_i32_i24_e32 v50, v145, v28
	s_wait_loadcnt 0x0
	v_add3_u32 v0, v14, v0, v1
	v_mul_i32_i24_e32 v1, v144, v8
	v_mov_b32_e32 v144, v24
	v_mov_b32_e32 v14, v120
	;; [unrolled: 1-line block ×3, first 2 shown]
	v_add3_u32 v0, v0, v44, v45
	v_mul_i32_i24_e32 v44, v142, v12
	v_mul_i32_i24_e32 v45, v144, v13
	v_mad_i32_i24 v1, v105, v9, v1
	v_mov_b32_e32 v59, v58
	v_add3_u32 v0, v0, v46, v47
	v_mul_i32_i24_e32 v46, v117, v21
	v_mul_i32_i24_e32 v47, v120, v25
	v_add3_u32 v1, v1, v44, v45
	v_mul_i32_i24_e32 v44, v118, v19
	v_mul_i32_i24_e32 v45, v148, v20
	v_mul_lo_u32 v0, v0, v98
	v_mov_b32_e32 v118, v246
	v_mov_b32_e32 v148, v154
	;; [unrolled: 1-line block ×3, first 2 shown]
	v_add3_u32 v1, v1, v44, v45
	v_mul_i32_i24_e32 v44, v36, v107
	v_mul_i32_i24_e32 v45, v37, v22
	v_mov_b32_e32 v24, v105
	v_mov_b32_e32 v246, v90
	v_add3_u32 v1, v1, v46, v47
	v_mul_i32_i24_e32 v46, v38, v208
	v_mul_i32_i24_e32 v47, v39, v179
	v_mov_b32_e32 v201, v60
	s_delay_alu instid0(VALU_DEP_4) | instskip(SKIP_2) | instid1(VALU_DEP_3)
	v_add3_u32 v1, v1, v48, v49
	v_mul_i32_i24_e32 v48, v40, v94
	v_mul_i32_i24_e32 v49, v41, v238
	v_add3_u32 v1, v1, v50, v51
	v_mul_i32_i24_e32 v50, v43, v245
	s_delay_alu instid0(VALU_DEP_2) | instskip(NEXT) | instid1(VALU_DEP_2)
	v_add3_u32 v1, v1, v52, v53
	v_mad_i32_i24 v50, v42, v255, v50
	s_delay_alu instid0(VALU_DEP_2) | instskip(NEXT) | instid1(VALU_DEP_2)
	v_add3_u32 v1, v1, v54, v55
	v_add3_u32 v48, v50, v49, v48
	s_delay_alu instid0(VALU_DEP_2) | instskip(NEXT) | instid1(VALU_DEP_2)
	v_mad_co_u64_u32 v[0:1], null, v1, v163, v[0:1]
	v_add3_u32 v46, v48, v46, v47
	s_delay_alu instid0(VALU_DEP_1) | instskip(NEXT) | instid1(VALU_DEP_3)
	v_add3_u32 v44, v46, v45, v44
	v_cvt_f32_i32_e32 v0, v0
	s_delay_alu instid0(VALU_DEP_2) | instskip(NEXT) | instid1(VALU_DEP_1)
	v_cvt_f32_i32_e32 v1, v44
	v_mul_f32_e32 v1, v18, v1
	s_delay_alu instid0(VALU_DEP_1) | instskip(SKIP_3) | instid1(VALU_DEP_4)
	v_fma_mix_f32 v0, v213, v0, -v1 op_sel_hi:[1,0,0]
	v_mul_i32_i24_e32 v1, v116, v3
	v_mul_i32_i24_e32 v3, v126, v5
	;; [unrolled: 1-line block ×3, first 2 shown]
	v_dual_mov_b32 v112, v253 :: v_dual_fmac_f32 v149, v56, v0
	v_mul_i32_i24_e32 v7, v155, v27
	v_mov_b32_e32 v253, v119
	scratch_store_b32 off, v149, off offset:92 ; 4-byte Folded Spill
	v_mov_b32_e32 v149, v241
	v_mov_b32_e32 v241, v100
	s_delay_alu instid0(VALU_DEP_2)
	v_mul_i32_i24_e32 v0, v149, v2
	v_mul_i32_i24_e32 v2, v118, v4
	;; [unrolled: 1-line block ×3, first 2 shown]
	scratch_load_b32 v6, off, off offset:508 th:TH_LOAD_LU ; 4-byte Folded Reload
	s_wait_loadcnt 0x0
	v_add3_u32 v0, v6, v0, v1
	v_mul_i32_i24_e32 v1, v125, v8
	v_mul_i32_i24_e32 v6, v154, v26
	;; [unrolled: 1-line block ×3, first 2 shown]
	s_delay_alu instid0(VALU_DEP_4)
	v_add3_u32 v0, v0, v2, v3
	v_mul_i32_i24_e32 v2, v148, v12
	v_mul_i32_i24_e32 v3, v151, v13
	v_mad_i32_i24 v1, v112, v9, v1
	v_mul_i32_i24_e32 v9, v157, v29
	v_add3_u32 v0, v0, v4, v5
	v_mul_i32_i24_e32 v4, v124, v21
	v_mul_i32_i24_e32 v5, v153, v25
	v_add3_u32 v1, v1, v2, v3
	v_mul_i32_i24_e32 v2, v74, v19
	v_mul_i32_i24_e32 v3, v88, v20
	;; [unrolled: 1-line block ×6, first 2 shown]
	v_add3_u32 v1, v1, v2, v3
	v_mul_lo_u32 v0, v0, v30
	v_mul_i32_i24_e32 v2, v36, v31
	v_mul_i32_i24_e32 v3, v37, v234
	s_delay_alu instid0(VALU_DEP_4) | instskip(SKIP_2) | instid1(VALU_DEP_3)
	v_add3_u32 v1, v1, v4, v5
	v_mul_i32_i24_e32 v4, v38, v240
	v_mul_i32_i24_e32 v5, v39, v92
	v_add3_u32 v1, v1, v6, v7
	v_mul_i32_i24_e32 v6, v40, v15
	v_mul_i32_i24_e32 v7, v41, v212
	s_delay_alu instid0(VALU_DEP_3) | instskip(SKIP_1) | instid1(VALU_DEP_2)
	v_add3_u32 v1, v1, v8, v9
	v_mul_i32_i24_e32 v8, v43, v108
	v_add3_u32 v1, v1, v12, v13
	s_delay_alu instid0(VALU_DEP_2) | instskip(NEXT) | instid1(VALU_DEP_2)
	v_mad_i32_i24 v8, v42, v16, v8
	v_add3_u32 v1, v1, v19, v20
	s_delay_alu instid0(VALU_DEP_2) | instskip(NEXT) | instid1(VALU_DEP_2)
	v_add3_u32 v6, v8, v7, v6
	v_mad_co_u64_u32 v[0:1], null, v1, v253, v[0:1]
	s_delay_alu instid0(VALU_DEP_2) | instskip(NEXT) | instid1(VALU_DEP_1)
	v_add3_u32 v4, v6, v4, v5
	v_add3_u32 v2, v4, v3, v2
	s_delay_alu instid0(VALU_DEP_3) | instskip(SKIP_2) | instid1(VALU_DEP_1)
	v_cvt_f32_i32_e32 v0, v0
	scratch_load_b32 v4, off, off offset:484 th:TH_LOAD_LU ; 4-byte Folded Reload
	v_cvt_f32_i32_e32 v1, v2
	v_mul_f32_e32 v1, v232, v1
	v_mov_b32_e32 v93, v16
	s_delay_alu instid0(VALU_DEP_2) | instskip(NEXT) | instid1(VALU_DEP_1)
	v_fma_mix_f32 v0, v130, v0, -v1 op_sel_hi:[1,0,0]
	v_fmac_f32_e32 v177, v56, v0
	scratch_load_b32 v0, off, off offset:488 th:TH_LOAD_LU ; 4-byte Folded Reload
	v_mov_b32_e32 v56, v123
	scratch_store_b32 off, v177, off offset:100 ; 4-byte Folded Spill
	s_wait_loadcnt 0x0
	ds_load_b32 v8, v0 offset:30368
	ds_load_b128 v[0:3], v4 offset:16896
	ds_load_b128 v[4:7], v4 offset:16912
	v_mov_b32_e32 v80, v122
	s_wait_dscnt 0x1
	v_bfe_i32 v9, v0, 0, 8
	s_wait_dscnt 0x0
	v_bfe_i32 v35, v4, 0, 8
	v_bfe_i32 v36, v4, 8, 8
	;; [unrolled: 1-line block ×3, first 2 shown]
	v_ashrrev_i32_e32 v4, 24, v4
	v_bfe_i32 v38, v5, 0, 8
	v_bfe_i32 v39, v5, 8, 8
	;; [unrolled: 1-line block ×3, first 2 shown]
	v_ashrrev_i32_e32 v5, 24, v5
	v_bfe_i32 v12, v0, 8, 8
	v_bfe_i32 v13, v0, 16, 8
	v_ashrrev_i32_e32 v19, 24, v0
	v_bfe_i32 v41, v6, 0, 8
	v_bfe_i32 v42, v6, 8, 8
	;; [unrolled: 1-line block ×3, first 2 shown]
	v_ashrrev_i32_e32 v6, 24, v6
	v_bfe_i32 v44, v7, 0, 8
	v_bfe_i32 v45, v7, 8, 8
	;; [unrolled: 1-line block ×3, first 2 shown]
	v_ashrrev_i32_e32 v7, 24, v7
	v_add_nc_u32_e32 v0, v5, v4
	v_bfe_i32 v29, v2, 16, 8
	v_ashrrev_i32_e32 v26, 24, v1
	v_bfe_i32 v25, v1, 16, 8
	v_bfe_i32 v27, v2, 0, 8
	v_add3_u32 v47, v0, v6, v7
	v_add_nc_u32_e32 v0, v40, v37
	v_mul_i32_i24_e32 v87, v65, v29
	v_mov_b32_e32 v65, v73
	v_bfe_i32 v28, v2, 8, 8
	v_ashrrev_i32_e32 v2, 24, v2
	v_add3_u32 v48, v0, v43, v46
	v_add_nc_u32_e32 v0, v38, v35
	v_bfe_i32 v32, v3, 0, 8
	v_bfe_i32 v33, v3, 8, 8
	v_bfe_i32 v34, v3, 16, 8
	v_ashrrev_i32_e32 v3, 24, v3
	v_add3_u32 v49, v0, v41, v44
	v_add_nc_u32_e32 v0, v39, v36
	v_bfe_i32 v21, v1, 8, 8
	v_bfe_i32 v20, v1, 0, 8
	v_mul_i32_i24_e32 v1, v13, v230
	v_mul_i32_i24_e32 v55, v19, v231
	v_add3_u32 v50, v0, v42, v45
	v_add_nc_u32_e32 v0, v26, v19
	v_mul_i32_i24_e32 v71, v96, v25
	v_mul_i32_i24_e32 v78, v227, v26
	;; [unrolled: 1-line block ×4, first 2 shown]
	v_add3_u32 v51, v0, v2, v3
	v_add_nc_u32_e32 v0, v25, v13
	v_mul_i32_i24_e32 v105, v209, v2
	v_mul_i32_i24_e32 v113, v122, v32
	;; [unrolled: 1-line block ×4, first 2 shown]
	v_add3_u32 v52, v0, v29, v34
	v_add_nc_u32_e32 v0, v21, v12
	v_mul_i32_i24_e32 v122, v204, v3
	v_mov_b32_e32 v11, v64
	s_delay_alu instid0(VALU_DEP_3) | instskip(SKIP_1) | instid1(VALU_DEP_1)
	v_add3_u32 v53, v0, v28, v33
	v_add_nc_u32_e32 v0, v20, v9
	v_add3_u32 v54, v0, v27, v32
	v_mul_i32_i24_e32 v0, v9, v229
	s_delay_alu instid0(VALU_DEP_1) | instskip(NEXT) | instid1(VALU_DEP_1)
	v_mad_i32_i24 v0, v12, v84, v0
	v_add3_u32 v0, v0, v1, v55
	v_mul_i32_i24_e32 v1, v128, v20
	v_mul_i32_i24_e32 v55, v99, v21
	s_delay_alu instid0(VALU_DEP_1) | instskip(SKIP_2) | instid1(VALU_DEP_3)
	v_add3_u32 v0, v0, v1, v55
	v_mul_i32_i24_e32 v1, v188, v35
	v_mul_i32_i24_e32 v55, v58, v37
	v_add3_u32 v0, v0, v71, v78
	v_mul_i32_i24_e32 v71, v73, v4
	s_delay_alu instid0(VALU_DEP_4)
	v_mad_i32_i24 v1, v185, v36, v1
	v_mul_i32_i24_e32 v78, v123, v40
	v_mul_i32_i24_e32 v123, v195, v7
	v_add3_u32 v0, v0, v85, v86
	v_mul_i32_i24_e32 v85, v197, v5
	v_add3_u32 v1, v1, v55, v71
	v_mul_i32_i24_e32 v55, v190, v38
	v_mul_i32_i24_e32 v71, v191, v39
	v_add3_u32 v0, v0, v87, v105
	v_mul_i32_i24_e32 v86, v210, v41
	v_mul_i32_i24_e32 v87, v247, v42
	v_mul_i32_i24_e32 v105, v182, v43
	v_add3_u32 v1, v1, v55, v71
	v_add3_u32 v0, v0, v113, v119
	v_mul_i32_i24_e32 v113, v77, v6
	v_mul_i32_i24_e32 v119, v206, v44
	v_mul_i32_i24_e32 v55, v47, v223
	v_add3_u32 v1, v1, v78, v85
	;; [unrolled: 5-line block ×3, first 2 shown]
	v_mul_i32_i24_e32 v86, v51, v211
	v_mul_i32_i24_e32 v87, v52, v217
	;; [unrolled: 1-line block ×3, first 2 shown]
	v_mul_lo_u32 v0, v0, v228
	v_add3_u32 v1, v1, v105, v113
	v_mul_i32_i24_e32 v105, v54, v200
	v_mul_i32_i24_e32 v71, v48, v239
	;; [unrolled: 1-line block ×3, first 2 shown]
	v_mov_b32_e32 v207, v195
	v_add3_u32 v1, v1, v119, v121
	v_mad_i32_i24 v105, v53, v192, v105
	v_mul_i32_i24_e32 v119, v115, v33
	v_mul_i32_i24_e32 v121, v139, v34
	v_mov_b32_e32 v115, v116
	v_add3_u32 v1, v1, v122, v123
	v_add3_u32 v86, v105, v87, v86
	v_mul_i32_i24_e32 v87, v60, v29
	v_mul_i32_i24_e32 v105, v91, v2
	;; [unrolled: 1-line block ×3, first 2 shown]
	v_mad_co_u64_u32 v[0:1], null, v1, v243, v[0:1]
	v_add3_u32 v78, v86, v78, v85
	v_mul_i32_i24_e32 v85, v82, v27
	v_mul_i32_i24_e32 v86, v111, v28
	;; [unrolled: 1-line block ×3, first 2 shown]
	v_mov_b32_e32 v60, v144
	v_add3_u32 v55, v78, v71, v55
	v_cvt_f32_i32_e32 v0, v0
	v_mul_i32_i24_e32 v71, v171, v25
	v_mul_i32_i24_e32 v78, v83, v26
	v_mov_b32_e32 v189, v91
	v_cvt_f32_i32_e32 v1, v55
	v_mul_i32_i24_e32 v55, v19, v100
	v_dual_mov_b32 v100, v183 :: v_dual_mov_b32 v195, v120
	v_mov_b32_e32 v91, v130
	s_delay_alu instid0(VALU_DEP_4) | instskip(SKIP_1) | instid1(VALU_DEP_2)
	v_mul_f32_e32 v1, v244, v1
	v_mov_b32_e32 v73, v61
	v_fma_mix_f32 v0, v202, v0, -v1 op_sel_hi:[1,0,0]
	v_mul_i32_i24_e32 v1, v13, v226
	s_delay_alu instid0(VALU_DEP_2) | instskip(SKIP_1) | instid1(VALU_DEP_1)
	v_fmac_f32_e32 v127, v8, v0
	v_mul_i32_i24_e32 v0, v9, v254
	v_mad_i32_i24 v0, v12, v146, v0
	s_delay_alu instid0(VALU_DEP_1) | instskip(SKIP_2) | instid1(VALU_DEP_1)
	v_add3_u32 v0, v0, v1, v55
	v_mul_i32_i24_e32 v1, v90, v20
	v_mul_i32_i24_e32 v55, v166, v21
	v_add3_u32 v0, v0, v1, v55
	v_mul_i32_i24_e32 v1, v134, v35
	v_mul_i32_i24_e32 v55, v61, v37
	s_delay_alu instid0(VALU_DEP_3) | instskip(SKIP_1) | instid1(VALU_DEP_4)
	v_add3_u32 v0, v0, v71, v78
	v_mul_i32_i24_e32 v71, v168, v4
	v_mad_i32_i24 v1, v135, v36, v1
	v_mul_i32_i24_e32 v78, v76, v40
	s_delay_alu instid0(VALU_DEP_4) | instskip(SKIP_1) | instid1(VALU_DEP_4)
	v_add3_u32 v0, v0, v85, v86
	v_mul_i32_i24_e32 v85, v199, v5
	v_add3_u32 v1, v1, v55, v71
	v_mul_i32_i24_e32 v55, v169, v38
	v_mul_i32_i24_e32 v71, v170, v39
	v_add3_u32 v0, v0, v87, v105
	v_mul_i32_i24_e32 v86, v172, v41
	v_mul_i32_i24_e32 v87, v174, v42
	v_mul_i32_i24_e32 v105, v218, v43
	v_add3_u32 v1, v1, v55, v71
	v_add3_u32 v0, v0, v113, v119
	v_mul_i32_i24_e32 v113, v219, v6
	v_mul_i32_i24_e32 v119, v175, v44
	v_mul_i32_i24_e32 v55, v47, v215
	v_add3_u32 v1, v1, v78, v85
	;; [unrolled: 5-line block ×3, first 2 shown]
	v_mul_i32_i24_e32 v86, v51, v251
	v_mul_i32_i24_e32 v87, v52, v249
	;; [unrolled: 1-line block ×3, first 2 shown]
	v_mul_lo_u32 v0, v0, v214
	v_add3_u32 v1, v1, v105, v113
	v_mul_i32_i24_e32 v105, v54, v248
	v_mul_i32_i24_e32 v71, v48, v216
	;; [unrolled: 1-line block ×3, first 2 shown]
	v_mov_b32_e32 v220, v196
	v_add3_u32 v1, v1, v119, v121
	v_mad_i32_i24 v105, v53, v222, v105
	v_mul_i32_i24_e32 v119, v75, v33
	v_mul_i32_i24_e32 v121, v81, v34
	v_mov_b32_e32 v196, v145
	v_add3_u32 v1, v1, v122, v123
	v_add3_u32 v86, v105, v87, v86
	v_mul_i32_i24_e32 v87, v233, v29
	v_mul_i32_i24_e32 v105, v141, v2
	v_mul_i32_i24_e32 v122, v23, v3
	v_mad_co_u64_u32 v[0:1], null, v1, v173, v[0:1]
	v_add3_u32 v78, v86, v78, v85
	v_mul_i32_i24_e32 v85, v68, v27
	v_mul_i32_i24_e32 v86, v205, v28
	;; [unrolled: 1-line block ×4, first 2 shown]
	v_add3_u32 v55, v78, v71, v55
	v_cvt_f32_i32_e32 v0, v0
	v_mul_i32_i24_e32 v71, v69, v25
	v_mul_i32_i24_e32 v78, v70, v26
	;; [unrolled: 1-line block ×3, first 2 shown]
	v_cvt_f32_i32_e32 v1, v55
	v_mov_b32_e32 v58, v139
	v_mul_i32_i24_e32 v55, v19, v109
	v_mul_i32_i24_e32 v7, v160, v7
	v_mov_b32_e32 v139, v117
	v_mul_f32_e32 v1, v138, v1
	s_delay_alu instid0(VALU_DEP_1) | instskip(SKIP_3) | instid1(VALU_DEP_4)
	v_fma_mix_f32 v0, v104, v0, -v1 op_sel_hi:[1,0,0]
	v_mov_b32_e32 v84, v169
	v_mul_i32_i24_e32 v1, v13, v110
	v_dual_mov_b32 v169, v170 :: v_dual_mov_b32 v170, v172
	v_fmac_f32_e32 v129, v8, v0
	v_mul_i32_i24_e32 v0, v9, v137
	scratch_store_b32 off, v127, off offset:80 ; 4-byte Folded Spill
	v_mov_b32_e32 v172, v174
	v_mov_b32_e32 v174, v175
	scratch_store_b32 off, v129, off offset:76 ; 4-byte Folded Spill
	v_mad_i32_i24 v0, v12, v79, v0
	v_mov_b32_e32 v175, v176
	s_delay_alu instid0(VALU_DEP_2) | instskip(SKIP_2) | instid1(VALU_DEP_1)
	v_add3_u32 v0, v0, v1, v55
	v_mul_i32_i24_e32 v1, v106, v20
	v_mul_i32_i24_e32 v55, v103, v21
	v_add3_u32 v0, v0, v1, v55
	v_mul_i32_i24_e32 v1, v140, v35
	v_mul_i32_i24_e32 v55, v142, v37
	s_delay_alu instid0(VALU_DEP_3) | instskip(SKIP_1) | instid1(VALU_DEP_4)
	v_add3_u32 v0, v0, v71, v78
	v_mul_i32_i24_e32 v71, v144, v4
	v_mad_i32_i24 v1, v24, v36, v1
	v_mul_i32_i24_e32 v78, v117, v40
	v_mov_b32_e32 v117, v118
	v_add3_u32 v0, v0, v85, v86
	v_mul_i32_i24_e32 v85, v120, v5
	v_add3_u32 v1, v1, v55, v71
	v_mul_i32_i24_e32 v55, v14, v38
	v_mul_i32_i24_e32 v71, v64, v39
	v_add3_u32 v0, v0, v87, v105
	v_mul_i32_i24_e32 v86, v132, v41
	v_mul_i32_i24_e32 v87, v198, v42
	v_mul_i32_i24_e32 v105, v145, v43
	v_add3_u32 v1, v1, v55, v71
	v_add3_u32 v0, v0, v113, v119
	v_mul_i32_i24_e32 v113, v194, v6
	v_mul_i32_i24_e32 v119, v62, v44
	v_mul_i32_i24_e32 v55, v47, v107
	v_add3_u32 v1, v1, v78, v85
	;; [unrolled: 5-line block ×3, first 2 shown]
	v_mul_i32_i24_e32 v86, v51, v94
	v_mul_i32_i24_e32 v87, v52, v238
	;; [unrolled: 1-line block ×3, first 2 shown]
	v_mul_lo_u32 v0, v0, v98
	v_add3_u32 v1, v1, v105, v113
	v_mul_i32_i24_e32 v105, v54, v245
	v_mul_i32_i24_e32 v71, v48, v22
	;; [unrolled: 1-line block ×4, first 2 shown]
	v_add3_u32 v1, v1, v119, v121
	v_mad_i32_i24 v105, v53, v255, v105
	v_mov_b32_e32 v120, v131
	s_delay_alu instid0(VALU_DEP_3) | instskip(NEXT) | instid1(VALU_DEP_3)
	v_add3_u32 v1, v1, v122, v123
	v_add3_u32 v86, v105, v87, v86
	s_delay_alu instid0(VALU_DEP_2) | instskip(NEXT) | instid1(VALU_DEP_2)
	v_mad_co_u64_u32 v[0:1], null, v1, v163, v[0:1]
	v_add3_u32 v78, v86, v78, v85
	v_mov_b32_e32 v86, v124
	s_delay_alu instid0(VALU_DEP_2) | instskip(NEXT) | instid1(VALU_DEP_4)
	v_add3_u32 v55, v78, v71, v55
	v_cvt_f32_i32_e32 v0, v0
	v_dual_mov_b32 v78, v88 :: v_dual_mov_b32 v71, v74
	s_delay_alu instid0(VALU_DEP_3) | instskip(SKIP_1) | instid1(VALU_DEP_2)
	v_cvt_f32_i32_e32 v1, v55
	v_dual_mov_b32 v178, v215 :: v_dual_mov_b32 v215, v216
	v_dual_mov_b32 v216, v233 :: v_dual_mul_f32 v1, v18, v1
	s_delay_alu instid0(VALU_DEP_1)
	v_fma_mix_f32 v0, v213, v0, -v1 op_sel_hi:[1,0,0]
	v_mov_b32_e32 v206, v222
	v_mul_i32_i24_e32 v1, v13, v136
	v_mul_i32_i24_e32 v13, v162, v26
	;; [unrolled: 1-line block ×3, first 2 shown]
	v_fmac_f32_e32 v147, v8, v0
	v_mul_i32_i24_e32 v0, v9, v193
	v_mul_i32_i24_e32 v9, v19, v152
	v_mul_i32_i24_e32 v19, v183, v27
	v_mul_i32_i24_e32 v27, v131, v34
	s_clause 0x1
	scratch_load_b32 v222, off, off offset:112 th:TH_LOAD_LU
	scratch_load_b32 v85, off, off offset:68
	v_mad_i32_i24 v0, v12, v187, v0
	v_mul_i32_i24_e32 v12, v101, v25
	v_mul_i32_i24_e32 v25, v118, v32
	s_clause 0x1
	scratch_load_b32 v176, off, off offset:188
	scratch_load_b32 v235, off, off offset:176
	v_add3_u32 v0, v0, v1, v9
	v_mul_i32_i24_e32 v1, v186, v20
	v_mul_i32_i24_e32 v9, v102, v21
	;; [unrolled: 1-line block ×4, first 2 shown]
	v_mov_b32_e32 v118, v126
	s_delay_alu instid0(VALU_DEP_4) | instskip(SKIP_2) | instid1(VALU_DEP_3)
	v_add3_u32 v0, v0, v1, v9
	v_mul_i32_i24_e32 v1, v125, v35
	v_mul_i32_i24_e32 v9, v154, v41
	v_add3_u32 v0, v0, v12, v13
	s_delay_alu instid0(VALU_DEP_3) | instskip(SKIP_2) | instid1(VALU_DEP_4)
	v_mad_i32_i24 v1, v112, v36, v1
	v_mul_i32_i24_e32 v12, v155, v42
	v_mul_i32_i24_e32 v13, v156, v43
	v_add3_u32 v0, v0, v19, v20
	v_mul_i32_i24_e32 v19, v158, v44
	v_mul_i32_i24_e32 v20, v159, v45
	s_delay_alu instid0(VALU_DEP_3) | instskip(SKIP_2) | instid1(VALU_DEP_3)
	v_add3_u32 v0, v0, v21, v2
	v_mul_i32_i24_e32 v2, v148, v37
	v_mul_i32_i24_e32 v21, v236, v46
	v_add3_u32 v0, v0, v25, v26
	s_delay_alu instid0(VALU_DEP_1) | instskip(SKIP_2) | instid1(VALU_DEP_3)
	v_add3_u32 v0, v0, v27, v3
	v_mul_i32_i24_e32 v3, v151, v4
	v_mul_i32_i24_e32 v4, v124, v40
	v_mul_lo_u32 v0, v0, v30
	s_delay_alu instid0(VALU_DEP_3) | instskip(SKIP_2) | instid1(VALU_DEP_1)
	v_add3_u32 v1, v1, v2, v3
	v_mul_i32_i24_e32 v2, v74, v38
	v_mul_i32_i24_e32 v3, v88, v39
	v_add3_u32 v1, v1, v2, v3
	v_mul_i32_i24_e32 v2, v47, v31
	v_mul_i32_i24_e32 v3, v48, v234
	s_delay_alu instid0(VALU_DEP_3) | instskip(SKIP_2) | instid1(VALU_DEP_3)
	v_add3_u32 v1, v1, v4, v5
	v_mul_i32_i24_e32 v4, v49, v240
	v_mul_i32_i24_e32 v5, v50, v92
	v_add3_u32 v1, v1, v9, v12
	v_mul_i32_i24_e32 v9, v54, v108
	scratch_load_b32 v54, off, off offset:180 ; 4-byte Folded Reload
	v_add3_u32 v1, v1, v13, v6
	v_mul_i32_i24_e32 v6, v51, v15
	v_mad_i32_i24 v9, v53, v16, v9
	scratch_load_b32 v51, off, off offset:220 ; 4-byte Folded Reload
	v_mov_b32_e32 v53, v232
	v_add3_u32 v1, v1, v19, v20
	s_delay_alu instid0(VALU_DEP_1) | instskip(SKIP_1) | instid1(VALU_DEP_2)
	v_add3_u32 v1, v1, v21, v7
	v_mul_i32_i24_e32 v7, v52, v212
	v_mad_co_u64_u32 v[0:1], null, v1, v253, v[0:1]
	s_delay_alu instid0(VALU_DEP_2) | instskip(NEXT) | instid1(VALU_DEP_1)
	v_add3_u32 v6, v9, v7, v6
	v_add3_u32 v4, v6, v4, v5
	s_delay_alu instid0(VALU_DEP_3) | instskip(NEXT) | instid1(VALU_DEP_2)
	v_cvt_f32_i32_e32 v0, v0
	v_add3_u32 v2, v4, v3, v2
	s_delay_alu instid0(VALU_DEP_1) | instskip(NEXT) | instid1(VALU_DEP_1)
	v_cvt_f32_i32_e32 v1, v2
	v_dual_mov_b32 v116, v151 :: v_dual_mul_f32 v1, v232, v1
	s_delay_alu instid0(VALU_DEP_1) | instskip(NEXT) | instid1(VALU_DEP_1)
	v_fma_mix_f32 v0, v130, v0, -v1 op_sel_hi:[1,0,0]
	v_fmac_f32_e32 v150, v8, v0
	scratch_load_b32 v0, off, off offset:392 th:TH_LOAD_LU ; 4-byte Folded Reload
	scratch_store_b32 off, v147, off offset:88 ; 4-byte Folded Spill
	v_mov_b32_e32 v147, v125
	scratch_store_b32 off, v150, off offset:96 ; 4-byte Folded Spill
	s_wait_loadcnt 0x0
	ds_load_b32 v9, v0 offset:30368
	s_clause 0x1
	scratch_load_b32 v0, off, off offset:264 th:TH_LOAD_LU
	scratch_load_b32 v183, off, off offset:184
	s_wait_loadcnt 0x1
	ds_load_b128 v[1:4], v0 offset:16896
	ds_load_b128 v[26:29], v0 offset:16912
	s_clause 0x2
	scratch_load_b64 v[87:88], off, off offset:124 th:TH_LOAD_LU
	scratch_load_b32 v90, off, off offset:108 th:TH_LOAD_LU
	scratch_load_b32 v64, off, off offset:256
	s_wait_dscnt 0x1
	v_bfe_i32 v124, v3, 0, 8
	v_bfe_i32 v125, v3, 8, 8
	;; [unrolled: 1-line block ×3, first 2 shown]
	v_ashrrev_i32_e32 v127, 24, v3
	s_wait_dscnt 0x0
	v_bfe_i32 v49, v26, 0, 8
	v_bfe_i32 v3, v27, 0, 8
	;; [unrolled: 1-line block ×5, first 2 shown]
	v_ashrrev_i32_e32 v145, 24, v4
	v_bfe_i32 v48, v26, 8, 8
	v_bfe_i32 v105, v26, 16, 8
	v_ashrrev_i32_e32 v113, 24, v26
	v_bfe_i32 v4, v27, 8, 8
	v_bfe_i32 v7, v28, 0, 8
	;; [unrolled: 1-line block ×3, first 2 shown]
	v_add_nc_u32_e32 v19, v3, v49
	v_bfe_i32 v233, v1, 0, 8
	v_bfe_i32 v232, v1, 8, 8
	;; [unrolled: 1-line block ×3, first 2 shown]
	v_ashrrev_i32_e32 v1, 24, v1
	v_ashrrev_i32_e32 v123, 24, v2
	v_bfe_i32 v5, v27, 16, 8
	v_ashrrev_i32_e32 v6, 24, v27
	v_bfe_i32 v12, v28, 8, 8
	v_bfe_i32 v27, v29, 8, 8
	v_add3_u32 v33, v19, v7, v26
	v_add_nc_u32_e32 v19, v4, v48
	v_bfe_i32 v122, v2, 16, 8
	v_bfe_i32 v121, v2, 8, 8
	;; [unrolled: 1-line block ×3, first 2 shown]
	v_mul_i32_i24_e32 v20, v0, v230
	v_add3_u32 v34, v19, v12, v27
	v_add_nc_u32_e32 v19, v123, v1
	v_mul_i32_i24_e32 v21, v1, v231
	v_bfe_i32 v13, v28, 16, 8
	v_ashrrev_i32_e32 v25, 24, v28
	v_bfe_i32 v28, v29, 16, 8
	v_add3_u32 v41, v19, v127, v145
	v_add_nc_u32_e32 v19, v122, v0
	v_ashrrev_i32_e32 v42, 24, v29
	v_mul_i32_i24_e32 v29, v72, v122
	v_mul_i32_i24_e32 v32, v227, v123
	;; [unrolled: 1-line block ×3, first 2 shown]
	v_add3_u32 v45, v19, v126, v131
	v_add_nc_u32_e32 v19, v121, v232
	v_mul_i32_i24_e32 v36, v203, v125
	v_mul_i32_i24_e32 v37, v89, v126
	;; [unrolled: 1-line block ×4, first 2 shown]
	v_add3_u32 v46, v19, v125, v130
	v_add_nc_u32_e32 v19, v119, v233
	v_mul_i32_i24_e32 v40, v181, v130
	v_mul_i32_i24_e32 v43, v97, v131
	v_mul_i32_i24_e32 v44, v204, v145
	v_add_nc_u32_e32 v2, v6, v113
	v_add3_u32 v47, v19, v124, v129
	v_mul_i32_i24_e32 v19, v233, v229
	v_mul_i32_i24_e32 v50, v207, v42
	s_delay_alu instid0(VALU_DEP_4) | instskip(SKIP_1) | instid1(VALU_DEP_4)
	v_add3_u32 v8, v2, v25, v42
	v_add_nc_u32_e32 v2, v5, v105
	v_mad_i32_i24 v19, v232, v180, v19
	s_delay_alu instid0(VALU_DEP_2) | instskip(NEXT) | instid1(VALU_DEP_2)
	v_add3_u32 v2, v2, v13, v28
	v_add3_u32 v19, v19, v20, v21
	v_mul_i32_i24_e32 v20, v128, v119
	v_mul_i32_i24_e32 v21, v99, v121
	s_delay_alu instid0(VALU_DEP_1) | instskip(SKIP_1) | instid1(VALU_DEP_2)
	v_add3_u32 v19, v19, v20, v21
	v_mul_i32_i24_e32 v21, v59, v105
	v_add3_u32 v19, v19, v29, v32
	v_mul_i32_i24_e32 v29, v65, v113
	v_mul_i32_i24_e32 v32, v56, v5
	scratch_load_b32 v65, off, off offset:104 th:TH_LOAD_LU ; 4-byte Folded Reload
	v_add3_u32 v19, v19, v35, v36
	v_mul_i32_i24_e32 v35, v197, v6
	v_mul_i32_i24_e32 v36, v210, v7
	s_delay_alu instid0(VALU_DEP_3) | instskip(SKIP_2) | instid1(VALU_DEP_3)
	v_add3_u32 v19, v19, v37, v38
	v_mul_i32_i24_e32 v37, v247, v12
	v_mul_i32_i24_e32 v38, v182, v13
	v_add3_u32 v19, v19, v39, v40
	v_mul_i32_i24_e32 v39, v77, v25
	v_mul_i32_i24_e32 v40, v225, v26
	s_delay_alu instid0(VALU_DEP_3) | instskip(SKIP_2) | instid1(VALU_DEP_3)
	v_add3_u32 v19, v19, v43, v44
	v_mul_i32_i24_e32 v43, v164, v27
	v_mul_i32_i24_e32 v44, v165, v28
	v_mul_lo_u32 v20, v19, v228
	v_mul_i32_i24_e32 v19, v188, v49
	s_delay_alu instid0(VALU_DEP_1) | instskip(NEXT) | instid1(VALU_DEP_1)
	v_mad_i32_i24 v19, v185, v48, v19
	v_add3_u32 v19, v19, v21, v29
	v_mul_i32_i24_e32 v21, v190, v3
	v_mul_i32_i24_e32 v29, v191, v4
	s_delay_alu instid0(VALU_DEP_1) | instskip(SKIP_2) | instid1(VALU_DEP_3)
	v_add3_u32 v19, v19, v21, v29
	v_mul_i32_i24_e32 v21, v8, v223
	v_mul_i32_i24_e32 v29, v2, v239
	v_add3_u32 v19, v19, v32, v35
	v_mul_i32_i24_e32 v32, v33, v224
	v_mul_i32_i24_e32 v35, v34, v221
	s_delay_alu instid0(VALU_DEP_3) | instskip(SKIP_2) | instid1(VALU_DEP_3)
	v_add3_u32 v19, v19, v36, v37
	v_mul_i32_i24_e32 v36, v41, v211
	v_mul_i32_i24_e32 v37, v45, v217
	v_add3_u32 v19, v19, v38, v39
	v_mul_i32_i24_e32 v38, v47, v200
	v_mul_i32_i24_e32 v39, v67, v129
	s_delay_alu instid0(VALU_DEP_3) | instskip(NEXT) | instid1(VALU_DEP_3)
	v_add3_u32 v19, v19, v40, v43
	v_mad_i32_i24 v38, v46, v192, v38
	v_mul_i32_i24_e32 v40, v114, v130
	v_mul_i32_i24_e32 v43, v58, v131
	s_delay_alu instid0(VALU_DEP_4) | instskip(NEXT) | instid1(VALU_DEP_4)
	v_add3_u32 v19, v19, v44, v50
	v_add3_u32 v36, v38, v37, v36
	v_mul_i32_i24_e32 v37, v201, v126
	v_mul_i32_i24_e32 v38, v189, v127
	;; [unrolled: 1-line block ×4, first 2 shown]
	v_add3_u32 v32, v36, v32, v35
	v_mul_i32_i24_e32 v35, v82, v124
	v_mul_i32_i24_e32 v36, v111, v125
	s_delay_alu instid0(VALU_DEP_3) | instskip(SKIP_3) | instid1(VALU_DEP_2)
	v_add3_u32 v29, v32, v29, v21
                                        ; kill: def $vgpr21 killed $sgpr0 killed $exec
	v_mul_i32_i24_e32 v32, v83, v123
	v_mad_co_u64_u32 v[20:21], null, v19, v243, v[20:21]
	v_mul_i32_i24_e32 v21, v1, v241
	v_cvt_f32_i32_e32 v19, v20
	v_cvt_f32_i32_e32 v20, v29
	v_mul_i32_i24_e32 v29, v171, v122
	s_delay_alu instid0(VALU_DEP_2) | instskip(NEXT) | instid1(VALU_DEP_1)
	v_mul_f32_e32 v20, v244, v20
	v_fma_mix_f32 v19, v202, v19, -v20 op_sel_hi:[1,0,0]
	v_mul_i32_i24_e32 v20, v0, v226
	s_delay_alu instid0(VALU_DEP_2) | instskip(SKIP_3) | instid1(VALU_DEP_1)
	v_fmac_f32_e32 v85, v9, v19
	v_mul_i32_i24_e32 v19, v233, v254
	scratch_store_b32 off, v85, off offset:68 ; 4-byte Folded Spill
	v_mad_i32_i24 v19, v232, v146, v19
	v_add3_u32 v19, v19, v20, v21
	v_mul_i32_i24_e32 v20, v246, v119
	v_mul_i32_i24_e32 v21, v166, v121
	s_delay_alu instid0(VALU_DEP_1) | instskip(SKIP_1) | instid1(VALU_DEP_2)
	v_add3_u32 v19, v19, v20, v21
	v_mul_i32_i24_e32 v21, v73, v105
	v_add3_u32 v19, v19, v29, v32
	v_mul_i32_i24_e32 v29, v168, v113
	v_mul_i32_i24_e32 v32, v76, v5
	v_mov_b32_e32 v76, v100
	s_delay_alu instid0(VALU_DEP_4) | instskip(SKIP_2) | instid1(VALU_DEP_3)
	v_add3_u32 v19, v19, v35, v36
	v_mul_i32_i24_e32 v35, v199, v6
	v_mul_i32_i24_e32 v36, v170, v7
	v_add3_u32 v19, v19, v37, v38
	v_mul_i32_i24_e32 v37, v172, v12
	v_mul_i32_i24_e32 v38, v218, v13
	s_delay_alu instid0(VALU_DEP_3) | instskip(SKIP_2) | instid1(VALU_DEP_3)
	v_add3_u32 v19, v19, v39, v40
	v_mul_i32_i24_e32 v39, v219, v25
	v_mul_i32_i24_e32 v40, v174, v26
	v_add3_u32 v19, v19, v43, v44
	v_mul_i32_i24_e32 v43, v175, v27
	v_mul_i32_i24_e32 v44, v167, v28
	s_delay_alu instid0(VALU_DEP_3) | instskip(SKIP_1) | instid1(VALU_DEP_1)
	v_mul_lo_u32 v20, v19, v214
	v_mul_i32_i24_e32 v19, v134, v49
	v_mad_i32_i24 v19, v135, v48, v19
	s_delay_alu instid0(VALU_DEP_1) | instskip(SKIP_2) | instid1(VALU_DEP_1)
	v_add3_u32 v19, v19, v21, v29
	v_mul_i32_i24_e32 v21, v84, v3
	v_mul_i32_i24_e32 v29, v169, v4
	v_add3_u32 v19, v19, v21, v29
	v_mul_i32_i24_e32 v21, v8, v178
	v_mul_i32_i24_e32 v29, v2, v215
	s_delay_alu instid0(VALU_DEP_3) | instskip(SKIP_2) | instid1(VALU_DEP_3)
	v_add3_u32 v19, v19, v32, v35
	v_mul_i32_i24_e32 v32, v33, v252
	v_mul_i32_i24_e32 v35, v34, v143
	v_add3_u32 v19, v19, v36, v37
	v_mul_i32_i24_e32 v36, v41, v251
	v_mul_i32_i24_e32 v37, v45, v249
	s_delay_alu instid0(VALU_DEP_3) | instskip(SKIP_2) | instid1(VALU_DEP_3)
	v_add3_u32 v19, v19, v38, v39
	v_mul_i32_i24_e32 v38, v47, v248
	v_mul_i32_i24_e32 v39, v95, v129
	v_add3_u32 v19, v19, v40, v43
	s_delay_alu instid0(VALU_DEP_3) | instskip(SKIP_2) | instid1(VALU_DEP_4)
	v_mad_i32_i24 v38, v46, v206, v38
	v_mul_i32_i24_e32 v40, v75, v130
	v_mul_i32_i24_e32 v43, v81, v131
	v_add3_u32 v19, v19, v44, v50
	s_delay_alu instid0(VALU_DEP_4)
	v_add3_u32 v36, v38, v37, v36
	v_mul_i32_i24_e32 v37, v216, v126
	v_mul_i32_i24_e32 v38, v141, v127
	;; [unrolled: 1-line block ×4, first 2 shown]
	v_add3_u32 v32, v36, v32, v35
	v_mul_i32_i24_e32 v35, v68, v124
	v_mul_i32_i24_e32 v36, v205, v125
	s_delay_alu instid0(VALU_DEP_3) | instskip(SKIP_4) | instid1(VALU_DEP_3)
	v_add3_u32 v29, v32, v29, v21
                                        ; kill: def $vgpr21 killed $sgpr0 killed $exec
	v_mul_i32_i24_e32 v32, v70, v123
	v_mad_co_u64_u32 v[20:21], null, v19, v173, v[20:21]
	v_mul_i32_i24_e32 v21, v1, v109
	v_mul_i32_i24_e32 v1, v1, v152
	v_cvt_f32_i32_e32 v19, v20
	v_cvt_f32_i32_e32 v20, v29
	v_mul_i32_i24_e32 v29, v69, v122
	s_delay_alu instid0(VALU_DEP_2) | instskip(NEXT) | instid1(VALU_DEP_1)
	v_mul_f32_e32 v20, v138, v20
	v_fma_mix_f32 v19, v104, v19, -v20 op_sel_hi:[1,0,0]
	v_mul_i32_i24_e32 v20, v0, v110
	v_mul_i32_i24_e32 v0, v0, v136
	s_delay_alu instid0(VALU_DEP_3) | instskip(SKIP_1) | instid1(VALU_DEP_1)
	v_fmac_f32_e32 v222, v9, v19
	v_mul_i32_i24_e32 v19, v233, v137
	v_mad_i32_i24 v19, v232, v79, v19
	s_delay_alu instid0(VALU_DEP_1) | instskip(SKIP_2) | instid1(VALU_DEP_1)
	v_add3_u32 v19, v19, v20, v21
	v_mul_i32_i24_e32 v20, v106, v119
	v_mul_i32_i24_e32 v21, v103, v121
	v_add3_u32 v19, v19, v20, v21
	v_mul_i32_i24_e32 v21, v57, v105
	s_delay_alu instid0(VALU_DEP_2) | instskip(SKIP_3) | instid1(VALU_DEP_4)
	v_add3_u32 v19, v19, v29, v32
	v_mul_i32_i24_e32 v29, v60, v113
	v_mul_i32_i24_e32 v32, v139, v5
	v_mul_i32_i24_e32 v5, v86, v5
	v_add3_u32 v19, v19, v35, v36
	v_mul_i32_i24_e32 v35, v195, v6
	v_mul_i32_i24_e32 v36, v132, v7
	v_mul_i32_i24_e32 v6, v153, v6
	v_mul_i32_i24_e32 v7, v154, v7
	v_add3_u32 v19, v19, v37, v38
	v_mul_i32_i24_e32 v37, v198, v12
	;; [unrolled: 5-line block ×3, first 2 shown]
	v_mul_i32_i24_e32 v40, v62, v26
	s_delay_alu instid0(VALU_DEP_3) | instskip(SKIP_2) | instid1(VALU_DEP_3)
	v_add3_u32 v19, v19, v43, v44
	v_mul_i32_i24_e32 v43, v133, v27
	v_mul_i32_i24_e32 v44, v66, v28
	v_mul_lo_u32 v20, v19, v98
	v_mul_i32_i24_e32 v19, v140, v49
	s_delay_alu instid0(VALU_DEP_1) | instskip(NEXT) | instid1(VALU_DEP_1)
	v_mad_i32_i24 v19, v24, v48, v19
	v_add3_u32 v19, v19, v21, v29
	v_mul_i32_i24_e32 v21, v14, v3
	v_mul_i32_i24_e32 v29, v11, v4
	;; [unrolled: 1-line block ×4, first 2 shown]
	s_delay_alu instid0(VALU_DEP_3) | instskip(SKIP_3) | instid1(VALU_DEP_4)
	v_add3_u32 v19, v19, v21, v29
	v_mul_i32_i24_e32 v21, v8, v107
	v_mul_i32_i24_e32 v29, v2, v22
	;; [unrolled: 1-line block ×3, first 2 shown]
	v_add3_u32 v19, v19, v32, v35
	v_mul_i32_i24_e32 v32, v33, v208
	v_mul_i32_i24_e32 v35, v34, v179
	s_delay_alu instid0(VALU_DEP_3) | instskip(SKIP_2) | instid1(VALU_DEP_3)
	v_add3_u32 v19, v19, v36, v37
	v_mul_i32_i24_e32 v36, v41, v94
	v_mul_i32_i24_e32 v37, v45, v238
	v_add3_u32 v19, v19, v38, v39
	v_mul_i32_i24_e32 v38, v47, v245
	v_mul_i32_i24_e32 v39, v120, v131
	s_delay_alu instid0(VALU_DEP_3)
	v_add3_u32 v19, v19, v40, v43
	s_clause 0x1
	scratch_load_b32 v43, off, off offset:168
	scratch_load_b32 v55, off, off offset:120 th:TH_LOAD_LU
	v_mad_i32_i24 v38, v46, v255, v38
	v_mul_i32_i24_e32 v40, v242, v145
	v_add3_u32 v19, v19, v44, v50
	s_clause 0x1
	scratch_load_b32 v44, off, off offset:196
	scratch_load_b32 v50, off, off offset:172
	v_add3_u32 v36, v38, v37, v36
	v_mul_i32_i24_e32 v37, v117, v129
	v_mul_i32_i24_e32 v38, v118, v130
	s_delay_alu instid0(VALU_DEP_3) | instskip(SKIP_2) | instid1(VALU_DEP_3)
	v_add3_u32 v32, v36, v32, v35
	v_mul_i32_i24_e32 v35, v149, v126
	v_mul_i32_i24_e32 v36, v115, v127
	v_add3_u32 v29, v32, v29, v21
                                        ; kill: def $vgpr21 killed $sgpr0 killed $exec
	v_mul_i32_i24_e32 v32, v184, v125
	v_mad_co_u64_u32 v[20:21], null, v19, v163, v[20:21]
	v_mul_i32_i24_e32 v21, v162, v123
	s_delay_alu instid0(VALU_DEP_2) | instskip(SKIP_2) | instid1(VALU_DEP_2)
	v_cvt_f32_i32_e32 v19, v20
	v_cvt_f32_i32_e32 v20, v29
	v_mul_i32_i24_e32 v29, v76, v124
	v_mul_f32_e32 v20, v18, v20
	s_delay_alu instid0(VALU_DEP_1) | instskip(SKIP_2) | instid1(VALU_DEP_2)
	v_fma_mix_f32 v19, v213, v19, -v20 op_sel_hi:[1,0,0]
	v_mul_i32_i24_e32 v20, v101, v122
	s_wait_loadcnt 0x6
	v_fmac_f32_e32 v90, v9, v19
	v_mul_i32_i24_e32 v19, v233, v193
	s_delay_alu instid0(VALU_DEP_1) | instskip(NEXT) | instid1(VALU_DEP_1)
	v_mad_i32_i24 v19, v232, v187, v19
	v_add3_u32 v0, v19, v0, v1
	v_mul_i32_i24_e32 v1, v186, v119
	v_mul_i32_i24_e32 v19, v102, v121
	s_delay_alu instid0(VALU_DEP_1)
	v_add3_u32 v0, v0, v1, v19
	v_mul_i32_i24_e32 v1, v147, v49
	v_mul_i32_i24_e32 v19, v148, v105
	scratch_load_b32 v49, off, off offset:216 ; 4-byte Folded Reload
	v_add3_u32 v0, v0, v20, v21
	v_mul_i32_i24_e32 v20, v116, v113
	v_mad_i32_i24 v1, v112, v48, v1
	v_mul_i32_i24_e32 v21, v159, v27
	scratch_load_b32 v48, off, off offset:212 ; 4-byte Folded Reload
	v_add3_u32 v0, v0, v29, v32
	v_add3_u32 v1, v1, v19, v20
	v_mul_i32_i24_e32 v19, v157, v25
	v_mul_i32_i24_e32 v20, v158, v26
	s_delay_alu instid0(VALU_DEP_4)
	v_add3_u32 v0, v0, v35, v36
	v_mul_i32_i24_e32 v25, v236, v28
	v_add3_u32 v1, v1, v3, v4
	v_mul_i32_i24_e32 v3, v8, v31
	v_mul_i32_i24_e32 v8, v47, v108
	v_add3_u32 v0, v0, v37, v38
	v_mul_i32_i24_e32 v4, v33, v240
	v_add3_u32 v1, v1, v5, v6
	v_mul_i32_i24_e32 v6, v41, v15
	v_mad_i32_i24 v8, v46, v93, v8
	v_add3_u32 v0, v0, v39, v40
	v_mul_i32_i24_e32 v5, v34, v92
	v_add3_u32 v1, v1, v7, v12
	v_mul_i32_i24_e32 v7, v45, v17
	v_mul_i32_i24_e32 v26, v160, v42
	v_mul_lo_u32 v0, v0, v30
	s_clause 0x5
	scratch_load_b32 v40, off, off offset:160
	scratch_load_b32 v42, off, off offset:164
	;; [unrolled: 1-line block ×6, first 2 shown]
	v_add3_u32 v1, v1, v13, v19
	v_add3_u32 v6, v8, v7, v6
	s_delay_alu instid0(VALU_DEP_2) | instskip(NEXT) | instid1(VALU_DEP_2)
	v_add3_u32 v1, v1, v20, v21
	v_add3_u32 v4, v6, v4, v5
	s_delay_alu instid0(VALU_DEP_2) | instskip(NEXT) | instid1(VALU_DEP_2)
	v_add3_u32 v1, v1, v25, v26
	v_add3_u32 v2, v4, v2, v3
	s_delay_alu instid0(VALU_DEP_2) | instskip(NEXT) | instid1(VALU_DEP_2)
	v_mad_co_u64_u32 v[0:1], null, v1, v253, v[0:1]
	v_cvt_f32_i32_e32 v1, v2
	s_delay_alu instid0(VALU_DEP_1) | instskip(NEXT) | instid1(VALU_DEP_3)
	v_mul_f32_e32 v1, v53, v1
	v_cvt_f32_i32_e32 v0, v0
	s_delay_alu instid0(VALU_DEP_1) | instskip(SKIP_1) | instid1(VALU_DEP_1)
	v_fma_mix_f32 v0, v91, v0, -v1 op_sel_hi:[1,0,0]
	s_wait_loadcnt 0xa
	v_fmac_f32_e32 v55, v9, v0
	s_clause 0x1
	scratch_load_b32 v19, off, off offset:260 th:TH_LOAD_LU
	scratch_load_b32 v0, off, off offset:400 th:TH_LOAD_LU
	s_wait_loadcnt 0x0
	v_fma_f32 v88, v19, v0, v88
	s_clause 0xb
	scratch_load_b32 v8, off, off offset:156 th:TH_LOAD_LU
	scratch_load_b32 v0, off, off offset:396 th:TH_LOAD_LU
	scratch_load_b32 v14, off, off offset:536 th:TH_LOAD_LU
	scratch_load_b32 v9, off, off offset:452 th:TH_LOAD_LU
	scratch_load_b32 v10, off, off offset:480 th:TH_LOAD_LU
	scratch_load_b32 v12, off, off offset:456 th:TH_LOAD_LU
	scratch_load_b32 v13, off, off offset:468 th:TH_LOAD_LU
	scratch_load_b32 v5, off, off offset:368 th:TH_LOAD_LU
	scratch_load_b32 v6, off, off offset:372 th:TH_LOAD_LU
	scratch_load_b32 v60, off, off offset:248
	scratch_load_b32 v34, off, off offset:448 th:TH_LOAD_LU
	scratch_load_b32 v29, off, off offset:436 th:TH_LOAD_LU
	s_wait_loadcnt 0xa
	v_fmac_f32_e32 v87, v8, v0
	s_wait_loadcnt 0x9
	v_mul_i32_i24_e32 v0, v189, v14
	s_wait_loadcnt 0x8
	v_mul_i32_i24_e32 v1, v67, v9
	;; [unrolled: 2-line block ×5, first 2 shown]
	s_wait_loadcnt 0x3
	v_add3_u32 v0, v6, v5, v0
	v_mul_i32_i24_e32 v9, v117, v9
	v_mul_i32_i24_e32 v10, v118, v10
	;; [unrolled: 1-line block ×4, first 2 shown]
	v_add3_u32 v0, v0, v1, v2
	s_wait_loadcnt 0x1
	v_mul_i32_i24_e32 v1, v134, v34
	s_delay_alu instid0(VALU_DEP_2)
	v_add3_u32 v0, v0, v3, v4
	s_clause 0x7
	scratch_load_b32 v2, off, off offset:344 th:TH_LOAD_LU
	scratch_load_b32 v3, off, off offset:348 th:TH_LOAD_LU
	;; [unrolled: 1-line block ×8, first 2 shown]
	s_wait_loadcnt 0x8
	v_mad_i32_i24 v1, v135, v29, v1
	v_mul_lo_u32 v0, v0, v214
	s_wait_loadcnt 0x6
	s_delay_alu instid0(VALU_DEP_2)
	v_add3_u32 v1, v1, v2, v3
	s_wait_loadcnt 0x5
	v_mul_i32_i24_e32 v2, v84, v32
	s_wait_loadcnt 0x4
	v_mul_i32_i24_e32 v3, v169, v33
	;; [unrolled: 2-line block ×6, first 2 shown]
	v_add3_u32 v1, v1, v2, v3
	s_clause 0x1
	scratch_load_b32 v2, off, off offset:320 th:TH_LOAD_LU
	scratch_load_b32 v3, off, off offset:332 th:TH_LOAD_LU
	s_wait_loadcnt 0x0
	v_add3_u32 v1, v1, v2, v3
	s_clause 0x1
	scratch_load_b32 v2, off, off offset:324 th:TH_LOAD_LU
	scratch_load_b32 v3, off, off offset:336 th:TH_LOAD_LU
	v_add3_u32 v1, v1, v4, v5
	s_wait_loadcnt 0x0
	s_delay_alu instid0(VALU_DEP_1)
	v_add3_u32 v1, v1, v2, v3
	s_clause 0xc
	scratch_load_b32 v2, off, off offset:328 th:TH_LOAD_LU
	scratch_load_b32 v3, off, off offset:340 th:TH_LOAD_LU
	;; [unrolled: 1-line block ×3, first 2 shown]
	scratch_load_b32 v59, off, off offset:240
	scratch_load_b32 v23, off, off offset:412 th:TH_LOAD_LU
	scratch_load_b32 v68, off, off offset:244
	scratch_load_b32 v24, off, off offset:408 th:TH_LOAD_LU
	;; [unrolled: 2-line block ×5, first 2 shown]
	v_add3_u32 v1, v1, v6, v7
	scratch_load_b32 v58, off, off offset:232 ; 4-byte Folded Reload
	s_wait_loadcnt 0xc
	v_add3_u32 v1, v1, v2, v3
	s_wait_loadcnt 0xb
	v_mul_i32_i24_e32 v2, v21, v252
	s_wait_loadcnt 0x9
	v_mul_i32_i24_e32 v3, v23, v143
	;; [unrolled: 2-line block ×5, first 2 shown]
	v_mad_co_u64_u32 v[0:1], null, v1, v173, v[0:1]
	s_wait_loadcnt 0x1
	s_delay_alu instid0(VALU_DEP_2) | instskip(NEXT) | instid1(VALU_DEP_2)
	v_mad_i32_i24 v6, v255, v206, v6
	v_cvt_f32_i32_e32 v0, v0
	s_delay_alu instid0(VALU_DEP_2) | instskip(NEXT) | instid1(VALU_DEP_1)
	v_add3_u32 v4, v6, v5, v4
	v_add3_u32 v2, v4, v2, v3
	s_clause 0x1
	scratch_load_b32 v3, off, off offset:312 th:TH_LOAD_LU
	scratch_load_b32 v4, off, off offset:316 th:TH_LOAD_LU
	s_wait_loadcnt 0x0
	v_add3_u32 v2, v2, v4, v3
	s_delay_alu instid0(VALU_DEP_1) | instskip(NEXT) | instid1(VALU_DEP_1)
	v_cvt_f32_i32_e32 v1, v2
	v_mul_f32_e32 v1, v138, v1
	s_delay_alu instid0(VALU_DEP_1) | instskip(NEXT) | instid1(VALU_DEP_1)
	v_fma_mix_f32 v0, v104, v0, -v1 op_sel_hi:[1,0,0]
	v_fmac_f32_e32 v65, v19, v0
	s_clause 0x1
	scratch_load_b64 v[0:1], off, off
	scratch_load_b32 v2, off, off offset:388 th:TH_LOAD_LU
	s_wait_loadcnt 0x0
	v_fma_f32 v1, v19, v2, v1
	scratch_store_b64 off, v[0:1], off      ; 8-byte Folded Spill
	s_clause 0x9
	scratch_load_b64 v[73:74], off, off th:TH_LOAD_LU
	scratch_load_b32 v0, off, off offset:384 th:TH_LOAD_LU
	scratch_load_b32 v1, off, off offset:148 th:TH_LOAD_LU
	;; [unrolled: 1-line block ×8, first 2 shown]
	scratch_load_b32 v63, off, off offset:252
	s_wait_loadcnt 0x8
	v_fmac_f32_e32 v73, v8, v0
	scratch_load_b32 v0, off, off offset:308 th:TH_LOAD_LU ; 4-byte Folded Reload
	s_wait_loadcnt 0x8
	v_mul_i32_i24_e32 v1, v1, v136
	s_wait_loadcnt 0x7
	v_mul_i32_i24_e32 v2, v2, v152
	v_mul_i32_i24_e32 v8, v115, v14
	s_wait_loadcnt 0x3
	v_mul_i32_i24_e32 v4, v162, v4
	s_wait_loadcnt 0x2
	;; [unrolled: 2-line block ×3, first 2 shown]
	v_mul_i32_i24_e32 v0, v0, v193
	s_delay_alu instid0(VALU_DEP_1)
	v_mad_i32_i24 v0, v3, v187, v0
	s_clause 0x1
	scratch_load_b32 v3, off, off offset:136 th:TH_LOAD_LU
	scratch_load_b32 v66, off, off offset:116 th:TH_LOAD_LU
	v_add3_u32 v0, v0, v1, v2
	s_clause 0x1
	scratch_load_b32 v1, off, off offset:132 th:TH_LOAD_LU
	scratch_load_b32 v2, off, off offset:304 th:TH_LOAD_LU
	s_wait_loadcnt 0x3
	v_mul_i32_i24_e32 v3, v101, v3
	s_wait_loadcnt 0x1
	v_mul_i32_i24_e32 v1, v186, v1
	;; [unrolled: 2-line block ×3, first 2 shown]
	s_delay_alu instid0(VALU_DEP_1)
	v_add3_u32 v0, v0, v1, v2
	scratch_load_b32 v2, off, off offset:300 th:TH_LOAD_LU ; 4-byte Folded Reload
	v_mul_i32_i24_e32 v1, v147, v34
	v_mul_i32_i24_e32 v6, v184, v6
	v_add3_u32 v0, v0, v3, v4
	scratch_load_b32 v3, off, off offset:296 th:TH_LOAD_LU ; 4-byte Folded Reload
	v_mad_i32_i24 v1, v112, v29, v1
	scratch_load_b32 v4, off, off offset:284 th:TH_LOAD_LU ; 4-byte Folded Reload
	v_add3_u32 v0, v0, v5, v6
	v_mul_i32_i24_e32 v6, v154, v28
	s_wait_loadcnt 0x2
	v_mul_i32_i24_e32 v2, v148, v2
	s_wait_loadcnt 0x1
	v_mul_i32_i24_e32 v3, v116, v3
	s_delay_alu instid0(VALU_DEP_1) | instskip(SKIP_2) | instid1(VALU_DEP_1)
	v_add3_u32 v1, v1, v2, v3
	v_mul_i32_i24_e32 v2, v71, v32
	v_mul_i32_i24_e32 v3, v78, v33
	v_add3_u32 v1, v1, v2, v3
	s_clause 0x1
	scratch_load_b32 v3, off, off offset:288 th:TH_LOAD_LU
	scratch_load_b32 v5, off, off offset:280 th:TH_LOAD_LU
	v_mul_i32_i24_e32 v7, v149, v7
	scratch_load_b32 v2, off, off offset:364 th:TH_LOAD_LU ; 4-byte Folded Reload
	s_wait_loadcnt 0x3
	v_mul_i32_i24_e32 v4, v86, v4
	v_add3_u32 v0, v0, v7, v8
	scratch_load_b32 v8, off, off offset:276 th:TH_LOAD_LU ; 4-byte Folded Reload
	v_mul_i32_i24_e32 v7, v155, v27
	v_add3_u32 v0, v0, v9, v10
	scratch_load_b32 v9, off, off offset:272 th:TH_LOAD_LU ; 4-byte Folded Reload
	v_mul_i32_i24_e32 v10, v158, v26
	v_add3_u32 v0, v0, v12, v13
	v_mul_i32_i24_e32 v12, v159, v11
	scratch_load_b32 v11, off, off offset:268 th:TH_LOAD_LU ; 4-byte Folded Reload
	v_mul_lo_u32 v0, v0, v30
	s_wait_loadcnt 0x5
	v_mul_i32_i24_e32 v3, v3, v234
	s_wait_loadcnt 0x4
	v_mul_i32_i24_e32 v5, v153, v5
	;; [unrolled: 2-line block ×3, first 2 shown]
	s_delay_alu instid0(VALU_DEP_2)
	v_add3_u32 v1, v1, v4, v5
	v_mul_i32_i24_e32 v4, v21, v240
	s_wait_loadcnt 0x2
	v_mul_i32_i24_e32 v8, v156, v8
	v_mul_i32_i24_e32 v5, v23, v92
	v_add3_u32 v1, v1, v6, v7
	v_mul_i32_i24_e32 v6, v24, v15
	s_wait_loadcnt 0x1
	v_mul_i32_i24_e32 v9, v157, v9
	v_mul_i32_i24_e32 v7, v25, v17
	s_delay_alu instid0(VALU_DEP_2)
	v_add3_u32 v1, v1, v8, v9
	s_wait_loadcnt 0x0
	v_mul_i32_i24_e32 v13, v236, v11
	scratch_load_b32 v11, off, off offset:292 th:TH_LOAD_LU ; 4-byte Folded Reload
	v_mul_i32_i24_e32 v8, v20, v108
	v_add3_u32 v1, v1, v10, v12
	s_delay_alu instid0(VALU_DEP_2) | instskip(NEXT) | instid1(VALU_DEP_1)
	v_mad_i32_i24 v8, v255, v93, v8
	v_add3_u32 v6, v8, v7, v6
	s_delay_alu instid0(VALU_DEP_1) | instskip(NEXT) | instid1(VALU_DEP_1)
	v_add3_u32 v4, v6, v4, v5
	v_add3_u32 v2, v4, v3, v2
	s_wait_loadcnt 0x0
	v_mul_i32_i24_e32 v16, v160, v11
	s_delay_alu instid0(VALU_DEP_1) | instskip(NEXT) | instid1(VALU_DEP_1)
	v_add3_u32 v1, v1, v13, v16
	v_mad_co_u64_u32 v[0:1], null, v1, v253, v[0:1]
	v_cvt_f32_i32_e32 v1, v2
	s_delay_alu instid0(VALU_DEP_1) | instskip(NEXT) | instid1(VALU_DEP_3)
	v_mul_f32_e32 v1, v53, v1
	v_cvt_f32_i32_e32 v0, v0
	s_delay_alu instid0(VALU_DEP_1) | instskip(NEXT) | instid1(VALU_DEP_1)
	v_fma_mix_f32 v0, v91, v0, -v1 op_sel_hi:[1,0,0]
	v_fmac_f32_e32 v66, v19, v0
	s_cbranch_scc1 .LBB147_12
; %bb.13:                               ;   in Loop: Header=BB147_8 Depth=2
	s_wait_storecnt 0x0
	s_barrier_signal -1
	s_barrier_wait -1
	global_inv scope:SCOPE_SE
	s_clause 0xd
	scratch_load_b64 v[37:38], off, off offset:48
	scratch_load_b32 v67, off, off offset:56
	scratch_load_b32 v70, off, off offset:60
	;; [unrolled: 1-line block ×13, first 2 shown]
	s_cmp_eq_u32 s12, 4
	s_cselect_b32 s13, -1, 0
	s_wait_alu 0xfffe
	s_and_b32 vcc_lo, exec_lo, s13
	s_wait_alu 0xfffe
	s_cbranch_vccz .LBB147_8
	s_branch .LBB147_5
.LBB147_14:
	scratch_store_b32 off, v1, off offset:912 ; 4-byte Folded Spill
	v_dual_mov_b32 v0, 0 :: v_dual_mov_b32 v1, 0
	v_dual_mov_b32 v3, 0 :: v_dual_mov_b32 v6, 0
	;; [unrolled: 1-line block ×14, first 2 shown]
	v_mov_b32_e32 v32, 0
	v_mov_b32_e32 v12, 0
	scratch_load_b32 v13, off, off offset:912 ; 4-byte Folded Reload
	s_mov_b32 s0, exec_lo
	s_wait_loadcnt 0x0
	v_cmpx_gt_u32_e64 s4, v13
	s_cbranch_execnz .LBB147_17
.LBB147_15:
	s_nop 0
	s_sendmsg sendmsg(MSG_DEALLOC_VGPRS)
	s_endpgm
.LBB147_16:
	scratch_load_b32 v0, off, off offset:72 th:TH_LOAD_LU ; 4-byte Folded Reload
	v_cvt_f16_f32_e32 v1, v87
	v_cvt_f16_f32_e32 v4, v74
	;; [unrolled: 1-line block ×3, first 2 shown]
	s_wait_loadcnt 0xe
	v_cvt_f16_f32_e32 v12, v37
	s_wait_loadcnt 0x3
	v_cvt_f16_f32_e32 v14, v81
	v_cvt_f16_f32_e32 v32, v72
	;; [unrolled: 1-line block ×4, first 2 shown]
	s_wait_loadcnt 0x1
	v_cvt_f16_f32_e32 v29, v83
	v_cvt_f16_f32_e32 v28, v70
	v_cvt_f16_f32_e32 v27, v75
	v_cvt_f16_f32_e32 v26, v78
	v_cvt_f16_f32_e32 v25, v82
	v_cvt_f16_f32_e32 v24, v67
	v_cvt_f16_f32_e32 v23, v71
	v_cvt_f16_f32_e32 v22, v77
	v_cvt_f16_f32_e32 v21, v79
	v_cvt_f16_f32_e64 v7, v222
	v_cvt_f16_f32_e32 v6, v90
	v_cvt_f16_f32_e32 v5, v55
	;; [unrolled: 1-line block ×3, first 2 shown]
	s_wait_loadcnt 0x0
	v_cvt_f16_f32_e32 v20, v0
	scratch_load_b32 v0, off, off offset:84 th:TH_LOAD_LU ; 4-byte Folded Reload
	s_wait_loadcnt 0x0
	v_cvt_f16_f32_e32 v19, v0
	scratch_load_b32 v0, off, off offset:92 th:TH_LOAD_LU ; 4-byte Folded Reload
	;; [unrolled: 3-line block ×8, first 2 shown]
	s_wait_loadcnt 0x0
	v_cvt_f16_f32_e32 v8, v0
	v_cvt_f16_f32_e32 v0, v88
	s_delay_alu instid0(VALU_DEP_1)
	v_pack_b32_f16 v3, v1, v0
	v_pack_b32_f16 v1, v11, v4
	s_clause 0x1
	scratch_load_b32 v4, off, off offset:776 th:TH_LOAD_LU
	scratch_load_b32 v11, off, off offset:696 th:TH_LOAD_LU
	v_cvt_f16_f32_e32 v0, v66
	scratch_load_b32 v13, off, off offset:912 ; 4-byte Folded Reload
	s_mov_b32 s0, exec_lo
	s_wait_loadcnt 0x0
	v_cmpx_gt_u32_e64 s4, v13
	s_cbranch_execz .LBB147_15
.LBB147_17:
	v_add_nc_u32_e32 v11, s14, v11
	v_mul_lo_u32 v33, v13, s6
	s_delay_alu instid0(VALU_DEP_2)
	v_cmp_gt_u32_e32 vcc_lo, s6, v11
	s_and_saveexec_b32 s1, vcc_lo
	s_cbranch_execz .LBB147_19
; %bb.18:
	s_delay_alu instid0(VALU_DEP_2) | instskip(NEXT) | instid1(VALU_DEP_1)
	v_dual_mov_b32 v35, 0 :: v_dual_add_nc_u32 v34, v11, v33
	v_lshlrev_b64_e32 v[34:35], 1, v[34:35]
	s_wait_kmcnt 0x0
	s_delay_alu instid0(VALU_DEP_1) | instskip(NEXT) | instid1(VALU_DEP_1)
	v_add_co_u32 v34, s0, s8, v34
	v_add_co_ci_u32_e64 v35, null, s9, v35, s0
	global_store_b16 v[34:35], v12, off
.LBB147_19:
	s_or_b32 exec_lo, exec_lo, s1
	v_add_nc_u32_e32 v12, 32, v11
	s_delay_alu instid0(VALU_DEP_1)
	v_cmp_gt_u32_e64 s0, s6, v12
	s_and_saveexec_b32 s2, s0
	s_cbranch_execz .LBB147_21
; %bb.20:
	v_dual_mov_b32 v35, 0 :: v_dual_add_nc_u32 v34, v12, v33
	s_delay_alu instid0(VALU_DEP_1) | instskip(SKIP_1) | instid1(VALU_DEP_1)
	v_lshlrev_b64_e32 v[34:35], 1, v[34:35]
	s_wait_kmcnt 0x0
	v_add_co_u32 v34, s1, s8, v34
	s_wait_alu 0xf1ff
	s_delay_alu instid0(VALU_DEP_2)
	v_add_co_ci_u32_e64 v35, null, s9, v35, s1
	global_store_b16 v[34:35], v3, off
.LBB147_21:
	s_wait_alu 0xfffe
	s_or_b32 exec_lo, exec_lo, s2
	v_add_nc_u32_e32 v13, 64, v11
	s_delay_alu instid0(VALU_DEP_1)
	v_cmp_gt_u32_e64 s1, s6, v13
	s_and_saveexec_b32 s3, s1
	s_cbranch_execz .LBB147_23
; %bb.22:
	v_dual_mov_b32 v35, 0 :: v_dual_add_nc_u32 v34, v13, v33
	s_delay_alu instid0(VALU_DEP_1) | instskip(SKIP_1) | instid1(VALU_DEP_1)
	v_lshlrev_b64_e32 v[34:35], 1, v[34:35]
	s_wait_kmcnt 0x0
	v_add_co_u32 v34, s2, s8, v34
	s_wait_alu 0xf1ff
	s_delay_alu instid0(VALU_DEP_2)
	v_add_co_ci_u32_e64 v35, null, s9, v35, s2
	global_store_b16 v[34:35], v14, off
.LBB147_23:
	s_wait_alu 0xfffe
	s_or_b32 exec_lo, exec_lo, s3
	v_add_nc_u32_e32 v14, 0x60, v11
	s_delay_alu instid0(VALU_DEP_1)
	v_cmp_gt_u32_e64 s2, s6, v14
	s_and_saveexec_b32 s5, s2
	s_cbranch_execz .LBB147_25
; %bb.24:
	v_dual_mov_b32 v34, 0 :: v_dual_add_nc_u32 v33, v14, v33
	s_delay_alu instid0(VALU_DEP_1) | instskip(SKIP_1) | instid1(VALU_DEP_1)
	v_lshlrev_b64_e32 v[33:34], 1, v[33:34]
	s_wait_kmcnt 0x0
	v_add_co_u32 v33, s3, s8, v33
	s_wait_alu 0xf1ff
	s_delay_alu instid0(VALU_DEP_2)
	v_add_co_ci_u32_e64 v34, null, s9, v34, s3
	global_store_b16 v[33:34], v1, off
.LBB147_25:
	s_wait_alu 0xfffe
	s_or_b32 exec_lo, exec_lo, s5
	v_add3_u32 v33, v4, s7, 8
	s_delay_alu instid0(VALU_DEP_1)
	v_cmp_gt_u32_e64 s3, s4, v33
	s_and_b32 exec_lo, exec_lo, s3
	s_cbranch_execz .LBB147_15
; %bb.26:
	v_mul_lo_u32 v33, v33, s6
	s_and_saveexec_b32 s5, vcc_lo
	s_cbranch_execnz .LBB147_66
; %bb.27:
	s_wait_alu 0xfffe
	s_or_b32 exec_lo, exec_lo, s5
	s_and_saveexec_b32 s5, s0
	s_cbranch_execnz .LBB147_67
.LBB147_28:
	s_wait_alu 0xfffe
	s_or_b32 exec_lo, exec_lo, s5
	s_and_saveexec_b32 s5, s1
	s_cbranch_execnz .LBB147_68
.LBB147_29:
	s_wait_alu 0xfffe
	s_or_b32 exec_lo, exec_lo, s5
	s_and_saveexec_b32 s5, s2
	s_cbranch_execz .LBB147_31
.LBB147_30:
	v_dual_mov_b32 v31, 0 :: v_dual_add_nc_u32 v30, v33, v14
	s_delay_alu instid0(VALU_DEP_1) | instskip(SKIP_1) | instid1(VALU_DEP_1)
	v_lshlrev_b64_e32 v[30:31], 1, v[30:31]
	s_wait_kmcnt 0x0
	v_add_co_u32 v30, s3, s8, v30
	s_wait_alu 0xf1ff
	s_delay_alu instid0(VALU_DEP_2)
	v_add_co_ci_u32_e64 v31, null, s9, v31, s3
	global_store_b16 v[30:31], v29, off
.LBB147_31:
	s_wait_alu 0xfffe
	s_or_b32 exec_lo, exec_lo, s5
	v_add3_u32 v29, v4, s7, 16
	s_delay_alu instid0(VALU_DEP_1)
	v_cmp_gt_u32_e64 s3, s4, v29
	s_and_b32 exec_lo, exec_lo, s3
	s_cbranch_execz .LBB147_15
; %bb.32:
	v_mul_lo_u32 v29, v29, s6
	s_and_saveexec_b32 s5, vcc_lo
	s_cbranch_execnz .LBB147_69
; %bb.33:
	s_wait_alu 0xfffe
	s_or_b32 exec_lo, exec_lo, s5
	s_and_saveexec_b32 s5, s0
	s_cbranch_execnz .LBB147_70
.LBB147_34:
	s_wait_alu 0xfffe
	s_or_b32 exec_lo, exec_lo, s5
	s_and_saveexec_b32 s5, s1
	s_cbranch_execnz .LBB147_71
.LBB147_35:
	s_wait_alu 0xfffe
	s_or_b32 exec_lo, exec_lo, s5
	s_and_saveexec_b32 s5, s2
	s_cbranch_execz .LBB147_37
.LBB147_36:
	v_dual_mov_b32 v27, 0 :: v_dual_add_nc_u32 v26, v29, v14
	s_delay_alu instid0(VALU_DEP_1) | instskip(SKIP_1) | instid1(VALU_DEP_1)
	v_lshlrev_b64_e32 v[26:27], 1, v[26:27]
	s_wait_kmcnt 0x0
	v_add_co_u32 v26, s3, s8, v26
	s_wait_alu 0xf1ff
	s_delay_alu instid0(VALU_DEP_2)
	v_add_co_ci_u32_e64 v27, null, s9, v27, s3
	global_store_b16 v[26:27], v25, off
.LBB147_37:
	s_wait_alu 0xfffe
	s_or_b32 exec_lo, exec_lo, s5
	v_add3_u32 v25, v4, s7, 24
	s_delay_alu instid0(VALU_DEP_1)
	v_cmp_gt_u32_e64 s3, s4, v25
	s_and_b32 exec_lo, exec_lo, s3
	s_cbranch_execz .LBB147_15
; %bb.38:
	v_mul_lo_u32 v25, v25, s6
	s_and_saveexec_b32 s5, vcc_lo
	s_cbranch_execnz .LBB147_72
; %bb.39:
	s_wait_alu 0xfffe
	s_or_b32 exec_lo, exec_lo, s5
	s_and_saveexec_b32 s5, s0
	s_cbranch_execnz .LBB147_73
.LBB147_40:
	s_wait_alu 0xfffe
	s_or_b32 exec_lo, exec_lo, s5
	s_and_saveexec_b32 s5, s1
	s_cbranch_execnz .LBB147_74
.LBB147_41:
	s_wait_alu 0xfffe
	s_or_b32 exec_lo, exec_lo, s5
	s_and_saveexec_b32 s5, s2
	s_cbranch_execz .LBB147_43
.LBB147_42:
	v_dual_mov_b32 v23, 0 :: v_dual_add_nc_u32 v22, v25, v14
	s_delay_alu instid0(VALU_DEP_1) | instskip(SKIP_1) | instid1(VALU_DEP_1)
	v_lshlrev_b64_e32 v[22:23], 1, v[22:23]
	s_wait_kmcnt 0x0
	v_add_co_u32 v22, s3, s8, v22
	s_wait_alu 0xf1ff
	s_delay_alu instid0(VALU_DEP_2)
	v_add_co_ci_u32_e64 v23, null, s9, v23, s3
	global_store_b16 v[22:23], v21, off
.LBB147_43:
	s_wait_alu 0xfffe
	s_or_b32 exec_lo, exec_lo, s5
	v_add3_u32 v21, v4, s7, 32
	s_delay_alu instid0(VALU_DEP_1)
	v_cmp_gt_u32_e64 s3, s4, v21
	s_and_b32 exec_lo, exec_lo, s3
	s_cbranch_execz .LBB147_15
; %bb.44:
	v_mul_lo_u32 v21, v21, s6
	s_and_saveexec_b32 s5, vcc_lo
	s_cbranch_execnz .LBB147_75
; %bb.45:
	s_wait_alu 0xfffe
	s_or_b32 exec_lo, exec_lo, s5
	s_and_saveexec_b32 s5, s0
	s_cbranch_execnz .LBB147_76
.LBB147_46:
	s_wait_alu 0xfffe
	s_or_b32 exec_lo, exec_lo, s5
	s_and_saveexec_b32 s5, s1
	s_cbranch_execnz .LBB147_77
.LBB147_47:
	s_wait_alu 0xfffe
	s_or_b32 exec_lo, exec_lo, s5
	s_and_saveexec_b32 s5, s2
	s_cbranch_execz .LBB147_49
.LBB147_48:
	v_dual_mov_b32 v19, 0 :: v_dual_add_nc_u32 v18, v21, v14
	s_delay_alu instid0(VALU_DEP_1) | instskip(SKIP_1) | instid1(VALU_DEP_1)
	v_lshlrev_b64_e32 v[18:19], 1, v[18:19]
	s_wait_kmcnt 0x0
	v_add_co_u32 v18, s3, s8, v18
	s_wait_alu 0xf1ff
	s_delay_alu instid0(VALU_DEP_2)
	v_add_co_ci_u32_e64 v19, null, s9, v19, s3
	global_store_b16 v[18:19], v17, off
.LBB147_49:
	s_wait_alu 0xfffe
	s_or_b32 exec_lo, exec_lo, s5
	v_add3_u32 v17, v4, s7, 40
	s_delay_alu instid0(VALU_DEP_1)
	v_cmp_gt_u32_e64 s3, s4, v17
	s_and_b32 exec_lo, exec_lo, s3
	s_cbranch_execz .LBB147_15
; %bb.50:
	v_mul_lo_u32 v17, v17, s6
	s_and_saveexec_b32 s5, vcc_lo
	s_cbranch_execnz .LBB147_78
; %bb.51:
	s_wait_alu 0xfffe
	s_or_b32 exec_lo, exec_lo, s5
	s_and_saveexec_b32 s5, s0
	s_cbranch_execnz .LBB147_79
.LBB147_52:
	s_wait_alu 0xfffe
	s_or_b32 exec_lo, exec_lo, s5
	s_and_saveexec_b32 s5, s1
	s_cbranch_execnz .LBB147_80
.LBB147_53:
	s_wait_alu 0xfffe
	s_or_b32 exec_lo, exec_lo, s5
	s_and_saveexec_b32 s5, s2
	s_cbranch_execz .LBB147_55
.LBB147_54:
	v_dual_mov_b32 v16, 0 :: v_dual_add_nc_u32 v15, v17, v14
	s_delay_alu instid0(VALU_DEP_1) | instskip(SKIP_1) | instid1(VALU_DEP_1)
	v_lshlrev_b64_e32 v[15:16], 1, v[15:16]
	s_wait_kmcnt 0x0
	v_add_co_u32 v15, s3, s8, v15
	s_wait_alu 0xf1ff
	s_delay_alu instid0(VALU_DEP_2)
	v_add_co_ci_u32_e64 v16, null, s9, v16, s3
	global_store_b16 v[15:16], v9, off
.LBB147_55:
	s_wait_alu 0xfffe
	s_or_b32 exec_lo, exec_lo, s5
	v_add3_u32 v9, v4, s7, 48
	s_delay_alu instid0(VALU_DEP_1)
	v_cmp_gt_u32_e64 s3, s4, v9
	s_and_b32 exec_lo, exec_lo, s3
	s_cbranch_execz .LBB147_15
; %bb.56:
	v_mul_lo_u32 v9, v9, s6
	s_and_saveexec_b32 s5, vcc_lo
	s_cbranch_execnz .LBB147_81
; %bb.57:
	s_wait_alu 0xfffe
	s_or_b32 exec_lo, exec_lo, s5
	s_and_saveexec_b32 s5, s0
	s_cbranch_execnz .LBB147_82
.LBB147_58:
	s_wait_alu 0xfffe
	s_or_b32 exec_lo, exec_lo, s5
	s_and_saveexec_b32 s5, s1
	s_cbranch_execnz .LBB147_83
.LBB147_59:
	s_wait_alu 0xfffe
	s_or_b32 exec_lo, exec_lo, s5
	s_and_saveexec_b32 s5, s2
	s_cbranch_execz .LBB147_61
.LBB147_60:
	v_dual_mov_b32 v7, 0 :: v_dual_add_nc_u32 v6, v9, v14
	s_delay_alu instid0(VALU_DEP_1) | instskip(SKIP_1) | instid1(VALU_DEP_1)
	v_lshlrev_b64_e32 v[6:7], 1, v[6:7]
	s_wait_kmcnt 0x0
	v_add_co_u32 v6, s3, s8, v6
	s_wait_alu 0xf1ff
	s_delay_alu instid0(VALU_DEP_2)
	v_add_co_ci_u32_e64 v7, null, s9, v7, s3
	global_store_b16 v[6:7], v5, off
.LBB147_61:
	s_wait_alu 0xfffe
	s_or_b32 exec_lo, exec_lo, s5
	v_add3_u32 v4, v4, s7, 56
	s_delay_alu instid0(VALU_DEP_1)
	v_cmp_gt_u32_e64 s3, s4, v4
	s_and_b32 exec_lo, exec_lo, s3
	s_cbranch_execz .LBB147_15
; %bb.62:
	v_mul_lo_u32 v4, v4, s6
	s_and_saveexec_b32 s3, vcc_lo
	s_cbranch_execnz .LBB147_84
; %bb.63:
	s_wait_alu 0xfffe
	s_or_b32 exec_lo, exec_lo, s3
	s_and_saveexec_b32 s3, s0
	s_cbranch_execnz .LBB147_85
.LBB147_64:
	s_wait_alu 0xfffe
	s_or_b32 exec_lo, exec_lo, s3
	s_and_saveexec_b32 s0, s1
	s_cbranch_execnz .LBB147_86
.LBB147_65:
	s_wait_alu 0xfffe
	s_or_b32 exec_lo, exec_lo, s0
	s_delay_alu instid0(SALU_CYCLE_1)
	s_and_b32 exec_lo, exec_lo, s2
	s_cbranch_execz .LBB147_15
	s_branch .LBB147_87
.LBB147_66:
	s_delay_alu instid0(VALU_DEP_1) | instskip(NEXT) | instid1(VALU_DEP_1)
	v_dual_mov_b32 v35, 0 :: v_dual_add_nc_u32 v34, v33, v11
	v_lshlrev_b64_e32 v[34:35], 1, v[34:35]
	s_wait_kmcnt 0x0
	s_delay_alu instid0(VALU_DEP_1) | instskip(SKIP_1) | instid1(VALU_DEP_2)
	v_add_co_u32 v34, s3, s8, v34
	s_wait_alu 0xf1ff
	v_add_co_ci_u32_e64 v35, null, s9, v35, s3
	global_store_b16 v[34:35], v32, off
	s_wait_alu 0xfffe
	s_or_b32 exec_lo, exec_lo, s5
	s_and_saveexec_b32 s5, s0
	s_cbranch_execz .LBB147_28
.LBB147_67:
	s_delay_alu instid0(VALU_DEP_1) | instskip(NEXT) | instid1(VALU_DEP_1)
	v_dual_mov_b32 v35, 0 :: v_dual_add_nc_u32 v34, v33, v12
	v_lshlrev_b64_e32 v[34:35], 1, v[34:35]
	s_wait_kmcnt 0x0
	s_delay_alu instid0(VALU_DEP_1) | instskip(SKIP_1) | instid1(VALU_DEP_2)
	v_add_co_u32 v34, s3, s8, v34
	s_wait_alu 0xf1ff
	v_add_co_ci_u32_e64 v35, null, s9, v35, s3
	global_store_b16 v[34:35], v31, off
	s_wait_alu 0xfffe
	s_or_b32 exec_lo, exec_lo, s5
	s_and_saveexec_b32 s5, s1
	s_cbranch_execz .LBB147_29
.LBB147_68:
	v_dual_mov_b32 v32, 0 :: v_dual_add_nc_u32 v31, v33, v13
	s_delay_alu instid0(VALU_DEP_1) | instskip(SKIP_1) | instid1(VALU_DEP_1)
	v_lshlrev_b64_e32 v[31:32], 1, v[31:32]
	s_wait_kmcnt 0x0
	v_add_co_u32 v31, s3, s8, v31
	s_wait_alu 0xf1ff
	s_delay_alu instid0(VALU_DEP_2)
	v_add_co_ci_u32_e64 v32, null, s9, v32, s3
	global_store_b16 v[31:32], v30, off
	s_wait_alu 0xfffe
	s_or_b32 exec_lo, exec_lo, s5
	s_and_saveexec_b32 s5, s2
	s_cbranch_execnz .LBB147_30
	s_branch .LBB147_31
.LBB147_69:
	s_delay_alu instid0(VALU_DEP_1) | instskip(NEXT) | instid1(VALU_DEP_1)
	v_dual_mov_b32 v31, 0 :: v_dual_add_nc_u32 v30, v29, v11
	v_lshlrev_b64_e32 v[30:31], 1, v[30:31]
	s_wait_kmcnt 0x0
	s_delay_alu instid0(VALU_DEP_1) | instskip(SKIP_1) | instid1(VALU_DEP_2)
	v_add_co_u32 v30, s3, s8, v30
	s_wait_alu 0xf1ff
	v_add_co_ci_u32_e64 v31, null, s9, v31, s3
	global_store_b16 v[30:31], v28, off
	s_wait_alu 0xfffe
	s_or_b32 exec_lo, exec_lo, s5
	s_and_saveexec_b32 s5, s0
	s_cbranch_execz .LBB147_34
.LBB147_70:
	s_delay_alu instid0(VALU_DEP_1) | instskip(NEXT) | instid1(VALU_DEP_1)
	v_dual_mov_b32 v31, 0 :: v_dual_add_nc_u32 v30, v29, v12
	v_lshlrev_b64_e32 v[30:31], 1, v[30:31]
	s_wait_kmcnt 0x0
	s_delay_alu instid0(VALU_DEP_1) | instskip(SKIP_1) | instid1(VALU_DEP_2)
	v_add_co_u32 v30, s3, s8, v30
	s_wait_alu 0xf1ff
	v_add_co_ci_u32_e64 v31, null, s9, v31, s3
	global_store_b16 v[30:31], v27, off
	s_wait_alu 0xfffe
	s_or_b32 exec_lo, exec_lo, s5
	s_and_saveexec_b32 s5, s1
	s_cbranch_execz .LBB147_35
.LBB147_71:
	v_dual_mov_b32 v28, 0 :: v_dual_add_nc_u32 v27, v29, v13
	s_delay_alu instid0(VALU_DEP_1) | instskip(SKIP_1) | instid1(VALU_DEP_1)
	v_lshlrev_b64_e32 v[27:28], 1, v[27:28]
	s_wait_kmcnt 0x0
	v_add_co_u32 v27, s3, s8, v27
	s_wait_alu 0xf1ff
	s_delay_alu instid0(VALU_DEP_2)
	v_add_co_ci_u32_e64 v28, null, s9, v28, s3
	global_store_b16 v[27:28], v26, off
	s_wait_alu 0xfffe
	s_or_b32 exec_lo, exec_lo, s5
	s_and_saveexec_b32 s5, s2
	s_cbranch_execnz .LBB147_36
	s_branch .LBB147_37
.LBB147_72:
	s_delay_alu instid0(VALU_DEP_1) | instskip(NEXT) | instid1(VALU_DEP_1)
	v_dual_mov_b32 v27, 0 :: v_dual_add_nc_u32 v26, v25, v11
	v_lshlrev_b64_e32 v[26:27], 1, v[26:27]
	s_wait_kmcnt 0x0
	s_delay_alu instid0(VALU_DEP_1) | instskip(SKIP_1) | instid1(VALU_DEP_2)
	v_add_co_u32 v26, s3, s8, v26
	s_wait_alu 0xf1ff
	v_add_co_ci_u32_e64 v27, null, s9, v27, s3
	global_store_b16 v[26:27], v24, off
	s_wait_alu 0xfffe
	s_or_b32 exec_lo, exec_lo, s5
	s_and_saveexec_b32 s5, s0
	s_cbranch_execz .LBB147_40
.LBB147_73:
	s_delay_alu instid0(VALU_DEP_1) | instskip(NEXT) | instid1(VALU_DEP_1)
	v_dual_mov_b32 v27, 0 :: v_dual_add_nc_u32 v26, v25, v12
	v_lshlrev_b64_e32 v[26:27], 1, v[26:27]
	s_wait_kmcnt 0x0
	s_delay_alu instid0(VALU_DEP_1) | instskip(SKIP_1) | instid1(VALU_DEP_2)
	v_add_co_u32 v26, s3, s8, v26
	s_wait_alu 0xf1ff
	v_add_co_ci_u32_e64 v27, null, s9, v27, s3
	global_store_b16 v[26:27], v23, off
	s_wait_alu 0xfffe
	s_or_b32 exec_lo, exec_lo, s5
	s_and_saveexec_b32 s5, s1
	s_cbranch_execz .LBB147_41
.LBB147_74:
	v_dual_mov_b32 v24, 0 :: v_dual_add_nc_u32 v23, v25, v13
	s_delay_alu instid0(VALU_DEP_1) | instskip(SKIP_1) | instid1(VALU_DEP_1)
	v_lshlrev_b64_e32 v[23:24], 1, v[23:24]
	s_wait_kmcnt 0x0
	v_add_co_u32 v23, s3, s8, v23
	s_wait_alu 0xf1ff
	s_delay_alu instid0(VALU_DEP_2)
	v_add_co_ci_u32_e64 v24, null, s9, v24, s3
	global_store_b16 v[23:24], v22, off
	s_wait_alu 0xfffe
	s_or_b32 exec_lo, exec_lo, s5
	s_and_saveexec_b32 s5, s2
	s_cbranch_execnz .LBB147_42
	s_branch .LBB147_43
.LBB147_75:
	s_delay_alu instid0(VALU_DEP_1) | instskip(NEXT) | instid1(VALU_DEP_1)
	v_dual_mov_b32 v23, 0 :: v_dual_add_nc_u32 v22, v21, v11
	v_lshlrev_b64_e32 v[22:23], 1, v[22:23]
	s_wait_kmcnt 0x0
	s_delay_alu instid0(VALU_DEP_1) | instskip(SKIP_1) | instid1(VALU_DEP_2)
	v_add_co_u32 v22, s3, s8, v22
	s_wait_alu 0xf1ff
	v_add_co_ci_u32_e64 v23, null, s9, v23, s3
	global_store_b16 v[22:23], v20, off
	s_wait_alu 0xfffe
	s_or_b32 exec_lo, exec_lo, s5
	s_and_saveexec_b32 s5, s0
	s_cbranch_execz .LBB147_46
.LBB147_76:
	s_delay_alu instid0(VALU_DEP_1) | instskip(NEXT) | instid1(VALU_DEP_1)
	v_dual_mov_b32 v23, 0 :: v_dual_add_nc_u32 v22, v21, v12
	v_lshlrev_b64_e32 v[22:23], 1, v[22:23]
	s_wait_kmcnt 0x0
	s_delay_alu instid0(VALU_DEP_1) | instskip(SKIP_1) | instid1(VALU_DEP_2)
	v_add_co_u32 v22, s3, s8, v22
	s_wait_alu 0xf1ff
	v_add_co_ci_u32_e64 v23, null, s9, v23, s3
	global_store_b16 v[22:23], v19, off
	s_wait_alu 0xfffe
	s_or_b32 exec_lo, exec_lo, s5
	s_and_saveexec_b32 s5, s1
	s_cbranch_execz .LBB147_47
.LBB147_77:
	v_dual_mov_b32 v20, 0 :: v_dual_add_nc_u32 v19, v21, v13
	s_delay_alu instid0(VALU_DEP_1) | instskip(SKIP_1) | instid1(VALU_DEP_1)
	v_lshlrev_b64_e32 v[19:20], 1, v[19:20]
	s_wait_kmcnt 0x0
	v_add_co_u32 v19, s3, s8, v19
	s_wait_alu 0xf1ff
	s_delay_alu instid0(VALU_DEP_2)
	v_add_co_ci_u32_e64 v20, null, s9, v20, s3
	global_store_b16 v[19:20], v18, off
	s_wait_alu 0xfffe
	s_or_b32 exec_lo, exec_lo, s5
	s_and_saveexec_b32 s5, s2
	s_cbranch_execnz .LBB147_48
	s_branch .LBB147_49
.LBB147_78:
	s_delay_alu instid0(VALU_DEP_1) | instskip(NEXT) | instid1(VALU_DEP_1)
	v_dual_mov_b32 v19, 0 :: v_dual_add_nc_u32 v18, v17, v11
	v_lshlrev_b64_e32 v[18:19], 1, v[18:19]
	s_wait_kmcnt 0x0
	s_delay_alu instid0(VALU_DEP_1) | instskip(SKIP_1) | instid1(VALU_DEP_2)
	v_add_co_u32 v18, s3, s8, v18
	s_wait_alu 0xf1ff
	v_add_co_ci_u32_e64 v19, null, s9, v19, s3
	global_store_b16 v[18:19], v16, off
	s_wait_alu 0xfffe
	s_or_b32 exec_lo, exec_lo, s5
	s_and_saveexec_b32 s5, s0
	s_cbranch_execz .LBB147_52
.LBB147_79:
	s_delay_alu instid0(VALU_DEP_1) | instskip(NEXT) | instid1(VALU_DEP_1)
	v_dual_mov_b32 v19, 0 :: v_dual_add_nc_u32 v18, v17, v12
	v_lshlrev_b64_e32 v[18:19], 1, v[18:19]
	s_wait_kmcnt 0x0
	s_delay_alu instid0(VALU_DEP_1) | instskip(SKIP_1) | instid1(VALU_DEP_2)
	v_add_co_u32 v18, s3, s8, v18
	s_wait_alu 0xf1ff
	v_add_co_ci_u32_e64 v19, null, s9, v19, s3
	global_store_b16 v[18:19], v15, off
	s_wait_alu 0xfffe
	s_or_b32 exec_lo, exec_lo, s5
	s_and_saveexec_b32 s5, s1
	s_cbranch_execz .LBB147_53
.LBB147_80:
	v_dual_mov_b32 v16, 0 :: v_dual_add_nc_u32 v15, v17, v13
	s_delay_alu instid0(VALU_DEP_1) | instskip(SKIP_1) | instid1(VALU_DEP_1)
	v_lshlrev_b64_e32 v[15:16], 1, v[15:16]
	s_wait_kmcnt 0x0
	v_add_co_u32 v15, s3, s8, v15
	s_wait_alu 0xf1ff
	s_delay_alu instid0(VALU_DEP_2)
	v_add_co_ci_u32_e64 v16, null, s9, v16, s3
	global_store_b16 v[15:16], v10, off
	s_wait_alu 0xfffe
	s_or_b32 exec_lo, exec_lo, s5
	s_and_saveexec_b32 s5, s2
	s_cbranch_execnz .LBB147_54
	s_branch .LBB147_55
.LBB147_81:
	s_delay_alu instid0(VALU_DEP_1) | instskip(NEXT) | instid1(VALU_DEP_1)
	v_dual_mov_b32 v16, 0 :: v_dual_add_nc_u32 v15, v9, v11
	v_lshlrev_b64_e32 v[15:16], 1, v[15:16]
	s_wait_kmcnt 0x0
	s_delay_alu instid0(VALU_DEP_1) | instskip(SKIP_1) | instid1(VALU_DEP_2)
	v_add_co_u32 v15, s3, s8, v15
	s_wait_alu 0xf1ff
	v_add_co_ci_u32_e64 v16, null, s9, v16, s3
	global_store_b16 v[15:16], v8, off
	s_wait_alu 0xfffe
	s_or_b32 exec_lo, exec_lo, s5
	s_and_saveexec_b32 s5, s0
	s_cbranch_execz .LBB147_58
.LBB147_82:
	s_delay_alu instid0(VALU_DEP_1) | instskip(NEXT) | instid1(VALU_DEP_1)
	v_dual_mov_b32 v16, 0 :: v_dual_add_nc_u32 v15, v9, v12
	v_lshlrev_b64_e32 v[15:16], 1, v[15:16]
	s_wait_kmcnt 0x0
	s_delay_alu instid0(VALU_DEP_1) | instskip(SKIP_1) | instid1(VALU_DEP_2)
	v_add_co_u32 v15, s3, s8, v15
	s_wait_alu 0xf1ff
	v_add_co_ci_u32_e64 v16, null, s9, v16, s3
	global_store_b16 v[15:16], v7, off
	s_wait_alu 0xfffe
	s_or_b32 exec_lo, exec_lo, s5
	s_and_saveexec_b32 s5, s1
	s_cbranch_execz .LBB147_59
.LBB147_83:
	v_dual_mov_b32 v8, 0 :: v_dual_add_nc_u32 v7, v9, v13
	s_delay_alu instid0(VALU_DEP_1) | instskip(SKIP_1) | instid1(VALU_DEP_1)
	v_lshlrev_b64_e32 v[7:8], 1, v[7:8]
	s_wait_kmcnt 0x0
	v_add_co_u32 v7, s3, s8, v7
	s_wait_alu 0xf1ff
	s_delay_alu instid0(VALU_DEP_2)
	v_add_co_ci_u32_e64 v8, null, s9, v8, s3
	global_store_b16 v[7:8], v6, off
	s_wait_alu 0xfffe
	s_or_b32 exec_lo, exec_lo, s5
	s_and_saveexec_b32 s5, s2
	s_cbranch_execnz .LBB147_60
	s_branch .LBB147_61
.LBB147_84:
	s_delay_alu instid0(VALU_DEP_1) | instskip(NEXT) | instid1(VALU_DEP_1)
	v_dual_mov_b32 v6, 0 :: v_dual_add_nc_u32 v5, v4, v11
	v_lshlrev_b64_e32 v[5:6], 1, v[5:6]
	s_wait_kmcnt 0x0
	s_delay_alu instid0(VALU_DEP_1) | instskip(SKIP_1) | instid1(VALU_DEP_2)
	v_add_co_u32 v5, vcc_lo, s8, v5
	s_wait_alu 0xfffd
	v_add_co_ci_u32_e64 v6, null, s9, v6, vcc_lo
	global_store_d16_hi_b16 v[5:6], v3, off
	s_wait_alu 0xfffe
	s_or_b32 exec_lo, exec_lo, s3
	s_and_saveexec_b32 s3, s0
	s_cbranch_execz .LBB147_64
.LBB147_85:
	s_delay_alu instid0(VALU_DEP_1) | instskip(NEXT) | instid1(VALU_DEP_1)
	v_dual_mov_b32 v6, 0 :: v_dual_add_nc_u32 v5, v4, v12
	v_lshlrev_b64_e32 v[5:6], 1, v[5:6]
	s_wait_kmcnt 0x0
	s_delay_alu instid0(VALU_DEP_1) | instskip(SKIP_1) | instid1(VALU_DEP_2)
	v_add_co_u32 v5, vcc_lo, s8, v5
	s_wait_alu 0xfffd
	v_add_co_ci_u32_e64 v6, null, s9, v6, vcc_lo
	global_store_b16 v[5:6], v2, off
	s_wait_alu 0xfffe
	s_or_b32 exec_lo, exec_lo, s3
	s_and_saveexec_b32 s0, s1
	s_cbranch_execz .LBB147_65
.LBB147_86:
	v_dual_mov_b32 v3, 0 :: v_dual_add_nc_u32 v2, v4, v13
	s_delay_alu instid0(VALU_DEP_1) | instskip(SKIP_1) | instid1(VALU_DEP_1)
	v_lshlrev_b64_e32 v[2:3], 1, v[2:3]
	s_wait_kmcnt 0x0
	v_add_co_u32 v2, vcc_lo, s8, v2
	s_wait_alu 0xfffd
	s_delay_alu instid0(VALU_DEP_2) | instskip(SKIP_3) | instid1(SALU_CYCLE_1)
	v_add_co_ci_u32_e64 v3, null, s9, v3, vcc_lo
	global_store_d16_hi_b16 v[2:3], v1, off
	s_wait_alu 0xfffe
	s_or_b32 exec_lo, exec_lo, s0
	s_and_b32 exec_lo, exec_lo, s2
	s_cbranch_execz .LBB147_15
.LBB147_87:
	v_dual_mov_b32 v2, 0 :: v_dual_add_nc_u32 v1, v4, v14
	s_delay_alu instid0(VALU_DEP_1) | instskip(SKIP_1) | instid1(VALU_DEP_1)
	v_lshlrev_b64_e32 v[1:2], 1, v[1:2]
	s_wait_kmcnt 0x0
	v_add_co_u32 v1, vcc_lo, s8, v1
	s_wait_alu 0xfffd
	s_delay_alu instid0(VALU_DEP_2)
	v_add_co_ci_u32_e64 v2, null, s9, v2, vcc_lo
	global_store_b16 v[1:2], v0, off
	s_nop 0
	s_sendmsg sendmsg(MSG_DEALLOC_VGPRS)
	s_endpgm
	.section	.rodata,"a",@progbits
	.p2align	6, 0x0
	.amdhsa_kernel _ZL12mul_mat_q2_KIN3c104HalfELb0EEvPKvS3_PT_iiiii
		.amdhsa_group_segment_fixed_size 31392
		.amdhsa_private_segment_fixed_size 920
		.amdhsa_kernarg_size 44
		.amdhsa_user_sgpr_count 2
		.amdhsa_user_sgpr_dispatch_ptr 0
		.amdhsa_user_sgpr_queue_ptr 0
		.amdhsa_user_sgpr_kernarg_segment_ptr 1
		.amdhsa_user_sgpr_dispatch_id 0
		.amdhsa_user_sgpr_private_segment_size 0
		.amdhsa_wavefront_size32 1
		.amdhsa_uses_dynamic_stack 0
		.amdhsa_enable_private_segment 1
		.amdhsa_system_sgpr_workgroup_id_x 1
		.amdhsa_system_sgpr_workgroup_id_y 1
		.amdhsa_system_sgpr_workgroup_id_z 0
		.amdhsa_system_sgpr_workgroup_info 0
		.amdhsa_system_vgpr_workitem_id 1
		.amdhsa_next_free_vgpr 256
		.amdhsa_next_free_sgpr 22
		.amdhsa_reserve_vcc 1
		.amdhsa_float_round_mode_32 0
		.amdhsa_float_round_mode_16_64 0
		.amdhsa_float_denorm_mode_32 3
		.amdhsa_float_denorm_mode_16_64 3
		.amdhsa_fp16_overflow 0
		.amdhsa_workgroup_processor_mode 1
		.amdhsa_memory_ordered 1
		.amdhsa_forward_progress 1
		.amdhsa_inst_pref_size 255
		.amdhsa_round_robin_scheduling 0
		.amdhsa_exception_fp_ieee_invalid_op 0
		.amdhsa_exception_fp_denorm_src 0
		.amdhsa_exception_fp_ieee_div_zero 0
		.amdhsa_exception_fp_ieee_overflow 0
		.amdhsa_exception_fp_ieee_underflow 0
		.amdhsa_exception_fp_ieee_inexact 0
		.amdhsa_exception_int_div_zero 0
	.end_amdhsa_kernel
	.section	.text._ZL12mul_mat_q2_KIN3c104HalfELb0EEvPKvS3_PT_iiiii,"axG",@progbits,_ZL12mul_mat_q2_KIN3c104HalfELb0EEvPKvS3_PT_iiiii,comdat
.Lfunc_end147:
	.size	_ZL12mul_mat_q2_KIN3c104HalfELb0EEvPKvS3_PT_iiiii, .Lfunc_end147-_ZL12mul_mat_q2_KIN3c104HalfELb0EEvPKvS3_PT_iiiii
                                        ; -- End function
	.set _ZL12mul_mat_q2_KIN3c104HalfELb0EEvPKvS3_PT_iiiii.num_vgpr, 256
	.set _ZL12mul_mat_q2_KIN3c104HalfELb0EEvPKvS3_PT_iiiii.num_agpr, 0
	.set _ZL12mul_mat_q2_KIN3c104HalfELb0EEvPKvS3_PT_iiiii.numbered_sgpr, 22
	.set _ZL12mul_mat_q2_KIN3c104HalfELb0EEvPKvS3_PT_iiiii.num_named_barrier, 0
	.set _ZL12mul_mat_q2_KIN3c104HalfELb0EEvPKvS3_PT_iiiii.private_seg_size, 920
	.set _ZL12mul_mat_q2_KIN3c104HalfELb0EEvPKvS3_PT_iiiii.uses_vcc, 1
	.set _ZL12mul_mat_q2_KIN3c104HalfELb0EEvPKvS3_PT_iiiii.uses_flat_scratch, 1
	.set _ZL12mul_mat_q2_KIN3c104HalfELb0EEvPKvS3_PT_iiiii.has_dyn_sized_stack, 0
	.set _ZL12mul_mat_q2_KIN3c104HalfELb0EEvPKvS3_PT_iiiii.has_recursion, 0
	.set _ZL12mul_mat_q2_KIN3c104HalfELb0EEvPKvS3_PT_iiiii.has_indirect_call, 0
	.section	.AMDGPU.csdata,"",@progbits
; Kernel info:
; codeLenInByte = 57848
; TotalNumSgprs: 24
; NumVgprs: 256
; ScratchSize: 920
; MemoryBound: 0
; FloatMode: 240
; IeeeMode: 1
; LDSByteSize: 31392 bytes/workgroup (compile time only)
; SGPRBlocks: 0
; VGPRBlocks: 31
; NumSGPRsForWavesPerEU: 24
; NumVGPRsForWavesPerEU: 256
; Occupancy: 5
; WaveLimiterHint : 0
; COMPUTE_PGM_RSRC2:SCRATCH_EN: 1
; COMPUTE_PGM_RSRC2:USER_SGPR: 2
; COMPUTE_PGM_RSRC2:TRAP_HANDLER: 0
; COMPUTE_PGM_RSRC2:TGID_X_EN: 1
; COMPUTE_PGM_RSRC2:TGID_Y_EN: 1
; COMPUTE_PGM_RSRC2:TGID_Z_EN: 0
; COMPUTE_PGM_RSRC2:TIDIG_COMP_CNT: 1
	.section	.text._ZL12mul_mat_q2_KIN3c104HalfELb1EEvPKvS3_PT_iiiii,"axG",@progbits,_ZL12mul_mat_q2_KIN3c104HalfELb1EEvPKvS3_PT_iiiii,comdat
	.globl	_ZL12mul_mat_q2_KIN3c104HalfELb1EEvPKvS3_PT_iiiii ; -- Begin function _ZL12mul_mat_q2_KIN3c104HalfELb1EEvPKvS3_PT_iiiii
	.p2align	8
	.type	_ZL12mul_mat_q2_KIN3c104HalfELb1EEvPKvS3_PT_iiiii,@function
_ZL12mul_mat_q2_KIN3c104HalfELb1EEvPKvS3_PT_iiiii: ; @_ZL12mul_mat_q2_KIN3c104HalfELb1EEvPKvS3_PT_iiiii
; %bb.0:
	s_clause 0x1
	s_load_b128 s[4:7], s[0:1], 0x18
	s_load_b32 s14, s[0:1], 0x28
	v_bfe_u32 v2, v0, 10, 10
	v_and_b32_e32 v1, 0x3ff, v0
	s_lshl_b32 s15, ttmp7, 6
	scratch_store_b32 off, v1, off offset:708 ; 4-byte Folded Spill
	s_wait_kmcnt 0x0
	s_cmp_gt_i32 s4, 0xff
	s_cbranch_scc1 .LBB148_2
; %bb.1:
	v_bfe_u32 v4, v0, 10, 10
	v_and_b32_e32 v11, 0x3ff, v0
	s_mov_b32 s2, 0
	s_delay_alu instid0(VALU_DEP_2)
	v_add_nc_u32_e32 v1, s15, v4
	s_branch .LBB148_3
.LBB148_2:
	s_mov_b32 s2, -1
                                        ; implicit-def: $vgpr4
                                        ; implicit-def: $vgpr11
                                        ; implicit-def: $vgpr1
.LBB148_3:
	s_load_b64 s[8:9], s[0:1], 0x10
	s_lshl_b32 s16, ttmp9, 7
	s_and_not1_b32 vcc_lo, exec_lo, s2
	s_mov_b32 s11, 0
	s_cbranch_vccnz .LBB148_14
; %bb.4:
	v_dual_mov_b32 v35, v2 :: v_dual_and_b32 v36, 0x3ff, v0
	s_ashr_i32 s10, s4, 31
	v_mov_b32_e32 v37, 0
	s_lshr_b32 s10, s10, 24
	s_ashr_i32 s12, s7, 31
	v_add_nc_u32_e32 v20, 8, v35
	v_lshlrev_b32_e32 v1, 2, v36
	s_add_co_i32 s4, s4, s10
	s_not_b32 s10, s16
	s_ashr_i32 s17, s4, 8
	s_add_co_i32 s5, s5, s10
	v_dual_mov_b32 v44, v37 :: v_dual_and_b32 v3, 60, v1
	v_min_i32_e32 v2, s5, v35
	v_and_b32_e32 v34, 12, v1
	v_add_nc_u32_e32 v21, 16, v35
	v_dual_mov_b32 v88, v37 :: v_dual_add_nc_u32 v15, s15, v35
	s_delay_alu instid0(VALU_DEP_4)
	v_mad_co_u64_u32 v[4:5], null, 0x84, v2, v[1:2]
	s_clause 0x1
	scratch_store_b32 off, v3, off offset:788
	scratch_store_b32 off, v15, off offset:1044
	v_mul_lo_u32 v3, v2, s17
	v_min_i32_e32 v2, s5, v21
	v_dual_mov_b32 v71, v37 :: v_dual_add_nc_u32 v22, 24, v35
	scratch_store_b64 off, v[4:5], off offset:796 ; 8-byte Folded Spill
	v_dual_mov_b32 v58, v37 :: v_dual_add_nc_u32 v23, 32, v35
	v_dual_mov_b32 v67, v37 :: v_dual_add_nc_u32 v24, 40, v35
	s_clause 0x1
	scratch_store_b32 off, v3, off offset:792
	scratch_store_b32 off, v34, off offset:996
	v_min_i32_e32 v3, s5, v20
	v_dual_mov_b32 v80, v37 :: v_dual_add_nc_u32 v25, 48, v35
	v_dual_mov_b32 v63, v37 :: v_dual_add_nc_u32 v26, 56, v35
	s_delay_alu instid0(VALU_DEP_3)
	v_mul_lo_u32 v4, v3, s17
	s_lshr_b32 s4, s12, 27
	v_add_nc_u32_e32 v18, 0x68, v35
	s_wait_alu 0xfffe
	s_add_co_i32 s4, s7, s4
	s_add_co_i32 s7, s6, -1
	v_dual_mov_b32 v79, v37 :: v_dual_add_nc_u32 v8, 16, v15
	v_dual_mov_b32 v73, v37 :: v_dual_add_nc_u32 v10, 24, v15
	scratch_store_b32 off, v4, off offset:804 ; 4-byte Folded Spill
	v_mad_co_u64_u32 v[3:4], null, 0x84, v3, v[1:2]
	v_dual_mov_b32 v91, v37 :: v_dual_add_nc_u32 v12, 32, v15
	v_dual_mov_b32 v87, v37 :: v_dual_add_nc_u32 v14, 40, v15
	;; [unrolled: 1-line block ×3, first 2 shown]
	scratch_store_b64 off, v[3:4], off offset:808 ; 8-byte Folded Spill
	v_mul_lo_u32 v3, v2, s17
	v_mad_co_u64_u32 v[4:5], null, 0x84, v2, v[1:2]
	v_dual_mov_b32 v84, v37 :: v_dual_add_nc_u32 v19, 56, v15
	v_min_i32_e32 v29, s5, v18
	v_cvt_f64_u32_e32 v[8:9], v8
	v_cvt_f64_u32_e32 v[10:11], v10
	scratch_store_b32 off, v3, off offset:816 ; 4-byte Folded Spill
	v_min_i32_e32 v3, s5, v22
	v_cvt_f64_u32_e32 v[12:13], v12
	v_cvt_f64_u32_e32 v[18:19], v19
	v_dual_mov_b32 v83, v37 :: v_dual_add_nc_u32 v30, 0x70, v35
	s_delay_alu instid0(VALU_DEP_4)
	v_mul_lo_u32 v2, v3, s17
	scratch_store_b64 off, v[4:5], off offset:820 ; 8-byte Folded Spill
	v_bfe_u32 v40, v0, 2, 8
	s_wait_alu 0xfffe
	s_ashr_i32 s4, s4, 5
	s_load_b128 s[0:3], s[0:1], 0x0
	v_lshlrev_b32_e32 v129, 5, v20
	v_bfe_u32 v39, v0, 4, 6
	v_lshlrev_b32_e32 v41, 5, v35
	scratch_store_b32 off, v2, off offset:828 ; 4-byte Folded Spill
	v_min_i32_e32 v2, s5, v23
	s_mul_i32 s12, s17, s16
	v_lshlrev_b32_e32 v49, 5, v26
	s_ashr_i32 s13, s12, 31
	v_mul_u32_u24_e32 v42, 0x84, v36
	v_mad_co_u64_u32 v[3:4], null, 0x84, v3, v[1:2]
	v_lshlrev_b32_e32 v43, 5, v36
	s_mul_u64 s[12:13], s[12:13], 0x54
	s_mov_b32 s10, s11
	v_mov_b32_e32 v78, v37
	v_dual_mov_b32 v70, v37 :: v_dual_mov_b32 v61, v37
	scratch_store_b64 off, v[3:4], off offset:832 ; 8-byte Folded Spill
	v_mul_lo_u32 v4, v2, s17
	v_min_i32_e32 v3, s5, v24
	s_wait_kmcnt 0x0
	s_add_nc_u64 s[0:1], s[0:1], s[12:13]
	v_dual_mov_b32 v65, v37 :: v_dual_mov_b32 v62, v37
	v_mov_b32_e32 v89, v37
	v_mov_b32_e32 v85, v37
	;; [unrolled: 1-line block ×3, first 2 shown]
	scratch_store_b32 off, v4, off offset:840 ; 4-byte Folded Spill
	v_mad_co_u64_u32 v[4:5], null, 0x84, v2, v[1:2]
	v_mul_lo_u32 v2, v3, s17
	v_mov_b32_e32 v60, v37
	v_mov_b32_e32 v64, v37
	;; [unrolled: 1-line block ×3, first 2 shown]
	s_clause 0x2
	scratch_store_b32 off, v35, off offset:1048
	scratch_store_b64 off, v[4:5], off offset:844
	scratch_store_b32 off, v2, off offset:852
	v_min_i32_e32 v2, s5, v25
	s_delay_alu instid0(VALU_DEP_1)
	v_mad_co_u64_u32 v[3:4], null, 0x84, v3, v[1:2]
	v_mad_co_u64_u32 v[5:6], null, 0x84, v2, v[1:2]
	scratch_store_b64 off, v[3:4], off offset:856 ; 8-byte Folded Spill
	v_mul_lo_u32 v4, v2, s17
	v_add_nc_u32_e32 v3, 64, v35
	scratch_store_b64 off, v[5:6], off offset:868 ; 8-byte Folded Spill
	v_min_i32_e32 v2, s5, v3
	v_add_nc_u32_e32 v3, 0x48, v35
	scratch_store_b32 off, v4, off offset:864 ; 4-byte Folded Spill
	v_min_i32_e32 v4, s5, v26
	v_min_i32_e32 v3, s5, v3
	s_delay_alu instid0(VALU_DEP_2)
	v_mul_lo_u32 v5, v4, s17
	scratch_store_b32 off, v5, off offset:876 ; 4-byte Folded Spill
	v_mad_co_u64_u32 v[4:5], null, 0x84, v4, v[1:2]
	scratch_store_b64 off, v[4:5], off offset:880 ; 8-byte Folded Spill
	v_mul_lo_u32 v4, v2, s17
	v_mad_co_u64_u32 v[5:6], null, 0x84, v2, v[1:2]
	v_add_nc_u32_e32 v2, 0x58, v35
	s_clause 0x1
	scratch_store_b32 off, v4, off offset:888
	scratch_store_b64 off, v[5:6], off offset:892
	v_mul_lo_u32 v5, v3, s17
	v_add_nc_u32_e32 v4, 0x50, v35
	s_delay_alu instid0(VALU_DEP_1)
	v_min_i32_e32 v4, s5, v4
	scratch_store_b32 off, v5, off offset:900 ; 4-byte Folded Spill
	v_mad_co_u64_u32 v[5:6], null, 0x84, v3, v[1:2]
	v_min_i32_e32 v2, s5, v2
	v_add_nc_u32_e32 v3, 0x60, v35
	scratch_store_b64 off, v[5:6], off offset:904 ; 8-byte Folded Spill
	v_mul_lo_u32 v5, v4, s17
	v_min_i32_e32 v27, s5, v3
	v_bfe_u32 v3, v0, 1, 9
	v_add_nc_u32_e32 v6, 8, v15
	s_delay_alu instid0(VALU_DEP_2)
	v_lshl_add_u32 v16, v35, 4, v3
	scratch_store_b32 off, v5, off offset:912 ; 4-byte Folded Spill
	v_mad_co_u64_u32 v[4:5], null, 0x84, v4, v[1:2]
	v_cvt_f64_u32_e32 v[6:7], v6
	v_and_b32_e32 v28, 0x7f, v16
	v_cvt_f64_u32_e32 v[16:17], v17
	scratch_store_b64 off, v[4:5], off offset:916 ; 8-byte Folded Spill
	v_mul_lo_u32 v4, v2, s17
	v_min_i32_e32 v28, s5, v28
	scratch_store_b32 off, v4, off offset:924 ; 4-byte Folded Spill
	v_mad_co_u64_u32 v[4:5], null, 0x84, v2, v[1:2]
	v_mul_lo_u32 v2, v27, s17
	scratch_store_b64 off, v[4:5], off offset:928 ; 8-byte Folded Spill
	v_cvt_f64_u32_e32 v[4:5], v15
	scratch_store_b32 off, v2, off offset:936 ; 4-byte Folded Spill
	v_cvt_f64_i32_e32 v[2:3], s7
	v_cvt_f64_u32_e32 v[14:15], v14
	s_delay_alu instid0(VALU_DEP_2) | instskip(SKIP_1) | instid1(VALU_DEP_4)
	v_mad_co_u64_u32 v[31:32], null, 0x84, v27, v[1:2]
	v_mul_lo_u32 v27, v29, s17
	v_min_num_f64_e32 v[4:5], v[4:5], v[2:3]
	v_min_num_f64_e32 v[6:7], v[6:7], v[2:3]
	;; [unrolled: 1-line block ×5, first 2 shown]
	scratch_store_b64 off, v[31:32], off offset:940 ; 8-byte Folded Spill
	v_mad_co_u64_u32 v[32:33], null, 0x84, v29, v[1:2]
	scratch_store_b32 off, v27, off offset:948 ; 4-byte Folded Spill
	v_min_i32_e32 v27, s5, v30
	v_add_nc_u32_e32 v30, 0x78, v35
	v_ashrrev_i32_e32 v31, 31, v28
	v_min_num_f64_e32 v[14:15], v[14:15], v[2:3]
	v_min_num_f64_e32 v[16:17], v[16:17], v[2:3]
	v_mul_lo_u32 v29, v27, s17
	scratch_store_b64 off, v[32:33], off offset:952 ; 8-byte Folded Spill
	v_mad_co_u64_u32 v[32:33], null, 0x84, v27, v[1:2]
	scratch_store_b32 off, v29, off offset:960 ; 4-byte Folded Spill
	v_min_i32_e32 v29, s5, v30
	v_lshrrev_b32_e32 v30, 28, v31
	v_bfe_u32 v31, v0, 3, 7
	s_delay_alu instid0(VALU_DEP_3)
	v_mul_lo_u32 v27, v29, s17
	s_clause 0x1
	scratch_store_b64 off, v[32:33], off offset:964
	scratch_store_b32 off, v27, off offset:972
	v_add_nc_u32_e32 v27, v28, v30
	v_lshl_add_u32 v30, v35, 2, v31
	v_mad_co_u64_u32 v[31:32], null, 0x84, v29, v[1:2]
	v_min_num_f64_e32 v[2:3], v[18:19], v[2:3]
	s_delay_alu instid0(VALU_DEP_4) | instskip(NEXT) | instid1(VALU_DEP_4)
	v_ashrrev_i32_e32 v27, 4, v27
	v_min_i32_e32 v29, s5, v30
	v_add_nc_u32_e32 v33, 32, v30
	v_and_b32_e32 v18, 7, v0
	v_cvt_i32_f64_e32 v4, v[4:5]
	v_lshlrev_b32_e32 v27, 2, v27
	v_mul_lo_u32 v34, v29, s17
	scratch_store_b64 off, v[31:32], off offset:976 ; 8-byte Folded Spill
	v_mul_lo_u32 v31, v28, s17
	v_and_b32_e32 v32, 1, v0
	v_cmp_lt_u32_e32 vcc_lo, 3, v18
	v_cvt_i32_f64_e32 v6, v[6:7]
	v_cvt_i32_f64_e32 v10, v[10:11]
	;; [unrolled: 1-line block ×3, first 2 shown]
	scratch_store_b32 off, v32, off offset:984 ; 4-byte Folded Spill
	v_lshlrev_b32_e32 v32, 2, v32
	scratch_store_b32 off, v31, off offset:988 ; 4-byte Folded Spill
	v_cvt_i32_f64_e32 v12, v[14:15]
	v_ashrrev_i32_e32 v31, 31, v29
	v_cvt_i32_f64_e32 v13, v[16:17]
	v_add3_u32 v19, v27, v32, 0x7280
	v_min_i32_e32 v27, s5, v33
	v_add_nc_u32_e32 v33, 64, v30
	v_add_nc_u32_e32 v30, 0x60, v30
	v_cndmask_b32_e64 v32, 0, 1, vcc_lo
	v_lshrrev_b32_e32 v31, 30, v31
	v_cvt_i32_f64_e32 v8, v[8:9]
	v_min_i32_e32 v33, s5, v33
	v_min_i32_e32 v30, s5, v30
	v_lshlrev_b32_e32 v18, 2, v18
	v_add_nc_u32_e32 v31, v29, v31
	v_mul_lo_u32 v38, v27, s17
	v_mul_lo_u32 v15, v33, s17
	scratch_store_b32 off, v32, off offset:992 ; 4-byte Folded Spill
	v_ashrrev_i32_e32 v32, 31, v27
	v_ashrrev_i32_e32 v7, 31, v30
	v_mul_lo_u32 v17, v30, s17
	v_cvt_i32_f64_e32 v3, v[2:3]
	scratch_store_b32 off, v34, off offset:1000 ; 4-byte Folded Spill
	v_ashrrev_i32_e32 v34, 31, v33
	v_lshrrev_b32_e32 v32, 30, v32
	v_lshrrev_b32_e32 v7, 30, v7
	v_and_b32_e32 v31, -4, v31
	scratch_store_b32 off, v15, off offset:1008 ; 4-byte Folded Spill
	v_lshrrev_b32_e32 v5, 30, v34
	v_add_nc_u32_e32 v32, v27, v32
	v_add_nc_u32_e32 v2, v30, v7
	v_lshl_add_u32 v7, v35, 3, v40
	v_add3_u32 v31, v31, v18, 0x6200
	v_add_nc_u32_e32 v5, v33, v5
	v_and_b32_e32 v32, -4, v32
	v_and_b32_e32 v15, -4, v2
	v_and_b32_e32 v7, 63, v7
	v_and_b32_e32 v2, 3, v0
	v_and_b32_e32 v5, -4, v5
	v_add3_u32 v9, v32, v18, 0x6200
	scratch_store_b32 off, v17, off offset:1012 ; 4-byte Folded Spill
	v_add3_u32 v15, v15, v18, 0x6200
	v_or_b32_e32 v17, s15, v7
	v_add3_u32 v5, v5, v18, 0x6200
	v_lshlrev_b32_e32 v18, 2, v2
	v_lshlrev_b32_e32 v28, 3, v28
	;; [unrolled: 1-line block ×3, first 2 shown]
	v_min_i32_e32 v17, s7, v17
	v_lshlrev_b32_e32 v14, 5, v27
	v_lshl_or_b32 v7, v7, 4, v18
	v_lshlrev_b32_e32 v16, 5, v33
	v_and_b32_e32 v0, 31, v0
	v_lshlrev_b32_e32 v27, 5, v30
	s_delay_alu instid0(VALU_DEP_2)
	v_lshl_or_b32 v0, v0, 2, 0x4200
	v_mad_co_u64_u32 v[17:18], null, v17, s4, v[2:3]
	v_add_nc_u32_e32 v2, 0x76a0, v7
	v_mul_lo_u32 v7, s4, v10
	v_mul_lo_u32 v10, s4, v12
	;; [unrolled: 1-line block ×3, first 2 shown]
	v_lshlrev_b32_e32 v12, 7, v26
	scratch_store_b32 off, v2, off offset:712 ; 4-byte Folded Spill
	v_mul_lo_u32 v2, s4, v4
	v_mul_lo_u32 v4, s4, v6
	;; [unrolled: 1-line block ×5, first 2 shown]
	v_add_nc_u32_e32 v13, 64, v36
	scratch_store_b32 off, v4, off offset:720 ; 4-byte Folded Spill
	v_lshlrev_b32_e32 v4, 7, v20
	v_lshlrev_b32_e32 v20, 5, v22
	scratch_store_b32 off, v2, off offset:716 ; 4-byte Folded Spill
	v_lshlrev_b32_e32 v2, 7, v35
	v_lshrrev_b32_e32 v32, 2, v13
	v_lshrrev_b32_e32 v33, 4, v13
	scratch_store_b32 off, v20, off offset:148 ; 4-byte Folded Spill
	v_lshlrev_b32_e32 v20, 5, v23
	s_clause 0x1
	scratch_store_b32 off, v38, off offset:1004
	scratch_store_b32 off, v6, off offset:724
	v_dual_mov_b32 v38, v37 :: v_dual_and_b32 v1, 28, v1
	scratch_store_b32 off, v20, off offset:152 ; 4-byte Folded Spill
	v_lshlrev_b32_e32 v20, 5, v24
	s_clause 0x1
	scratch_store_b64 off, v[17:18], off offset:1016
	scratch_store_b32 off, v7, off offset:728
	v_lshlrev_b32_e32 v6, 7, v21
	v_lshlrev_b32_e32 v7, 7, v22
	scratch_store_b32 off, v20, off offset:156 ; 4-byte Folded Spill
	v_lshlrev_b32_e32 v20, 5, v25
	scratch_store_b32 off, v8, off offset:732 ; 4-byte Folded Spill
	v_lshlrev_b32_e32 v8, 7, v23
	v_dual_mov_b32 v82, v38 :: v_dual_add_nc_u32 v17, 0x60, v36
	scratch_store_b32 off, v20, off offset:160 ; 4-byte Folded Spill
	v_add_co_u32 v20, s4, s2, v1
	v_add_nc_u32_e32 v1, v19, v28
	v_lshrrev_b32_e32 v34, 2, v17
	v_lshrrev_b32_e32 v35, 4, v17
	v_dual_mov_b32 v75, v38 :: v_dual_lshlrev_b32 v72, 3, v13
	scratch_store_b32 off, v1, off offset:1024 ; 4-byte Folded Spill
	v_add_nc_u32_e32 v1, v31, v29
	v_lshlrev_b32_e32 v50, 5, v17
	v_lshlrev_b32_e32 v51, 3, v17
	;; [unrolled: 1-line block ×4, first 2 shown]
	scratch_store_b32 off, v1, off offset:1028 ; 4-byte Folded Spill
	v_add_nc_u32_e32 v1, v9, v14
	v_lshlrev_b32_e32 v48, 2, v34
	v_dual_mov_b32 v35, v37 :: v_dual_lshlrev_b32 v76, 2, v35
	v_mov_b32_e32 v81, v37
	scratch_store_b32 off, v1, off offset:1032 ; 4-byte Folded Spill
	v_add_nc_u32_e32 v1, v5, v16
	v_mov_b32_e32 v74, v37
	scratch_store_b32 off, v1, off offset:1036 ; 4-byte Folded Spill
	v_add_nc_u32_e32 v1, v15, v27
	scratch_store_b32 off, v1, off offset:1040 ; 4-byte Folded Spill
	v_add_nc_u32_e32 v1, v0, v2
	scratch_store_b32 off, v10, off offset:736 ; 4-byte Folded Spill
	v_lshlrev_b32_e32 v10, 7, v24
	scratch_store_b32 off, v1, off offset:756 ; 4-byte Folded Spill
	v_add_nc_u32_e32 v1, v0, v4
	scratch_store_b32 off, v11, off offset:740 ; 4-byte Folded Spill
	v_lshlrev_b32_e32 v11, 7, v25
	scratch_store_b32 off, v1, off offset:760 ; 4-byte Folded Spill
	v_add_nc_u32_e32 v1, v0, v6
	scratch_store_b32 off, v3, off offset:744 ; 4-byte Folded Spill
	v_add_nc_u32_e32 v3, 32, v36
	v_lshlrev_b32_e32 v36, 3, v36
	scratch_store_b32 off, v1, off offset:764 ; 4-byte Folded Spill
	v_add_nc_u32_e32 v1, v0, v7
	v_lshrrev_b32_e32 v18, 2, v3
	v_lshrrev_b32_e32 v30, 4, v3
	v_lshlrev_b32_e32 v46, 5, v3
	v_lshlrev_b32_e32 v54, 3, v3
	scratch_store_b32 off, v1, off offset:768 ; 4-byte Folded Spill
	v_add_nc_u32_e32 v1, v0, v8
	v_lshlrev_b32_e32 v3, 5, v13
	v_lshlrev_b32_e32 v56, 2, v18
	;; [unrolled: 1-line block ×3, first 2 shown]
	scratch_store_b32 off, v1, off offset:772 ; 4-byte Folded Spill
	v_add_nc_u32_e32 v1, v0, v10
	scratch_store_b32 off, v1, off offset:776 ; 4-byte Folded Spill
	v_add_nc_u32_e32 v1, v0, v11
	v_add_nc_u32_e32 v0, v0, v12
	s_clause 0x1
	scratch_store_b32 off, v1, off offset:780
	scratch_store_b32 off, v0, off offset:784
	v_dual_mov_b32 v0, v37 :: v_dual_lshlrev_b32 v47, 5, v21
	s_wait_alu 0xf1ff
	v_add_co_ci_u32_e64 v21, null, s3, 0, s4
	s_clause 0x16
	scratch_store_b32 off, v3, off offset:188
	scratch_store_b32 off, v0, off offset:88
	scratch_store_b64 off, v[20:21], off offset:748
	scratch_store_b32 off, v39, off offset:696
	scratch_store_b32 off, v40, off offset:700
	scratch_store_b32 off, v41, off offset:136
	scratch_store_b32 off, v129, off offset:140
	scratch_store_b32 off, v47, off offset:144
	scratch_store_b32 off, v49, off offset:164
	scratch_store_b32 off, v42, off offset:168
	scratch_store_b32 off, v43, off offset:172
	scratch_store_b32 off, v36, off offset:176
	scratch_store_b32 off, v46, off offset:180
	scratch_store_b32 off, v54, off offset:184
	scratch_store_b32 off, v72, off offset:192
	scratch_store_b32 off, v50, off offset:196
	scratch_store_b32 off, v51, off offset:200
	scratch_store_b32 off, v56, off offset:204
	scratch_store_b32 off, v68, off offset:208
	scratch_store_b32 off, v69, off offset:212
	scratch_store_b32 off, v146, off offset:216
	scratch_store_b32 off, v48, off offset:220
	scratch_store_b32 off, v76, off offset:224
	s_branch .LBB148_6
.LBB148_5:                              ;   in Loop: Header=BB148_6 Depth=1
	s_add_co_i32 s10, s10, 2
	s_delay_alu instid0(SALU_CYCLE_1)
	s_cmp_ge_i32 s10, s17
	s_cbranch_scc1 .LBB148_16
.LBB148_6:                              ; =>This Loop Header: Depth=1
                                        ;     Child Loop BB148_8 Depth 2
                                        ;       Child Loop BB148_10 Depth 3
                                        ;       Child Loop BB148_12 Depth 3
	s_clause 0x9
	scratch_load_b32 v2, off, off offset:792
	scratch_load_b32 v4, off, off offset:804
	;; [unrolled: 1-line block ×10, first 2 shown]
	s_mul_u64 s[4:5], s[10:11], 0x54
	s_wait_alu 0xfffe
	s_add_nc_u64 s[4:5], s[0:1], s[4:5]
	s_wait_loadcnt 0x1f
	s_wait_alu 0xfffe
	v_mad_co_u64_u32 v[0:1], null, 0x54, v39, s[4:5]
	s_wait_loadcnt 0x9
	s_delay_alu instid0(VALU_DEP_1)
	v_mad_co_i64_i32 v[2:3], null, 0x54, v2, v[0:1]
	s_wait_loadcnt 0x8
	v_mad_co_i64_i32 v[4:5], null, 0x54, v4, v[0:1]
	s_wait_loadcnt 0x7
	;; [unrolled: 2-line block ×4, first 2 shown]
	v_add_co_u32 v2, vcc_lo, v2, v20
	v_mad_co_i64_i32 v[10:11], null, 0x54, v10, v[0:1]
	s_wait_alu 0xfffd
	v_add_co_ci_u32_e64 v3, null, 0, v3, vcc_lo
	v_add_co_u32 v4, vcc_lo, v4, v20
	v_mad_co_i64_i32 v[12:13], null, 0x54, v12, v[0:1]
	s_wait_alu 0xfffd
	v_add_co_ci_u32_e64 v5, null, 0, v5, vcc_lo
	;; [unrolled: 4-line block ×3, first 2 shown]
	v_add_co_u32 v8, vcc_lo, v8, v20
	s_wait_loadcnt 0x1
	v_mad_co_i64_i32 v[16:17], null, 0x54, v16, v[0:1]
	s_wait_alu 0xfffd
	v_add_co_ci_u32_e64 v9, null, 0, v9, vcc_lo
	v_add_co_u32 v10, vcc_lo, v10, v20
	s_wait_loadcnt 0x0
	v_mad_co_i64_i32 v[18:19], null, 0x54, v18, v[0:1]
	s_wait_alu 0xfffd
	v_add_co_ci_u32_e64 v11, null, 0, v11, vcc_lo
	v_add_co_u32 v12, vcc_lo, v12, v20
	s_wait_alu 0xfffd
	v_add_co_ci_u32_e64 v13, null, 0, v13, vcc_lo
	v_add_co_u32 v14, vcc_lo, v14, v20
	;; [unrolled: 3-line block ×3, first 2 shown]
	s_wait_alu 0xfffd
	v_add_co_ci_u32_e64 v17, null, 0, v17, vcc_lo
	s_clause 0x7
	global_load_b32 v26, v[2:3], off offset:16
	global_load_b32 v27, v[4:5], off offset:16
	;; [unrolled: 1-line block ×8, first 2 shown]
	scratch_load_b32 v2, off, off offset:900 ; 4-byte Folded Reload
	v_add_co_u32 v4, vcc_lo, v18, v20
	s_clause 0x7
	scratch_load_b32 v6, off, off offset:912
	scratch_load_b32 v8, off, off offset:924
	scratch_load_b32 v10, off, off offset:936
	scratch_load_b32 v12, off, off offset:948
	scratch_load_b32 v14, off, off offset:960
	scratch_load_b32 v16, off, off offset:992
	scratch_load_b32 v22, off, off offset:1004
	scratch_load_b32 v18, off, off offset:972
	s_wait_alu 0xfffd
	v_add_co_ci_u32_e64 v5, null, 0, v19, vcc_lo
	s_clause 0x2
	scratch_load_b32 v21, off, off offset:996
	scratch_load_b32 v24, off, off offset:1008
	scratch_load_b32 v34, off, off offset:1012
	s_wait_loadcnt 0xb
	v_mad_co_i64_i32 v[2:3], null, 0x54, v2, v[0:1]
	s_wait_loadcnt 0xa
	v_mad_co_i64_i32 v[6:7], null, 0x54, v6, v[0:1]
	;; [unrolled: 2-line block ×7, first 2 shown]
	scratch_load_b32 v18, off, off offset:988 ; 4-byte Folded Reload
	v_add_co_u32 v2, vcc_lo, v2, v20
	s_wait_alu 0xfffd
	v_add_co_ci_u32_e64 v3, null, 0, v3, vcc_lo
	v_add_co_u32 v6, vcc_lo, v6, v20
	s_wait_alu 0xfffd
	v_add_co_ci_u32_e64 v7, null, 0, v7, vcc_lo
	v_add_co_u32 v8, vcc_lo, v8, v20
	v_mad_co_u64_u32 v[16:17], null, 0x54, v16, s[4:5]
	s_wait_alu 0xfffd
	v_add_co_ci_u32_e64 v9, null, 0, v9, vcc_lo
	v_add_co_u32 v10, vcc_lo, v10, v20
	s_wait_alu 0xfffd
	v_add_co_ci_u32_e64 v11, null, 0, v11, vcc_lo
	v_add_co_u32 v12, vcc_lo, v12, v20
	;; [unrolled: 3-line block ×3, first 2 shown]
	s_wait_alu 0xfffd
	v_add_co_ci_u32_e64 v15, null, 0, v15, vcc_lo
	s_wait_loadcnt 0x3
	v_add_co_u32 v16, vcc_lo, v16, v21
	s_wait_alu 0xfffd
	v_add_co_ci_u32_e64 v17, null, 0, v17, vcc_lo
	v_add_co_u32 v0, vcc_lo, v0, v20
	scratch_load_b32 v20, off, off offset:984 ; 4-byte Folded Reload
	s_wait_alu 0xfffd
	v_add_co_ci_u32_e64 v1, null, 0, v1, vcc_lo
	v_mad_co_i64_i32 v[22:23], null, 0x54, v22, v[16:17]
	s_wait_loadcnt 0x3
	v_mad_co_i64_i32 v[24:25], null, 0x54, v24, v[16:17]
	s_wait_loadcnt 0x1
	v_mad_co_i64_i32 v[18:19], null, 0x54, v18, s[4:5]
	s_lshl_b32 s4, s10, 3
	s_mov_b32 s5, 0
	s_wait_loadcnt 0x0
	v_mad_co_u64_u32 v[18:19], null, 0x54, v20, v[18:19]
	scratch_load_b32 v20, off, off offset:1000 ; 4-byte Folded Reload
	s_wait_loadcnt 0x0
	v_mad_co_i64_i32 v[20:21], null, 0x54, v20, v[16:17]
	v_mad_co_i64_i32 v[16:17], null, 0x54, v34, v[16:17]
	s_clause 0xc
	global_load_b32 v4, v[4:5], off offset:16
	global_load_b32 v2, v[2:3], off offset:16
	;; [unrolled: 1-line block ×9, first 2 shown]
	global_load_b32 v9, v[20:21], off
	global_load_b32 v10, v[22:23], off
	;; [unrolled: 1-line block ×4, first 2 shown]
	scratch_load_b64 v[13:14], off, off offset:1016 ; 8-byte Folded Reload
	s_wait_loadcnt 0x0
	s_wait_alu 0xfffe
	v_add_nc_u32_e32 v13, s4, v13
	scratch_store_b32 off, v13, off offset:704 ; 4-byte Folded Spill
	scratch_load_b64 v[13:14], off, off offset:796 ; 8-byte Folded Reload
	s_wait_loadcnt 0x0
	ds_store_b32 v13, v26
	scratch_load_b64 v[13:14], off, off offset:808 ; 8-byte Folded Reload
	s_wait_loadcnt 0x0
	ds_store_b32 v13, v27
	;; [unrolled: 3-line block ×16, first 2 shown]
	scratch_load_b32 v0, off, off offset:1024 ; 4-byte Folded Reload
	s_wait_loadcnt 0x0
	ds_store_b32 v0, v1
	scratch_load_b32 v0, off, off offset:1028 ; 4-byte Folded Reload
	s_wait_loadcnt 0x0
	ds_store_b32 v0, v9
	;; [unrolled: 3-line block ×5, first 2 shown]
	s_branch .LBB148_8
.LBB148_7:                              ;   in Loop: Header=BB148_8 Depth=2
                                        ; implicit-def: $sgpr5
	s_wait_alu 0xfffe
	s_and_b32 vcc_lo, exec_lo, s7
	s_wait_alu 0xfffe
	s_cbranch_vccnz .LBB148_5
.LBB148_8:                              ;   Parent Loop BB148_6 Depth=1
                                        ; =>  This Loop Header: Depth=2
                                        ;       Child Loop BB148_10 Depth 3
                                        ;       Child Loop BB148_12 Depth 3
	s_lshr_b32 s7, s5, 1
	s_wait_alu 0xfffe
	s_or_b32 s7, s7, s10
	s_wait_alu 0xfffe
	s_cmp_lt_i32 s7, s17
	s_mov_b32 s7, -1
	s_cbranch_scc0 .LBB148_7
; %bb.9:                                ;   in Loop: Header=BB148_8 Depth=2
	s_clause 0x3
	scratch_load_b32 v0, off, off offset:708
	scratch_load_b32 v2, off, off offset:720
	scratch_load_b64 v[17:18], off, off offset:748
	scratch_load_b32 v1, off, off offset:704
	s_or_b32 s12, s5, 1
	s_lshl_b32 s13, s5, 3
	s_wait_alu 0xfffe
	s_lshl_b32 s7, s12, 3
	scratch_load_b32 v3, off, off offset:724 ; 4-byte Folded Reload
	s_wait_loadcnt 0x4
	v_lshl_add_u32 v0, s5, 5, v0
	s_wait_loadcnt 0x1
	v_lshl_add_u32 v8, s5, 2, v1
	scratch_load_b32 v1, off, off offset:716 ; 4-byte Folded Reload
	v_lshrrev_b32_e32 v0, 3, v0
	v_mad_co_u64_u32 v[8:9], null, v8, 36, s[2:3]
	s_delay_alu instid0(VALU_DEP_2) | instskip(NEXT) | instid1(VALU_DEP_1)
	v_add_nc_u32_e32 v0, s4, v0
	v_add_nc_u32_e32 v2, v0, v2
	s_wait_loadcnt 0x1
	v_add_nc_u32_e32 v4, v0, v3
	scratch_load_b32 v3, off, off offset:728 ; 4-byte Folded Reload
	v_mad_co_i64_i32 v[4:5], null, v4, 36, v[17:18]
	s_wait_loadcnt 0x1
	v_add_nc_u32_e32 v1, v0, v1
	s_wait_loadcnt 0x0
	v_add_nc_u32_e32 v6, v0, v3
	scratch_load_b32 v3, off, off offset:732 ; 4-byte Folded Reload
	v_mad_co_i64_i32 v[6:7], null, v6, 36, v[17:18]
	s_wait_loadcnt 0x0
	v_add_nc_u32_e32 v12, v0, v3
	scratch_load_b32 v3, off, off offset:736 ; 4-byte Folded Reload
	v_mad_co_i64_i32 v[12:13], null, v12, 36, v[17:18]
	;; [unrolled: 4-line block ×3, first 2 shown]
	s_wait_loadcnt 0x0
	v_add_nc_u32_e32 v16, v0, v3
	scratch_load_b32 v3, off, off offset:744 ; 4-byte Folded Reload
	s_wait_loadcnt 0x0
	v_add_nc_u32_e32 v10, v0, v3
	v_mad_co_i64_i32 v[0:1], null, v1, 36, v[17:18]
	v_mad_co_i64_i32 v[2:3], null, v2, 36, v[17:18]
	s_delay_alu instid0(VALU_DEP_3)
	v_mad_co_i64_i32 v[10:11], null, v10, 36, v[17:18]
	v_mad_co_i64_i32 v[16:17], null, v16, 36, v[17:18]
	s_clause 0x8
	global_load_b32 v8, v[8:9], off
	global_load_b32 v9, v[10:11], off offset:4
	global_load_b32 v0, v[0:1], off offset:4
	;; [unrolled: 1-line block ×8, first 2 shown]
	s_wait_loadcnt 0x8
	v_cvt_f32_f16_e32 v7, v8
	scratch_load_b32 v8, off, off offset:784 ; 4-byte Folded Reload
	s_wait_loadcnt 0x0
	ds_store_b32 v8, v9
	scratch_load_b32 v8, off, off offset:756 ; 4-byte Folded Reload
	s_wait_loadcnt 0x0
	ds_store_b32 v8, v0
	;; [unrolled: 3-line block ×9, first 2 shown]
	s_wait_storecnt_dscnt 0x0
	s_barrier_signal -1
	s_barrier_wait -1
	global_inv scope:SCOPE_SE
	s_clause 0x14
	scratch_store_b64 off, v[37:38], off offset:76
	scratch_store_b32 off, v44, off offset:84
	scratch_store_b32 off, v62, off offset:68
	;; [unrolled: 1-line block ×19, first 2 shown]
	scratch_store_b32 off, v91, off
.LBB148_10:                             ;   Parent Loop BB148_6 Depth=1
                                        ;     Parent Loop BB148_8 Depth=2
                                        ; =>    This Inner Loop Header: Depth=3
	s_lshl_b32 s18, s13, 2
	s_clause 0x7
	scratch_store_b64 off, v[81:82], off offset:124
	scratch_store_b64 off, v[74:75], off offset:116
	scratch_store_b32 off, v64, off offset:112
	scratch_store_b32 off, v59, off offset:108
	;; [unrolled: 1-line block ×6, first 2 shown]
	s_wait_alu 0xfffe
	s_and_b32 s18, s18, 24
	s_and_b32 s20, s13, 0x3ffffff8
	s_wait_alu 0xfffe
	v_or_b32_e32 v0, s18, v41
	s_and_b32 s21, s13, 0x7ffffffe
	v_lshl_add_u32 v25, s20, 2, v42
	s_wait_alu 0xfffe
	s_add_co_i32 s20, s21, 0x6200
	s_and_b32 s19, s13, 6
	v_lshlrev_b32_e32 v4, 2, v0
	v_lshrrev_b32_e32 v0, 1, v0
	s_lshr_b32 s21, s13, 2
	s_wait_alu 0xfffe
	v_add3_u32 v207, s20, v56, v46
	s_and_b32 s21, s21, 0x3ffffffc
	ds_load_b32 v150, v0 offset:30368
	ds_load_b128 v[0:3], v4 offset:16896
	ds_load_b128 v[4:7], v4 offset:16912
	scratch_load_b32 v30, off, off offset:700 ; 4-byte Folded Reload
	s_wait_alu 0xfffe
	s_addk_co_i32 s21, 0x7280
	s_add_co_i32 s13, s13, 2
	s_wait_alu 0xfffe
	s_cmp_lt_u32 s13, s7
	s_wait_dscnt 0x1
	v_ashrrev_i32_e32 v166, 24, v3
	s_wait_dscnt 0x0
	v_bfe_i32 v10, v4, 0, 8
	v_bfe_i32 v14, v5, 0, 8
	;; [unrolled: 1-line block ×4, first 2 shown]
	v_ashrrev_i32_e32 v13, 24, v4
	v_bfe_i32 v15, v5, 8, 8
	v_bfe_i32 v22, v6, 0, 8
	;; [unrolled: 1-line block ×4, first 2 shown]
	v_ashrrev_i32_e32 v19, 24, v6
	v_bfe_i32 v6, v7, 0, 8
	v_add_nc_u32_e32 v4, v14, v10
	v_bfe_i32 v24, v7, 8, 8
	v_bfe_i32 v20, v5, 16, 8
	v_ashrrev_i32_e32 v21, 24, v5
	v_bfe_i32 v17, v7, 16, 8
	v_add3_u32 v172, v4, v22, v6
	v_add_nc_u32_e32 v4, v15, v11
	v_ashrrev_i32_e32 v173, 24, v7
	s_delay_alu instid0(VALU_DEP_2)
	v_add3_u32 v149, v4, v23, v24
	ds_load_2addr_b32 v[4:5], v25 offset1:1
	s_wait_dscnt 0x0
	v_ashrrev_i32_e32 v8, s19, v4
	v_ashrrev_i32_e32 v9, s19, v5
	ds_load_2addr_b32 v[4:5], v25 offset0:2 offset1:3
	v_and_b32_e32 v118, 3, v8
	v_bfe_u32 v105, v8, 8, 2
	v_bfe_u32 v120, v8, 16, 2
	;; [unrolled: 1-line block ×3, first 2 shown]
	v_and_b32_e32 v116, 3, v9
	v_bfe_u32 v115, v9, 8, 2
	v_bfe_u32 v97, v9, 16, 2
	;; [unrolled: 1-line block ×3, first 2 shown]
	s_delay_alu instid0(VALU_DEP_3)
	v_mov_b32_e32 v179, v115
	s_wait_dscnt 0x0
	v_ashrrev_i32_e32 v26, s19, v4
	v_ashrrev_i32_e32 v27, s19, v5
	ds_load_2addr_b32 v[4:5], v25 offset0:4 offset1:5
	v_and_b32_e32 v107, 3, v26
	v_bfe_u32 v114, v26, 8, 2
	v_bfe_u32 v38, v26, 16, 2
	v_bfe_u32 v148, v26, 24, 2
	v_and_b32_e32 v162, 3, v27
	v_bfe_u32 v185, v27, 8, 2
	v_bfe_u32 v45, v27, 16, 2
	;; [unrolled: 1-line block ×3, first 2 shown]
	v_dual_mov_b32 v248, v38 :: v_dual_mov_b32 v217, v114
	s_wait_dscnt 0x0
	v_ashrrev_i32_e32 v28, s19, v4
	v_ashrrev_i32_e32 v29, s19, v5
	ds_load_2addr_b32 v[4:5], v25 offset0:6 offset1:7
	v_and_b32_e32 v202, 3, v28
	v_bfe_u32 v199, v28, 8, 2
	v_bfe_u32 v190, v28, 16, 2
	;; [unrolled: 1-line block ×3, first 2 shown]
	v_and_b32_e32 v204, 3, v29
	v_mul_i32_i24_e32 v8, v202, v10
	v_bfe_u32 v208, v29, 8, 2
	v_mul_i32_i24_e32 v9, v190, v12
	v_mul_i32_i24_e32 v26, v28, v13
	v_dual_mov_b32 v138, v28 :: v_dual_add_nc_u32 v139, v21, v13
	v_mad_i32_i24 v8, v199, v11, v8
	v_bfe_u32 v28, v29, 16, 2
	v_bfe_u32 v29, v29, 24, 2
	s_delay_alu instid0(VALU_DEP_3)
	v_add3_u32 v8, v8, v9, v26
	s_wait_dscnt 0x0
	v_ashrrev_i32_e32 v5, s19, v5
	v_mul_i32_i24_e32 v9, v204, v14
	v_mul_i32_i24_e32 v26, v208, v15
	v_ashrrev_i32_e32 v4, s19, v4
	v_mul_i32_i24_e32 v27, v28, v20
	v_and_b32_e32 v252, 3, v5
	v_bfe_u32 v253, v5, 8, 2
	v_bfe_u32 v255, v5, 16, 2
	;; [unrolled: 1-line block ×3, first 2 shown]
	v_add3_u32 v5, v8, v9, v26
	v_dual_mov_b32 v151, v28 :: v_dual_add_nc_u32 v8, 0x1080, v25
	v_mul_i32_i24_e32 v28, v29, v21
	v_and_b32_e32 v238, 3, v4
	v_bfe_u32 v247, v4, 8, 2
	ds_load_2addr_b32 v[8:9], v8 offset1:1
	v_mov_b32_e32 v198, v29
	v_add3_u32 v5, v5, v27, v28
	v_mul_i32_i24_e32 v29, v238, v22
	v_bfe_u32 v32, v4, 16, 2
	v_bfe_u32 v228, v4, 24, 2
	v_mul_i32_i24_e32 v34, v253, v24
	v_mul_i32_i24_e32 v4, v255, v17
	;; [unrolled: 1-line block ×4, first 2 shown]
	v_mov_b32_e32 v211, v32
	v_mul_i32_i24_e32 v32, v228, v19
	s_delay_alu instid0(VALU_DEP_2) | instskip(SKIP_4) | instid1(VALU_DEP_3)
	v_mov_b32_e32 v175, v211
	s_wait_dscnt 0x0
	v_ashrrev_i32_e32 v26, s19, v8
	v_add_nc_u32_e32 v8, 0x1088, v25
	v_ashrrev_i32_e32 v27, s19, v9
	v_and_b32_e32 v62, 3, v26
	ds_load_2addr_b32 v[8:9], v8 offset1:1
	v_and_b32_e32 v60, 3, v27
	v_bfe_u32 v110, v27, 8, 2
	v_bfe_u32 v245, v27, 16, 2
	;; [unrolled: 1-line block ×6, first 2 shown]
	s_wait_loadcnt 0x0
	v_lshlrev_b32_e32 v30, 2, v30
	s_clause 0x1
	scratch_store_b32 off, v149, off offset:652
	scratch_store_b32 off, v30, off offset:228
	v_add3_u32 v112, s20, v30, v43
	scratch_load_b32 v30, off, off offset:696 ; 4-byte Folded Reload
	s_wait_loadcnt 0x0
	v_lshlrev_b32_e32 v30, 2, v30
	scratch_store_b32 off, v30, off offset:232 ; 4-byte Folded Spill
	v_add3_u32 v30, s21, v30, v36
	ds_load_b32 v168, v30
	v_mul_i32_i24_e32 v30, v247, v23
	s_delay_alu instid0(VALU_DEP_1) | instskip(NEXT) | instid1(VALU_DEP_1)
	v_add3_u32 v5, v5, v29, v30
	v_add3_u32 v5, v5, v31, v32
	;; [unrolled: 1-line block ×3, first 2 shown]
	ds_load_b32 v153, v32
	s_wait_dscnt 0x2
	v_ashrrev_i32_e32 v28, s19, v8
	v_add_nc_u32_e32 v8, 0x1090, v25
	v_ashrrev_i32_e32 v29, s19, v9
	s_delay_alu instid0(VALU_DEP_3)
	v_bfe_u32 v108, v28, 8, 2
	ds_load_2addr_b32 v[8:9], v8 offset1:1
	v_bfe_u32 v92, v29, 8, 2
	v_bfe_u32 v159, v29, 16, 2
	;; [unrolled: 1-line block ×5, first 2 shown]
	s_wait_dscnt 0x0
	v_ashrrev_i32_e32 v30, s19, v8
	v_add_nc_u32_e32 v8, 0x1098, v25
	v_ashrrev_i32_e32 v31, s19, v9
	s_delay_alu instid0(VALU_DEP_3)
	v_and_b32_e32 v27, 3, v30
	ds_load_2addr_b32 v[8:9], v8 offset1:1
	v_bfe_u32 v234, v30, 16, 2
	v_bfe_u32 v230, v30, 24, 2
	v_dual_mov_b32 v189, v27 :: v_dual_add_nc_u32 v18, v20, v12
	v_mul_i32_i24_e32 v26, v27, v10
	s_delay_alu instid0(VALU_DEP_4)
	v_mul_i32_i24_e32 v27, v234, v12
	v_and_b32_e32 v182, 3, v31
	v_bfe_u32 v229, v31, 16, 2
	s_wait_dscnt 0x0
	v_ashrrev_i32_e32 v9, s19, v9
	v_ashrrev_i32_e32 v8, s19, v8
	s_delay_alu instid0(VALU_DEP_2) | instskip(SKIP_2) | instid1(VALU_DEP_4)
	v_and_b32_e32 v35, 3, v9
	v_and_b32_e32 v161, 3, v29
	v_bfe_u32 v29, v30, 8, 2
	v_and_b32_e32 v32, 3, v8
	v_and_b32_e32 v91, 3, v28
	v_mul_i32_i24_e32 v28, v230, v13
	v_bfe_u32 v184, v8, 8, 2
	v_mad_i32_i24 v26, v29, v11, v26
	v_mov_b32_e32 v191, v29
	v_bfe_u32 v29, v31, 8, 2
	v_bfe_u32 v31, v31, 24, 2
	;; [unrolled: 1-line block ×3, first 2 shown]
	v_add3_u32 v26, v26, v27, v28
	v_mul_i32_i24_e32 v27, v182, v14
	v_mul_i32_i24_e32 v28, v29, v15
	v_mov_b32_e32 v193, v29
	v_mul_i32_i24_e32 v29, v229, v20
	v_mul_i32_i24_e32 v30, v31, v21
	v_bfe_u32 v237, v9, 16, 2
	v_bfe_u32 v249, v9, 24, 2
	v_add3_u32 v9, v26, v27, v28
	v_mov_b32_e32 v231, v31
	v_mul_i32_i24_e32 v31, v32, v22
	v_mov_b32_e32 v194, v32
	v_mul_i32_i24_e32 v32, v184, v23
	v_add3_u32 v9, v9, v29, v30
	v_bfe_u32 v242, v8, 16, 2
	v_bfe_u32 v232, v8, 24, 2
	v_mov_b32_e32 v143, v193
	v_mul_i32_i24_e32 v33, v252, v6
	v_add3_u32 v9, v9, v31, v32
	scratch_load_b32 v32, off, off offset:188 ; 4-byte Folded Reload
	v_mul_i32_i24_e32 v8, v232, v19
	v_mul_i32_i24_e32 v41, v186, v24
	v_add3_u32 v5, v5, v33, v34
	v_mul_i32_i24_e32 v33, v242, v16
	v_mul_i32_i24_e32 v34, v35, v6
	;; [unrolled: 1-line block ×3, first 2 shown]
	v_mov_b32_e32 v144, v194
	s_delay_alu instid0(VALU_DEP_4) | instskip(NEXT) | instid1(VALU_DEP_1)
	v_add3_u32 v8, v9, v33, v8
	v_add3_u32 v8, v8, v34, v41
	scratch_store_b32 off, v36, off offset:376 ; 4-byte Folded Spill
	s_wait_loadcnt 0x0
	v_add3_u32 v32, s20, v69, v32
	scratch_store_b32 off, v8, off offset:380 ; 4-byte Folded Spill
	v_add_nc_u32_e32 v8, 0x2100, v25
	scratch_store_b32 off, v32, off offset:384 ; 4-byte Folded Spill
	v_add3_u32 v32, s21, v146, v72
	ds_load_2addr_b32 v[8:9], v8 offset1:1
	ds_load_b32 v32, v32
	s_wait_dscnt 0x1
	v_ashrrev_i32_e32 v26, s19, v8
	v_ashrrev_i32_e32 v27, s19, v9
	s_wait_dscnt 0x0
	scratch_store_b32 off, v32, off offset:448 ; 4-byte Folded Spill
	v_and_b32_e32 v82, 3, v26
	v_add_nc_u32_e32 v8, 0x2108, v25
	v_bfe_u32 v83, v26, 16, 2
	v_bfe_u32 v96, v27, 8, 2
	;; [unrolled: 1-line block ×3, first 2 shown]
	v_mov_b32_e32 v99, v82
	ds_load_2addr_b32 v[8:9], v8 offset1:1
	v_bfe_u32 v218, v27, 24, 2
	v_bfe_u32 v214, v26, 8, 2
	;; [unrolled: 1-line block ×3, first 2 shown]
	s_wait_dscnt 0x0
	v_ashrrev_i32_e32 v28, s19, v8
	v_add_nc_u32_e32 v8, 0x2110, v25
	v_ashrrev_i32_e32 v29, s19, v9
	s_delay_alu instid0(VALU_DEP_3)
	v_and_b32_e32 v94, 3, v28
	ds_load_2addr_b32 v[8:9], v8 offset1:1
	v_and_b32_e32 v157, 3, v29
	v_bfe_u32 v136, v29, 8, 2
	v_bfe_u32 v156, v29, 16, 2
	v_bfe_u32 v155, v29, 24, 2
	v_bfe_u32 v219, v28, 8, 2
	v_bfe_u32 v203, v28, 16, 2
	v_bfe_u32 v154, v28, 24, 2
	s_wait_dscnt 0x0
	v_ashrrev_i32_e32 v30, s19, v8
	v_ashrrev_i32_e32 v31, s19, v9
	s_delay_alu instid0(VALU_DEP_2)
	v_bfe_u32 v29, v30, 8, 2
	v_and_b32_e32 v53, 3, v27
	v_and_b32_e32 v27, 3, v30
	v_bfe_u32 v28, v30, 16, 2
	v_bfe_u32 v213, v30, 24, 2
	v_mov_b32_e32 v102, v29
	v_dual_mov_b32 v59, v53 :: v_dual_add_nc_u32 v8, 0x2118, v25
	v_mul_i32_i24_e32 v26, v27, v10
	v_mov_b32_e32 v206, v28
	v_bfe_u32 v163, v31, 16, 2
	ds_load_2addr_b32 v[8:9], v8 offset1:1
	v_mad_i32_i24 v26, v29, v11, v26
	v_bfe_u32 v29, v31, 8, 2
	s_delay_alu instid0(VALU_DEP_1) | instskip(SKIP_3) | instid1(VALU_DEP_3)
	v_mov_b32_e32 v130, v29
	v_mov_b32_e32 v126, v27
	v_mul_i32_i24_e32 v27, v28, v12
	v_mul_i32_i24_e32 v28, v213, v13
	v_dual_mov_b32 v196, v35 :: v_dual_mov_b32 v167, v126
	s_delay_alu instid0(VALU_DEP_2) | instskip(SKIP_2) | instid1(VALU_DEP_4)
	v_add3_u32 v26, v26, v27, v28
	v_and_b32_e32 v28, 3, v31
	v_bfe_u32 v31, v31, 24, 2
	v_mov_b32_e32 v147, v196
	s_wait_dscnt 0x0
	v_ashrrev_i32_e32 v8, s19, v8
	v_ashrrev_i32_e32 v9, s19, v9
	v_mul_i32_i24_e32 v27, v28, v14
	v_mov_b32_e32 v146, v31
	v_mov_b32_e32 v104, v28
	v_bfe_u32 v34, v8, 24, 2
	v_and_b32_e32 v35, 3, v9
	v_mul_i32_i24_e32 v28, v29, v15
	v_and_b32_e32 v32, 3, v8
	v_bfe_u32 v33, v8, 8, 2
	v_bfe_u32 v200, v8, 16, 2
	v_mul_i32_i24_e32 v8, v34, v19
	v_mov_b32_e32 v210, v34
	v_mul_i32_i24_e32 v34, v35, v6
	v_mov_b32_e32 v134, v35
	v_bfe_u32 v35, v9, 8, 2
	v_mul_i32_i24_e32 v29, v163, v20
	v_mul_i32_i24_e32 v30, v31, v21
	v_bfe_u32 v145, v9, 24, 2
	v_mul_i32_i24_e32 v31, v32, v22
	v_mul_i32_i24_e32 v41, v35, v24
	v_mov_b32_e32 v135, v35
	v_bfe_u32 v35, v9, 16, 2
	v_add3_u32 v9, v26, v27, v28
	v_mov_b32_e32 v131, v32
	v_mul_i32_i24_e32 v32, v33, v23
	v_mov_b32_e32 v133, v33
	v_mul_i32_i24_e32 v33, v200, v16
	v_add3_u32 v9, v9, v29, v30
	v_mul_i32_i24_e32 v98, v35, v17
	v_mov_b32_e32 v141, v135
	v_dual_mov_b32 v171, v104 :: v_dual_mov_b32 v178, v116
	s_delay_alu instid0(VALU_DEP_4) | instskip(SKIP_2) | instid1(VALU_DEP_3)
	v_add3_u32 v9, v9, v31, v32
	v_mov_b32_e32 v122, v146
	v_mov_b32_e32 v254, v63
	v_add3_u32 v8, v9, v33, v8
	s_delay_alu instid0(VALU_DEP_1)
	v_add3_u32 v101, v8, v34, v41
	v_add_nc_u32_e32 v8, 0x3180, v25
	ds_load_2addr_b32 v[8:9], v8 offset1:1
	s_wait_dscnt 0x0
	v_ashrrev_i32_e32 v26, s19, v8
	v_add_nc_u32_e32 v8, 0x3188, v25
	v_ashrrev_i32_e32 v27, s19, v9
	s_delay_alu instid0(VALU_DEP_3)
	v_and_b32_e32 v55, 3, v26
	ds_load_2addr_b32 v[8:9], v8 offset1:1
	v_bfe_u32 v54, v26, 8, 2
	v_bfe_u32 v57, v26, 16, 2
	;; [unrolled: 1-line block ×5, first 2 shown]
	s_delay_alu instid0(VALU_DEP_4) | instskip(SKIP_3) | instid1(VALU_DEP_2)
	v_mov_b32_e32 v103, v57
	s_wait_dscnt 0x0
	v_ashrrev_i32_e32 v29, s19, v9
	v_ashrrev_i32_e32 v28, s19, v8
	v_bfe_u32 v181, v29, 16, 2
	v_add_nc_u32_e32 v8, 0x3190, v25
	s_delay_alu instid0(VALU_DEP_3)
	v_and_b32_e32 v40, 3, v28
	v_bfe_u32 v46, v28, 8, 2
	v_bfe_u32 v169, v28, 16, 2
	v_mov_b32_e32 v121, v181
	ds_load_2addr_b32 v[8:9], v8 offset1:1
	v_bfe_u32 v233, v28, 24, 2
	v_and_b32_e32 v236, 3, v29
	v_bfe_u32 v243, v29, 8, 2
	v_bfe_u32 v125, v29, 24, 2
	s_delay_alu instid0(VALU_DEP_3) | instskip(NEXT) | instid1(VALU_DEP_2)
	v_dual_mov_b32 v37, v46 :: v_dual_mov_b32 v176, v236
	v_mov_b32_e32 v135, v125
	v_mov_b32_e32 v113, v62
	s_wait_dscnt 0x0
	v_ashrrev_i32_e32 v30, s19, v8
	v_add_nc_u32_e32 v8, 0x3198, v25
	v_add3_u32 v25, s20, v48, v50
	v_ashrrev_i32_e32 v31, s19, v9
	v_mov_b32_e32 v240, v35
	v_bfe_u32 v26, v30, 16, 2
	ds_load_2addr_b32 v[8:9], v8 offset1:1
	scratch_store_b32 off, v25, off offset:388 ; 4-byte Folded Spill
	v_add3_u32 v25, s21, v76, v51
	v_bfe_u32 v197, v31, 8, 2
	v_mul_i32_i24_e32 v12, v26, v12
	v_mov_b32_e32 v71, v26
	v_bfe_u32 v26, v30, 24, 2
	ds_load_b32 v25, v25
	v_bfe_u32 v215, v31, 16, 2
	v_bfe_u32 v220, v31, 24, 2
	v_and_b32_e32 v51, 3, v27
	v_mul_i32_i24_e32 v13, v26, v13
	v_bfe_u32 v35, v27, 8, 2
	v_mov_b32_e32 v85, v26
	s_delay_alu instid0(VALU_DEP_1) | instskip(SKIP_3) | instid1(VALU_DEP_2)
	v_mov_b32_e32 v195, v85
	s_wait_dscnt 0x1
	v_ashrrev_i32_e32 v8, s19, v8
	v_ashrrev_i32_e32 v9, s19, v9
	v_bfe_u32 v222, v8, 8, 2
	v_and_b32_e32 v221, 3, v8
	s_wait_dscnt 0x0
	scratch_store_b32 off, v25, off offset:452 ; 4-byte Folded Spill
	v_and_b32_e32 v25, 3, v30
	v_and_b32_e32 v223, 3, v9
	v_bfe_u32 v124, v9, 16, 2
	v_bfe_u32 v164, v9, 24, 2
	;; [unrolled: 1-line block ×3, first 2 shown]
	v_mul_i32_i24_e32 v10, v25, v10
	v_mov_b32_e32 v50, v25
	v_bfe_u32 v25, v30, 8, 2
	v_bfe_u32 v224, v8, 24, 2
	v_mul_i32_i24_e32 v6, v223, v6
	s_delay_alu instid0(VALU_DEP_4) | instskip(NEXT) | instid1(VALU_DEP_4)
	v_mov_b32_e32 v192, v50
	v_mad_i32_i24 v10, v25, v11, v10
	v_mov_b32_e32 v84, v25
	v_mul_i32_i24_e32 v8, v224, v19
	s_delay_alu instid0(VALU_DEP_3) | instskip(SKIP_4) | instid1(VALU_DEP_4)
	v_add3_u32 v10, v10, v12, v13
	v_and_b32_e32 v12, 3, v31
	v_mul_i32_i24_e32 v13, v215, v20
	v_mul_i32_i24_e32 v20, v222, v23
	v_bfe_u32 v23, v9, 8, 2
	v_mul_i32_i24_e32 v11, v12, v14
	v_mov_b32_e32 v86, v12
	v_mul_i32_i24_e32 v12, v197, v15
	v_mul_i32_i24_e32 v14, v220, v21
	;; [unrolled: 1-line block ×5, first 2 shown]
	v_add3_u32 v9, v10, v11, v12
	v_mul_i32_i24_e32 v24, v124, v17
	v_dual_mov_b32 v123, v23 :: v_dual_mov_b32 v128, v102
	v_mov_b32_e32 v102, v140
	s_delay_alu instid0(VALU_DEP_4) | instskip(NEXT) | instid1(VALU_DEP_1)
	v_add3_u32 v9, v9, v13, v14
	v_add3_u32 v9, v9, v15, v20
	s_delay_alu instid0(VALU_DEP_1) | instskip(NEXT) | instid1(VALU_DEP_1)
	v_add3_u32 v8, v9, v21, v8
	v_add3_u32 v6, v8, v6, v22
	scratch_store_b32 off, v6, off offset:444 ; 4-byte Folded Spill
	v_or_b32_e32 v6, s18, v129
	s_delay_alu instid0(VALU_DEP_1)
	v_lshlrev_b32_e32 v90, 2, v6
	v_lshrrev_b32_e32 v6, 1, v6
	ds_load_b32 v6, v6 offset:30368
	scratch_store_b32 off, v24, off offset:440 ; 4-byte Folded Spill
	s_wait_dscnt 0x0
	scratch_store_b32 off, v6, off offset:412 ; 4-byte Folded Spill
	v_or_b32_e32 v6, s18, v47
	s_delay_alu instid0(VALU_DEP_1)
	v_lshlrev_b32_e32 v12, 2, v6
	v_lshrrev_b32_e32 v6, 1, v6
	ds_load_b32 v6, v6 offset:30368
	s_wait_dscnt 0x0
	scratch_store_b32 off, v6, off offset:420 ; 4-byte Folded Spill
	ds_load_b128 v[8:11], v12 offset:16896
	ds_load_b128 v[12:15], v12 offset:16912
	s_clause 0x1
	scratch_store_b32 off, v127, off offset:664
	scratch_store_b32 off, v135, off offset:684
	s_wait_dscnt 0x1
	v_bfe_i32 v6, v8, 0, 8
	s_wait_dscnt 0x0
	v_bfe_i32 v31, v12, 0, 8
	v_bfe_i32 v32, v12, 8, 8
	v_bfe_i32 v33, v12, 16, 8
	v_ashrrev_i32_e32 v12, 24, v12
	v_bfe_i32 v34, v13, 0, 8
	v_bfe_i32 v41, v13, 8, 8
	v_bfe_i32 v42, v13, 16, 8
	v_ashrrev_i32_e32 v13, 24, v13
	;; [unrolled: 4-line block ×4, first 2 shown]
	v_add_nc_u32_e32 v68, v13, v12
	v_bfe_i32 v20, v8, 8, 8
	v_bfe_i32 v21, v8, 16, 8
	v_ashrrev_i32_e32 v8, 24, v8
	v_bfe_i32 v22, v9, 0, 8
	v_add3_u32 v47, v68, v14, v15
	v_add_nc_u32_e32 v68, v42, v33
	v_bfe_i32 v23, v9, 8, 8
	v_bfe_i32 v24, v9, 16, 8
	v_ashrrev_i32_e32 v9, 24, v9
	scratch_store_b32 off, v47, off offset:424 ; 4-byte Folded Spill
	v_add3_u32 v47, v68, v48, v67
	v_add_nc_u32_e32 v68, v34, v31
	v_bfe_i32 v25, v10, 0, 8
	v_bfe_i32 v26, v10, 8, 8
	;; [unrolled: 1-line block ×3, first 2 shown]
	scratch_store_b32 off, v47, off offset:428 ; 4-byte Folded Spill
	v_add3_u32 v47, v68, v43, v64
	v_add_nc_u32_e32 v68, v41, v32
	v_ashrrev_i32_e32 v10, 24, v10
	v_bfe_i32 v28, v11, 0, 8
	v_bfe_i32 v29, v11, 8, 8
	v_bfe_i32 v30, v11, 16, 8
	v_ashrrev_i32_e32 v11, 24, v11
	scratch_store_b32 off, v47, off offset:432 ; 4-byte Folded Spill
	v_add3_u32 v47, v68, v44, v66
	v_add_nc_u32_e32 v68, v9, v8
	v_mul_i32_i24_e32 v69, v21, v120
	v_mul_i32_i24_e32 v70, v8, v119
	v_mul_i32_i24_e32 v72, v97, v24
	scratch_store_b32 off, v47, off offset:520 ; 4-byte Folded Spill
	v_add3_u32 v47, v68, v10, v11
	v_add_nc_u32_e32 v68, v24, v21
	v_mul_i32_i24_e32 v73, v117, v9
	v_mul_i32_i24_e32 v74, v107, v25
	v_mul_i32_i24_e32 v75, v114, v26
	;; [unrolled: 6-line block ×4, first 2 shown]
	scratch_store_b32 off, v47, off offset:532 ; 4-byte Folded Spill
	v_add3_u32 v47, v68, v25, v28
	v_mul_i32_i24_e32 v68, v6, v118
	scratch_store_b32 off, v47, off offset:536 ; 4-byte Folded Spill
	v_mad_i32_i24 v68, v20, v105, v68
	s_delay_alu instid0(VALU_DEP_1) | instskip(SKIP_2) | instid1(VALU_DEP_1)
	v_add3_u32 v68, v68, v69, v70
	v_mul_i32_i24_e32 v69, v116, v22
	v_mul_i32_i24_e32 v70, v115, v23
	v_add3_u32 v68, v68, v69, v70
	v_mul_i32_i24_e32 v69, v190, v33
	v_mul_i32_i24_e32 v70, v138, v12
	s_delay_alu instid0(VALU_DEP_3) | instskip(SKIP_2) | instid1(VALU_DEP_3)
	v_add3_u32 v68, v68, v72, v73
	v_mul_i32_i24_e32 v72, v151, v42
	v_mul_i32_i24_e32 v73, v198, v13
	v_add3_u32 v68, v68, v74, v75
	v_mul_i32_i24_e32 v74, v238, v43
	v_mul_i32_i24_e32 v75, v247, v44
	s_delay_alu instid0(VALU_DEP_3) | instskip(SKIP_3) | instid1(VALU_DEP_4)
	v_add3_u32 v68, v68, v76, v77
	v_mul_i32_i24_e32 v76, v211, v48
	v_mul_i32_i24_e32 v77, v228, v14
	v_mov_b32_e32 v211, v191
	v_add3_u32 v68, v68, v78, v79
	v_mul_i32_i24_e32 v78, v252, v64
	v_mul_i32_i24_e32 v79, v253, v66
	s_delay_alu instid0(VALU_DEP_3)
	v_add3_u32 v47, v68, v80, v81
	v_mul_i32_i24_e32 v68, v202, v31
	v_mul_i32_i24_e32 v80, v255, v67
	;; [unrolled: 1-line block ×3, first 2 shown]
	scratch_store_b32 off, v47, off offset:312 ; 4-byte Folded Spill
	v_mad_i32_i24 v68, v199, v32, v68
	s_delay_alu instid0(VALU_DEP_1) | instskip(SKIP_2) | instid1(VALU_DEP_1)
	v_add3_u32 v68, v68, v69, v70
	v_mul_i32_i24_e32 v69, v204, v34
	v_mul_i32_i24_e32 v70, v208, v41
	v_add3_u32 v68, v68, v69, v70
	v_mul_i32_i24_e32 v69, v21, v65
	v_mul_i32_i24_e32 v70, v8, v63
	s_delay_alu instid0(VALU_DEP_3) | instskip(SKIP_2) | instid1(VALU_DEP_3)
	v_add3_u32 v68, v68, v72, v73
	v_mul_i32_i24_e32 v72, v245, v24
	v_mul_i32_i24_e32 v73, v111, v9
	v_add3_u32 v68, v68, v74, v75
	v_mul_i32_i24_e32 v74, v91, v25
	v_mul_i32_i24_e32 v75, v108, v26
	s_delay_alu instid0(VALU_DEP_3) | instskip(SKIP_2) | instid1(VALU_DEP_3)
	v_add3_u32 v68, v68, v76, v77
	v_mul_i32_i24_e32 v76, v106, v27
	v_mul_i32_i24_e32 v77, v160, v10
	v_add3_u32 v68, v68, v78, v79
	v_mul_i32_i24_e32 v78, v161, v28
	v_mul_i32_i24_e32 v79, v92, v29
	s_delay_alu instid0(VALU_DEP_3)
	v_add3_u32 v47, v68, v80, v81
	v_mul_i32_i24_e32 v68, v6, v62
	v_mul_i32_i24_e32 v80, v159, v30
	;; [unrolled: 1-line block ×3, first 2 shown]
	scratch_store_b32 off, v47, off offset:316 ; 4-byte Folded Spill
	v_mad_i32_i24 v68, v20, v61, v68
	s_delay_alu instid0(VALU_DEP_1) | instskip(SKIP_2) | instid1(VALU_DEP_1)
	v_add3_u32 v68, v68, v69, v70
	v_mul_i32_i24_e32 v69, v60, v22
	v_mul_i32_i24_e32 v70, v110, v23
	v_add3_u32 v68, v68, v69, v70
	v_mul_i32_i24_e32 v69, v234, v33
	v_mul_i32_i24_e32 v70, v230, v12
	s_delay_alu instid0(VALU_DEP_3) | instskip(SKIP_2) | instid1(VALU_DEP_3)
	v_add3_u32 v68, v68, v72, v73
	v_mul_i32_i24_e32 v72, v229, v42
	v_mul_i32_i24_e32 v73, v231, v13
	v_add3_u32 v68, v68, v74, v75
	v_mul_i32_i24_e32 v74, v194, v43
	v_mul_i32_i24_e32 v75, v184, v44
	v_mov_b32_e32 v194, v84
	v_mul_i32_i24_e32 v84, v155, v166
	v_add3_u32 v68, v68, v76, v77
	v_mul_i32_i24_e32 v76, v242, v48
	v_mul_i32_i24_e32 v77, v232, v14
	s_delay_alu instid0(VALU_DEP_3) | instskip(SKIP_3) | instid1(VALU_DEP_4)
	v_add3_u32 v68, v68, v78, v79
	v_mul_i32_i24_e32 v78, v196, v64
	v_mul_i32_i24_e32 v79, v186, v66
	v_mov_b32_e32 v196, v86
	v_add3_u32 v47, v68, v80, v81
	v_mul_i32_i24_e32 v68, v189, v31
	v_mul_i32_i24_e32 v80, v237, v67
	;; [unrolled: 1-line block ×3, first 2 shown]
	scratch_store_b32 off, v47, off offset:320 ; 4-byte Folded Spill
	v_mad_i32_i24 v68, v191, v32, v68
	s_delay_alu instid0(VALU_DEP_1) | instskip(SKIP_4) | instid1(VALU_DEP_3)
	v_add3_u32 v68, v68, v69, v70
	v_mul_i32_i24_e32 v69, v182, v34
	v_mul_i32_i24_e32 v70, v193, v41
	v_mov_b32_e32 v193, v71
	v_mov_b32_e32 v71, v83
	v_add3_u32 v68, v68, v69, v70
	v_mul_i32_i24_e32 v69, v21, v83
	v_mul_i32_i24_e32 v70, v8, v205
	;; [unrolled: 1-line block ×4, first 2 shown]
	v_add3_u32 v68, v68, v72, v73
	v_mul_i32_i24_e32 v72, v58, v24
	v_mul_i32_i24_e32 v73, v218, v9
	;; [unrolled: 1-line block ×3, first 2 shown]
	s_delay_alu instid0(VALU_DEP_4) | instskip(SKIP_2) | instid1(VALU_DEP_3)
	v_add3_u32 v68, v68, v74, v75
	v_mul_i32_i24_e32 v74, v94, v25
	v_mul_i32_i24_e32 v75, v219, v26
	v_add3_u32 v68, v68, v76, v77
	v_mul_i32_i24_e32 v76, v203, v27
	v_mul_i32_i24_e32 v77, v154, v10
	;; [unrolled: 1-line block ×3, first 2 shown]
	s_delay_alu instid0(VALU_DEP_4) | instskip(SKIP_2) | instid1(VALU_DEP_3)
	v_add3_u32 v68, v68, v78, v79
	v_mul_i32_i24_e32 v78, v157, v28
	v_mul_i32_i24_e32 v79, v136, v29
	v_add3_u32 v47, v68, v80, v81
	v_mul_i32_i24_e32 v68, v6, v82
	v_mul_i32_i24_e32 v6, v6, v55
	;; [unrolled: 1-line block ×5, first 2 shown]
	v_mad_i32_i24 v68, v20, v214, v68
	v_mad_i32_i24 v6, v20, v54, v6
	v_mul_i32_i24_e32 v20, v35, v23
	s_delay_alu instid0(VALU_DEP_3)
	v_add3_u32 v68, v68, v69, v70
	v_mul_i32_i24_e32 v69, v53, v22
	v_mul_i32_i24_e32 v70, v96, v23
	v_add3_u32 v6, v6, v21, v8
	v_mul_i32_i24_e32 v8, v51, v22
	v_mul_i32_i24_e32 v21, v36, v24
	;; [unrolled: 1-line block ×3, first 2 shown]
	v_add3_u32 v68, v68, v69, v70
	v_mul_i32_i24_e32 v23, v46, v26
	v_add3_u32 v6, v6, v8, v20
	v_mul_i32_i24_e32 v24, v169, v27
	v_mul_i32_i24_e32 v25, v236, v28
	v_add3_u32 v68, v68, v72, v73
	v_mul_i32_i24_e32 v26, v243, v29
	v_add3_u32 v6, v6, v21, v9
	v_mul_i32_i24_e32 v27, v181, v30
	v_mul_i32_i24_e32 v69, v206, v33
	;; [unrolled: 5-line block ×5, first 2 shown]
	v_add3_u32 v39, v68, v80, v81
	scratch_store_b32 off, v47, off offset:324 ; 4-byte Folded Spill
	v_add3_u32 v6, v6, v27, v11
	v_mul_i32_i24_e32 v68, v167, v31
	v_mul_i32_i24_e32 v11, v220, v13
	scratch_store_b32 off, v39, off offset:396 ; 4-byte Folded Spill
	v_mul_i32_i24_e32 v13, v222, v44
	scratch_store_b32 off, v6, off offset:404 ; 4-byte Folded Spill
	v_mul_i32_i24_e32 v6, v192, v31
	v_mad_i32_i24 v68, v128, v32, v68
	v_mul_i32_i24_e32 v76, v200, v48
	v_mul_i32_i24_e32 v77, v210, v14
	;; [unrolled: 1-line block ×3, first 2 shown]
	v_mad_i32_i24 v6, v194, v32, v6
	v_add3_u32 v68, v68, v69, v70
	v_mul_i32_i24_e32 v69, v171, v34
	v_mul_i32_i24_e32 v70, v130, v41
	;; [unrolled: 1-line block ×3, first 2 shown]
	v_add3_u32 v6, v6, v8, v9
	v_mul_i32_i24_e32 v8, v196, v34
	v_mul_i32_i24_e32 v9, v197, v41
	v_add3_u32 v68, v68, v69, v70
	v_mul_i32_i24_e32 v78, v134, v64
	v_mul_i32_i24_e32 v79, v141, v66
	;; [unrolled: 1-line block ×3, first 2 shown]
	v_add3_u32 v6, v6, v8, v9
	v_add3_u32 v68, v68, v72, v73
	v_mul_i32_i24_e32 v22, v123, v66
	v_mul_i32_i24_e32 v80, v240, v67
	;; [unrolled: 1-line block ×3, first 2 shown]
	v_add3_u32 v6, v6, v10, v11
	v_add3_u32 v68, v68, v74, v75
	v_mul_i32_i24_e32 v23, v124, v67
	v_mul_i32_i24_e32 v15, v164, v15
	v_add3_u32 v30, v5, v4, v7
	v_add3_u32 v6, v6, v12, v13
	;; [unrolled: 1-line block ×3, first 2 shown]
	v_lshrrev_b16 v5, 8, v1
	v_bfe_i32 v26, v1, 0, 8
	v_lshrrev_b16 v4, 8, v0
	v_add3_u32 v6, v6, v20, v14
	v_add3_u32 v68, v68, v78, v79
	v_bfe_i32 v5, v5, 0, 8
	v_ashrrev_i32_e32 v27, 24, v1
	v_bfe_i32 v1, v1, 16, 8
	v_add3_u32 v6, v6, v21, v22
	v_add3_u32 v39, v68, v80, v81
	v_bfe_i32 v31, v3, 16, 8
	v_mul_i32_i24_e32 v73, v116, v26
	v_mov_b32_e32 v47, v159
	v_add3_u32 v6, v6, v23, v15
	scratch_store_b32 off, v39, off offset:400 ; 4-byte Folded Spill
	v_lshrrev_b16 v7, 8, v2
	v_bfe_i32 v28, v2, 16, 8
	v_ashrrev_i32_e32 v29, 24, v2
	scratch_store_b32 off, v6, off offset:408 ; 4-byte Folded Spill
	scratch_load_b32 v6, off, off offset:148 ; 4-byte Folded Reload
	v_bfe_i32 v2, v2, 0, 8
	v_mul_i32_i24_e32 v74, v97, v1
	v_mul_i32_i24_e32 v75, v117, v27
	v_mad_i32_i24 v73, v115, v5, v73
	v_mul_i32_i24_e32 v41, v47, v31
	v_bfe_i32 v4, v4, 0, 8
	v_mul_i32_i24_e32 v76, v107, v2
	v_bfe_i32 v7, v7, 0, 8
	v_add3_u32 v73, v73, v74, v75
	v_mul_i32_i24_e32 v78, v248, v28
	v_add_nc_u32_e32 v72, v5, v4
	v_mul_i32_i24_e32 v79, v148, v29
	v_mul_i32_i24_e32 v77, v114, v7
	;; [unrolled: 1-line block ×3, first 2 shown]
	v_mov_b32_e32 v39, v61
	v_mov_b32_e32 v75, v157
	;; [unrolled: 1-line block ×4, first 2 shown]
	s_wait_loadcnt 0x0
	v_or_b32_e32 v6, s18, v6
	s_delay_alu instid0(VALU_DEP_1)
	v_lshlrev_b32_e32 v8, 2, v6
	v_lshrrev_b32_e32 v6, 1, v6
	ds_load_b32 v251, v6 offset:30368
	ds_load_b128 v[12:15], v8 offset:16896
	ds_load_b128 v[8:11], v8 offset:16912
	s_clause 0x1
	scratch_store_b32 off, v161, off offset:660
	scratch_store_b32 off, v136, off offset:676
	v_mov_b32_e32 v132, v104
	s_wait_dscnt 0x1
	v_bfe_i32 v6, v12, 0, 8
	v_bfe_i32 v20, v12, 8, 8
	;; [unrolled: 1-line block ×3, first 2 shown]
	v_ashrrev_i32_e32 v22, 24, v12
	v_bfe_i32 v12, v13, 0, 8
	v_mul_i32_i24_e32 v23, v6, v118
	s_delay_alu instid0(VALU_DEP_4) | instskip(NEXT) | instid1(VALU_DEP_4)
	v_mul_i32_i24_e32 v24, v21, v120
	v_mul_i32_i24_e32 v25, v22, v119
	s_delay_alu instid0(VALU_DEP_4) | instskip(NEXT) | instid1(VALU_DEP_4)
	v_add_nc_u32_e32 v70, v12, v6
	v_mad_i32_i24 v23, v20, v105, v23
	v_mul_i32_i24_e32 v69, v116, v12
	v_mul_i32_i24_e32 v64, v53, v12
	;; [unrolled: 1-line block ×4, first 2 shown]
	v_add3_u32 v68, v23, v24, v25
	v_mul_i32_i24_e32 v23, v6, v62
	v_mul_i32_i24_e32 v24, v21, v65
	;; [unrolled: 1-line block ×3, first 2 shown]
	v_dual_mov_b32 v62, v177 :: v_dual_mov_b32 v177, v189
	s_delay_alu instid0(VALU_DEP_4) | instskip(SKIP_2) | instid1(VALU_DEP_3)
	v_mad_i32_i24 v23, v20, v61, v23
	v_mov_b32_e32 v61, v169
	v_dual_mov_b32 v169, v198 :: v_dual_mov_b32 v198, v130
	v_add3_u32 v66, v23, v24, v25
	v_mul_i32_i24_e32 v23, v6, v82
	v_mul_i32_i24_e32 v24, v21, v83
	;; [unrolled: 1-line block ×5, first 2 shown]
	v_mad_i32_i24 v23, v20, v214, v23
	v_mul_i32_i24_e32 v83, v62, v166
	v_mov_b32_e32 v165, v61
	v_mad_i32_i24 v6, v20, v54, v6
	s_delay_alu instid0(VALU_DEP_4) | instskip(SKIP_3) | instid1(VALU_DEP_2)
	v_add3_u32 v48, v23, v24, v25
	v_mul_i32_i24_e32 v23, v21, v57
	v_mul_i32_i24_e32 v24, v22, v56
	v_ashrrev_i32_e32 v25, 24, v0
	v_add3_u32 v43, v6, v23, v24
	s_clause 0x1
	scratch_load_b32 v6, off, off offset:152
	scratch_load_b32 v23, off, off offset:156
	v_add_nc_u32_e32 v33, v27, v25
	s_delay_alu instid0(VALU_DEP_1)
	v_add3_u32 v152, v33, v29, v166
	v_mul_i32_i24_e32 v33, v4, v105
	s_wait_loadcnt 0x1
	v_or_b32_e32 v6, s18, v6
	s_wait_loadcnt 0x0
	v_or_b32_e32 v23, s18, v23
	s_delay_alu instid0(VALU_DEP_2) | instskip(NEXT) | instid1(VALU_DEP_2)
	v_lshlrev_b32_e32 v12, 2, v6
	v_lshlrev_b32_e32 v24, 2, v23
	v_lshrrev_b32_e32 v23, 1, v23
	v_lshrrev_b32_e32 v6, 1, v6
	s_clause 0x1
	scratch_store_b32 off, v24, off offset:456
	scratch_store_b32 off, v23, off offset:460
	scratch_load_b32 v23, off, off offset:160 ; 4-byte Folded Reload
	s_wait_loadcnt 0x0
	v_or_b32_e32 v23, s18, v23
	s_delay_alu instid0(VALU_DEP_1)
	v_lshlrev_b32_e32 v24, 2, v23
	v_lshrrev_b32_e32 v23, 1, v23
	s_clause 0x1
	scratch_store_b32 off, v24, off offset:236
	scratch_store_b32 off, v23, off offset:364
	v_bfe_i32 v24, v0, 0, 8
	v_bfe_i32 v0, v0, 16, 8
	v_or_b32_e32 v23, s18, v49
	v_dual_mov_b32 v49, v160 :: v_dual_mov_b32 v160, v151
	s_delay_alu instid0(VALU_DEP_4) | instskip(NEXT) | instid1(VALU_DEP_4)
	v_add_nc_u32_e32 v34, v26, v24
	v_add_nc_u32_e32 v32, v1, v0
	s_delay_alu instid0(VALU_DEP_4)
	v_lshlrev_b32_e32 v42, 2, v23
	v_lshrrev_b32_e32 v129, 1, v23
	v_lshrrev_b16 v23, 8, v3
	v_bfe_i32 v3, v3, 0, 8
	v_add3_u32 v188, v32, v28, v31
	v_mul_i32_i24_e32 v32, v24, v118
	v_mov_b32_e32 v151, v168
	v_bfe_i32 v23, v23, 0, 8
	v_add3_u32 v209, v34, v2, v3
	v_mul_i32_i24_e32 v34, v0, v120
	v_add3_u32 v32, v73, v76, v32
	v_mul_i32_i24_e32 v80, v162, v3
	;; [unrolled: 2-line block ×3, first 2 shown]
	v_mul_i32_i24_e32 v81, v185, v23
	v_add3_u32 v32, v32, v33, v34
	v_mul_i32_i24_e32 v73, v60, v26
	v_mul_i32_i24_e32 v76, v111, v27
	;; [unrolled: 1-line block ×4, first 2 shown]
	v_add3_u32 v32, v32, v72, v77
	v_mad_i32_i24 v73, v110, v5, v73
	v_mul_i32_i24_e32 v77, v91, v2
	v_mul_i32_i24_e32 v72, v25, v63
	v_mov_b32_e32 v181, v49
	v_add3_u32 v32, v32, v78, v79
	v_add3_u32 v73, v73, v74, v76
	v_mul_i32_i24_e32 v78, v108, v7
	v_mul_i32_i24_e32 v79, v106, v28
	;; [unrolled: 1-line block ×3, first 2 shown]
	v_add3_u32 v32, v32, v80, v81
	v_mul_i32_i24_e32 v80, v49, v29
	v_mul_i32_i24_e32 v81, v161, v3
	;; [unrolled: 1-line block ×4, first 2 shown]
	v_add3_u32 v50, v32, v82, v83
	v_mul_i32_i24_e32 v32, v24, v113
	v_mul_i32_i24_e32 v82, v92, v23
	;; [unrolled: 1-line block ×5, first 2 shown]
	v_add3_u32 v32, v73, v77, v32
	v_mul_i32_i24_e32 v73, v59, v26
	v_mul_i32_i24_e32 v77, v94, v2
	;; [unrolled: 1-line block ×3, first 2 shown]
	v_mov_b32_e32 v104, v181
	v_add3_u32 v32, v32, v33, v34
	v_mad_i32_i24 v73, v96, v5, v73
	v_mul_i32_i24_e32 v33, v4, v214
	v_mul_i32_i24_e32 v34, v0, v71
	;; [unrolled: 1-line block ×3, first 2 shown]
	v_add3_u32 v32, v32, v72, v78
	v_add3_u32 v73, v73, v74, v76
	v_mul_i32_i24_e32 v72, v25, v205
	v_mul_i32_i24_e32 v78, v219, v7
	;; [unrolled: 1-line block ×3, first 2 shown]
	v_add3_u32 v32, v32, v79, v80
	v_mul_i32_i24_e32 v79, v203, v28
	v_mul_i32_i24_e32 v80, v154, v29
	;; [unrolled: 1-line block ×4, first 2 shown]
	v_add3_u32 v32, v32, v81, v82
	scratch_store_b32 off, v41, off offset:472 ; 4-byte Folded Spill
	v_mul_i32_i24_e32 v81, v75, v3
	v_mul_i32_i24_e32 v82, v136, v23
	v_mov_b32_e32 v41, v54
	scratch_store_b32 off, v32, off offset:476 ; 4-byte Folded Spill
	v_mul_i32_i24_e32 v32, v24, v99
	v_mul_i32_i24_e32 v24, v24, v55
	;; [unrolled: 1-line block ×5, first 2 shown]
	v_add3_u32 v32, v73, v77, v32
	v_mul_i32_i24_e32 v23, v243, v23
	s_wait_dscnt 0x0
	v_bfe_i32 v74, v9, 0, 8
	v_bfe_i32 v76, v9, 8, 8
	;; [unrolled: 1-line block ×3, first 2 shown]
	v_add3_u32 v32, v32, v33, v34
	v_bfe_i32 v33, v8, 0, 8
	v_bfe_i32 v34, v8, 8, 8
	v_ashrrev_i32_e32 v9, 24, v9
	s_delay_alu instid0(VALU_DEP_4) | instskip(SKIP_3) | instid1(VALU_DEP_4)
	v_add3_u32 v32, v32, v72, v78
	v_bfe_i32 v72, v8, 16, 8
	v_ashrrev_i32_e32 v8, 24, v8
	v_bfe_i32 v78, v10, 0, 8
	v_add3_u32 v32, v32, v79, v80
	v_bfe_i32 v79, v10, 8, 8
	v_bfe_i32 v80, v10, 16, 8
	v_ashrrev_i32_e32 v10, 24, v10
	s_delay_alu instid0(VALU_DEP_4) | instskip(SKIP_2) | instid1(VALU_DEP_3)
	v_add3_u32 v32, v32, v81, v82
	v_bfe_i32 v81, v11, 0, 8
	v_bfe_i32 v82, v11, 8, 8
	v_add3_u32 v32, v32, v83, v84
	scratch_store_b32 off, v185, off offset:648 ; 4-byte Folded Spill
	v_bfe_i32 v83, v11, 16, 8
	v_ashrrev_i32_e32 v11, 24, v11
	scratch_store_b32 off, v32, off offset:416 ; 4-byte Folded Spill
	v_mov_b32_e32 v32, v51
	s_delay_alu instid0(VALU_DEP_1) | instskip(NEXT) | instid1(VALU_DEP_1)
	v_mul_i32_i24_e32 v26, v32, v26
	v_mad_i32_i24 v5, v35, v5, v26
	v_mov_b32_e32 v26, v94
	s_delay_alu instid0(VALU_DEP_2) | instskip(SKIP_1) | instid1(VALU_DEP_2)
	v_add3_u32 v1, v5, v1, v27
	v_bfe_i32 v5, v14, 16, 8
	v_add3_u32 v1, v1, v2, v24
	v_ashrrev_i32_e32 v2, 24, v13
	s_delay_alu instid0(VALU_DEP_3) | instskip(SKIP_1) | instid1(VALU_DEP_4)
	v_mul_i32_i24_e32 v84, v248, v5
	v_add_nc_u32_e32 v24, v9, v8
	v_add3_u32 v0, v1, v4, v0
	v_bfe_i32 v1, v13, 16, 8
	v_bfe_i32 v4, v14, 8, 8
	v_add_nc_u32_e32 v22, v2, v22
	v_add3_u32 v201, v24, v10, v11
	v_add3_u32 v0, v0, v25, v7
	v_ashrrev_i32_e32 v7, 24, v14
	v_add_nc_u32_e32 v21, v1, v21
	v_mul_i32_i24_e32 v73, v114, v4
	v_add_nc_u32_e32 v24, v77, v72
	v_add3_u32 v0, v0, v28, v29
	v_mul_i32_i24_e32 v85, v148, v7
	v_mov_b32_e32 v28, v96
	s_delay_alu instid0(VALU_DEP_4) | instskip(NEXT) | instid1(VALU_DEP_4)
	v_add3_u32 v183, v24, v80, v83
	v_add3_u32 v0, v0, v3, v23
	scratch_store_b32 off, v155, off offset:672 ; 4-byte Folded Spill
	v_bfe_i32 v3, v14, 0, 8
	v_bfe_i32 v14, v15, 8, 8
	;; [unrolled: 1-line block ×3, first 2 shown]
	scratch_store_b32 off, v0, off offset:468 ; 4-byte Folded Spill
	v_bfe_i32 v0, v13, 8, 8
	v_bfe_i32 v13, v15, 0, 8
	v_ashrrev_i32_e32 v15, 24, v15
	v_add3_u32 v53, v21, v5, v23
	v_mul_i32_i24_e32 v21, v97, v1
	v_add_nc_u32_e32 v20, v0, v20
	v_add3_u32 v52, v70, v3, v13
	v_add3_u32 v137, v22, v7, v15
	v_mul_i32_i24_e32 v22, v117, v2
	v_mul_i32_i24_e32 v70, v107, v3
	v_add3_u32 v54, v20, v4, v14
	v_mul_i32_i24_e32 v20, v115, v0
	v_mul_i32_i24_e32 v86, v162, v13
	;; [unrolled: 1-line block ×5, first 2 shown]
	v_add3_u32 v20, v68, v69, v20
	v_mul_i32_i24_e32 v68, v160, v77
	v_mul_i32_i24_e32 v69, v169, v9
	v_add_nc_u32_e32 v24, v74, v33
	s_delay_alu instid0(VALU_DEP_4) | instskip(SKIP_2) | instid1(VALU_DEP_4)
	v_add3_u32 v20, v20, v21, v22
	v_mul_i32_i24_e32 v21, v190, v72
	v_mul_i32_i24_e32 v22, v159, v8
	v_add3_u32 v38, v24, v78, v81
	v_add_nc_u32_e32 v24, v76, v34
	v_add3_u32 v20, v20, v70, v73
	v_mul_i32_i24_e32 v70, v238, v78
	v_mul_i32_i24_e32 v73, v247, v79
	s_delay_alu instid0(VALU_DEP_4) | instskip(NEXT) | instid1(VALU_DEP_4)
	v_add3_u32 v174, v24, v79, v82
	v_add3_u32 v20, v20, v84, v85
	v_mul_i32_i24_e32 v84, v175, v80
	v_mul_i32_i24_e32 v85, v228, v10
	s_delay_alu instid0(VALU_DEP_3) | instskip(SKIP_2) | instid1(VALU_DEP_3)
	v_add3_u32 v20, v20, v86, v87
	v_mul_i32_i24_e32 v86, v252, v81
	v_mul_i32_i24_e32 v87, v253, v82
	v_add3_u32 v20, v20, v88, v89
	s_clause 0x1
	scratch_store_b32 off, v92, off offset:668
	scratch_store_b32 off, v31, off offset:464
	v_mul_i32_i24_e32 v88, v255, v83
	v_mul_i32_i24_e32 v89, v102, v11
	scratch_store_b32 off, v20, off offset:328 ; 4-byte Folded Spill
	v_mul_i32_i24_e32 v20, v202, v33
	s_delay_alu instid0(VALU_DEP_1) | instskip(NEXT) | instid1(VALU_DEP_1)
	v_mad_i32_i24 v20, v199, v34, v20
	v_add3_u32 v20, v20, v21, v22
	v_mul_i32_i24_e32 v21, v204, v74
	v_mul_i32_i24_e32 v22, v208, v76
	s_delay_alu instid0(VALU_DEP_1) | instskip(SKIP_2) | instid1(VALU_DEP_3)
	v_add3_u32 v20, v20, v21, v22
	v_mul_i32_i24_e32 v21, v245, v1
	v_mul_i32_i24_e32 v22, v111, v2
	v_add3_u32 v20, v20, v68, v69
	v_mul_i32_i24_e32 v68, v91, v3
	v_mul_i32_i24_e32 v69, v108, v4
	s_delay_alu instid0(VALU_DEP_3) | instskip(SKIP_2) | instid1(VALU_DEP_3)
	v_add3_u32 v20, v20, v70, v73
	v_mul_i32_i24_e32 v70, v106, v5
	v_mul_i32_i24_e32 v73, v49, v7
	v_add3_u32 v20, v20, v84, v85
	v_mul_i32_i24_e32 v84, v161, v13
	v_mul_i32_i24_e32 v85, v92, v14
	v_mov_b32_e32 v92, v154
	v_add3_u32 v161, v18, v16, v17
	v_add3_u32 v20, v20, v86, v87
	v_mul_i32_i24_e32 v86, v47, v23
	v_mul_i32_i24_e32 v87, v127, v15
	v_mov_b32_e32 v127, v133
	s_delay_alu instid0(VALU_DEP_4)
	v_add3_u32 v20, v20, v88, v89
	scratch_store_b32 off, v148, off offset:636 ; 4-byte Folded Spill
	v_dual_mov_b32 v89, v119 :: v_dual_mov_b32 v88, v118
	v_mov_b32_e32 v148, v157
	scratch_store_b32 off, v20, off offset:332 ; 4-byte Folded Spill
	v_mul_i32_i24_e32 v20, v110, v0
	s_delay_alu instid0(VALU_DEP_1) | instskip(SKIP_2) | instid1(VALU_DEP_3)
	v_add3_u32 v20, v66, v67, v20
	v_mul_i32_i24_e32 v66, v229, v77
	v_mul_i32_i24_e32 v67, v231, v9
	v_add3_u32 v20, v20, v21, v22
	v_mul_i32_i24_e32 v21, v234, v72
	v_mul_i32_i24_e32 v22, v230, v8
	s_delay_alu instid0(VALU_DEP_3) | instskip(SKIP_2) | instid1(VALU_DEP_3)
	v_add3_u32 v20, v20, v68, v69
	v_mul_i32_i24_e32 v68, v144, v78
	v_mul_i32_i24_e32 v69, v184, v79
	v_add3_u32 v20, v20, v70, v73
	v_mul_i32_i24_e32 v70, v242, v80
	v_mul_i32_i24_e32 v73, v232, v10
	s_delay_alu instid0(VALU_DEP_3) | instskip(SKIP_2) | instid1(VALU_DEP_3)
	v_add3_u32 v20, v20, v84, v85
	v_mul_i32_i24_e32 v84, v147, v81
	v_mul_i32_i24_e32 v85, v186, v82
	v_add3_u32 v20, v20, v86, v87
	scratch_store_b32 off, v45, off offset:640 ; 4-byte Folded Spill
	v_mul_i32_i24_e32 v86, v237, v83
	v_mul_i32_i24_e32 v87, v249, v11
	v_mov_b32_e32 v45, v144
	scratch_store_b32 off, v20, off offset:336 ; 4-byte Folded Spill
	v_mul_i32_i24_e32 v20, v189, v33
	s_delay_alu instid0(VALU_DEP_1) | instskip(NEXT) | instid1(VALU_DEP_1)
	v_mad_i32_i24 v20, v191, v34, v20
	v_add3_u32 v20, v20, v21, v22
	v_mul_i32_i24_e32 v21, v182, v74
	v_mul_i32_i24_e32 v22, v143, v76
	s_delay_alu instid0(VALU_DEP_1) | instskip(SKIP_3) | instid1(VALU_DEP_4)
	v_add3_u32 v20, v20, v21, v22
	v_mul_i32_i24_e32 v21, v58, v1
	v_mul_i32_i24_e32 v22, v218, v2
	v_mul_i32_i24_e32 v2, v244, v2
	v_add3_u32 v20, v20, v66, v67
	v_mul_i32_i24_e32 v66, v26, v3
	v_mul_i32_i24_e32 v67, v219, v4
	v_mul_i32_i24_e32 v3, v40, v3
	v_mul_i32_i24_e32 v4, v46, v4
	v_add3_u32 v20, v20, v68, v69
	v_mul_i32_i24_e32 v68, v203, v5
	;; [unrolled: 5-line block ×4, first 2 shown]
	v_mul_i32_i24_e32 v85, v155, v15
	v_mul_i32_i24_e32 v15, v135, v15
	v_mov_b32_e32 v155, v134
	v_add3_u32 v20, v20, v86, v87
	scratch_store_b32 off, v62, off offset:644 ; 4-byte Folded Spill
	v_mul_i32_i24_e32 v86, v145, v11
	v_mul_i32_i24_e32 v11, v164, v11
	v_mov_b32_e32 v157, v141
	scratch_store_b32 off, v20, off offset:340 ; 4-byte Folded Spill
	v_mul_i32_i24_e32 v20, v28, v0
	s_delay_alu instid0(VALU_DEP_1) | instskip(SKIP_3) | instid1(VALU_DEP_4)
	v_add3_u32 v20, v48, v64, v20
	v_mul_i32_i24_e32 v48, v163, v77
	v_mul_i32_i24_e32 v64, v146, v9
	v_mov_b32_e32 v146, v71
	v_add3_u32 v20, v20, v21, v22
	v_mul_i32_i24_e32 v21, v206, v72
	v_mul_i32_i24_e32 v22, v213, v8
	s_delay_alu instid0(VALU_DEP_3) | instskip(SKIP_3) | instid1(VALU_DEP_4)
	v_add3_u32 v20, v20, v66, v67
	v_mul_i32_i24_e32 v66, v131, v78
	v_mul_i32_i24_e32 v67, v133, v79
	v_mov_b32_e32 v133, v55
	v_add3_u32 v20, v20, v68, v69
	v_mul_i32_i24_e32 v68, v200, v80
	v_mul_i32_i24_e32 v69, v210, v10
	s_delay_alu instid0(VALU_DEP_3) | instskip(SKIP_1) | instid1(VALU_DEP_2)
	v_add3_u32 v20, v20, v70, v73
	v_mul_i32_i24_e32 v70, v134, v81
	v_add3_u32 v20, v20, v84, v85
	scratch_store_b32 off, v47, off offset:656 ; 4-byte Folded Spill
	v_mul_i32_i24_e32 v84, v141, v82
	v_mul_i32_i24_e32 v85, v240, v83
	v_mov_b32_e32 v47, v147
	scratch_store_b32 off, v20, off offset:436 ; 4-byte Folded Spill
	v_mul_i32_i24_e32 v20, v167, v33
	v_mov_b32_e32 v167, v124
	v_mov_b32_e32 v185, v47
	s_delay_alu instid0(VALU_DEP_3) | instskip(NEXT) | instid1(VALU_DEP_1)
	v_mad_i32_i24 v20, v128, v34, v20
	v_add3_u32 v20, v20, v21, v22
	v_mul_i32_i24_e32 v21, v171, v74
	v_mul_i32_i24_e32 v22, v130, v76
	v_mov_b32_e32 v171, v233
	v_mov_b32_e32 v233, v237
	s_delay_alu instid0(VALU_DEP_3) | instskip(SKIP_2) | instid1(VALU_DEP_3)
	v_add3_u32 v20, v20, v21, v22
	v_dual_mov_b32 v21, v35 :: v_dual_mov_b32 v22, v36
	v_mov_b32_e32 v35, v193
	v_add3_u32 v20, v20, v48, v64
	s_delay_alu instid0(VALU_DEP_3) | instskip(NEXT) | instid1(VALU_DEP_4)
	v_mul_i32_i24_e32 v0, v21, v0
	v_mul_i32_i24_e32 v1, v22, v1
	s_delay_alu instid0(VALU_DEP_3) | instskip(NEXT) | instid1(VALU_DEP_3)
	v_add3_u32 v20, v20, v66, v67
	v_add3_u32 v0, v43, v44, v0
	s_delay_alu instid0(VALU_DEP_2) | instskip(NEXT) | instid1(VALU_DEP_2)
	v_add3_u32 v20, v20, v68, v69
	v_add3_u32 v0, v0, v1, v2
	v_mul_i32_i24_e32 v1, v193, v72
	v_mul_i32_i24_e32 v2, v195, v8
	;; [unrolled: 1-line block ×3, first 2 shown]
	v_add3_u32 v20, v20, v70, v84
	v_add3_u32 v0, v0, v3, v4
	v_mul_i32_i24_e32 v3, v215, v77
	v_mul_i32_i24_e32 v4, v220, v9
	;; [unrolled: 1-line block ×3, first 2 shown]
	v_add3_u32 v20, v20, v85, v86
	v_add3_u32 v0, v0, v5, v7
	scratch_store_b32 off, v75, off offset:680 ; 4-byte Folded Spill
	v_mul_i32_i24_e32 v5, v221, v78
	v_mul_i32_i24_e32 v7, v222, v79
	scratch_store_b32 off, v20, off offset:512 ; 4-byte Folded Spill
	v_mul_i32_i24_e32 v20, v121, v23
	v_add3_u32 v0, v0, v13, v14
	v_mul_i32_i24_e32 v10, v223, v81
	v_mul_i32_i24_e32 v13, v123, v82
	;; [unrolled: 1-line block ×3, first 2 shown]
	v_mov_b32_e32 v81, v123
	v_add3_u32 v0, v0, v20, v15
	scratch_store_b32 off, v121, off offset:688 ; 4-byte Folded Spill
	v_dual_mov_b32 v79, v58 :: v_dual_mov_b32 v20, v105
	v_mov_b32_e32 v83, v117
	scratch_store_b32 off, v0, off offset:516 ; 4-byte Folded Spill
	v_mul_i32_i24_e32 v0, v192, v33
	v_dual_mov_b32 v23, v107 :: v_dual_mov_b32 v154, v128
	v_mov_b32_e32 v80, v36
	v_mov_b32_e32 v36, v172
	s_delay_alu instid0(VALU_DEP_4) | instskip(NEXT) | instid1(VALU_DEP_4)
	v_mad_i32_i24 v0, v194, v34, v0
	v_dual_mov_b32 v72, v108 :: v_dual_mov_b32 v25, v23
	v_mov_b32_e32 v117, v37
	v_mov_b32_e32 v123, v51
	s_delay_alu instid0(VALU_DEP_4)
	v_add3_u32 v0, v0, v1, v2
	v_mul_i32_i24_e32 v1, v196, v74
	v_mul_i32_i24_e32 v2, v197, v76
	v_mov_b32_e32 v74, v157
	v_dual_mov_b32 v216, v25 :: v_dual_mov_b32 v121, v41
	v_mov_b32_e32 v82, v165
	s_delay_alu instid0(VALU_DEP_4) | instskip(NEXT) | instid1(VALU_DEP_1)
	v_add3_u32 v0, v0, v1, v2
	v_add3_u32 v0, v0, v3, v4
	s_delay_alu instid0(VALU_DEP_1) | instskip(NEXT) | instid1(VALU_DEP_1)
	v_add3_u32 v0, v0, v5, v7
	v_add3_u32 v0, v0, v8, v9
	s_delay_alu instid0(VALU_DEP_1) | instskip(NEXT) | instid1(VALU_DEP_1)
	v_add3_u32 v0, v0, v10, v13
	v_add3_u32 v0, v0, v14, v11
	scratch_store_b32 off, v0, off offset:544 ; 4-byte Folded Spill
	ds_load_b32 v0, v6 offset:30368
	scratch_store_b32 off, v81, off offset:692 ; 4-byte Folded Spill
	s_wait_dscnt 0x0
	scratch_store_b32 off, v0, off offset:540 ; 4-byte Folded Spill
	ds_load_b128 v[93:96], v12 offset:16896
	ds_load_b128 v[75:78], v12 offset:16912
	s_wait_dscnt 0x1
	v_bfe_i32 v0, v93, 0, 8
	v_bfe_i32 v1, v93, 8, 8
	;; [unrolled: 1-line block ×3, first 2 shown]
	v_ashrrev_i32_e32 v3, 24, v93
	v_ashrrev_i32_e32 v5, 24, v94
	v_mul_i32_i24_e32 v10, v0, v88
	v_bfe_i32 v4, v94, 0, 8
	v_bfe_i32 v8, v94, 8, 8
	;; [unrolled: 1-line block ×3, first 2 shown]
	v_add_nc_u32_e32 v6, v5, v3
	v_mul_i32_i24_e32 v11, v2, v120
	v_mul_i32_i24_e32 v12, v3, v89
	v_mad_i32_i24 v10, v1, v20, v10
	v_bfe_i32 v140, v95, 0, 8
	scratch_store_b32 off, v6, off offset:492 ; 4-byte Folded Spill
	v_add_nc_u32_e32 v6, v9, v2
	v_bfe_i32 v138, v95, 8, 8
	v_add3_u32 v10, v10, v11, v12
	v_mul_i32_i24_e32 v11, v178, v4
	v_mul_i32_i24_e32 v12, v179, v8
	scratch_store_b32 off, v6, off offset:496 ; 4-byte Folded Spill
	v_add_nc_u32_e32 v6, v8, v1
	v_mul_i32_i24_e32 v13, v97, v9
	v_mul_i32_i24_e32 v14, v83, v5
	v_add3_u32 v10, v10, v11, v12
	v_mul_i32_i24_e32 v15, v23, v140
	scratch_store_b32 off, v6, off offset:500 ; 4-byte Folded Spill
	v_add_nc_u32_e32 v6, v4, v0
	v_mul_i32_i24_e32 v33, v114, v138
	v_add3_u32 v10, v10, v13, v14
	v_mul_i32_i24_e32 v11, v2, v65
	v_mul_i32_i24_e32 v12, v3, v63
	scratch_store_b32 off, v6, off offset:504 ; 4-byte Folded Spill
	v_mul_i32_i24_e32 v13, v245, v9
	v_add3_u32 v6, v10, v15, v33
	v_mul_i32_i24_e32 v10, v0, v113
	v_mul_i32_i24_e32 v14, v111, v5
	;; [unrolled: 1-line block ×4, first 2 shown]
	scratch_store_b32 off, v6, off offset:508 ; 4-byte Folded Spill
	v_mad_i32_i24 v10, v1, v39, v10
	v_mov_b32_e32 v108, v21
	s_delay_alu instid0(VALU_DEP_2) | instskip(SKIP_2) | instid1(VALU_DEP_1)
	v_add3_u32 v10, v10, v11, v12
	v_mul_i32_i24_e32 v11, v60, v4
	v_mul_i32_i24_e32 v12, v110, v8
	v_add3_u32 v10, v10, v11, v12
	v_mul_i32_i24_e32 v11, v2, v71
	v_mul_i32_i24_e32 v12, v3, v205
	;; [unrolled: 1-line block ×4, first 2 shown]
	v_add3_u32 v10, v10, v13, v14
	v_mul_i32_i24_e32 v13, v58, v9
	v_mul_i32_i24_e32 v14, v218, v5
	v_mov_b32_e32 v57, v56
	s_delay_alu instid0(VALU_DEP_4)
	v_add3_u32 v6, v10, v15, v33
	v_mul_i32_i24_e32 v10, v0, v99
	v_mul_i32_i24_e32 v0, v0, v55
	;; [unrolled: 1-line block ×4, first 2 shown]
	scratch_store_b32 off, v6, off offset:488 ; 4-byte Folded Spill
	v_mad_i32_i24 v10, v1, v214, v10
	v_mad_i32_i24 v0, v1, v41, v0
	v_mul_i32_i24_e32 v1, v32, v4
	s_delay_alu instid0(VALU_DEP_3)
	v_add3_u32 v10, v10, v11, v12
	v_mul_i32_i24_e32 v11, v59, v4
	v_mul_i32_i24_e32 v12, v28, v8
	v_add3_u32 v0, v0, v2, v3
	v_mul_i32_i24_e32 v2, v21, v8
	v_mul_i32_i24_e32 v3, v22, v9
	;; [unrolled: 1-line block ×3, first 2 shown]
	v_add3_u32 v10, v10, v11, v12
	v_mul_i32_i24_e32 v5, v40, v140
	v_add3_u32 v0, v0, v1, v2
	v_mul_i32_i24_e32 v8, v46, v138
	ds_load_u16 v2, v207
	v_add3_u32 v10, v10, v13, v14
	v_mov_b32_e32 v207, v155
	v_add3_u32 v0, v0, v3, v4
	s_delay_alu instid0(VALU_DEP_3) | instskip(NEXT) | instid1(VALU_DEP_2)
	v_add3_u32 v6, v10, v15, v33
	v_add3_u32 v0, v0, v5, v8
	s_clause 0x1
	scratch_store_b32 off, v6, off offset:484
	scratch_store_b32 off, v0, off offset:480
	ds_load_u16 v0, v112
	s_wait_dscnt 0x1
	v_lshrrev_b16 v3, 8, v2
	s_wait_dscnt 0x0
	v_bfe_u32 v4, v0, 4, 4
	v_lshrrev_b16 v1, 8, v0
	v_and_b32_e32 v0, 15, v0
	s_delay_alu instid0(VALU_DEP_3) | instskip(NEXT) | instid1(VALU_DEP_2)
	v_mul_lo_u32 v4, 0x1010101, v4
	v_and_b32_e32 v241, 0xffff, v0
	s_delay_alu instid0(VALU_DEP_1) | instskip(NEXT) | instid1(VALU_DEP_3)
	v_mul_lo_u32 v0, v50, v241
	v_lshrrev_b32_e32 v187, 24, v4
	v_lshrrev_b16 v5, 8, v4
	v_bfe_i32 v49, v4, 0, 8
	v_bfe_i32 v134, v4, 16, 8
	v_and_b32_e32 v4, 15, v2
	v_mul_i32_i24_e32 v18, v152, v187
	v_bfe_i32 v128, v5, 0, 8
	v_and_b32_e32 v5, 0xffff, v1
	v_mul_i32_i24_e32 v17, v188, v134
	v_and_b32_e32 v191, 0xffff, v4
	v_and_b32_e32 v4, 0xffff, v3
	v_dual_mov_b32 v62, v143 :: v_dual_and_b32 v3, 15, v3
	ds_load_b128 v[67:70], v42 offset:16896
	ds_load_b128 v[141:144], v42 offset:16912
	v_lshrrev_b32_e32 v5, 4, v5
	v_mad_i32_i24 v17, v209, v49, v17
	v_mad_i32_i24 v18, v227, v128, v18
	v_and_b32_e32 v1, 15, v1
	v_and_b32_e32 v105, 0xffff, v3
	v_mul_lo_u32 v5, 0x1010101, v5
	v_lshrrev_b32_e32 v4, 4, v4
	s_delay_alu instid0(VALU_DEP_4) | instskip(NEXT) | instid1(VALU_DEP_2)
	v_and_b32_e32 v246, 0xffff, v1
                                        ; kill: def $vgpr1 killed $sgpr0 killed $exec
	v_mul_lo_u32 v4, 0x1010101, v4
	s_delay_alu instid0(VALU_DEP_4)
	v_bfe_i32 v135, v5, 0, 8
	v_bfe_i32 v147, v5, 8, 8
	v_lshrrev_b32_e32 v226, 24, v5
	v_bfe_i32 v235, v5, 16, 8
	v_mad_co_u64_u32 v[0:1], null, v30, v246, v[0:1]
	s_wait_dscnt 0x0
	v_ashrrev_i32_e32 v9, 24, v141
	v_ashrrev_i32_e32 v7, 24, v142
	v_mov_b32_e32 v170, v248
	v_ashrrev_i32_e32 v6, 24, v144
	v_ashrrev_i32_e32 v8, 24, v143
	v_bfe_i32 v11, v141, 16, 8
	v_add_nc_u32_e32 v33, v7, v9
	v_mov_b32_e32 v15, v9
	v_mov_b32_e32 v9, v6
	;; [unrolled: 1-line block ×3, first 2 shown]
	v_bfe_i32 v10, v143, 16, 8
	v_add3_u32 v239, v33, v8, v6
	v_bfe_i32 v8, v142, 16, 8
	v_mov_b32_e32 v156, v162
	v_bfe_i32 v6, v144, 16, 8
	v_add3_u32 v162, v139, v19, v173
	v_mul_i32_i24_e32 v16, v36, v135
	v_add_nc_u32_e32 v5, v8, v11
	v_mov_b32_e32 v27, v8
	v_mov_b32_e32 v21, v6
	v_mul_i32_i24_e32 v19, v162, v226
	v_add3_u32 v16, v17, v18, v16
	v_add3_u32 v8, v5, v10, v6
	v_mul_i32_i24_e32 v5, v161, v235
	v_cvt_f32_i32_e32 v0, v0
	v_lshrrev_b32_e32 v130, 24, v4
	v_bfe_i32 v119, v4, 8, 8
	v_ashrrev_i32_e32 v172, 24, v67
	v_mad_i32_i24 v5, v149, v147, v5
	v_bfe_i32 v149, v68, 16, 8
	v_ashrrev_i32_e32 v112, 24, v68
	v_bfe_i32 v115, v67, 8, 8
	v_bfe_i32 v180, v67, 0, 8
	v_add3_u32 v5, v16, v5, v19
	v_bfe_i32 v12, v69, 0, 8
	v_bfe_i32 v16, v69, 8, 8
	v_mov_b32_e32 v212, v192
	v_mov_b32_e32 v14, v7
	v_cvt_f32_i32_e32 v1, v5
	v_lshrrev_b32_e32 v5, 16, v151
	v_mov_b32_e32 v22, v10
	v_bfe_i32 v17, v69, 16, 8
	v_mov_b32_e32 v55, v170
	v_mov_b32_e32 v139, v45
	v_cvt_f32_f16_e64 v250, v5
	scratch_load_b64 v[5:6], off, off offset:76 ; 8-byte Folded Reload
	v_mov_b32_e32 v116, v153
	v_dual_mov_b32 v124, v149 :: v_dual_mul_f32 v1, v250, v1
	s_delay_alu instid0(VALU_DEP_2) | instskip(NEXT) | instid1(VALU_DEP_2)
	v_lshrrev_b32_e32 v3, 16, v116
	v_fma_mix_f32 v0, v151, v0, -v1 op_sel_hi:[1,0,0]
	s_delay_alu instid0(VALU_DEP_2) | instskip(SKIP_2) | instid1(VALU_DEP_1)
	v_cvt_f32_f16_e32 v107, v3
	v_mov_b32_e32 v248, v150
	s_wait_loadcnt 0x0
	v_dual_mov_b32 v192, v62 :: v_dual_fmac_f32 v5, v248, v0
	v_bfe_u32 v0, v2, 4, 4
	s_clause 0x1
	scratch_store_b32 off, v248, off offset:392
	scratch_store_b64 off, v[5:6], off offset:76
	v_mul_lo_u32 v0, 0x1010101, v0
	v_add_nc_u32_e32 v6, v112, v172
	s_delay_alu instid0(VALU_DEP_2)
	v_bfe_i32 v5, v0, 0, 8
	v_bfe_i32 v3, v0, 8, 8
	;; [unrolled: 1-line block ×3, first 2 shown]
	v_lshrrev_b32_e32 v1, 24, v0
	v_bfe_i32 v0, v4, 0, 8
	v_dual_mov_b32 v136, v126 :: v_dual_mov_b32 v61, v5
	v_mov_b32_e32 v126, v131
	v_bfe_i32 v131, v4, 16, 8
	s_delay_alu instid0(VALU_DEP_4)
	v_mul_i32_i24_e32 v4, v36, v0
	v_mov_b32_e32 v189, v0
	v_mul_i32_i24_e32 v0, v152, v1
	v_mov_b32_e32 v168, v1
	v_mul_i32_i24_e32 v1, v188, v2
	v_mov_b32_e32 v93, v2
	v_mul_i32_i24_e32 v2, v209, v5
	v_dual_mov_b32 v109, v3 :: v_dual_mov_b32 v48, v91
	v_mov_b32_e32 v125, v126
	v_mov_b32_e32 v91, v120
	s_delay_alu instid0(VALU_DEP_4)
	v_mad_i32_i24 v2, v227, v3, v2
	v_bfe_i32 v3, v68, 0, 8
	v_mul_i32_i24_e32 v5, v23, v12
	v_mul_i32_i24_e32 v12, v114, v16
	v_mov_b32_e32 v150, v21
	v_add3_u32 v0, v2, v1, v0
	v_bfe_i32 v2, v67, 16, 8
	v_dual_mov_b32 v67, v8 :: v_dual_mov_b32 v66, v28
	v_mov_b32_e32 v193, v212
	scratch_store_b32 off, v0, off offset:552 ; 4-byte Folded Spill
	ds_load_b32 v0, v129 offset:30368
	scratch_store_b32 off, v4, off offset:548 ; 4-byte Folded Spill
	v_bfe_i32 v4, v68, 8, 8
	v_mul_i32_i24_e32 v1, v2, v120
	v_mov_b32_e32 v118, v2
	v_mov_b32_e32 v68, v3
	;; [unrolled: 1-line block ×3, first 2 shown]
	v_dual_mov_b32 v120, v4 :: v_dual_mov_b32 v25, v66
	v_dual_mov_b32 v66, v243 :: v_dual_mov_b32 v243, v189
	v_mov_b32_e32 v126, v244
	v_dual_mov_b32 v114, v93 :: v_dual_mov_b32 v93, v61
	s_wait_dscnt 0x0
	scratch_store_b32 off, v0, off offset:132 ; 4-byte Folded Spill
	v_add_nc_u32_e32 v0, v149, v2
	scratch_store_b32 off, v6, off offset:604 ; 4-byte Folded Spill
	v_mul_i32_i24_e32 v2, v172, v89
	v_mul_i32_i24_e32 v6, v170, v17
	v_mov_b32_e32 v170, v175
	scratch_store_b32 off, v0, off offset:608 ; 4-byte Folded Spill
	v_add_nc_u32_e32 v0, v4, v115
	scratch_store_b32 off, v0, off offset:612 ; 4-byte Folded Spill
	v_add_nc_u32_e32 v0, v3, v180
	scratch_store_b32 off, v0, off offset:616 ; 4-byte Folded Spill
	v_mul_i32_i24_e32 v0, v180, v88
	s_delay_alu instid0(VALU_DEP_1) | instskip(NEXT) | instid1(VALU_DEP_1)
	v_mad_i32_i24 v0, v115, v20, v0
	v_add3_u32 v0, v0, v1, v2
	v_mul_i32_i24_e32 v1, v178, v3
	v_mul_i32_i24_e32 v2, v179, v4
	;; [unrolled: 1-line block ×4, first 2 shown]
	v_mov_b32_e32 v149, v230
	s_delay_alu instid0(VALU_DEP_4) | instskip(NEXT) | instid1(VALU_DEP_1)
	v_add3_u32 v0, v0, v1, v2
	v_add3_u32 v0, v0, v3, v4
	s_delay_alu instid0(VALU_DEP_1)
	v_add3_u32 v0, v0, v5, v12
	scratch_store_b32 off, v0, off offset:632 ; 4-byte Folded Spill
	v_mul_i32_i24_e32 v0, v190, v28
	scratch_store_b32 off, v0, off offset:620 ; 4-byte Folded Spill
	v_mul_i32_i24_e32 v0, v159, v15
	;; [unrolled: 2-line block ×5, first 2 shown]
	v_mov_b32_e32 v175, v211
	scratch_store_b32 off, v0, off offset:580 ; 4-byte Folded Spill
	v_mul_i32_i24_e32 v0, v228, v13
	scratch_store_b32 off, v0, off offset:596 ; 4-byte Folded Spill
	v_mul_i32_i24_e32 v0, v255, v21
	;; [unrolled: 2-line block ×9, first 2 shown]
	s_delay_alu instid0(VALU_DEP_1)
	v_add3_u32 v0, v101, v98, v0
	s_clause 0x1
	scratch_store_b32 off, v6, off offset:628
	scratch_store_b32 off, v0, off offset:556
	ds_load_b128 v[84:87], v90 offset:16896
	ds_load_b128 v[0:3], v90 offset:16912
	s_clause 0x7
	scratch_load_b32 v153, off, off offset:636 th:TH_LOAD_LU
	scratch_load_b32 v155, off, off offset:648 th:TH_LOAD_LU
	;; [unrolled: 1-line block ×8, first 2 shown]
	s_wait_dscnt 0x0
	v_lshrrev_b16 v4, 8, v0
	v_lshrrev_b16 v5, 8, v1
	v_ashrrev_i32_e32 v11, 24, v0
	v_ashrrev_i32_e32 v10, 24, v1
	v_mov_b32_e32 v34, v164
	v_lshrrev_b16 v101, 8, v2
	v_lshrrev_b16 v13, 8, v3
	v_bfe_i32 v129, v0, 16, 8
	v_bfe_i32 v30, v0, 0, 8
	v_bfe_i32 v90, v4, 0, 8
	v_bfe_i32 v98, v1, 16, 8
	v_bfe_i32 v12, v1, 0, 8
	v_bfe_i32 v8, v5, 0, 8
	v_ashrrev_i32_e32 v7, 24, v2
	v_bfe_i32 v4, v2, 0, 8
	v_bfe_i32 v5, v2, 16, 8
	v_ashrrev_i32_e32 v2, 24, v3
	v_bfe_i32 v0, v3, 0, 8
	v_bfe_i32 v1, v3, 16, 8
	v_dual_mov_b32 v164, v159 :: v_dual_add_nc_u32 v3, v10, v11
	v_mov_b32_e32 v159, v102
	v_add_nc_u32_e32 v29, v12, v30
	v_bfe_i32 v9, v101, 0, 8
	s_delay_alu instid0(VALU_DEP_4)
	v_add3_u32 v43, v3, v7, v2
	v_mul_i32_i24_e32 v3, v102, v2
	v_mov_b32_e32 v102, v154
	v_mov_b32_e32 v154, v156
	scratch_load_b32 v156, off, off offset:640 th:TH_LOAD_LU ; 4-byte Folded Reload
	v_add3_u32 v101, v29, v4, v0
	v_mul_i32_i24_e32 v29, v202, v30
	v_mul_i32_i24_e32 v31, v190, v129
	;; [unrolled: 1-line block ×3, first 2 shown]
	v_mov_b32_e32 v24, v20
	v_mul_i32_i24_e32 v21, v160, v98
	v_mad_i32_i24 v29, v199, v90, v29
	v_mul_i32_i24_e32 v20, v169, v10
	v_mul_i32_i24_e32 v19, v238, v4
	;; [unrolled: 1-line block ×3, first 2 shown]
	v_bfe_i32 v6, v13, 0, 8
	v_add3_u32 v29, v29, v31, v32
	v_mul_i32_i24_e32 v31, v204, v12
	v_mul_i32_i24_e32 v32, v208, v8
	;; [unrolled: 1-line block ×4, first 2 shown]
	v_add_nc_u32_e32 v13, v8, v90
	v_mul_i32_i24_e32 v15, v252, v0
	v_add3_u32 v29, v29, v31, v32
	v_mul_i32_i24_e32 v14, v253, v6
	v_mul_i32_i24_e32 v22, v182, v12
	v_add3_u32 v44, v13, v9, v6
	v_mul_i32_i24_e32 v13, v255, v1
	v_add3_u32 v20, v29, v21, v20
	v_mul_i32_i24_e32 v21, v47, v0
	v_mul_i32_i24_e32 v29, v186, v6
	;; [unrolled: 1-line block ×4, first 2 shown]
	v_add3_u32 v18, v20, v19, v18
	v_mul_i32_i24_e32 v19, v242, v5
	v_mul_i32_i24_e32 v20, v232, v7
	v_add_nc_u32_e32 v28, v98, v129
	v_dual_mov_b32 v58, v26 :: v_dual_mov_b32 v47, v34
	v_add3_u32 v16, v18, v17, v16
	v_mul_i32_i24_e32 v17, v139, v4
	v_mul_i32_i24_e32 v18, v184, v9
	v_add3_u32 v46, v28, v5, v1
	v_mov_b32_e32 v237, v59
	v_add3_u32 v14, v16, v15, v14
	v_mul_i32_i24_e32 v15, v229, v98
	v_mul_i32_i24_e32 v16, v231, v10
	v_dual_mov_b32 v26, v79 :: v_dual_mov_b32 v79, v203
	s_delay_alu instid0(VALU_DEP_4) | instskip(SKIP_4) | instid1(VALU_DEP_4)
	v_add3_u32 v31, v14, v13, v3
	v_mul_i32_i24_e32 v3, v177, v30
	v_mul_i32_i24_e32 v13, v234, v129
	;; [unrolled: 1-line block ×3, first 2 shown]
	v_dual_mov_b32 v230, v231 :: v_dual_mov_b32 v231, v242
	v_mad_i32_i24 v3, v211, v90, v3
	v_dual_mov_b32 v211, v206 :: v_dual_mov_b32 v206, v210
	v_mov_b32_e32 v210, v240
	v_mov_b32_e32 v240, v35
	s_delay_alu instid0(VALU_DEP_4)
	v_add3_u32 v3, v3, v13, v14
	v_mul_i32_i24_e32 v14, v62, v8
	v_mul_i32_i24_e32 v13, v249, v2
	scratch_load_b32 v62, off, off offset:680 th:TH_LOAD_LU ; 4-byte Folded Reload
	v_mov_b32_e32 v203, v108
	v_mul_i32_i24_e32 v42, v43, v226
	v_add3_u32 v3, v3, v22, v14
	v_mul_i32_i24_e32 v14, v213, v11
	v_mul_i32_i24_e32 v22, v74, v6
	;; [unrolled: 1-line block ×4, first 2 shown]
	v_add3_u32 v3, v3, v15, v16
	v_mul_i32_i24_e32 v15, v163, v98
	v_mul_i32_i24_e32 v16, v122, v10
	;; [unrolled: 1-line block ×3, first 2 shown]
	v_mov_b32_e32 v81, v92
	v_add3_u32 v3, v3, v17, v18
	v_mul_i32_i24_e32 v17, v125, v4
	v_mul_i32_i24_e32 v18, v127, v9
	v_mul_i32_i24_e32 v4, v221, v4
	v_mul_i32_i24_e32 v9, v222, v9
	v_add3_u32 v3, v3, v19, v20
	v_mul_i32_i24_e32 v19, v200, v5
	v_mul_i32_i24_e32 v20, v206, v7
	v_mul_i32_i24_e32 v5, v225, v5
	v_mul_i32_i24_e32 v7, v224, v7
	;; [unrolled: 5-line block ×4, first 2 shown]
	v_mov_b32_e32 v242, v26
	v_mad_i32_i24 v3, v102, v90, v3
	s_delay_alu instid0(VALU_DEP_1) | instskip(SKIP_4) | instid1(VALU_DEP_4)
	v_add3_u32 v3, v3, v13, v14
	v_mul_i32_i24_e32 v14, v198, v8
	v_mul_i32_i24_e32 v13, v145, v2
	;; [unrolled: 1-line block ×4, first 2 shown]
	v_add3_u32 v3, v3, v23, v14
	v_bfe_i32 v14, v85, 16, 8
	s_delay_alu instid0(VALU_DEP_2) | instskip(SKIP_2) | instid1(VALU_DEP_3)
	v_add3_u32 v3, v3, v15, v16
	v_bfe_i32 v15, v86, 16, 8
	v_bfe_i32 v16, v86, 0, 8
	v_add3_u32 v3, v3, v17, v18
	v_ashrrev_i32_e32 v17, 24, v86
	v_bfe_i32 v18, v87, 16, 8
	s_delay_alu instid0(VALU_DEP_3) | instskip(SKIP_2) | instid1(VALU_DEP_3)
	v_add3_u32 v3, v3, v19, v20
	v_ashrrev_i32_e32 v20, 24, v87
	v_bfe_i32 v19, v87, 0, 8
	v_add3_u32 v3, v3, v21, v22
	s_delay_alu instid0(VALU_DEP_1) | instskip(SKIP_3) | instid1(VALU_DEP_3)
	v_add3_u32 v51, v3, v32, v13
	v_mul_i32_i24_e32 v3, v212, v30
	v_mul_i32_i24_e32 v13, v35, v129
	v_mov_b32_e32 v212, v24
	v_mad_i32_i24 v3, v194, v90, v3
	s_delay_alu instid0(VALU_DEP_1) | instskip(SKIP_4) | instid1(VALU_DEP_4)
	v_add3_u32 v3, v3, v13, v11
	v_mul_i32_i24_e32 v11, v196, v12
	v_mul_i32_i24_e32 v12, v215, v98
	v_bfe_i32 v13, v85, 0, 8
	v_mul_i32_i24_e32 v98, v216, v16
	v_add3_u32 v3, v3, v11, v8
	v_ashrrev_i32_e32 v8, 24, v84
	v_ashrrev_i32_e32 v11, 24, v85
	s_delay_alu instid0(VALU_DEP_3) | instskip(SKIP_1) | instid1(VALU_DEP_3)
	v_add3_u32 v3, v3, v12, v10
	v_bfe_i32 v10, v84, 16, 8
	v_add_nc_u32_e32 v30, v11, v8
	v_mul_i32_i24_e32 v90, v83, v11
	s_delay_alu instid0(VALU_DEP_4)
	v_add3_u32 v3, v3, v4, v9
	v_bfe_i32 v9, v84, 0, 8
	v_mul_i32_i24_e32 v4, v154, v19
	v_mov_b32_e32 v64, v40
	v_add_nc_u32_e32 v22, v14, v10
	v_add3_u32 v3, v3, v5, v7
	v_lshrrev_b16 v5, 8, v85
	v_mul_i32_i24_e32 v85, v10, v91
	v_lshrrev_b16 v7, 8, v87
	v_mul_i32_i24_e32 v87, v97, v14
	v_add3_u32 v0, v3, v0, v6
	v_lshrrev_b16 v6, 8, v86
	v_bfe_i32 v5, v5, 0, 8
	v_mul_i32_i24_e32 v86, v8, v89
	v_bfe_i32 v7, v7, 0, 8
	v_add3_u32 v50, v0, v1, v2
	v_lshrrev_b16 v0, 8, v84
	v_add3_u32 v84, v30, v17, v20
	v_mul_i32_i24_e32 v30, v9, v88
	v_bfe_i32 v6, v6, 0, 8
	v_add_nc_u32_e32 v23, v13, v9
	v_bfe_i32 v0, v0, 0, 8
	v_add3_u32 v27, v22, v15, v18
	v_mov_b32_e32 v108, v64
	v_mul_i32_i24_e32 v129, v217, v6
	v_add3_u32 v29, v23, v16, v19
	v_mad_i32_i24 v30, v0, v212, v30
	v_dual_mov_b32 v92, v80 :: v_dual_add_nc_u32 v21, v5, v0
	v_mul_i32_i24_e32 v40, v46, v235
	v_mov_b32_e32 v80, v111
	s_delay_alu instid0(VALU_DEP_4) | instskip(SKIP_4) | instid1(VALU_DEP_3)
	v_add3_u32 v30, v30, v85, v86
	v_mul_i32_i24_e32 v85, v178, v13
	v_mul_i32_i24_e32 v86, v179, v5
	v_add3_u32 v28, v21, v6, v7
	v_mul_i32_i24_e32 v21, v55, v15
	v_add3_u32 v30, v30, v85, v86
	v_mul_i32_i24_e32 v85, v72, v6
	v_mul_i32_i24_e32 v86, v106, v15
	s_delay_alu instid0(VALU_DEP_3) | instskip(SKIP_1) | instid1(VALU_DEP_2)
	v_add3_u32 v30, v30, v87, v90
	v_mul_i32_i24_e32 v87, v104, v17
	v_add3_u32 v30, v30, v98, v129
	s_wait_loadcnt 0x9
	v_mul_i32_i24_e32 v12, v153, v17
	s_wait_loadcnt 0x8
	v_mul_i32_i24_e32 v3, v155, v7
	;; [unrolled: 2-line block ×4, first 2 shown]
	v_add3_u32 v12, v30, v21, v12
	s_wait_loadcnt 0x3
	v_mul_i32_i24_e32 v1, v157, v20
	v_mul_i32_i24_e32 v21, v111, v11
	;; [unrolled: 1-line block ×4, first 2 shown]
	v_add3_u32 v3, v12, v4, v3
	v_mul_i32_i24_e32 v4, v8, v254
	v_mul_i32_i24_e32 v12, v245, v14
	s_wait_loadcnt 0x1
	v_mul_i32_i24_e32 v2, v156, v18
	s_delay_alu instid0(VALU_DEP_1) | instskip(SKIP_3) | instid1(VALU_DEP_3)
	v_add3_u32 v23, v3, v2, v1
	v_mul_i32_i24_e32 v2, v9, v113
	v_mul_i32_i24_e32 v3, v10, v65
	;; [unrolled: 1-line block ×3, first 2 shown]
	v_mad_i32_i24 v2, v0, v39, v2
	s_delay_alu instid0(VALU_DEP_1) | instskip(SKIP_2) | instid1(VALU_DEP_1)
	v_add3_u32 v2, v2, v3, v4
	v_mul_i32_i24_e32 v3, v60, v13
	v_mul_i32_i24_e32 v4, v110, v5
	v_add3_u32 v2, v2, v3, v4
	v_mul_i32_i24_e32 v3, v10, v146
	v_mul_i32_i24_e32 v4, v8, v205
	s_delay_alu instid0(VALU_DEP_3) | instskip(SKIP_2) | instid1(VALU_DEP_3)
	v_add3_u32 v2, v2, v12, v21
	v_mul_i32_i24_e32 v12, v26, v14
	v_mul_i32_i24_e32 v21, v218, v11
	v_add3_u32 v2, v2, v30, v85
	v_mul_i32_i24_e32 v30, v58, v16
	v_mul_i32_i24_e32 v85, v219, v6
	;; [unrolled: 1-line block ×3, first 2 shown]
	s_delay_alu instid0(VALU_DEP_4) | instskip(SKIP_2) | instid1(VALU_DEP_3)
	v_add3_u32 v2, v2, v86, v87
	v_mul_i32_i24_e32 v86, v79, v15
	v_mul_i32_i24_e32 v87, v81, v17
	v_add3_u32 v2, v2, v90, v98
	s_delay_alu instid0(VALU_DEP_1) | instskip(SKIP_3) | instid1(VALU_DEP_3)
	v_add3_u32 v22, v2, v129, v1
	v_mul_i32_i24_e32 v1, v9, v99
	v_mul_i32_i24_e32 v129, v148, v18
	;; [unrolled: 1-line block ×3, first 2 shown]
	v_mad_i32_i24 v1, v0, v214, v1
	s_delay_alu instid0(VALU_DEP_1) | instskip(SKIP_2) | instid1(VALU_DEP_1)
	v_add3_u32 v1, v1, v3, v4
	v_mul_i32_i24_e32 v3, v59, v13
	v_mul_i32_i24_e32 v4, v25, v5
	v_add3_u32 v1, v1, v3, v4
	v_mul_i32_i24_e32 v3, v10, v103
	v_mul_i32_i24_e32 v10, v171, v17
	v_ashrrev_i32_e32 v17, 24, v143
	s_delay_alu instid0(VALU_DEP_4) | instskip(NEXT) | instid1(VALU_DEP_1)
	v_add3_u32 v1, v1, v12, v21
	v_add3_u32 v1, v1, v30, v85
	v_mov_b32_e32 v85, v106
	s_delay_alu instid0(VALU_DEP_2)
	v_add3_u32 v1, v1, v86, v87
	s_clause 0x1
	scratch_load_b32 v86, off, off offset:684 th:TH_LOAD_LU
	scratch_load_b32 v35, off, off offset:676 th:TH_LOAD_LU
	s_wait_loadcnt 0x2
	v_mul_i32_i24_e32 v90, v62, v19
	s_wait_loadcnt 0x0
	v_mul_i32_i24_e32 v98, v35, v7
	v_mul_i32_i24_e32 v7, v66, v7
	s_delay_alu instid0(VALU_DEP_2) | instskip(NEXT) | instid1(VALU_DEP_1)
	v_add3_u32 v1, v1, v90, v98
	v_add3_u32 v2, v1, v129, v2
	v_mov_b32_e32 v129, v57
	scratch_load_b32 v57, off, off offset:688 th:TH_LOAD_LU ; 4-byte Folded Reload
	v_mul_i32_i24_e32 v1, v9, v133
	v_mul_i32_i24_e32 v9, v82, v15
	;; [unrolled: 1-line block ×4, first 2 shown]
	s_delay_alu instid0(VALU_DEP_4)
	v_mad_i32_i24 v0, v0, v121, v1
	v_mul_i32_i24_e32 v1, v123, v13
	v_mul_i32_i24_e32 v13, v86, v20
	v_mov_b32_e32 v16, v150
	v_mov_b32_e32 v150, v99
	v_add3_u32 v0, v0, v3, v4
	v_mul_i32_i24_e32 v3, v203, v5
	v_mul_i32_i24_e32 v4, v92, v14
	;; [unrolled: 1-line block ×4, first 2 shown]
	v_bfe_i32 v14, v69, 8, 8
	v_add3_u32 v0, v0, v1, v3
	v_mul_i32_i24_e32 v1, v28, v128
	s_delay_alu instid0(VALU_DEP_2) | instskip(SKIP_3) | instid1(VALU_DEP_4)
	v_add3_u32 v0, v0, v4, v5
	v_mad_i32_i24 v4, v27, v134, v40
	v_mad_i32_i24 v5, v29, v49, v41
	v_ashrrev_i32_e32 v41, 24, v144
	v_add3_u32 v0, v0, v8, v6
	v_mad_i32_i24 v6, v84, v187, v42
	v_mul_i32_i24_e32 v8, v27, v114
	s_delay_alu instid0(VALU_DEP_3) | instskip(NEXT) | instid1(VALU_DEP_3)
	v_add3_u32 v0, v0, v9, v10
	v_add3_u32 v1, v1, v45, v6
	v_mul_i32_i24_e32 v9, v29, v61
	v_mul_i32_i24_e32 v6, v44, v119
	s_delay_alu instid0(VALU_DEP_4) | instskip(NEXT) | instid1(VALU_DEP_4)
	v_add3_u32 v0, v0, v11, v7
	v_add3_u32 v4, v5, v4, v1
                                        ; kill: def $vgpr1 killed $sgpr0 killed $exec
	s_delay_alu instid0(VALU_DEP_4)
	v_mad_i32_i24 v9, v28, v109, v9
	v_mul_i32_i24_e32 v5, v101, v189
	v_bfe_i32 v11, v143, 16, 8
	s_wait_loadcnt 0x0
	v_mul_i32_i24_e32 v12, v57, v18
	v_ashrrev_i32_e32 v18, 24, v141
	s_delay_alu instid0(VALU_DEP_2) | instskip(SKIP_3) | instid1(VALU_DEP_2)
	v_add3_u32 v34, v0, v12, v13
	v_mul_lo_u32 v0, v23, v241
	v_bfe_i32 v13, v141, 16, 8
	v_bfe_i32 v12, v142, 16, 8
	v_mul_i32_i24_e32 v37, v211, v13
	s_delay_alu instid0(VALU_DEP_4) | instskip(SKIP_2) | instid1(VALU_DEP_2)
	v_mad_co_u64_u32 v[0:1], null, v31, v246, v[0:1]
	v_cvt_f32_i32_e32 v1, v4
	v_mul_i32_i24_e32 v4, v46, v131
	v_mul_f32_e32 v1, v250, v1
	s_delay_alu instid0(VALU_DEP_4) | instskip(SKIP_3) | instid1(VALU_DEP_4)
	v_cvt_f32_i32_e32 v0, v0
	v_mov_b32_e32 v165, v116
	v_mul_i32_i24_e32 v7, v84, v168
	v_dual_mov_b32 v87, v116 :: v_dual_mov_b32 v236, v168
	v_fma_mix_f32 v0, v151, v0, -v1 op_sel_hi:[1,0,0]
	s_clause 0x1
	scratch_load_b32 v1, off, off offset:56
	scratch_load_b32 v10, off, off offset:412 th:TH_LOAD_LU
	v_add3_u32 v7, v9, v8, v7
	s_clause 0x6
	scratch_load_b32 v33, off, off offset:536 th:TH_LOAD_LU
	scratch_load_b32 v21, off, off offset:424 th:TH_LOAD_LU
	;; [unrolled: 1-line block ×7, first 2 shown]
	v_add3_u32 v5, v7, v5, v6
	s_wait_loadcnt 0x7
	v_dual_mov_b32 v116, v39 :: v_dual_fmac_f32 v1, v10, v0
	v_mul_lo_u32 v0, v22, v191
	scratch_load_b32 v22, off, off offset:520 th:TH_LOAD_LU ; 4-byte Folded Reload
	s_wait_loadcnt 0x7
	v_mul_i32_i24_e32 v9, v33, v49
	v_mov_b32_e32 v244, v60
	scratch_store_b32 off, v1, off offset:56 ; 4-byte Folded Spill
	v_mul_i32_i24_e32 v1, v43, v130
	s_wait_loadcnt 0x3
	v_mul_i32_i24_e32 v7, v23, v187
	s_wait_loadcnt 0x2
	v_mul_i32_i24_e32 v8, v30, v134
	s_wait_loadcnt 0x1
	v_mad_i32_i24 v9, v32, v128, v9
	v_add3_u32 v4, v5, v4, v1
                                        ; kill: def $vgpr1 killed $sgpr0 killed $exec
	v_mul_i32_i24_e32 v5, v31, v135
	v_mad_co_u64_u32 v[0:1], null, v73, v105, v[0:1]
	v_mov_b32_e32 v73, v10
	s_delay_alu instid0(VALU_DEP_4)
	v_cvt_f32_i32_e32 v1, v4
	v_mul_i32_i24_e32 v4, v20, v235
	v_add3_u32 v7, v9, v8, v7
	v_mul_i32_i24_e32 v9, v33, v61
	v_mul_i32_i24_e32 v8, v30, v114
	v_cvt_f32_i32_e32 v0, v0
	v_mul_f32_e32 v1, v107, v1
	s_delay_alu instid0(VALU_DEP_4) | instskip(NEXT) | instid1(VALU_DEP_2)
	v_mad_i32_i24 v9, v32, v109, v9
	v_fma_mix_f32 v0, v165, v0, -v1 op_sel_hi:[1,0,0]
	scratch_load_b32 v1, off, off offset:40 ; 4-byte Folded Reload
	s_wait_loadcnt 0x1
	v_mul_i32_i24_e32 v6, v22, v147
	s_delay_alu instid0(VALU_DEP_1) | instskip(SKIP_2) | instid1(VALU_DEP_2)
	v_add3_u32 v5, v7, v5, v6
	v_mul_i32_i24_e32 v7, v23, v168
	v_mul_i32_i24_e32 v6, v22, v119
	v_add3_u32 v7, v9, v8, v7
	v_mul_i32_i24_e32 v9, v52, v49
	v_mul_i32_i24_e32 v8, v53, v134
	s_delay_alu instid0(VALU_DEP_2)
	v_mad_i32_i24 v9, v54, v128, v9
	s_wait_loadcnt 0x0
	v_fmac_f32_e32 v1, v10, v0
	scratch_load_b32 v0, off, off offset:312 th:TH_LOAD_LU ; 4-byte Folded Reload
	scratch_store_b32 off, v1, off offset:40 ; 4-byte Folded Spill
	v_mul_i32_i24_e32 v1, v21, v226
	s_delay_alu instid0(VALU_DEP_1) | instskip(SKIP_2) | instid1(VALU_DEP_1)
	v_add3_u32 v4, v5, v4, v1
	scratch_load_b32 v1, off, off offset:316 th:TH_LOAD_LU ; 4-byte Folded Reload
	v_mul_i32_i24_e32 v5, v31, v189
	v_add3_u32 v5, v7, v5, v6
	v_mul_i32_i24_e32 v7, v137, v187
	v_mul_i32_i24_e32 v6, v174, v147
	s_delay_alu instid0(VALU_DEP_2) | instskip(SKIP_3) | instid1(VALU_DEP_3)
	v_add3_u32 v7, v9, v8, v7
	v_mul_i32_i24_e32 v9, v52, v61
	v_mul_i32_i24_e32 v8, v53, v114
	v_mov_b32_e32 v61, v109
	v_mad_i32_i24 v9, v54, v109, v9
	v_mov_b32_e32 v109, v58
	s_wait_loadcnt 0x1
	v_mul_lo_u32 v0, v0, v241
	s_wait_loadcnt 0x0
	s_delay_alu instid0(VALU_DEP_1) | instskip(SKIP_2) | instid1(VALU_DEP_2)
	v_mad_co_u64_u32 v[0:1], null, v1, v246, v[0:1]
	v_cvt_f32_i32_e32 v1, v4
	v_mul_i32_i24_e32 v4, v20, v131
	v_mul_f32_e32 v1, v250, v1
	s_delay_alu instid0(VALU_DEP_4) | instskip(NEXT) | instid1(VALU_DEP_1)
	v_cvt_f32_i32_e32 v0, v0
	v_fma_mix_f32 v0, v151, v0, -v1 op_sel_hi:[1,0,0]
	s_clause 0x1
	scratch_load_b32 v1, off, off offset:64
	scratch_load_b32 v10, off, off offset:420 th:TH_LOAD_LU
	s_wait_loadcnt 0x0
	v_fmac_f32_e32 v1, v10, v0
	scratch_load_b32 v0, off, off offset:320 th:TH_LOAD_LU ; 4-byte Folded Reload
	v_mov_b32_e32 v15, v10
	scratch_store_b32 off, v1, off offset:64 ; 4-byte Folded Spill
	v_mul_i32_i24_e32 v1, v21, v130
	s_delay_alu instid0(VALU_DEP_1) | instskip(SKIP_2) | instid1(VALU_DEP_1)
	v_add3_u32 v4, v5, v4, v1
	scratch_load_b32 v1, off, off offset:324 th:TH_LOAD_LU ; 4-byte Folded Reload
	v_mul_i32_i24_e32 v5, v38, v135
	v_add3_u32 v5, v7, v5, v6
	v_mul_i32_i24_e32 v7, v137, v168
	v_mul_i32_i24_e32 v6, v174, v119
	s_delay_alu instid0(VALU_DEP_2) | instskip(SKIP_2) | instid1(VALU_DEP_2)
	v_add3_u32 v7, v9, v8, v7
	v_bfe_i32 v9, v69, 0, 8
	v_mul_i32_i24_e32 v8, v72, v14
	v_mov_b32_e32 v24, v9
	s_wait_loadcnt 0x1
	v_mul_lo_u32 v0, v0, v191
	s_wait_loadcnt 0x0
	s_delay_alu instid0(VALU_DEP_1) | instskip(SKIP_2) | instid1(VALU_DEP_2)
	v_mad_co_u64_u32 v[0:1], null, v1, v105, v[0:1]
	v_cvt_f32_i32_e32 v1, v4
	v_mul_i32_i24_e32 v4, v183, v235
	v_mul_f32_e32 v1, v107, v1
	s_delay_alu instid0(VALU_DEP_4) | instskip(NEXT) | instid1(VALU_DEP_1)
	v_cvt_f32_i32_e32 v0, v0
	v_fma_mix_f32 v0, v165, v0, -v1 op_sel_hi:[1,0,0]
	scratch_load_b32 v1, off, off offset:48 ; 4-byte Folded Reload
	s_wait_loadcnt 0x0
	v_fmac_f32_e32 v1, v10, v0
	scratch_load_b32 v0, off, off offset:328 th:TH_LOAD_LU ; 4-byte Folded Reload
	scratch_store_b32 off, v1, off offset:48 ; 4-byte Folded Spill
	v_mul_i32_i24_e32 v1, v201, v226
	s_delay_alu instid0(VALU_DEP_1) | instskip(SKIP_2) | instid1(VALU_DEP_1)
	v_add3_u32 v4, v5, v4, v1
	scratch_load_b32 v1, off, off offset:332 th:TH_LOAD_LU ; 4-byte Folded Reload
	v_mul_i32_i24_e32 v5, v38, v189
	v_add3_u32 v5, v7, v5, v6
	v_mul_i32_i24_e32 v6, v111, v112
	v_mul_i32_i24_e32 v7, v48, v9
	v_bfe_i32 v111, v69, 16, 8
	s_delay_alu instid0(VALU_DEP_1) | instskip(SKIP_3) | instid1(VALU_DEP_1)
	v_mul_i32_i24_e32 v10, v106, v111
	s_wait_loadcnt 0x1
	v_mul_lo_u32 v0, v0, v241
	s_wait_loadcnt 0x0
	v_mad_co_u64_u32 v[0:1], null, v1, v246, v[0:1]
	v_cvt_f32_i32_e32 v1, v4
	v_mul_i32_i24_e32 v4, v183, v131
	s_delay_alu instid0(VALU_DEP_2) | instskip(NEXT) | instid1(VALU_DEP_4)
	v_mul_f32_e32 v1, v250, v1
	v_cvt_f32_i32_e32 v0, v0
	s_delay_alu instid0(VALU_DEP_1)
	v_fma_mix_f32 v0, v151, v0, -v1 op_sel_hi:[1,0,0]
	scratch_load_b32 v1, off, off offset:72 ; 4-byte Folded Reload
	s_wait_loadcnt 0x0
	v_fmac_f32_e32 v1, v251, v0
	scratch_load_b32 v0, off, off offset:336 th:TH_LOAD_LU ; 4-byte Folded Reload
	scratch_store_b32 off, v1, off offset:72 ; 4-byte Folded Spill
	v_mul_i32_i24_e32 v1, v201, v130
	s_delay_alu instid0(VALU_DEP_1)
	v_add3_u32 v4, v5, v4, v1
	scratch_load_b32 v1, off, off offset:340 th:TH_LOAD_LU ; 4-byte Folded Reload
	v_mul_i32_i24_e32 v5, v245, v124
	s_wait_loadcnt 0x1
	v_mul_lo_u32 v0, v0, v191
	s_wait_loadcnt 0x0
	s_delay_alu instid0(VALU_DEP_1) | instskip(SKIP_2) | instid1(VALU_DEP_2)
	v_mad_co_u64_u32 v[0:1], null, v1, v105, v[0:1]
	v_cvt_f32_i32_e32 v1, v4
	v_mul_i32_i24_e32 v4, v172, v254
	v_mul_f32_e32 v1, v107, v1
	s_delay_alu instid0(VALU_DEP_4) | instskip(NEXT) | instid1(VALU_DEP_1)
	v_cvt_f32_i32_e32 v0, v0
	v_fma_mix_f32 v0, v165, v0, -v1 op_sel_hi:[1,0,0]
	scratch_load_b32 v1, off, off offset:52 ; 4-byte Folded Reload
	s_wait_loadcnt 0x0
	v_fmac_f32_e32 v1, v251, v0
	v_mul_i32_i24_e32 v0, v180, v113
	s_clause 0x1
	scratch_store_b32 off, v1, off offset:52
	scratch_store_b32 off, v180, off offset:300
	v_mul_i32_i24_e32 v1, v118, v65
	v_mad_i32_i24 v0, v115, v39, v0
	v_mov_b32_e32 v39, v239
	s_clause 0x7
	scratch_store_b32 off, v172, off offset:308
	scratch_store_b32 off, v68, off offset:280
	;; [unrolled: 1-line block ×8, first 2 shown]
	v_add3_u32 v0, v0, v1, v4
	v_mul_i32_i24_e32 v1, v60, v68
	v_mul_i32_i24_e32 v4, v110, v120
	s_clause 0x3
	scratch_store_b32 off, v11, off offset:248
	scratch_store_b32 off, v17, off offset:244
	;; [unrolled: 1-line block ×4, first 2 shown]
	v_add3_u32 v0, v0, v1, v4
	v_mul_i32_i24_e32 v1, v118, v146
	v_mul_i32_i24_e32 v4, v172, v205
	v_dual_mov_b32 v118, v205 :: v_dual_mov_b32 v205, v219
	s_delay_alu instid0(VALU_DEP_4)
	v_add3_u32 v0, v0, v5, v6
	v_mul_i32_i24_e32 v5, v26, v124
	v_mul_i32_i24_e32 v6, v218, v112
	v_mov_b32_e32 v26, v111
	v_mov_b32_e32 v172, v163
	v_add3_u32 v0, v0, v7, v8
	v_mul_i32_i24_e32 v7, v58, v9
	v_mul_i32_i24_e32 v8, v219, v14
	;; [unrolled: 1-line block ×3, first 2 shown]
	v_mov_b32_e32 v58, v79
	scratch_store_b32 off, v0, off offset:372 ; 4-byte Folded Spill
	v_mul_i32_i24_e32 v0, v234, v13
	v_mul_i32_i24_e32 v79, v172, v12
	v_mov_b32_e32 v163, v122
	v_mul_i32_i24_e32 v13, v213, v18
	v_mov_b32_e32 v239, v25
	scratch_store_b32 off, v0, off offset:344 ; 4-byte Folded Spill
	v_mul_i32_i24_e32 v0, v149, v18
	scratch_store_b32 off, v0, off offset:348 ; 4-byte Folded Spill
	v_mul_i32_i24_e32 v0, v229, v12
	scratch_store_b32 off, v10, off offset:368 ; 4-byte Folded Spill
	v_ashrrev_i32_e32 v10, 24, v142
	s_clause 0x3
	scratch_store_b32 off, v12, off offset:256
	scratch_store_b32 off, v18, off offset:272
	;; [unrolled: 1-line block ×4, first 2 shown]
	v_mul_i32_i24_e32 v0, v230, v10
	scratch_store_b32 off, v10, off offset:252 ; 4-byte Folded Spill
	v_mul_i32_i24_e32 v64, v163, v10
	scratch_store_b32 off, v0, off offset:332 ; 4-byte Folded Spill
	;; [unrolled: 2-line block ×6, first 2 shown]
	v_mul_i32_i24_e32 v0, v39, v130
	s_clause 0x1
	scratch_store_b32 off, v0, off offset:312
	scratch_store_b32 off, v67, off offset:264
	v_mul_i32_i24_e32 v0, v67, v131
	s_clause 0x1
	scratch_load_b32 v219, off, off offset:448 th:TH_LOAD_LU
	scratch_load_b32 v98, off, off offset:452 th:TH_LOAD_LU
	scratch_store_b32 off, v0, off offset:316 ; 4-byte Folded Spill
	v_mul_i32_i24_e32 v0, v180, v99
	v_mul_i32_i24_e32 v180, v206, v17
	;; [unrolled: 1-line block ×3, first 2 shown]
	s_delay_alu instid0(VALU_DEP_3) | instskip(NEXT) | instid1(VALU_DEP_1)
	v_mad_i32_i24 v0, v115, v214, v0
	v_add3_u32 v0, v0, v1, v4
	v_mul_i32_i24_e32 v1, v59, v68
	v_mul_i32_i24_e32 v4, v25, v120
	scratch_load_b32 v59, off, off offset:652 th:TH_LOAD_LU ; 4-byte Folded Reload
	v_mul_i32_i24_e32 v68, v200, v11
	v_mov_b32_e32 v25, v14
	v_add3_u32 v0, v0, v1, v4
	scratch_load_b32 v4, off, off offset:388 th:TH_LOAD_LU ; 4-byte Folded Reload
	v_add3_u32 v0, v0, v5, v6
	s_delay_alu instid0(VALU_DEP_1)
	v_add3_u32 v8, v0, v7, v8
	scratch_load_b32 v0, off, off offset:384 th:TH_LOAD_LU ; 4-byte Folded Reload
	s_wait_loadcnt 0x1
	ds_load_u16 v4, v4
	s_wait_loadcnt 0x0
	ds_load_u16 v0, v0
	s_wait_dscnt 0x1
	v_lshrrev_b16 v10, 8, v4
	s_wait_dscnt 0x0
	v_lshrrev_b16 v1, 8, v0
	v_bfe_u32 v11, v0, 4, 4
	v_and_b32_e32 v0, 15, v0
	s_delay_alu instid0(VALU_DEP_3) | instskip(NEXT) | instid1(VALU_DEP_3)
	v_and_b32_e32 v12, 0xffff, v1
	v_mul_lo_u32 v11, 0x1010101, v11
	s_delay_alu instid0(VALU_DEP_3) | instskip(SKIP_4) | instid1(VALU_DEP_2)
	v_and_b32_e32 v111, 0xffff, v0
	scratch_load_b32 v0, off, off offset:416 th:TH_LOAD_LU ; 4-byte Folded Reload
	v_and_b32_e32 v1, 15, v1
	v_lshrrev_b32_e32 v12, 4, v12
	v_bfe_i32 v6, v11, 0, 8
	v_mul_lo_u32 v12, 0x1010101, v12
	v_bfe_i32 v60, v11, 8, 8
	v_bfe_i32 v189, v11, 16, 8
	v_lshrrev_b32_e32 v168, 24, v11
	v_mul_i32_i24_e32 v19, v209, v6
	v_and_b32_e32 v11, 15, v4
	v_bfe_u32 v4, v4, 4, 4
	v_mul_i32_i24_e32 v18, v188, v189
	v_bfe_i32 v165, v12, 0, 8
	v_bfe_i32 v122, v12, 8, 8
	v_mul_i32_i24_e32 v17, v152, v168
	v_mad_i32_i24 v19, v227, v60, v19
	v_mul_lo_u32 v4, 0x1010101, v4
	v_and_b32_e32 v5, 0xffff, v11
	v_and_b32_e32 v11, 0xffff, v10
	v_mul_i32_i24_e32 v14, v36, v165
	v_mul_i32_i24_e32 v16, v59, v122
	v_add3_u32 v17, v19, v18, v17
	v_lshrrev_b32_e32 v120, 24, v12
	v_bfe_i32 v124, v12, 16, 8
	v_bfe_i32 v18, v4, 16, 8
	v_lshrrev_b32_e32 v19, 24, v4
	v_add3_u32 v63, v17, v14, v16
	v_bfe_i32 v14, v4, 0, 8
	v_bfe_i32 v17, v4, 8, 8
	v_lshrrev_b32_e32 v4, 4, v11
	v_mul_i32_i24_e32 v40, v29, v6
	v_mov_b32_e32 v71, v18
	v_mul_i32_i24_e32 v12, v209, v14
	v_and_b32_e32 v115, 0xffff, v1
	v_mul_lo_u32 v4, 0x1010101, v4
	v_dual_mov_b32 v90, v65 :: v_dual_mov_b32 v65, v17
	s_delay_alu instid0(VALU_DEP_4)
	v_mad_i32_i24 v12, v227, v17, v12
	v_lshrrev_b32_e32 v1, 16, v98
	v_dual_mov_b32 v227, v102 :: v_dual_mov_b32 v102, v159
	v_mov_b32_e32 v159, v221
	v_bfe_i32 v11, v4, 0, 8
	v_bfe_i32 v106, v4, 8, 8
	v_bfe_i32 v3, v4, 16, 8
	v_cvt_f32_f16_e32 v42, v1
	v_mul_lo_u32 v1, v2, v111
	v_mul_i32_i24_e32 v16, v36, v11
	v_mov_b32_e32 v36, v11
	v_mul_i32_i24_e32 v11, v188, v18
	v_mov_b32_e32 v188, v60
	v_mov_b32_e32 v18, v14
	v_mul_i32_i24_e32 v14, v27, v189
	v_mul_i32_i24_e32 v2, v43, v120
	v_mov_b32_e32 v17, v3
	v_mad_i32_i24 v40, v28, v188, v40
	v_mov_b32_e32 v60, v18
	v_dual_mov_b32 v18, v71 :: v_dual_mov_b32 v221, v83
	s_delay_alu instid0(VALU_DEP_4) | instskip(SKIP_4) | instid1(VALU_DEP_1)
	v_mul_i32_i24_e32 v3, v46, v17
	s_wait_loadcnt 0x0
	v_mul_lo_u32 v7, v0, v111
	v_lshrrev_b32_e32 v0, 24, v4
	v_mul_i32_i24_e32 v4, v152, v19
	v_add3_u32 v152, v12, v11, v4
	v_and_b32_e32 v4, 15, v10
	v_mul_i32_i24_e32 v12, v84, v168
	v_mul_i32_i24_e32 v10, v101, v165
	;; [unrolled: 1-line block ×3, first 2 shown]
	s_delay_alu instid0(VALU_DEP_4) | instskip(SKIP_3) | instid1(VALU_DEP_3)
	v_and_b32_e32 v45, 0xffff, v4
	v_lshrrev_b32_e32 v4, 16, v219
	v_add3_u32 v12, v40, v14, v12
	v_mul_i32_i24_e32 v14, v29, v60
	v_cvt_f32_f16_e32 v112, v4
	v_mul_i32_i24_e32 v4, v46, v124
	s_delay_alu instid0(VALU_DEP_4)
	v_add3_u32 v10, v12, v10, v11
	v_mul_i32_i24_e32 v11, v84, v19
	v_mul_i32_i24_e32 v12, v27, v71
	v_mad_i32_i24 v14, v28, v65, v14
	v_mov_b32_e32 v28, v19
	v_add3_u32 v4, v10, v4, v2
                                        ; kill: def $vgpr2 killed $sgpr0 killed $exec
	v_mul_i32_i24_e32 v10, v44, v106
	v_mad_co_u64_u32 v[1:2], null, v51, v115, v[1:2]
	v_add3_u32 v11, v14, v12, v11
	s_delay_alu instid0(VALU_DEP_4)
	v_cvt_f32_i32_e32 v2, v4
	v_mul_i32_i24_e32 v4, v101, v36
	v_mul_i32_i24_e32 v14, v33, v6
	;; [unrolled: 1-line block ×3, first 2 shown]
	v_bfe_i32 v19, v141, 0, 8
	v_cvt_f32_i32_e32 v1, v1
	v_mul_f32_e32 v2, v112, v2
	v_add3_u32 v4, v11, v4, v10
	v_mul_i32_i24_e32 v11, v23, v168
	v_mad_i32_i24 v14, v32, v188, v14
	v_mul_i32_i24_e32 v10, v22, v122
	v_mov_b32_e32 v101, v5
	s_delay_alu instid0(VALU_DEP_3)
	v_add3_u32 v11, v14, v12, v11
	v_mul_i32_i24_e32 v12, v30, v71
	v_mov_b32_e32 v71, v86
	v_fma_mix_f32 v1, v219, v1, -v2 op_sel_hi:[1,0,0]
	scratch_load_b32 v2, off, off offset:16 ; 4-byte Folded Reload
	v_mul_i32_i24_e32 v14, v33, v60
	v_mov_b32_e32 v33, v98
	s_delay_alu instid0(VALU_DEP_2) | instskip(NEXT) | instid1(VALU_DEP_2)
	v_mad_i32_i24 v14, v32, v65, v14
	v_mov_b32_e32 v84, v33
	s_wait_loadcnt 0x0
	v_fmac_f32_e32 v2, v73, v1
	v_mul_lo_u32 v1, v34, v5
	v_bfe_i32 v34, v78, 16, 8
	scratch_store_b32 off, v2, off offset:16 ; 4-byte Folded Spill
	v_mul_i32_i24_e32 v2, v43, v0
	s_delay_alu instid0(VALU_DEP_1) | instskip(SKIP_3) | instid1(VALU_DEP_4)
	v_add3_u32 v3, v4, v3, v2
                                        ; kill: def $vgpr2 killed $sgpr0 killed $exec
	v_mul_i32_i24_e32 v4, v31, v165
	v_mad_co_u64_u32 v[1:2], null, v50, v45, v[1:2]
	v_mov_b32_e32 v50, v45
	v_cvt_f32_i32_e32 v2, v3
	s_delay_alu instid0(VALU_DEP_4)
	v_add3_u32 v4, v11, v4, v10
	v_mul_i32_i24_e32 v11, v23, v28
	v_mov_b32_e32 v23, v0
	v_mul_i32_i24_e32 v3, v20, v124
	v_cvt_f32_i32_e32 v1, v1
	v_mul_f32_e32 v2, v42, v2
	v_mul_i32_i24_e32 v10, v22, v106
	v_add3_u32 v11, v14, v12, v11
	v_mul_i32_i24_e32 v14, v52, v6
	v_mul_i32_i24_e32 v12, v53, v189
	v_fma_mix_f32 v1, v98, v1, -v2 op_sel_hi:[1,0,0]
	scratch_load_b32 v2, off, off           ; 4-byte Folded Reload
	v_mov_b32_e32 v209, v50
	v_mad_i32_i24 v14, v54, v188, v14
	v_ashrrev_i32_e32 v22, 24, v69
	s_wait_loadcnt 0x0
	v_fmac_f32_e32 v2, v73, v1
	scratch_load_b32 v1, off, off offset:396 th:TH_LOAD_LU ; 4-byte Folded Reload
	s_clause 0x1
	scratch_store_b32 off, v26, off offset:352
	scratch_store_b32 off, v2, off
	v_mul_i32_i24_e32 v2, v21, v120
	s_delay_alu instid0(VALU_DEP_1) | instskip(SKIP_3) | instid1(VALU_DEP_2)
	v_add3_u32 v3, v4, v3, v2
	scratch_load_b32 v2, off, off offset:400 th:TH_LOAD_LU ; 4-byte Folded Reload
	v_mul_i32_i24_e32 v4, v31, v36
	v_mov_b32_e32 v31, v6
	v_add3_u32 v4, v11, v4, v10
	v_mul_i32_i24_e32 v11, v137, v168
	v_mul_i32_i24_e32 v10, v174, v122
	s_delay_alu instid0(VALU_DEP_2) | instskip(SKIP_2) | instid1(VALU_DEP_2)
	v_add3_u32 v11, v14, v12, v11
	v_mul_i32_i24_e32 v14, v52, v60
	v_mul_i32_i24_e32 v12, v53, v18
	v_mad_i32_i24 v14, v54, v65, v14
	s_wait_loadcnt 0x1
	v_mul_lo_u32 v1, v1, v111
	s_wait_loadcnt 0x0
	s_delay_alu instid0(VALU_DEP_1) | instskip(SKIP_3) | instid1(VALU_DEP_3)
	v_mad_co_u64_u32 v[1:2], null, v2, v115, v[1:2]
	v_cvt_f32_i32_e32 v2, v3
	v_mul_i32_i24_e32 v3, v20, v17
	v_mov_b32_e32 v20, v106
	v_mul_f32_e32 v2, v112, v2
	v_cvt_f32_i32_e32 v1, v1
	s_delay_alu instid0(VALU_DEP_1)
	v_fma_mix_f32 v1, v219, v1, -v2 op_sel_hi:[1,0,0]
	scratch_load_b32 v2, off, off offset:24 ; 4-byte Folded Reload
	s_wait_loadcnt 0x0
	v_fmac_f32_e32 v2, v15, v1
	scratch_load_b32 v1, off, off offset:404 th:TH_LOAD_LU ; 4-byte Folded Reload
	scratch_store_b32 off, v2, off offset:24 ; 4-byte Folded Spill
	v_mul_i32_i24_e32 v2, v21, v0
	v_mov_b32_e32 v21, v17
	s_delay_alu instid0(VALU_DEP_2) | instskip(SKIP_2) | instid1(VALU_DEP_1)
	v_add3_u32 v3, v4, v3, v2
	scratch_load_b32 v2, off, off offset:408 th:TH_LOAD_LU ; 4-byte Folded Reload
	v_mul_i32_i24_e32 v4, v38, v165
	v_add3_u32 v4, v11, v4, v10
	v_mul_i32_i24_e32 v11, v137, v28
	v_mul_i32_i24_e32 v10, v174, v106
	v_bfe_i32 v137, v144, 8, 8
	v_bfe_i32 v174, v70, 16, 8
	s_delay_alu instid0(VALU_DEP_4)
	v_add3_u32 v11, v14, v12, v11
	v_bfe_i32 v12, v141, 8, 8
	v_mov_b32_e32 v141, v87
	v_mov_b32_e32 v87, v55
	v_ashrrev_i32_e32 v14, 24, v70
	s_wait_loadcnt 0x1
	v_mul_lo_u32 v1, v1, v5
	v_mov_b32_e32 v5, v22
	scratch_store_b32 off, v5, off offset:520 ; 4-byte Folded Spill
	s_wait_loadcnt 0x0
	v_mad_co_u64_u32 v[1:2], null, v2, v45, v[1:2]
	v_cvt_f32_i32_e32 v2, v3
	v_mul_i32_i24_e32 v3, v183, v124
	s_delay_alu instid0(VALU_DEP_2) | instskip(NEXT) | instid1(VALU_DEP_4)
	v_mul_f32_e32 v2, v42, v2
	v_cvt_f32_i32_e32 v1, v1
	s_delay_alu instid0(VALU_DEP_1)
	v_fma_mix_f32 v1, v98, v1, -v2 op_sel_hi:[1,0,0]
	scratch_load_b32 v2, off, off offset:8  ; 4-byte Folded Reload
	s_wait_loadcnt 0x0
	v_fmac_f32_e32 v2, v15, v1
	scratch_load_b32 v1, off, off offset:436 th:TH_LOAD_LU ; 4-byte Folded Reload
	scratch_store_b32 off, v25, off offset:356 ; 4-byte Folded Spill
	v_mov_b32_e32 v15, v12
	scratch_store_b32 off, v2, off offset:8 ; 4-byte Folded Spill
	v_mul_i32_i24_e32 v2, v201, v120
	s_delay_alu instid0(VALU_DEP_1) | instskip(SKIP_3) | instid1(VALU_DEP_2)
	v_add3_u32 v3, v4, v3, v2
	scratch_load_b32 v2, off, off offset:512 th:TH_LOAD_LU ; 4-byte Folded Reload
	v_mul_i32_i24_e32 v4, v38, v36
	v_mov_b32_e32 v38, v36
	v_add3_u32 v4, v11, v4, v10
	v_bfe_i32 v11, v142, 0, 8
	v_bfe_i32 v10, v142, 8, 8
	s_delay_alu instid0(VALU_DEP_1) | instskip(NEXT) | instid1(VALU_DEP_1)
	v_dual_mov_b32 v52, v11 :: v_dual_mov_b32 v51, v10
	v_mov_b32_e32 v54, v51
	s_wait_loadcnt 0x1
	v_mul_lo_u32 v1, v1, v111
	s_wait_loadcnt 0x0
	s_delay_alu instid0(VALU_DEP_1) | instskip(SKIP_4) | instid1(VALU_DEP_4)
	v_mad_co_u64_u32 v[1:2], null, v2, v115, v[1:2]
	v_cvt_f32_i32_e32 v2, v3
	v_mul_i32_i24_e32 v3, v183, v17
	v_mov_b32_e32 v17, v65
	v_dual_mov_b32 v65, v148 :: v_dual_mov_b32 v30, v60
	v_mul_f32_e32 v2, v112, v2
	v_cvt_f32_i32_e32 v1, v1
	v_dual_mov_b32 v183, v175 :: v_dual_mov_b32 v60, v52
	s_delay_alu instid0(VALU_DEP_4) | instskip(NEXT) | instid1(VALU_DEP_3)
	v_dual_mov_b32 v142, v49 :: v_dual_mov_b32 v55, v65
	v_fma_mix_f32 v1, v219, v1, -v2 op_sel_hi:[1,0,0]
	scratch_load_b32 v2, off, off offset:32 ; 4-byte Folded Reload
	s_wait_loadcnt 0x0
	v_fmac_f32_e32 v2, v251, v1
	scratch_load_b32 v1, off, off offset:516 th:TH_LOAD_LU ; 4-byte Folded Reload
	scratch_store_b32 off, v2, off offset:32 ; 4-byte Folded Spill
	v_mul_i32_i24_e32 v2, v201, v0
	scratch_load_b32 v0, off, off offset:544 th:TH_LOAD_LU ; 4-byte Folded Reload
	v_mov_b32_e32 v201, v163
	v_mov_b32_e32 v163, v223
	;; [unrolled: 1-line block ×3, first 2 shown]
	v_add3_u32 v3, v4, v3, v2
                                        ; kill: def $vgpr2 killed $sgpr0 killed $exec
	v_bfe_i32 v4, v143, 0, 8
	s_wait_loadcnt 0x1
	v_mul_lo_u32 v1, v1, v101
	s_wait_loadcnt 0x0
	s_delay_alu instid0(VALU_DEP_1)
	v_mad_co_u64_u32 v[1:2], null, v0, v45, v[1:2]
	v_cvt_f32_i32_e32 v2, v3
	v_bfe_i32 v3, v143, 8, 8
	v_mov_b32_e32 v45, v4
	v_bfe_i32 v0, v70, 0, 8
	v_mov_b32_e32 v143, v134
	v_mul_f32_e32 v2, v42, v2
	v_cvt_f32_i32_e32 v1, v1
	v_dual_mov_b32 v53, v45 :: v_dual_mov_b32 v134, v106
	s_delay_alu instid0(VALU_DEP_2)
	v_fma_mix_f32 v1, v98, v1, -v2 op_sel_hi:[1,0,0]
	scratch_load_b32 v2, off, off offset:12 ; 4-byte Folded Reload
	v_bfe_i32 v98, v70, 8, 8
	v_mov_b32_e32 v70, v94
	v_mov_b32_e32 v44, v42
	;; [unrolled: 1-line block ×4, first 2 shown]
	s_delay_alu instid0(VALU_DEP_3)
	v_mov_b32_e32 v86, v44
	s_wait_loadcnt 0x0
	v_fmac_f32_e32 v2, v251, v1
	scratch_store_b32 off, v24, off offset:360 ; 4-byte Folded Spill
	v_add_nc_u32_e32 v1, v11, v19
	scratch_store_b32 off, v2, off offset:12 ; 4-byte Folded Spill
	v_bfe_i32 v2, v144, 0, 8
	v_dual_mov_b32 v144, v139 :: v_dual_mov_b32 v139, v215
	v_mov_b32_e32 v215, v91
	s_delay_alu instid0(VALU_DEP_3)
	v_add3_u32 v32, v1, v4, v2
	v_add_nc_u32_e32 v1, v10, v12
	v_mov_b32_e32 v27, v2
	v_mul_i32_i24_e32 v2, v154, v0
	v_mul_i32_i24_e32 v4, v156, v174
	;; [unrolled: 1-line block ×3, first 2 shown]
	v_add3_u32 v10, v1, v3, v137
	scratch_load_b32 v1, off, off offset:604 th:TH_LOAD_LU ; 4-byte Folded Reload
	v_mul_i32_i24_e32 v3, v155, v98
	s_wait_loadcnt 0x0
	v_add3_u32 v11, v1, v22, v14
	scratch_load_b32 v1, off, off offset:608 th:TH_LOAD_LU ; 4-byte Folded Reload
	s_wait_loadcnt 0x0
	v_add3_u32 v43, v1, v26, v174
	scratch_load_b32 v1, off, off offset:612 th:TH_LOAD_LU ; 4-byte Folded Reload
	v_mul_i32_i24_e32 v26, v252, v27
	s_wait_loadcnt 0x0
	v_add3_u32 v29, v1, v25, v98
	scratch_load_b32 v1, off, off offset:616 th:TH_LOAD_LU ; 4-byte Folded Reload
	v_mul_i32_i24_e32 v25, v247, v42
	s_wait_loadcnt 0x0
	v_add3_u32 v40, v1, v24, v0
	v_mul_i32_i24_e32 v1, v153, v22
	v_mov_b32_e32 v22, v0
	v_mul_i32_i24_e32 v24, v70, v166
	scratch_store_b32 off, v22, off offset:516 ; 4-byte Folded Spill
	s_clause 0x1
	scratch_load_b32 v0, off, off offset:628 th:TH_LOAD_LU
	scratch_load_b32 v6, off, off offset:632 th:TH_LOAD_LU
	s_wait_loadcnt 0x0
	v_add3_u32 v1, v6, v0, v1
	s_delay_alu instid0(VALU_DEP_1)
	v_add3_u32 v1, v1, v2, v3
	s_clause 0x1
	scratch_load_b32 v2, off, off offset:472 th:TH_LOAD_LU
	scratch_load_b32 v3, off, off offset:476 th:TH_LOAD_LU
	scratch_store_b32 off, v15, off offset:512 ; 4-byte Folded Spill
	v_add3_u32 v1, v1, v4, v12
	s_clause 0x1
	scratch_load_b32 v0, off, off offset:620 th:TH_LOAD_LU
	scratch_load_b32 v4, off, off offset:624 th:TH_LOAD_LU
	v_mul_i32_i24_e32 v12, v208, v51
	v_mov_b32_e32 v51, v27
	scratch_store_b32 off, v137, off offset:524 ; 4-byte Folded Spill
	v_mul_i32_i24_e32 v27, v253, v137
	v_mul_lo_u32 v1, v1, v241
	scratch_store_b32 off, v51, off offset:416 ; 4-byte Folded Spill
	s_wait_loadcnt 0x2
	v_add3_u32 v2, v3, v2, v24
	v_mul_i32_i24_e32 v3, v202, v19
	v_mul_i32_i24_e32 v24, v238, v45
	v_mov_b32_e32 v45, v59
	v_mov_b32_e32 v59, v82
	v_mul_lo_u32 v2, v2, v191
	v_mad_i32_i24 v3, v199, v15, v3
	v_mov_b32_e32 v82, v129
	s_wait_loadcnt 0x0
	s_delay_alu instid0(VALU_DEP_2)
	v_add3_u32 v3, v3, v0, v4
	v_mul_i32_i24_e32 v4, v204, v52
	v_mov_b32_e32 v52, v42
	s_clause 0x2
	scratch_store_b32 off, v60, off offset:436
	scratch_store_b32 off, v54, off offset:432
	;; [unrolled: 1-line block ×3, first 2 shown]
	v_add3_u32 v3, v3, v4, v12
	scratch_store_b32 off, v52, off offset:424 ; 4-byte Folded Spill
	s_clause 0x1
	scratch_load_b32 v0, off, off offset:576 th:TH_LOAD_LU
	scratch_load_b32 v4, off, off offset:592 th:TH_LOAD_LU
	v_mov_b32_e32 v42, v32
	s_wait_loadcnt 0x0
	v_add3_u32 v3, v3, v0, v4
	s_clause 0x1
	scratch_load_b32 v0, off, off offset:580 th:TH_LOAD_LU
	scratch_load_b32 v4, off, off offset:596 th:TH_LOAD_LU
	v_add3_u32 v3, v3, v24, v25
	v_mul_i32_i24_e32 v25, v45, v119
	v_mul_i32_i24_e32 v24, v10, v147
	s_wait_loadcnt 0x0
	s_delay_alu instid0(VALU_DEP_3)
	v_add3_u32 v3, v3, v0, v4
	s_clause 0x1
	scratch_load_b32 v0, off, off offset:584 th:TH_LOAD_LU
	scratch_load_b32 v4, off, off offset:600 th:TH_LOAD_LU
	v_add3_u32 v3, v3, v26, v27
	v_mul_i32_i24_e32 v26, v11, v187
	v_mul_i32_i24_e32 v27, v43, v143
	s_wait_loadcnt 0x0
	s_delay_alu instid0(VALU_DEP_3)
	v_add3_u32 v4, v3, v0, v4
	s_clause 0x2
	scratch_load_b32 v3, off, off offset:376 th:TH_LOAD_LU
	scratch_load_b32 v12, off, off offset:380 th:TH_LOAD_LU
	;; [unrolled: 1-line block ×3, first 2 shown]
	s_clause 0x5
	scratch_store_b32 off, v42, off offset:404
	scratch_store_b32 off, v10, off offset:412
	;; [unrolled: 1-line block ×6, first 2 shown]
	s_wait_loadcnt 0x0
	v_add3_u32 v3, v12, v3, v0
	s_clause 0x1
	scratch_load_b32 v0, off, off offset:548 th:TH_LOAD_LU
	scratch_load_b32 v6, off, off offset:552 th:TH_LOAD_LU
	v_mul_i32_i24_e32 v12, v32, v135
	v_mul_i32_i24_e32 v32, v40, v142
	v_mad_co_u64_u32 v[2:3], null, v3, v105, v[2:3]
	s_delay_alu instid0(VALU_DEP_2) | instskip(NEXT) | instid1(VALU_DEP_1)
	v_mad_i32_i24 v32, v29, v128, v32
	v_add3_u32 v26, v32, v27, v26
	s_delay_alu instid0(VALU_DEP_3) | instskip(SKIP_2) | instid1(VALU_DEP_4)
	v_mad_co_u64_u32 v[3:4], null, v4, v246, v[1:2]
	v_cvt_f32_i32_e32 v2, v2
	v_bfe_i32 v27, v77, 16, 8
	v_add3_u32 v12, v26, v12, v24
	v_bfe_i32 v26, v77, 8, 8
	v_bfe_i32 v32, v78, 0, 8
	v_cvt_f32_i32_e32 v1, v3
	s_wait_loadcnt 0x0
	v_add3_u32 v25, v6, v0, v25
	s_clause 0x1
	scratch_load_b32 v0, off, off offset:564 th:TH_LOAD_LU
	scratch_load_b32 v6, off, off offset:572 th:TH_LOAD_LU
	s_wait_loadcnt 0x0
	v_add3_u32 v12, v12, v6, v0
	s_clause 0x1
	scratch_load_b32 v0, off, off offset:560 th:TH_LOAD_LU
	scratch_load_b32 v6, off, off offset:568 th:TH_LOAD_LU
	v_cvt_f32_i32_e32 v4, v12
	v_mov_b32_e32 v12, v153
	s_delay_alu instid0(VALU_DEP_2) | instskip(NEXT) | instid1(VALU_DEP_1)
	v_mul_f32_e32 v4, v250, v4
	v_fma_mix_f32 v1, v151, v1, -v4 op_sel_hi:[1,0,0]
	v_mul_i32_i24_e32 v4, v158, v14
	scratch_store_b32 off, v1, off offset:388 ; 4-byte Folded Spill
	v_mul_i32_i24_e32 v1, v162, v120
	s_wait_loadcnt 0x0
	v_add3_u32 v24, v25, v6, v0
	scratch_load_b32 v0, off, off offset:556 th:TH_LOAD_LU ; 4-byte Folded Reload
	v_mul_i32_i24_e32 v6, v127, v52
	v_bfe_i32 v25, v77, 0, 8
	v_mul_i32_i24_e32 v52, v247, v26
	v_cvt_f32_i32_e32 v3, v24
	v_mul_i32_i24_e32 v24, v145, v41
	s_delay_alu instid0(VALU_DEP_2) | instskip(NEXT) | instid1(VALU_DEP_1)
	v_mul_f32_e32 v3, v107, v3
	v_fma_mix_f32 v2, v141, v2, -v3 op_sel_hi:[1,0,0]
	v_mul_i32_i24_e32 v3, v65, v174
	scratch_store_b32 off, v2, off offset:384 ; 4-byte Folded Spill
	v_mul_i32_i24_e32 v2, v161, v124
	s_delay_alu instid0(VALU_DEP_1) | instskip(SKIP_4) | instid1(VALU_DEP_2)
	v_add3_u32 v2, v63, v2, v1
	v_mov_b32_e32 v63, v35
	v_mov_b32_e32 v251, v188
	v_ashrrev_i32_e32 v35, 24, v78
	v_mov_b32_e32 v188, v131
	v_mul_i32_i24_e32 v69, v102, v35
	s_wait_loadcnt 0x0
	v_mad_co_u64_u32 v[0:1], null, v0, v115, v[7:8]
	v_cvt_f32_i32_e32 v1, v2
	v_mul_i32_i24_e32 v2, v63, v98
	v_mul_i32_i24_e32 v7, v207, v51
	;; [unrolled: 1-line block ×3, first 2 shown]
	s_delay_alu instid0(VALU_DEP_4) | instskip(SKIP_1) | instid1(VALU_DEP_1)
	v_mul_f32_e32 v1, v112, v1
	v_cvt_f32_i32_e32 v0, v0
	v_fma_mix_f32 v0, v219, v0, -v1 op_sel_hi:[1,0,0]
	scratch_load_b32 v1, off, off offset:4  ; 4-byte Folded Reload
	s_wait_loadcnt 0x0
	v_fmac_f32_e32 v1, v248, v0
	v_mul_i32_i24_e32 v0, v81, v5
	v_mul_i32_i24_e32 v5, v125, v53
	v_mov_b32_e32 v248, v85
	scratch_store_b32 off, v1, off offset:4 ; 4-byte Folded Spill
	v_mul_i32_i24_e32 v1, v62, v22
	v_add3_u32 v0, v8, v9, v0
	v_mul_i32_i24_e32 v22, v71, v166
	v_mul_i32_i24_e32 v9, v74, v137
	;; [unrolled: 1-line block ×3, first 2 shown]
	v_mov_b32_e32 v137, v23
	v_add3_u32 v0, v0, v1, v2
	s_clause 0x1
	scratch_load_b32 v1, off, off offset:464 th:TH_LOAD_LU
	scratch_load_b32 v2, off, off offset:468 th:TH_LOAD_LU
	v_add3_u32 v0, v0, v3, v4
	v_mul_i32_i24_e32 v3, v132, v60
	v_mul_i32_i24_e32 v4, v198, v54
	v_mov_b32_e32 v60, v47
	s_delay_alu instid0(VALU_DEP_4) | instskip(SKIP_4) | instid1(VALU_DEP_3)
	v_mul_lo_u32 v0, v0, v111
	s_wait_loadcnt 0x0
	v_add3_u32 v1, v2, v1, v22
	v_mul_i32_i24_e32 v2, v136, v19
	v_mul_i32_i24_e32 v22, v60, v173
	v_mul_lo_u32 v1, v1, v101
	s_delay_alu instid0(VALU_DEP_3) | instskip(SKIP_1) | instid1(VALU_DEP_2)
	v_mad_i32_i24 v2, v227, v15, v2
	v_mul_i32_i24_e32 v15, v11, v168
	v_add3_u32 v2, v2, v37, v13
	s_delay_alu instid0(VALU_DEP_1) | instskip(NEXT) | instid1(VALU_DEP_1)
	v_add3_u32 v2, v2, v3, v4
	v_add3_u32 v2, v2, v79, v64
	v_mov_b32_e32 v79, v31
	v_ashrrev_i32_e32 v31, 24, v77
	v_mov_b32_e32 v77, v147
	v_mul_i32_i24_e32 v13, v45, v20
	v_add3_u32 v2, v2, v5, v6
	v_mul_i32_i24_e32 v5, v39, v120
	v_mul_i32_i24_e32 v6, v161, v21
	v_mov_b32_e32 v39, v21
	v_mul_i32_i24_e32 v21, v40, v79
	v_add3_u32 v2, v2, v68, v180
	v_mul_i32_i24_e32 v20, v43, v189
	v_add3_u32 v13, v152, v16, v13
	v_mov_b32_e32 v152, v169
	v_mad_i32_i24 v21, v29, v251, v21
	v_add3_u32 v2, v2, v7, v9
	v_mul_i32_i24_e32 v9, v10, v122
	v_mul_i32_i24_e32 v7, v67, v124
	;; [unrolled: 1-line block ×3, first 2 shown]
	v_add3_u32 v15, v21, v20, v15
	v_add3_u32 v3, v2, v99, v24
	s_clause 0x1
	scratch_load_b32 v2, off, off offset:440 th:TH_LOAD_LU
	scratch_load_b32 v4, off, off offset:444 th:TH_LOAD_LU
	v_ashrrev_i32_e32 v20, 24, v75
	v_ashrrev_i32_e32 v24, 24, v76
	v_add3_u32 v8, v15, v8, v9
	v_bfe_i32 v21, v76, 0, 8
	v_bfe_i32 v9, v75, 8, 8
	v_mov_b32_e32 v15, v71
	scratch_load_b32 v10, off, off offset:508 th:TH_LOAD_LU ; 4-byte Folded Reload
	v_add3_u32 v5, v8, v7, v5
	v_bfe_i32 v8, v75, 0, 8
	v_ashrrev_i32_e32 v7, 24, v96
	v_mul_i32_i24_e32 v64, v252, v32
	v_mul_i32_i24_e32 v68, v255, v34
	v_dual_mov_b32 v99, v56 :: v_dual_mov_b32 v180, v177
	v_mov_b32_e32 v29, v249
	v_mov_b32_e32 v249, v243
	;; [unrolled: 1-line block ×4, first 2 shown]
	v_dual_mov_b32 v169, v194 :: v_dual_mov_b32 v16, v127
	v_mov_b32_e32 v194, v94
	s_wait_loadcnt 0x1
	v_add3_u32 v2, v4, v2, v22
	v_mul_i32_i24_e32 v4, v162, v23
	v_bfe_i32 v23, v76, 16, 8
	v_bfe_i32 v22, v76, 8, 8
	v_mov_b32_e32 v76, v81
	v_mad_co_u64_u32 v[1:2], null, v2, v50, v[1:2]
	v_add3_u32 v4, v13, v6, v4
	v_bfe_i32 v13, v75, 16, 8
	v_bfe_i32 v6, v96, 16, 8
	v_mul_i32_i24_e32 v50, v157, v7
	v_mov_b32_e32 v75, v135
	v_mad_co_u64_u32 v[2:3], null, v3, v115, v[0:1]
	v_cvt_f32_i32_e32 v3, v5
	v_cvt_f32_i32_e32 v1, v1
	v_bfe_i32 v5, v96, 8, 8
	v_mul_i32_i24_e32 v49, v156, v6
	s_delay_alu instid0(VALU_DEP_4)
	v_mul_f32_e32 v3, v112, v3
	v_cvt_f32_i32_e32 v0, v2
	v_cvt_f32_i32_e32 v2, v4
	v_bfe_i32 v4, v96, 0, 8
	v_mul_i32_i24_e32 v47, v155, v5
	v_mov_b32_e32 v96, v197
	v_fma_mix_f32 v0, v219, v0, -v3 op_sel_hi:[1,0,0]
	v_mul_f32_e32 v2, v44, v2
	v_ashrrev_i32_e32 v3, 24, v95
	v_mul_i32_i24_e32 v46, v154, v4
	v_mov_b32_e32 v197, v88
	scratch_store_b32 off, v0, off offset:380 ; 4-byte Folded Spill
	v_fma_mix_f32 v1, v33, v1, -v2 op_sel_hi:[1,0,0]
	v_add_nc_u32_e32 v0, v24, v20
	v_bfe_i32 v33, v78, 8, 8
	v_bfe_i32 v2, v95, 16, 8
	scratch_load_b32 v95, off, off offset:88 ; 4-byte Folded Reload
	scratch_store_b32 off, v1, off offset:376 ; 4-byte Folded Spill
	v_add3_u32 v36, v0, v31, v35
	v_add_nc_u32_e32 v0, v23, v13
	v_mul_i32_i24_e32 v1, v153, v3
	v_dual_mov_b32 v153, v156 :: v_dual_mov_b32 v156, v170
	v_mul_i32_i24_e32 v67, v253, v33
	s_delay_alu instid0(VALU_DEP_4)
	v_add3_u32 v37, v0, v27, v34
	v_add_nc_u32_e32 v0, v21, v8
	v_mov_b32_e32 v78, v142
	v_mul_i32_i24_e32 v53, v156, v27
	v_mov_b32_e32 v236, v114
	v_mov_b32_e32 v114, v93
	v_add3_u32 v40, v0, v25, v32
	v_add_nc_u32_e32 v0, v22, v9
	v_mov_b32_e32 v170, v193
	s_delay_alu instid0(VALU_DEP_2)
	v_add3_u32 v41, v0, v26, v33
	scratch_load_b32 v0, off, off offset:492 th:TH_LOAD_LU ; 4-byte Folded Reload
	s_wait_loadcnt 0x0
	v_add3_u32 v42, v0, v3, v7
	scratch_load_b32 v0, off, off offset:496 th:TH_LOAD_LU ; 4-byte Folded Reload
	s_wait_loadcnt 0x0
	;; [unrolled: 3-line block ×3, first 2 shown]
	v_add3_u32 v44, v0, v138, v5
	scratch_load_b32 v0, off, off offset:504 th:TH_LOAD_LU ; 4-byte Folded Reload
	v_mov_b32_e32 v138, v160
	v_mov_b32_e32 v160, v222
	s_wait_loadcnt 0x0
	v_add3_u32 v43, v0, v140, v4
	v_mul_i32_i24_e32 v0, v87, v2
	v_mov_b32_e32 v140, v220
	s_delay_alu instid0(VALU_DEP_2) | instskip(SKIP_1) | instid1(VALU_DEP_2)
	v_add3_u32 v0, v10, v0, v1
	v_mul_i32_i24_e32 v1, v202, v8
	v_add3_u32 v0, v0, v46, v47
	v_mul_i32_i24_e32 v46, v190, v13
	v_mul_i32_i24_e32 v47, v94, v20
	s_delay_alu instid0(VALU_DEP_4) | instskip(NEXT) | instid1(VALU_DEP_4)
	v_mad_i32_i24 v1, v199, v9, v1
	v_add3_u32 v0, v0, v49, v50
	v_mul_i32_i24_e32 v49, v138, v23
	v_mul_i32_i24_e32 v50, v152, v24
	s_delay_alu instid0(VALU_DEP_4) | instskip(SKIP_3) | instid1(VALU_DEP_2)
	v_add3_u32 v1, v1, v46, v47
	v_mul_i32_i24_e32 v46, v204, v21
	v_mul_i32_i24_e32 v47, v208, v22
	v_mul_lo_u32 v0, v0, v241
	v_add3_u32 v1, v1, v46, v47
	v_mul_i32_i24_e32 v46, v36, v226
	v_mul_i32_i24_e32 v47, v37, v235
	s_delay_alu instid0(VALU_DEP_3)
	v_add3_u32 v1, v1, v49, v50
	v_mul_i32_i24_e32 v49, v40, v135
	v_mul_i32_i24_e32 v50, v41, v147
	v_mov_b32_e32 v135, v70
	v_mov_b32_e32 v147, v128
	v_add3_u32 v1, v1, v51, v52
	v_mul_i32_i24_e32 v51, v42, v187
	v_mul_i32_i24_e32 v52, v45, v143
	s_delay_alu instid0(VALU_DEP_3)
	v_add3_u32 v1, v1, v53, v54
	v_mul_i32_i24_e32 v53, v43, v142
	v_mov_b32_e32 v142, v182
	v_mul_i32_i24_e32 v54, v232, v31
	v_mov_b32_e32 v182, v48
	v_add3_u32 v1, v1, v64, v67
	v_mad_i32_i24 v53, v44, v128, v53
	v_mul_i32_i24_e32 v64, v185, v32
	v_mul_i32_i24_e32 v67, v186, v33
	v_mov_b32_e32 v128, v105
	v_add3_u32 v1, v1, v68, v69
	v_add3_u32 v51, v53, v52, v51
	v_mul_i32_i24_e32 v52, v184, v26
	v_mul_i32_i24_e32 v53, v231, v27
	;; [unrolled: 1-line block ×3, first 2 shown]
	v_mad_co_u64_u32 v[0:1], null, v1, v246, v[0:1]
	v_add3_u32 v49, v51, v49, v50
	v_mul_i32_i24_e32 v50, v70, v7
	v_mul_i32_i24_e32 v51, v144, v25
	;; [unrolled: 1-line block ×3, first 2 shown]
	s_delay_alu instid0(VALU_DEP_4) | instskip(SKIP_3) | instid1(VALU_DEP_4)
	v_add3_u32 v46, v49, v47, v46
	v_cvt_f32_i32_e32 v0, v0
	v_mul_i32_i24_e32 v47, v99, v5
	v_mul_i32_i24_e32 v49, v181, v6
	v_cvt_f32_i32_e32 v1, v46
	v_mul_i32_i24_e32 v46, v100, v4
	s_delay_alu instid0(VALU_DEP_2) | instskip(SKIP_1) | instid1(VALU_DEP_2)
	v_mul_f32_e32 v1, v250, v1
	v_mov_b32_e32 v148, v238
	v_fma_mix_f32 v0, v151, v0, -v1 op_sel_hi:[1,0,0]
	s_clause 0x3
	scratch_load_b32 v1, off, off offset:84
	scratch_load_b32 v11, off, off offset:540 th:TH_LOAD_LU
	scratch_load_b32 v10, off, off offset:488 th:TH_LOAD_LU
	;; [unrolled: 1-line block ×3, first 2 shown]
	s_wait_loadcnt 0x2
	v_fmac_f32_e32 v1, v11, v0
	v_mul_i32_i24_e32 v0, v248, v2
	v_mov_b32_e32 v70, v11
	v_dual_mov_b32 v166, v143 :: v_dual_mov_b32 v143, v192
	scratch_store_b32 off, v1, off offset:84 ; 4-byte Folded Spill
	v_mul_i32_i24_e32 v1, v104, v3
	s_wait_loadcnt 0x1
	s_delay_alu instid0(VALU_DEP_1)
	v_add3_u32 v0, v10, v0, v1
	v_mul_i32_i24_e32 v1, v180, v8
	scratch_load_b32 v10, off, off offset:484 th:TH_LOAD_LU ; 4-byte Folded Reload
	v_add3_u32 v0, v0, v46, v47
	v_mul_i32_i24_e32 v46, v234, v13
	v_mul_i32_i24_e32 v47, v149, v20
	v_mad_i32_i24 v1, v183, v9, v1
	s_delay_alu instid0(VALU_DEP_4) | instskip(SKIP_2) | instid1(VALU_DEP_4)
	v_add3_u32 v0, v0, v49, v50
	v_mul_i32_i24_e32 v49, v229, v23
	v_mul_i32_i24_e32 v50, v230, v24
	v_add3_u32 v1, v1, v46, v47
	v_mul_i32_i24_e32 v46, v142, v21
	v_mul_i32_i24_e32 v47, v143, v22
	v_mul_lo_u32 v0, v0, v191
	s_delay_alu instid0(VALU_DEP_2) | instskip(SKIP_2) | instid1(VALU_DEP_3)
	v_add3_u32 v1, v1, v46, v47
	v_mul_i32_i24_e32 v46, v36, v130
	v_mul_i32_i24_e32 v47, v37, v188
	v_add3_u32 v1, v1, v49, v50
	v_mul_i32_i24_e32 v49, v40, v249
	v_mul_i32_i24_e32 v50, v41, v119
	s_delay_alu instid0(VALU_DEP_3) | instskip(SKIP_2) | instid1(VALU_DEP_3)
	v_add3_u32 v1, v1, v51, v52
	v_mul_i32_i24_e32 v51, v42, v243
	v_mul_i32_i24_e32 v52, v45, v236
	v_add3_u32 v1, v1, v53, v54
	v_mul_i32_i24_e32 v53, v43, v114
	v_mul_i32_i24_e32 v54, v206, v31
	s_delay_alu instid0(VALU_DEP_3) | instskip(NEXT) | instid1(VALU_DEP_3)
	v_add3_u32 v1, v1, v64, v67
	v_mad_i32_i24 v53, v44, v61, v53
	v_mul_i32_i24_e32 v64, v207, v32
	v_mul_i32_i24_e32 v67, v74, v33
	s_delay_alu instid0(VALU_DEP_4) | instskip(NEXT) | instid1(VALU_DEP_4)
	v_add3_u32 v1, v1, v68, v69
	v_add3_u32 v51, v53, v52, v51
	v_mul_i32_i24_e32 v52, v127, v26
	v_mul_i32_i24_e32 v53, v200, v27
	;; [unrolled: 1-line block ×3, first 2 shown]
	v_mad_co_u64_u32 v[0:1], null, v1, v105, v[0:1]
	v_add3_u32 v49, v51, v49, v50
	v_mov_b32_e32 v105, v107
	v_mul_i32_i24_e32 v50, v158, v7
	v_mov_b32_e32 v106, v172
	v_mul_i32_i24_e32 v51, v125, v25
	v_add3_u32 v46, v49, v47, v46
	v_cvt_f32_i32_e32 v0, v0
	v_mul_i32_i24_e32 v47, v63, v5
	v_mul_i32_i24_e32 v49, v65, v6
	;; [unrolled: 1-line block ×3, first 2 shown]
	v_cvt_f32_i32_e32 v1, v46
	v_mul_i32_i24_e32 v46, v62, v4
	v_mov_b32_e32 v65, v57
	v_mov_b32_e32 v57, v58
	;; [unrolled: 1-line block ×3, first 2 shown]
	v_mul_f32_e32 v1, v107, v1
	v_mov_b32_e32 v107, v141
	v_dual_mov_b32 v175, v60 :: v_dual_mov_b32 v56, v90
	s_delay_alu instid0(VALU_DEP_3)
	v_fma_mix_f32 v0, v141, v0, -v1 op_sel_hi:[1,0,0]
	scratch_load_b32 v1, off, off offset:60 ; 4-byte Folded Reload
	v_mov_b32_e32 v141, v66
	s_wait_loadcnt 0x0
	v_fmac_f32_e32 v1, v11, v0
	v_mul_i32_i24_e32 v0, v58, v2
	v_mov_b32_e32 v11, v145
	v_dual_mov_b32 v145, v30 :: v_dual_mov_b32 v30, v100
	scratch_store_b32 off, v1, off offset:60 ; 4-byte Folded Spill
	v_mul_i32_i24_e32 v1, v81, v3
	s_delay_alu instid0(VALU_DEP_1) | instskip(SKIP_2) | instid1(VALU_DEP_3)
	v_add3_u32 v0, v10, v0, v1
	v_mul_i32_i24_e32 v1, v136, v8
	v_mov_b32_e32 v10, v132
	v_add3_u32 v0, v0, v46, v47
	v_mul_i32_i24_e32 v46, v211, v13
	v_mul_i32_i24_e32 v47, v213, v20
	v_mad_i32_i24 v1, v227, v9, v1
	s_delay_alu instid0(VALU_DEP_4) | instskip(SKIP_2) | instid1(VALU_DEP_4)
	v_add3_u32 v0, v0, v49, v50
	v_mul_i32_i24_e32 v49, v106, v23
	v_mul_i32_i24_e32 v50, v201, v24
	v_add3_u32 v1, v1, v46, v47
	v_mul_i32_i24_e32 v46, v132, v21
	v_mul_i32_i24_e32 v47, v198, v22
	v_mul_lo_u32 v0, v0, v111
	v_mov_b32_e32 v132, v196
	v_mov_b32_e32 v238, v86
	;; [unrolled: 1-line block ×3, first 2 shown]
	v_add3_u32 v1, v1, v46, v47
	v_mul_i32_i24_e32 v46, v36, v120
	v_mul_i32_i24_e32 v47, v37, v124
	s_delay_alu instid0(VALU_DEP_3) | instskip(SKIP_2) | instid1(VALU_DEP_3)
	v_add3_u32 v1, v1, v49, v50
	v_mul_i32_i24_e32 v49, v40, v165
	v_mul_i32_i24_e32 v50, v41, v122
	v_add3_u32 v1, v1, v51, v52
	v_mul_i32_i24_e32 v51, v42, v168
	v_mul_i32_i24_e32 v52, v45, v189
	s_delay_alu instid0(VALU_DEP_3) | instskip(SKIP_1) | instid1(VALU_DEP_2)
	v_add3_u32 v1, v1, v53, v54
	v_mul_i32_i24_e32 v53, v43, v79
	v_add3_u32 v1, v1, v64, v67
	s_delay_alu instid0(VALU_DEP_2) | instskip(NEXT) | instid1(VALU_DEP_2)
	v_mad_i32_i24 v53, v44, v251, v53
	v_add3_u32 v1, v1, v68, v69
	s_delay_alu instid0(VALU_DEP_2) | instskip(NEXT) | instid1(VALU_DEP_2)
	v_add3_u32 v51, v53, v52, v51
	v_mad_co_u64_u32 v[0:1], null, v1, v115, v[0:1]
	s_delay_alu instid0(VALU_DEP_2) | instskip(NEXT) | instid1(VALU_DEP_1)
	v_add3_u32 v49, v51, v49, v50
	v_add3_u32 v46, v49, v47, v46
	s_delay_alu instid0(VALU_DEP_3) | instskip(NEXT) | instid1(VALU_DEP_2)
	v_cvt_f32_i32_e32 v0, v0
	v_cvt_f32_i32_e32 v1, v46
	s_delay_alu instid0(VALU_DEP_1) | instskip(NEXT) | instid1(VALU_DEP_1)
	v_mul_f32_e32 v1, v112, v1
	v_fma_mix_f32 v0, v219, v0, -v1 op_sel_hi:[1,0,0]
	scratch_load_b32 v1, off, off offset:36 ; 4-byte Folded Reload
	s_wait_loadcnt 0x0
	v_fmac_f32_e32 v1, v70, v0
	v_mul_i32_i24_e32 v0, v59, v2
	v_mul_i32_i24_e32 v2, v176, v4
	;; [unrolled: 1-line block ×3, first 2 shown]
	scratch_load_b32 v6, off, off offset:480 th:TH_LOAD_LU ; 4-byte Folded Reload
	scratch_store_b32 off, v1, off offset:36 ; 4-byte Folded Spill
	v_mul_i32_i24_e32 v1, v171, v3
	v_mul_i32_i24_e32 v3, v141, v5
	;; [unrolled: 1-line block ×4, first 2 shown]
	s_wait_loadcnt 0x0
	v_add3_u32 v0, v6, v0, v1
	v_mul_i32_i24_e32 v1, v170, v8
	v_mul_i32_i24_e32 v6, v159, v25
	;; [unrolled: 1-line block ×3, first 2 shown]
	s_delay_alu instid0(VALU_DEP_4)
	v_add3_u32 v0, v0, v2, v3
	v_mul_i32_i24_e32 v2, v240, v13
	v_mul_i32_i24_e32 v3, v195, v20
	v_mad_i32_i24 v1, v169, v9, v1
	v_mul_i32_i24_e32 v9, v224, v31
	v_add3_u32 v0, v0, v4, v5
	v_mul_i32_i24_e32 v4, v139, v23
	v_mul_i32_i24_e32 v5, v140, v24
	v_add3_u32 v1, v1, v2, v3
	v_mul_i32_i24_e32 v2, v132, v21
	v_mul_i32_i24_e32 v3, v96, v22
	;; [unrolled: 1-line block ×6, first 2 shown]
	v_add3_u32 v1, v1, v2, v3
	v_mul_lo_u32 v0, v0, v101
	v_mul_i32_i24_e32 v2, v36, v137
	v_mul_i32_i24_e32 v3, v37, v39
	v_mov_b32_e32 v60, v84
	v_add3_u32 v1, v1, v4, v5
	v_mul_i32_i24_e32 v4, v40, v38
	v_mul_i32_i24_e32 v5, v41, v134
	s_delay_alu instid0(VALU_DEP_3) | instskip(SKIP_2) | instid1(VALU_DEP_3)
	v_add3_u32 v1, v1, v6, v7
	v_mul_i32_i24_e32 v6, v42, v28
	v_mul_i32_i24_e32 v7, v45, v18
	v_add3_u32 v1, v1, v8, v9
	v_mul_i32_i24_e32 v8, v43, v145
	s_delay_alu instid0(VALU_DEP_2) | instskip(NEXT) | instid1(VALU_DEP_2)
	v_add3_u32 v1, v1, v13, v20
	v_mad_i32_i24 v8, v44, v17, v8
	s_delay_alu instid0(VALU_DEP_2) | instskip(NEXT) | instid1(VALU_DEP_2)
	v_add3_u32 v1, v1, v21, v22
	v_add3_u32 v6, v8, v7, v6
	s_delay_alu instid0(VALU_DEP_2) | instskip(NEXT) | instid1(VALU_DEP_2)
	v_mad_co_u64_u32 v[0:1], null, v1, v209, v[0:1]
	v_add3_u32 v4, v6, v4, v5
	v_mov_b32_e32 v209, v138
	s_delay_alu instid0(VALU_DEP_2) | instskip(NEXT) | instid1(VALU_DEP_4)
	v_add3_u32 v2, v4, v3, v2
	v_cvt_f32_i32_e32 v0, v0
	scratch_load_b32 v4, off, off offset:456 th:TH_LOAD_LU ; 4-byte Folded Reload
	v_cvt_f32_i32_e32 v1, v2
	s_delay_alu instid0(VALU_DEP_1) | instskip(SKIP_1) | instid1(VALU_DEP_2)
	v_mul_f32_e32 v1, v238, v1
	v_mov_b32_e32 v66, v102
	v_fma_mix_f32 v0, v60, v0, -v1 op_sel_hi:[1,0,0]
	scratch_load_b32 v1, off, off offset:20 ; 4-byte Folded Reload
	s_wait_loadcnt 0x0
	v_fmac_f32_e32 v1, v70, v0
	scratch_load_b32 v0, off, off offset:460 th:TH_LOAD_LU ; 4-byte Folded Reload
	scratch_store_b32 off, v1, off offset:20 ; 4-byte Folded Spill
	s_wait_loadcnt 0x0
	ds_load_b32 v8, v0 offset:30368
	ds_load_b128 v[0:3], v4 offset:16896
	ds_load_b128 v[4:7], v4 offset:16912
	s_wait_dscnt 0x1
	v_bfe_i32 v9, v0, 0, 8
	s_wait_dscnt 0x0
	v_bfe_i32 v35, v4, 0, 8
	v_bfe_i32 v36, v4, 8, 8
	;; [unrolled: 1-line block ×3, first 2 shown]
	v_ashrrev_i32_e32 v4, 24, v4
	v_bfe_i32 v40, v5, 0, 8
	v_bfe_i32 v41, v5, 8, 8
	;; [unrolled: 1-line block ×3, first 2 shown]
	v_ashrrev_i32_e32 v5, 24, v5
	v_bfe_i32 v13, v0, 8, 8
	v_bfe_i32 v20, v0, 16, 8
	v_ashrrev_i32_e32 v21, 24, v0
	v_bfe_i32 v43, v6, 0, 8
	v_bfe_i32 v44, v6, 8, 8
	;; [unrolled: 1-line block ×3, first 2 shown]
	v_ashrrev_i32_e32 v6, 24, v6
	v_bfe_i32 v46, v7, 0, 8
	v_bfe_i32 v47, v7, 8, 8
	;; [unrolled: 1-line block ×3, first 2 shown]
	v_ashrrev_i32_e32 v7, 24, v7
	v_add_nc_u32_e32 v0, v5, v4
	v_ashrrev_i32_e32 v25, 24, v1
	v_bfe_i32 v22, v1, 0, 8
	v_bfe_i32 v23, v1, 8, 8
	;; [unrolled: 1-line block ×3, first 2 shown]
	v_add3_u32 v50, v0, v6, v7
	v_add_nc_u32_e32 v0, v42, v37
	v_bfe_i32 v26, v2, 0, 8
	v_bfe_i32 v27, v2, 8, 8
	;; [unrolled: 1-line block ×3, first 2 shown]
	v_ashrrev_i32_e32 v2, 24, v2
	v_add3_u32 v51, v0, v45, v49
	v_add_nc_u32_e32 v0, v40, v35
	v_bfe_i32 v32, v3, 0, 8
	v_bfe_i32 v33, v3, 8, 8
	;; [unrolled: 1-line block ×3, first 2 shown]
	v_ashrrev_i32_e32 v3, 24, v3
	v_add3_u32 v52, v0, v43, v46
	v_add_nc_u32_e32 v0, v41, v36
	v_mul_i32_i24_e32 v1, v20, v91
	v_mov_b32_e32 v91, v103
	v_mul_i32_i24_e32 v69, v21, v89
	v_mul_i32_i24_e32 v70, v97, v24
	v_add3_u32 v53, v0, v44, v47
	v_add_nc_u32_e32 v0, v25, v21
	v_mul_i32_i24_e32 v71, v83, v25
	v_mul_i32_i24_e32 v73, v216, v26
	;; [unrolled: 1-line block ×4, first 2 shown]
	v_add3_u32 v54, v0, v2, v3
	v_add_nc_u32_e32 v0, v24, v20
	v_mul_i32_i24_e32 v84, v12, v2
	v_mul_i32_i24_e32 v85, v154, v32
	;; [unrolled: 1-line block ×4, first 2 shown]
	v_add3_u32 v64, v0, v31, v34
	v_add_nc_u32_e32 v0, v23, v13
	v_mul_i32_i24_e32 v93, v157, v3
	v_mov_b32_e32 v83, v146
	s_delay_alu instid0(VALU_DEP_3) | instskip(SKIP_1) | instid1(VALU_DEP_1)
	v_add3_u32 v67, v0, v27, v33
	v_add_nc_u32_e32 v0, v22, v9
	v_add3_u32 v68, v0, v26, v32
	v_mul_i32_i24_e32 v0, v9, v88
	v_dual_mov_b32 v88, v89 :: v_dual_mov_b32 v89, v149
	s_delay_alu instid0(VALU_DEP_2) | instskip(NEXT) | instid1(VALU_DEP_1)
	v_mad_i32_i24 v0, v13, v212, v0
	v_add3_u32 v0, v0, v1, v69
	v_mul_i32_i24_e32 v1, v178, v22
	v_mul_i32_i24_e32 v69, v179, v23
	s_delay_alu instid0(VALU_DEP_1) | instskip(SKIP_2) | instid1(VALU_DEP_3)
	v_add3_u32 v0, v0, v1, v69
	v_mul_i32_i24_e32 v1, v202, v35
	v_mul_i32_i24_e32 v69, v190, v37
	v_add3_u32 v0, v0, v70, v71
	v_mul_i32_i24_e32 v70, v94, v4
	s_delay_alu instid0(VALU_DEP_4)
	v_mad_i32_i24 v1, v199, v36, v1
	v_mul_i32_i24_e32 v71, v138, v42
	v_mul_i32_i24_e32 v94, v102, v7
	v_add3_u32 v0, v0, v73, v74
	v_mul_i32_i24_e32 v73, v152, v5
	v_add3_u32 v1, v1, v69, v70
	v_mul_i32_i24_e32 v69, v204, v40
	v_mul_i32_i24_e32 v70, v208, v41
	v_add3_u32 v0, v0, v81, v84
	v_mul_i32_i24_e32 v74, v148, v43
	v_mul_i32_i24_e32 v81, v247, v44
	v_mul_i32_i24_e32 v84, v156, v45
	v_add3_u32 v1, v1, v69, v70
	v_add3_u32 v0, v0, v85, v86
	v_mul_i32_i24_e32 v85, v228, v6
	v_mul_i32_i24_e32 v86, v252, v46
	v_mul_i32_i24_e32 v69, v50, v226
	v_add3_u32 v1, v1, v71, v73
	v_add3_u32 v0, v0, v87, v93
	v_mul_i32_i24_e32 v87, v253, v47
	v_mul_i32_i24_e32 v71, v52, v75
	v_mul_i32_i24_e32 v73, v53, v77
	v_add3_u32 v1, v1, v74, v81
	v_mul_i32_i24_e32 v74, v54, v187
	v_mul_i32_i24_e32 v81, v64, v166
	;; [unrolled: 1-line block ×3, first 2 shown]
	v_mul_lo_u32 v0, v0, v241
	v_add3_u32 v1, v1, v84, v85
	v_mul_i32_i24_e32 v84, v68, v78
	v_mul_i32_i24_e32 v70, v51, v235
	;; [unrolled: 1-line block ×3, first 2 shown]
	v_mov_b32_e32 v228, v113
	v_add3_u32 v1, v1, v86, v87
	v_mad_i32_i24 v84, v67, v147, v84
	v_mul_i32_i24_e32 v86, v99, v33
	v_mul_i32_i24_e32 v87, v181, v34
	v_mov_b32_e32 v138, v181
	v_add3_u32 v1, v1, v93, v94
	v_add3_u32 v74, v84, v81, v74
	v_mul_i32_i24_e32 v81, v248, v31
	v_mul_i32_i24_e32 v84, v104, v2
	;; [unrolled: 1-line block ×3, first 2 shown]
	v_mad_co_u64_u32 v[0:1], null, v1, v246, v[0:1]
	v_add3_u32 v71, v74, v71, v73
	v_mul_i32_i24_e32 v73, v48, v26
	v_mul_i32_i24_e32 v74, v72, v27
	v_mul_i32_i24_e32 v94, v29, v7
	v_mov_b32_e32 v181, v61
	v_add3_u32 v69, v71, v70, v69
	v_cvt_f32_i32_e32 v0, v0
	v_mul_i32_i24_e32 v70, v245, v24
	v_mul_i32_i24_e32 v71, v80, v25
	v_mov_b32_e32 v48, v72
	v_cvt_f32_i32_e32 v1, v69
	v_mul_i32_i24_e32 v69, v21, v254
	v_mov_b32_e32 v100, v172
	s_delay_alu instid0(VALU_DEP_3) | instskip(NEXT) | instid1(VALU_DEP_1)
	v_dual_mov_b32 v102, v201 :: v_dual_mul_f32 v1, v250, v1
	v_fma_mix_f32 v0, v151, v0, -v1 op_sel_hi:[1,0,0]
	v_mul_i32_i24_e32 v1, v20, v90
	s_delay_alu instid0(VALU_DEP_2) | instskip(SKIP_2) | instid1(VALU_DEP_2)
	v_dual_mov_b32 v90, v145 :: v_dual_fmac_f32 v95, v8, v0
	v_mul_i32_i24_e32 v0, v9, v113
	v_dual_mov_b32 v113, v104 :: v_dual_mov_b32 v104, v183
	v_mad_i32_i24 v0, v13, v116, v0
	s_delay_alu instid0(VALU_DEP_1) | instskip(SKIP_2) | instid1(VALU_DEP_1)
	v_add3_u32 v0, v0, v1, v69
	v_mul_i32_i24_e32 v1, v244, v22
	v_mul_i32_i24_e32 v69, v110, v23
	v_add3_u32 v0, v0, v1, v69
	v_mul_i32_i24_e32 v1, v180, v35
	v_mul_i32_i24_e32 v69, v234, v37
	s_delay_alu instid0(VALU_DEP_3) | instskip(SKIP_1) | instid1(VALU_DEP_4)
	v_add3_u32 v0, v0, v70, v71
	v_mul_i32_i24_e32 v70, v149, v4
	v_mad_i32_i24 v1, v183, v36, v1
	v_mul_i32_i24_e32 v71, v229, v42
	v_mov_b32_e32 v183, v144
	v_add3_u32 v0, v0, v73, v74
	v_mul_i32_i24_e32 v73, v230, v5
	v_add3_u32 v1, v1, v69, v70
	v_mul_i32_i24_e32 v69, v142, v40
	v_mul_i32_i24_e32 v70, v143, v41
	v_add3_u32 v0, v0, v81, v84
	v_mul_i32_i24_e32 v74, v144, v43
	v_mul_i32_i24_e32 v81, v184, v44
	v_mul_i32_i24_e32 v84, v231, v45
	v_add3_u32 v1, v1, v69, v70
	v_add3_u32 v0, v0, v85, v86
	v_mul_i32_i24_e32 v85, v232, v6
	v_mul_i32_i24_e32 v86, v185, v46
	v_mul_i32_i24_e32 v69, v50, v130
	v_add3_u32 v1, v1, v71, v73
	v_add3_u32 v0, v0, v87, v93
	v_mul_i32_i24_e32 v87, v186, v47
	v_mul_i32_i24_e32 v71, v52, v249
	v_mul_i32_i24_e32 v73, v53, v119
	v_add3_u32 v1, v1, v74, v81
	v_mul_i32_i24_e32 v74, v54, v243
	v_mul_i32_i24_e32 v81, v64, v236
	v_mul_i32_i24_e32 v93, v233, v49
	v_mul_lo_u32 v0, v0, v191
	v_add3_u32 v1, v1, v84, v85
	v_mul_i32_i24_e32 v84, v68, v114
	v_mul_i32_i24_e32 v70, v51, v188
	;; [unrolled: 1-line block ×3, first 2 shown]
	s_delay_alu instid0(VALU_DEP_4) | instskip(NEXT) | instid1(VALU_DEP_4)
	v_add3_u32 v1, v1, v86, v87
	v_mad_i32_i24 v84, v67, v61, v84
	v_mul_i32_i24_e32 v86, v63, v33
	v_mul_i32_i24_e32 v87, v55, v34
	s_delay_alu instid0(VALU_DEP_4) | instskip(NEXT) | instid1(VALU_DEP_4)
	v_add3_u32 v1, v1, v93, v94
	v_add3_u32 v74, v84, v81, v74
	v_mul_i32_i24_e32 v81, v58, v31
	v_mul_i32_i24_e32 v84, v76, v2
	;; [unrolled: 1-line block ×3, first 2 shown]
	v_mad_co_u64_u32 v[0:1], null, v1, v128, v[0:1]
	v_add3_u32 v71, v74, v71, v73
	v_mul_i32_i24_e32 v73, v109, v26
	v_mul_i32_i24_e32 v74, v205, v27
	;; [unrolled: 1-line block ×4, first 2 shown]
	v_add3_u32 v69, v71, v70, v69
	v_cvt_f32_i32_e32 v0, v0
	v_mul_i32_i24_e32 v70, v242, v24
	v_mul_i32_i24_e32 v71, v218, v25
	;; [unrolled: 1-line block ×3, first 2 shown]
	v_cvt_f32_i32_e32 v1, v69
	v_mul_i32_i24_e32 v69, v21, v118
	v_mul_i32_i24_e32 v7, v175, v7
	s_delay_alu instid0(VALU_DEP_3) | instskip(NEXT) | instid1(VALU_DEP_1)
	v_mul_f32_e32 v1, v105, v1
	v_fma_mix_f32 v0, v107, v0, -v1 op_sel_hi:[1,0,0]
	scratch_load_b32 v1, off, off offset:68 ; 4-byte Folded Reload
	s_wait_loadcnt 0x0
	v_fmac_f32_e32 v1, v8, v0
	v_mul_i32_i24_e32 v0, v9, v150
	scratch_store_b32 off, v1, off offset:68 ; 4-byte Folded Spill
	v_mul_i32_i24_e32 v1, v20, v146
	v_mad_i32_i24 v0, v13, v214, v0
	s_delay_alu instid0(VALU_DEP_1) | instskip(SKIP_2) | instid1(VALU_DEP_1)
	v_add3_u32 v0, v0, v1, v69
	v_mul_i32_i24_e32 v1, v237, v22
	v_mul_i32_i24_e32 v69, v239, v23
	v_add3_u32 v0, v0, v1, v69
	v_mul_i32_i24_e32 v1, v136, v35
	v_mul_i32_i24_e32 v69, v211, v37
	s_delay_alu instid0(VALU_DEP_3) | instskip(SKIP_1) | instid1(VALU_DEP_4)
	v_add3_u32 v0, v0, v70, v71
	v_mul_i32_i24_e32 v70, v213, v4
	v_mad_i32_i24 v1, v227, v36, v1
	v_mul_i32_i24_e32 v71, v106, v42
	v_mov_b32_e32 v106, v141
	v_add3_u32 v0, v0, v73, v74
	v_mul_i32_i24_e32 v73, v201, v5
	v_add3_u32 v1, v1, v69, v70
	v_mul_i32_i24_e32 v69, v10, v40
	v_mul_i32_i24_e32 v70, v198, v41
	v_add3_u32 v0, v0, v81, v84
	v_mul_i32_i24_e32 v74, v125, v43
	v_mul_i32_i24_e32 v81, v16, v44
	v_mul_i32_i24_e32 v84, v200, v45
	v_add3_u32 v1, v1, v69, v70
	v_add3_u32 v0, v0, v85, v86
	v_mul_i32_i24_e32 v85, v206, v6
	v_mul_i32_i24_e32 v86, v207, v46
	v_mul_i32_i24_e32 v69, v50, v120
	v_add3_u32 v1, v1, v71, v73
	;; [unrolled: 5-line block ×3, first 2 shown]
	v_mul_i32_i24_e32 v74, v54, v168
	v_mul_i32_i24_e32 v81, v64, v189
	;; [unrolled: 1-line block ×3, first 2 shown]
	v_mul_lo_u32 v0, v0, v111
	v_add3_u32 v1, v1, v84, v85
	v_mul_i32_i24_e32 v84, v68, v79
	v_mul_i32_i24_e32 v70, v51, v124
	;; [unrolled: 1-line block ×4, first 2 shown]
	v_add3_u32 v1, v1, v86, v87
	v_mad_i32_i24 v84, v67, v251, v84
	v_mov_b32_e32 v85, v132
	v_dual_mov_b32 v87, v140 :: v_dual_mov_b32 v86, v139
	s_delay_alu instid0(VALU_DEP_4) | instskip(NEXT) | instid1(VALU_DEP_4)
	v_add3_u32 v1, v1, v93, v94
	v_add3_u32 v74, v84, v81, v74
	v_mov_b32_e32 v220, v156
	v_dual_mov_b32 v156, v99 :: v_dual_mov_b32 v99, v142
	s_delay_alu instid0(VALU_DEP_4) | instskip(NEXT) | instid1(VALU_DEP_4)
	v_mad_co_u64_u32 v[0:1], null, v1, v115, v[0:1]
	v_add3_u32 v71, v74, v71, v73
	s_delay_alu instid0(VALU_DEP_1) | instskip(NEXT) | instid1(VALU_DEP_3)
	v_add3_u32 v69, v71, v70, v69
	v_cvt_f32_i32_e32 v0, v0
	s_delay_alu instid0(VALU_DEP_2) | instskip(NEXT) | instid1(VALU_DEP_1)
	v_cvt_f32_i32_e32 v1, v69
	v_mul_f32_e32 v1, v112, v1
	v_mov_b32_e32 v84, v96
	s_delay_alu instid0(VALU_DEP_2)
	v_fma_mix_f32 v0, v219, v0, -v1 op_sel_hi:[1,0,0]
	scratch_load_b32 v1, off, off offset:44 ; 4-byte Folded Reload
	s_wait_loadcnt 0x0
	v_fmac_f32_e32 v1, v8, v0
	v_mul_i32_i24_e32 v0, v9, v133
	v_mul_i32_i24_e32 v9, v21, v129
	;; [unrolled: 1-line block ×4, first 2 shown]
	scratch_store_b32 off, v1, off offset:44 ; 4-byte Folded Spill
	v_mul_i32_i24_e32 v1, v20, v103
	v_mad_i32_i24 v0, v13, v121, v0
	v_mul_i32_i24_e32 v13, v92, v24
	v_mul_i32_i24_e32 v20, v126, v25
	;; [unrolled: 1-line block ×4, first 2 shown]
	v_add3_u32 v0, v0, v1, v9
	v_mul_i32_i24_e32 v1, v123, v22
	v_mul_i32_i24_e32 v9, v203, v23
	;; [unrolled: 1-line block ×4, first 2 shown]
	v_dual_mov_b32 v103, v108 :: v_dual_mov_b32 v192, v152
	s_delay_alu instid0(VALU_DEP_4)
	v_add3_u32 v0, v0, v1, v9
	v_mul_i32_i24_e32 v1, v170, v35
	v_mul_i32_i24_e32 v9, v159, v43
	v_mov_b32_e32 v152, v180
	v_mov_b32_e32 v180, v143
	v_add3_u32 v0, v0, v13, v20
	v_mad_i32_i24 v1, v169, v36, v1
	v_mul_i32_i24_e32 v13, v160, v44
	v_mul_i32_i24_e32 v20, v225, v45
	v_mov_b32_e32 v108, v59
	v_add3_u32 v0, v0, v21, v22
	v_mul_i32_i24_e32 v21, v163, v46
	v_mul_i32_i24_e32 v22, v164, v47
	s_delay_alu instid0(VALU_DEP_3) | instskip(SKIP_4) | instid1(VALU_DEP_1)
	v_add3_u32 v0, v0, v23, v2
	v_mul_i32_i24_e32 v2, v240, v37
	v_mul_i32_i24_e32 v23, v167, v49
	scratch_load_b32 v49, off, off offset:164 ; 4-byte Folded Reload
	v_add3_u32 v0, v0, v24, v25
	v_add3_u32 v0, v0, v26, v3
	v_mul_i32_i24_e32 v3, v195, v4
	v_mul_i32_i24_e32 v4, v139, v42
	s_delay_alu instid0(VALU_DEP_3) | instskip(NEXT) | instid1(VALU_DEP_3)
	v_mul_lo_u32 v0, v0, v101
	v_add3_u32 v1, v1, v2, v3
	v_mul_i32_i24_e32 v2, v132, v40
	v_mul_i32_i24_e32 v3, v96, v41
	s_delay_alu instid0(VALU_DEP_1) | instskip(SKIP_2) | instid1(VALU_DEP_3)
	v_add3_u32 v1, v1, v2, v3
	v_mul_i32_i24_e32 v2, v50, v137
	v_mul_i32_i24_e32 v3, v51, v39
	v_add3_u32 v1, v1, v4, v5
	v_mul_i32_i24_e32 v4, v52, v38
	v_mul_i32_i24_e32 v5, v53, v134
	v_mov_b32_e32 v52, v60
	s_delay_alu instid0(VALU_DEP_4) | instskip(SKIP_1) | instid1(VALU_DEP_2)
	v_add3_u32 v1, v1, v9, v13
	v_mul_i32_i24_e32 v9, v68, v145
	v_add3_u32 v1, v1, v20, v6
	v_mul_i32_i24_e32 v6, v54, v28
	s_delay_alu instid0(VALU_DEP_3) | instskip(NEXT) | instid1(VALU_DEP_3)
	v_mad_i32_i24 v9, v67, v17, v9
	v_add3_u32 v1, v1, v21, v22
	s_delay_alu instid0(VALU_DEP_1) | instskip(SKIP_1) | instid1(VALU_DEP_2)
	v_add3_u32 v1, v1, v23, v7
	v_mul_i32_i24_e32 v7, v64, v18
	v_mad_co_u64_u32 v[0:1], null, v1, v196, v[0:1]
	s_delay_alu instid0(VALU_DEP_2) | instskip(NEXT) | instid1(VALU_DEP_1)
	v_add3_u32 v6, v9, v7, v6
	v_add3_u32 v4, v6, v4, v5
	s_delay_alu instid0(VALU_DEP_3) | instskip(NEXT) | instid1(VALU_DEP_2)
	v_cvt_f32_i32_e32 v0, v0
	v_add3_u32 v2, v4, v3, v2
	s_delay_alu instid0(VALU_DEP_1) | instskip(NEXT) | instid1(VALU_DEP_1)
	v_cvt_f32_i32_e32 v1, v2
	v_mul_f32_e32 v1, v238, v1
	s_delay_alu instid0(VALU_DEP_1)
	v_fma_mix_f32 v0, v60, v0, -v1 op_sel_hi:[1,0,0]
	scratch_load_b32 v1, off, off offset:28 ; 4-byte Folded Reload
	s_wait_loadcnt 0x0
	v_fmac_f32_e32 v1, v8, v0
	scratch_load_b32 v0, off, off offset:364 th:TH_LOAD_LU ; 4-byte Folded Reload
	s_clause 0x1
	scratch_store_b32 off, v95, off offset:88
	scratch_store_b32 off, v1, off offset:28
	s_wait_loadcnt 0x0
	ds_load_b32 v9, v0 offset:30368
	scratch_load_b32 v0, off, off offset:236 th:TH_LOAD_LU ; 4-byte Folded Reload
	s_wait_loadcnt 0x0
	ds_load_b128 v[1:4], v0 offset:16896
	ds_load_b128 v[31:34], v0 offset:16912
	s_clause 0x8
	scratch_load_b32 v61, off, off offset:104 th:TH_LOAD_LU
	scratch_load_b32 v54, off, off offset:184
	scratch_load_b32 v72, off, off offset:192
	;; [unrolled: 1-line block ×4, first 2 shown]
	scratch_load_b32 v58, off, off offset:96 th:TH_LOAD_LU
	scratch_load_b32 v129, off, off offset:140
	scratch_load_b32 v60, off, off offset:100 th:TH_LOAD_LU
	scratch_load_b32 v146, off, off offset:216
	s_wait_dscnt 0x1
	v_bfe_i32 v145, v1, 0, 8
	s_wait_dscnt 0x0
	v_bfe_i32 v68, v31, 8, 8
	v_bfe_i32 v5, v32, 8, 8
	;; [unrolled: 1-line block ×4, first 2 shown]
	v_ashrrev_i32_e32 v1, 24, v1
	v_ashrrev_i32_e32 v94, 24, v2
	v_bfe_i32 v23, v33, 8, 8
	v_bfe_i32 v27, v34, 8, 8
	v_add_nc_u32_e32 v20, v5, v68
	v_bfe_i32 v93, v2, 16, 8
	v_ashrrev_i32_e32 v139, 24, v3
	v_ashrrev_i32_e32 v143, 24, v4
	v_bfe_i32 v81, v2, 8, 8
	v_add3_u32 v42, v20, v23, v27
	v_add_nc_u32_e32 v20, v94, v1
	v_bfe_i32 v132, v3, 16, 8
	v_bfe_i32 v142, v4, 16, 8
	;; [unrolled: 1-line block ×4, first 2 shown]
	v_add3_u32 v43, v20, v139, v143
	v_add_nc_u32_e32 v20, v93, v0
	v_bfe_i32 v141, v4, 8, 8
	v_bfe_i32 v95, v3, 0, 8
	v_bfe_i32 v140, v4, 0, 8
	v_mul_i32_i24_e32 v21, v0, v215
	v_add3_u32 v64, v20, v132, v142
	v_add_nc_u32_e32 v20, v81, v144
	v_mul_i32_i24_e32 v22, v1, v88
	v_bfe_i32 v70, v31, 0, 8
	v_bfe_i32 v71, v31, 16, 8
	v_ashrrev_i32_e32 v73, 24, v31
	v_add3_u32 v67, v20, v96, v141
	v_add_nc_u32_e32 v20, v74, v145
	v_bfe_i32 v4, v32, 0, 8
	v_bfe_i32 v6, v32, 16, 8
	v_ashrrev_i32_e32 v7, 24, v32
	v_mul_i32_i24_e32 v31, v97, v93
	v_add3_u32 v69, v20, v95, v140
	v_mul_i32_i24_e32 v20, v145, v197
	v_mul_i32_i24_e32 v32, v221, v94
	v_add_nc_u32_e32 v3, v4, v70
	v_bfe_i32 v13, v33, 0, 8
	v_bfe_i32 v24, v33, 16, 8
	v_mad_i32_i24 v20, v144, v212, v20
	v_ashrrev_i32_e32 v25, 24, v33
	v_bfe_i32 v26, v34, 0, 8
	v_bfe_i32 v41, v34, 16, 8
	v_ashrrev_i32_e32 v44, 24, v34
	v_add3_u32 v20, v20, v21, v22
	v_mul_i32_i24_e32 v21, v178, v74
	v_mul_i32_i24_e32 v22, v179, v81
	;; [unrolled: 1-line block ×6, first 2 shown]
	v_add3_u32 v20, v20, v21, v22
	v_mul_i32_i24_e32 v21, v202, v70
	v_mul_i32_i24_e32 v22, v190, v71
	;; [unrolled: 1-line block ×4, first 2 shown]
	v_add3_u32 v20, v20, v31, v32
	v_mul_i32_i24_e32 v31, v194, v73
	v_mad_i32_i24 v21, v199, v68, v21
	v_mul_i32_i24_e32 v32, v209, v6
	v_add_nc_u32_e32 v2, v7, v73
	v_add3_u32 v20, v20, v33, v34
	v_mul_i32_i24_e32 v33, v192, v7
	v_add3_u32 v21, v21, v22, v31
	v_mul_i32_i24_e32 v22, v204, v4
	v_mul_i32_i24_e32 v31, v208, v5
	v_add3_u32 v20, v20, v35, v36
	v_mul_i32_i24_e32 v34, v148, v13
	v_mul_i32_i24_e32 v35, v247, v23
	;; [unrolled: 1-line block ×3, first 2 shown]
	v_add3_u32 v21, v21, v22, v31
	v_add3_u32 v20, v20, v37, v40
	v_mul_i32_i24_e32 v37, v177, v25
	v_mul_i32_i24_e32 v45, v153, v142
	;; [unrolled: 1-line block ×3, first 2 shown]
	v_add3_u32 v21, v21, v32, v33
	v_add3_u32 v8, v2, v25, v44
	v_add_nc_u32_e32 v2, v6, v71
	v_add3_u32 v3, v3, v13, v26
	v_add3_u32 v20, v20, v45, v46
	;; [unrolled: 1-line block ×3, first 2 shown]
	v_mul_i32_i24_e32 v34, v43, v187
	v_mul_i32_i24_e32 v35, v64, v166
	;; [unrolled: 1-line block ×4, first 2 shown]
	v_add3_u32 v21, v21, v36, v37
	v_mul_i32_i24_e32 v36, v69, v78
	v_add3_u32 v2, v2, v24, v41
	v_mul_i32_i24_e32 v32, v3, v75
	v_mul_i32_i24_e32 v33, v42, v77
	;; [unrolled: 1-line block ×3, first 2 shown]
	v_mad_i32_i24 v36, v67, v147, v36
	v_mul_i32_i24_e32 v47, v66, v44
	v_add3_u32 v21, v21, v40, v45
	v_mul_lo_u32 v20, v20, v241
	v_mul_i32_i24_e32 v22, v8, v226
	v_add3_u32 v34, v36, v35, v34
	v_mul_i32_i24_e32 v31, v2, v235
	v_add3_u32 v21, v21, v46, v47
	v_mul_i32_i24_e32 v35, v248, v132
	v_mul_i32_i24_e32 v36, v113, v139
	v_add3_u32 v32, v34, v32, v33
	v_mul_i32_i24_e32 v33, v182, v95
	v_mad_co_u64_u32 v[20:21], null, v21, v246, v[20:21]
	v_mul_i32_i24_e32 v34, v48, v96
	s_delay_alu instid0(VALU_DEP_4)
	v_add3_u32 v22, v32, v31, v22
	v_mul_i32_i24_e32 v31, v245, v93
	v_mul_i32_i24_e32 v32, v80, v94
	;; [unrolled: 1-line block ×4, first 2 shown]
	v_cvt_f32_i32_e32 v21, v22
	v_cvt_f32_i32_e32 v20, v20
	v_mul_i32_i24_e32 v22, v1, v254
	v_mul_i32_i24_e32 v45, v138, v142
	;; [unrolled: 1-line block ×3, first 2 shown]
	v_mul_f32_e32 v21, v250, v21
	v_mul_i32_i24_e32 v47, v29, v44
	s_delay_alu instid0(VALU_DEP_2) | instskip(SKIP_2) | instid1(VALU_DEP_2)
	v_fma_mix_f32 v20, v151, v20, -v21 op_sel_hi:[1,0,0]
	v_mul_i32_i24_e32 v21, v0, v56
	s_wait_loadcnt 0x3
	v_fmac_f32_e32 v58, v9, v20
	v_mul_i32_i24_e32 v20, v145, v228
	s_delay_alu instid0(VALU_DEP_1) | instskip(NEXT) | instid1(VALU_DEP_1)
	v_mad_i32_i24 v20, v144, v116, v20
	v_add3_u32 v20, v20, v21, v22
	v_mul_i32_i24_e32 v21, v244, v74
	v_mul_i32_i24_e32 v22, v110, v81
	s_delay_alu instid0(VALU_DEP_1) | instskip(SKIP_2) | instid1(VALU_DEP_3)
	v_add3_u32 v20, v20, v21, v22
	v_mul_i32_i24_e32 v21, v152, v70
	v_mul_i32_i24_e32 v22, v234, v71
	v_add3_u32 v20, v20, v31, v32
	v_mul_i32_i24_e32 v31, v89, v73
	s_delay_alu instid0(VALU_DEP_4)
	v_mad_i32_i24 v21, v104, v68, v21
	v_mul_i32_i24_e32 v32, v229, v6
	v_mov_b32_e32 v89, v92
	v_add3_u32 v20, v20, v33, v34
	v_mul_i32_i24_e32 v33, v230, v7
	v_add3_u32 v21, v21, v22, v31
	v_mul_i32_i24_e32 v22, v99, v4
	v_mul_i32_i24_e32 v31, v180, v5
	v_add3_u32 v20, v20, v35, v36
	v_mul_i32_i24_e32 v34, v183, v13
	v_mul_i32_i24_e32 v35, v184, v23
	v_mul_i32_i24_e32 v36, v231, v24
	v_add3_u32 v21, v21, v22, v31
	v_add3_u32 v20, v20, v37, v40
	v_mul_i32_i24_e32 v37, v232, v25
	v_mul_i32_i24_e32 v40, v185, v26
	v_mul_i32_i24_e32 v22, v8, v130
	v_add3_u32 v21, v21, v32, v33
	;; [unrolled: 5-line block ×3, first 2 shown]
	v_mul_i32_i24_e32 v34, v43, v243
	v_mul_i32_i24_e32 v35, v64, v236
	;; [unrolled: 1-line block ×3, first 2 shown]
	v_mul_lo_u32 v20, v20, v191
	v_add3_u32 v21, v21, v36, v37
	v_mul_i32_i24_e32 v36, v69, v114
	v_mul_i32_i24_e32 v31, v2, v188
	;; [unrolled: 1-line block ×3, first 2 shown]
	s_delay_alu instid0(VALU_DEP_4) | instskip(NEXT) | instid1(VALU_DEP_4)
	v_add3_u32 v21, v21, v40, v45
	v_mad_i32_i24 v36, v67, v181, v36
	v_mul_i32_i24_e32 v40, v63, v141
	v_mul_i32_i24_e32 v45, v55, v142
	s_delay_alu instid0(VALU_DEP_4) | instskip(NEXT) | instid1(VALU_DEP_4)
	v_add3_u32 v21, v21, v46, v47
	v_add3_u32 v34, v36, v35, v34
	v_mul_i32_i24_e32 v35, v57, v132
	v_mul_i32_i24_e32 v36, v76, v139
	v_mul_i32_i24_e32 v46, v158, v143
	v_mad_co_u64_u32 v[20:21], null, v21, v128, v[20:21]
	v_add3_u32 v32, v34, v32, v33
	v_mul_i32_i24_e32 v33, v109, v95
	v_mul_i32_i24_e32 v34, v205, v96
	v_mul_i32_i24_e32 v47, v11, v44
	v_mov_b32_e32 v57, v82
	v_add3_u32 v22, v32, v31, v22
	v_cvt_f32_i32_e32 v20, v20
	v_mul_i32_i24_e32 v31, v242, v93
	v_mul_i32_i24_e32 v32, v218, v94
	s_delay_alu instid0(VALU_DEP_4) | instskip(SKIP_2) | instid1(VALU_DEP_3)
	v_cvt_f32_i32_e32 v21, v22
	v_mul_i32_i24_e32 v22, v1, v118
	v_mul_i32_i24_e32 v1, v1, v57
	v_mul_f32_e32 v21, v105, v21
	s_delay_alu instid0(VALU_DEP_1) | instskip(SKIP_2) | instid1(VALU_DEP_3)
	v_fma_mix_f32 v20, v107, v20, -v21 op_sel_hi:[1,0,0]
	v_mul_i32_i24_e32 v21, v0, v83
	v_mov_b32_e32 v83, v91
	v_fmac_f32_e32 v61, v9, v20
	v_mul_i32_i24_e32 v20, v145, v150
	s_delay_alu instid0(VALU_DEP_3) | instskip(NEXT) | instid1(VALU_DEP_2)
	v_mul_i32_i24_e32 v0, v0, v83
	v_mad_i32_i24 v20, v144, v214, v20
	s_delay_alu instid0(VALU_DEP_1) | instskip(SKIP_2) | instid1(VALU_DEP_1)
	v_add3_u32 v20, v20, v21, v22
	v_mul_i32_i24_e32 v21, v237, v74
	v_mul_i32_i24_e32 v22, v239, v81
	v_add3_u32 v20, v20, v21, v22
	v_mul_i32_i24_e32 v21, v136, v70
	v_mul_i32_i24_e32 v22, v211, v71
	s_delay_alu instid0(VALU_DEP_3) | instskip(SKIP_1) | instid1(VALU_DEP_4)
	v_add3_u32 v20, v20, v31, v32
	v_mul_i32_i24_e32 v31, v213, v73
	v_mad_i32_i24 v21, v227, v68, v21
	v_mul_i32_i24_e32 v32, v100, v6
	v_mul_i32_i24_e32 v6, v86, v6
	v_add3_u32 v20, v20, v33, v34
	v_mul_i32_i24_e32 v33, v102, v7
	v_add3_u32 v21, v21, v22, v31
	v_mul_i32_i24_e32 v22, v10, v4
	v_mul_i32_i24_e32 v31, v198, v5
	v_add3_u32 v20, v20, v35, v36
	v_mul_i32_i24_e32 v34, v125, v13
	v_mul_i32_i24_e32 v35, v16, v23
	v_mul_i32_i24_e32 v36, v200, v24
	v_add3_u32 v21, v21, v22, v31
	v_add3_u32 v20, v20, v37, v40
	v_mul_i32_i24_e32 v37, v206, v25
	v_mul_i32_i24_e32 v40, v207, v26
	v_mul_i32_i24_e32 v22, v8, v120
	v_add3_u32 v21, v21, v32, v33
	v_add3_u32 v20, v20, v45, v46
	v_mul_i32_i24_e32 v45, v127, v27
	v_mul_i32_i24_e32 v32, v3, v165
	v_mul_i32_i24_e32 v33, v42, v122
	v_add3_u32 v21, v21, v34, v35
	v_mul_i32_i24_e32 v34, v43, v168
	v_mul_i32_i24_e32 v35, v64, v189
	v_mul_i32_i24_e32 v46, v210, v41
	v_mul_lo_u32 v20, v20, v111
	v_add3_u32 v21, v21, v36, v37
	v_mul_i32_i24_e32 v36, v69, v79
	v_mul_i32_i24_e32 v31, v2, v124
	;; [unrolled: 1-line block ×4, first 2 shown]
	v_add3_u32 v21, v21, v40, v45
	v_mad_i32_i24 v36, v67, v251, v36
	v_mul_i32_i24_e32 v7, v87, v7
	v_mul_i32_i24_e32 v13, v159, v13
	v_mul_i32_i24_e32 v37, v65, v142
	v_add3_u32 v21, v21, v46, v47
	v_add3_u32 v34, v36, v35, v34
	v_mul_i32_i24_e32 v35, v176, v140
	v_mul_i32_i24_e32 v36, v106, v141
	s_clause 0x1
	scratch_load_b32 v46, off, off offset:180
	scratch_load_b32 v47, off, off offset:144
	v_mad_co_u64_u32 v[20:21], null, v21, v115, v[20:21]
	v_add3_u32 v32, v34, v32, v33
	v_mul_i32_i24_e32 v33, v108, v132
	v_mul_i32_i24_e32 v34, v171, v139
	;; [unrolled: 1-line block ×4, first 2 shown]
	v_add3_u32 v22, v32, v31, v22
	v_cvt_f32_i32_e32 v20, v20
	v_mul_i32_i24_e32 v32, v117, v96
	v_mul_i32_i24_e32 v2, v2, v39
	;; [unrolled: 1-line block ×3, first 2 shown]
	v_cvt_f32_i32_e32 v21, v22
	v_mul_i32_i24_e32 v22, v126, v94
	s_delay_alu instid0(VALU_DEP_2) | instskip(NEXT) | instid1(VALU_DEP_1)
	v_mul_f32_e32 v21, v112, v21
	v_fma_mix_f32 v20, v219, v20, -v21 op_sel_hi:[1,0,0]
	v_mul_i32_i24_e32 v21, v89, v93
	s_wait_loadcnt 0x3
	s_delay_alu instid0(VALU_DEP_2) | instskip(SKIP_1) | instid1(VALU_DEP_2)
	v_dual_mov_b32 v93, v103 :: v_dual_fmac_f32 v60, v9, v20
	v_mul_i32_i24_e32 v20, v145, v133
	v_mul_i32_i24_e32 v31, v93, v95
	s_delay_alu instid0(VALU_DEP_2) | instskip(NEXT) | instid1(VALU_DEP_1)
	v_mad_i32_i24 v20, v144, v121, v20
	v_add3_u32 v0, v20, v0, v1
	v_mul_i32_i24_e32 v1, v123, v74
	v_mul_i32_i24_e32 v20, v203, v81
	scratch_load_b64 v[81:82], off, off offset:124 th:TH_LOAD_LU ; 8-byte Folded Reload
	v_add3_u32 v0, v0, v1, v20
	v_mul_i32_i24_e32 v1, v170, v70
	v_mul_i32_i24_e32 v20, v240, v71
	s_delay_alu instid0(VALU_DEP_3) | instskip(SKIP_1) | instid1(VALU_DEP_4)
	v_add3_u32 v0, v0, v21, v22
	v_mul_i32_i24_e32 v21, v195, v73
	v_mad_i32_i24 v1, v169, v68, v1
	v_mul_i32_i24_e32 v22, v224, v25
	v_mul_i32_i24_e32 v25, v167, v41
	v_add3_u32 v0, v0, v31, v32
	s_delay_alu instid0(VALU_DEP_4) | instskip(SKIP_2) | instid1(VALU_DEP_4)
	v_add3_u32 v1, v1, v20, v21
	v_mul_i32_i24_e32 v20, v160, v23
	v_mul_i32_i24_e32 v21, v225, v24
	v_add3_u32 v0, v0, v33, v34
	v_mul_i32_i24_e32 v23, v163, v26
	v_add3_u32 v1, v1, v4, v5
	v_mul_i32_i24_e32 v4, v8, v137
	v_mul_i32_i24_e32 v5, v42, v134
	v_add3_u32 v0, v0, v35, v36
	s_clause 0x4
	scratch_load_b32 v35, off, off offset:92 th:TH_LOAD_LU
	scratch_load_b32 v36, off, off offset:176
	scratch_load_b32 v68, off, off offset:208
	;; [unrolled: 1-line block ×4, first 2 shown]
	v_add3_u32 v1, v1, v6, v7
	v_mul_i32_i24_e32 v6, v43, v28
	v_mul_i32_i24_e32 v7, v64, v18
	;; [unrolled: 1-line block ×3, first 2 shown]
	s_clause 0x2
	scratch_load_b32 v69, off, off offset:212
	scratch_load_b32 v43, off, off offset:172
	scratch_load_b32 v64, off, off offset:112 th:TH_LOAD_LU
	v_add3_u32 v1, v1, v13, v20
	v_mad_i32_i24 v8, v67, v17, v8
	v_mul_i32_i24_e32 v24, v164, v27
	v_add3_u32 v0, v0, v37, v40
	v_mul_i32_i24_e32 v26, v175, v44
	v_add3_u32 v1, v1, v21, v22
	v_add3_u32 v6, v8, v7, v6
	v_mul_i32_i24_e32 v13, v65, v174
	v_mul_lo_u32 v0, v0, v101
	s_delay_alu instid0(VALU_DEP_4) | instskip(NEXT) | instid1(VALU_DEP_4)
	v_add3_u32 v1, v1, v23, v24
	v_add3_u32 v3, v6, v3, v5
	s_delay_alu instid0(VALU_DEP_2) | instskip(NEXT) | instid1(VALU_DEP_2)
	v_add3_u32 v1, v1, v25, v26
	v_add3_u32 v2, v3, v2, v4
	v_mul_i32_i24_e32 v3, v138, v174
	v_mul_i32_i24_e32 v4, v135, v14
	s_delay_alu instid0(VALU_DEP_4) | instskip(NEXT) | instid1(VALU_DEP_4)
	v_mad_co_u64_u32 v[0:1], null, v1, v196, v[0:1]
	v_cvt_f32_i32_e32 v1, v2
	v_mul_i32_i24_e32 v2, v156, v98
	s_delay_alu instid0(VALU_DEP_2) | instskip(NEXT) | instid1(VALU_DEP_4)
	v_mul_f32_e32 v1, v238, v1
	v_cvt_f32_i32_e32 v0, v0
	s_delay_alu instid0(VALU_DEP_1) | instskip(SKIP_1) | instid1(VALU_DEP_1)
	v_fma_mix_f32 v0, v52, v0, -v1 op_sel_hi:[1,0,0]
	s_wait_loadcnt 0x0
	v_fmac_f32_e32 v64, v9, v0
	s_clause 0x1
	scratch_load_b32 v21, off, off offset:132 th:TH_LOAD_LU
	scratch_load_b32 v0, off, off offset:388 th:TH_LOAD_LU
	s_wait_loadcnt 0x0
	v_fma_f32 v82, v21, v0, v82
	s_clause 0x6
	scratch_load_b32 v8, off, off offset:392 th:TH_LOAD_LU
	scratch_load_b32 v0, off, off offset:384 th:TH_LOAD_LU
	;; [unrolled: 1-line block ×7, first 2 shown]
	s_wait_loadcnt 0x5
	v_fmac_f32_e32 v81, v8, v0
	s_wait_loadcnt 0x4
	v_mul_i32_i24_e32 v0, v113, v12
	s_wait_loadcnt 0x3
	v_mul_i32_i24_e32 v1, v30, v9
	v_mul_i32_i24_e32 v9, v176, v9
	s_wait_loadcnt 0x1
	v_add3_u32 v0, v6, v5, v0
	s_delay_alu instid0(VALU_DEP_1) | instskip(SKIP_1) | instid1(VALU_DEP_2)
	v_add3_u32 v0, v0, v1, v2
	v_mul_i32_i24_e32 v1, v152, v19
	v_add3_u32 v0, v0, v3, v4
	s_clause 0x7
	scratch_load_b32 v2, off, off offset:344 th:TH_LOAD_LU
	scratch_load_b32 v3, off, off offset:348 th:TH_LOAD_LU
	scratch_load_b32 v30, off, off offset:436 th:TH_LOAD_LU
	scratch_load_b32 v31, off, off offset:524 th:TH_LOAD_LU
	scratch_load_b32 v29, off, off offset:432 th:TH_LOAD_LU
	scratch_load_b32 v27, off, off offset:428 th:TH_LOAD_LU
	scratch_load_b32 v20, off, off offset:424 th:TH_LOAD_LU
	scratch_load_b32 v10, off, off offset:416 th:TH_LOAD_LU
	s_wait_loadcnt 0x8
	v_mad_i32_i24 v1, v104, v16, v1
	v_mul_lo_u32 v0, v0, v191
	s_wait_loadcnt 0x6
	s_delay_alu instid0(VALU_DEP_2)
	v_add3_u32 v1, v1, v2, v3
	s_wait_loadcnt 0x5
	v_mul_i32_i24_e32 v2, v99, v30
	s_wait_loadcnt 0x4
	v_mul_i32_i24_e32 v7, v186, v31
	;; [unrolled: 2-line block ×6, first 2 shown]
	v_add3_u32 v1, v1, v2, v3
	s_clause 0x1
	scratch_load_b32 v2, off, off offset:320 th:TH_LOAD_LU
	scratch_load_b32 v3, off, off offset:332 th:TH_LOAD_LU
	s_wait_loadcnt 0x0
	v_add3_u32 v1, v1, v2, v3
	s_clause 0x1
	scratch_load_b32 v2, off, off offset:324 th:TH_LOAD_LU
	scratch_load_b32 v3, off, off offset:336 th:TH_LOAD_LU
	v_add3_u32 v1, v1, v4, v5
	s_wait_loadcnt 0x0
	s_delay_alu instid0(VALU_DEP_1)
	v_add3_u32 v1, v1, v2, v3
	s_clause 0xa
	scratch_load_b32 v2, off, off offset:328 th:TH_LOAD_LU
	scratch_load_b32 v3, off, off offset:340 th:TH_LOAD_LU
	;; [unrolled: 1-line block ×5, first 2 shown]
	scratch_load_b32 v76, off, off offset:224
	scratch_load_b32 v25, off, off offset:408 th:TH_LOAD_LU
	scratch_load_b32 v48, off, off offset:220
	scratch_load_b32 v23, off, off offset:400 th:TH_LOAD_LU
	scratch_load_b32 v59, off, off offset:108 th:TH_LOAD_LU
	;; [unrolled: 1-line block ×3, first 2 shown]
	v_add3_u32 v1, v1, v6, v7
	scratch_load_b64 v[74:75], off, off offset:116 th:TH_LOAD_LU ; 8-byte Folded Reload
	s_wait_loadcnt 0xa
	v_add3_u32 v1, v1, v2, v3
	s_wait_loadcnt 0x9
	v_mul_i32_i24_e32 v2, v24, v249
	s_wait_loadcnt 0x8
	v_mul_i32_i24_e32 v3, v11, v119
	;; [unrolled: 2-line block ×5, first 2 shown]
	v_mad_co_u64_u32 v[0:1], null, v1, v128, v[0:1]
	s_wait_loadcnt 0x1
	s_delay_alu instid0(VALU_DEP_2) | instskip(NEXT) | instid1(VALU_DEP_2)
	v_mad_i32_i24 v6, v22, v181, v6
	v_cvt_f32_i32_e32 v0, v0
	s_delay_alu instid0(VALU_DEP_2) | instskip(NEXT) | instid1(VALU_DEP_1)
	v_add3_u32 v4, v6, v5, v4
	v_add3_u32 v2, v4, v2, v3
	s_clause 0x5
	scratch_load_b32 v3, off, off offset:312 th:TH_LOAD_LU
	scratch_load_b32 v4, off, off offset:316 th:TH_LOAD_LU
	scratch_load_b32 v56, off, off offset:204
	scratch_load_b32 v6, off, off offset:356 th:TH_LOAD_LU
	scratch_load_b32 v5, off, off offset:360 th:TH_LOAD_LU
	;; [unrolled: 1-line block ×3, first 2 shown]
	s_wait_loadcnt 0x4
	v_add3_u32 v2, v2, v4, v3
	scratch_load_b32 v4, off, off offset:292 th:TH_LOAD_LU ; 4-byte Folded Reload
	s_wait_loadcnt 0x3
	v_mul_i32_i24_e32 v6, v117, v6
	s_wait_loadcnt 0x2
	v_mul_i32_i24_e32 v5, v93, v5
	;; [unrolled: 2-line block ×3, first 2 shown]
	v_cvt_f32_i32_e32 v1, v2
	s_clause 0x1
	scratch_load_b32 v2, off, off offset:308 th:TH_LOAD_LU
	scratch_load_b32 v3, off, off offset:296 th:TH_LOAD_LU
	v_mul_f32_e32 v1, v105, v1
	s_delay_alu instid0(VALU_DEP_1)
	v_fma_mix_f32 v0, v107, v0, -v1 op_sel_hi:[1,0,0]
	scratch_load_b32 v1, off, off offset:304 th:TH_LOAD_LU ; 4-byte Folded Reload
	v_fmac_f32_e32 v35, v21, v0
	scratch_load_b32 v0, off, off offset:380 th:TH_LOAD_LU ; 4-byte Folded Reload
	s_wait_loadcnt 0x4
	v_mul_i32_i24_e32 v4, v126, v4
	s_wait_loadcnt 0x3
	v_mul_i32_i24_e32 v2, v2, v57
	s_wait_loadcnt 0x0
	v_fma_f32 v75, v21, v0, v75
	scratch_load_b32 v0, off, off offset:376 th:TH_LOAD_LU ; 4-byte Folded Reload
	s_wait_loadcnt 0x0
	v_fmac_f32_e32 v74, v8, v0
	scratch_load_b32 v0, off, off offset:300 th:TH_LOAD_LU ; 4-byte Folded Reload
	v_mul_i32_i24_e32 v8, v171, v12
	v_mul_i32_i24_e32 v12, v106, v98
	s_wait_loadcnt 0x0
	v_mul_i32_i24_e32 v0, v0, v133
	s_delay_alu instid0(VALU_DEP_1) | instskip(SKIP_2) | instid1(VALU_DEP_1)
	v_mad_i32_i24 v0, v3, v121, v0
	scratch_load_b32 v3, off, off offset:288 th:TH_LOAD_LU ; 4-byte Folded Reload
	v_mul_i32_i24_e32 v1, v1, v83
	v_add3_u32 v0, v0, v1, v2
	s_clause 0x1
	scratch_load_b32 v1, off, off offset:280 th:TH_LOAD_LU
	scratch_load_b32 v2, off, off offset:284 th:TH_LOAD_LU
	s_wait_loadcnt 0x1
	v_mul_i32_i24_e32 v1, v123, v1
	s_wait_loadcnt 0x0
	v_mul_i32_i24_e32 v2, v203, v2
	s_delay_alu instid0(VALU_DEP_1) | instskip(SKIP_3) | instid1(VALU_DEP_2)
	v_add3_u32 v0, v0, v1, v2
	scratch_load_b32 v2, off, off offset:276 th:TH_LOAD_LU ; 4-byte Folded Reload
	v_mul_i32_i24_e32 v3, v89, v3
	v_mul_i32_i24_e32 v1, v170, v19
	v_add3_u32 v0, v0, v3, v4
	scratch_load_b32 v3, off, off offset:272 th:TH_LOAD_LU ; 4-byte Folded Reload
	v_mad_i32_i24 v1, v169, v16, v1
	scratch_load_b32 v4, off, off offset:256 th:TH_LOAD_LU ; 4-byte Folded Reload
	v_add3_u32 v0, v0, v5, v6
	v_mul_i32_i24_e32 v6, v159, v27
	s_delay_alu instid0(VALU_DEP_2)
	v_add3_u32 v0, v0, v7, v8
	scratch_load_b32 v8, off, off offset:248 th:TH_LOAD_LU ; 4-byte Folded Reload
	v_mul_i32_i24_e32 v7, v160, v20
	v_add3_u32 v0, v0, v9, v12
	scratch_load_b32 v9, off, off offset:244 th:TH_LOAD_LU ; 4-byte Folded Reload
	v_mul_i32_i24_e32 v12, v163, v10
	scratch_load_b32 v10, off, off offset:240 th:TH_LOAD_LU ; 4-byte Folded Reload
	v_add3_u32 v0, v0, v13, v15
	v_mul_i32_i24_e32 v13, v164, v31
	s_delay_alu instid0(VALU_DEP_2) | instskip(SKIP_4) | instid1(VALU_DEP_1)
	v_mul_lo_u32 v0, v0, v101
	s_wait_loadcnt 0x5
	v_mul_i32_i24_e32 v2, v240, v2
	s_wait_loadcnt 0x4
	v_mul_i32_i24_e32 v3, v195, v3
	v_add3_u32 v1, v1, v2, v3
	v_mul_i32_i24_e32 v2, v85, v30
	v_mul_i32_i24_e32 v3, v84, v29
	s_wait_loadcnt 0x2
	v_mul_i32_i24_e32 v8, v225, v8
	s_delay_alu instid0(VALU_DEP_2)
	v_add3_u32 v1, v1, v2, v3
	s_clause 0x2
	scratch_load_b32 v2, off, off offset:260 th:TH_LOAD_LU
	scratch_load_b32 v3, off, off offset:264 th:TH_LOAD_LU
	;; [unrolled: 1-line block ×3, first 2 shown]
	v_mul_i32_i24_e32 v4, v86, v4
	s_wait_loadcnt 0x3
	v_mul_i32_i24_e32 v15, v167, v10
	scratch_load_b32 v10, off, off offset:268 th:TH_LOAD_LU ; 4-byte Folded Reload
	v_mul_i32_i24_e32 v9, v224, v9
	s_wait_loadcnt 0x3
	v_mul_i32_i24_e32 v2, v2, v137
	s_wait_loadcnt 0x2
	;; [unrolled: 2-line block ×4, first 2 shown]
	v_mul_i32_i24_e32 v20, v175, v10
	s_delay_alu instid0(VALU_DEP_2) | instskip(SKIP_2) | instid1(VALU_DEP_3)
	v_add3_u32 v1, v1, v4, v5
	v_mul_i32_i24_e32 v4, v24, v38
	v_mul_i32_i24_e32 v5, v11, v134
	v_add3_u32 v1, v1, v6, v7
	v_mul_i32_i24_e32 v6, v26, v28
	v_mul_i32_i24_e32 v7, v25, v18
	s_delay_alu instid0(VALU_DEP_3) | instskip(SKIP_1) | instid1(VALU_DEP_2)
	v_add3_u32 v1, v1, v8, v9
	v_mul_i32_i24_e32 v8, v23, v90
	v_add3_u32 v1, v1, v12, v13
	s_delay_alu instid0(VALU_DEP_2) | instskip(NEXT) | instid1(VALU_DEP_2)
	v_mad_i32_i24 v8, v22, v17, v8
	v_add3_u32 v1, v1, v15, v20
	s_delay_alu instid0(VALU_DEP_2) | instskip(NEXT) | instid1(VALU_DEP_2)
	v_add3_u32 v6, v8, v7, v6
	v_mad_co_u64_u32 v[0:1], null, v1, v196, v[0:1]
	s_delay_alu instid0(VALU_DEP_2) | instskip(NEXT) | instid1(VALU_DEP_1)
	v_add3_u32 v4, v6, v4, v5
	v_add3_u32 v2, v4, v3, v2
	s_delay_alu instid0(VALU_DEP_3) | instskip(NEXT) | instid1(VALU_DEP_2)
	v_cvt_f32_i32_e32 v0, v0
	v_cvt_f32_i32_e32 v1, v2
	s_delay_alu instid0(VALU_DEP_1) | instskip(NEXT) | instid1(VALU_DEP_1)
	v_mul_f32_e32 v1, v238, v1
	v_fma_mix_f32 v0, v52, v0, -v1 op_sel_hi:[1,0,0]
	s_delay_alu instid0(VALU_DEP_1)
	v_fmac_f32_e32 v59, v21, v0
	s_cbranch_scc1 .LBB148_10
; %bb.11:                               ;   in Loop: Header=BB148_8 Depth=2
	scratch_load_b32 v0, off, off offset:708 ; 4-byte Folded Reload
	s_wait_loadcnt 0x0
	s_wait_storecnt 0x0
	s_barrier_signal -1
	s_barrier_wait -1
	global_inv scope:SCOPE_SE
	s_add_co_i32 s5, s5, 2
	s_clause 0x3
	scratch_load_b32 v1, off, off offset:720
	scratch_load_b32 v10, off, off offset:736
	;; [unrolled: 1-line block ×3, first 2 shown]
	scratch_load_b64 v[17:18], off, off offset:748
	v_lshl_add_u32 v0, s12, 5, v0
	s_delay_alu instid0(VALU_DEP_1) | instskip(NEXT) | instid1(VALU_DEP_1)
	v_lshrrev_b32_e32 v0, 3, v0
	v_add_nc_u32_e32 v8, s4, v0
	scratch_load_b32 v0, off, off offset:704 ; 4-byte Folded Reload
	s_wait_loadcnt 0x4
	v_add_nc_u32_e32 v2, v8, v1
	scratch_load_b32 v1, off, off offset:724 ; 4-byte Folded Reload
	s_wait_loadcnt 0x4
	;; [unrolled: 3-line block ×3, first 2 shown]
	v_add_nc_u32_e32 v16, v8, v11
	s_wait_loadcnt 0x3
	v_mad_co_i64_i32 v[2:3], null, v2, 36, v[17:18]
	v_mad_co_i64_i32 v[14:15], null, v14, 36, v[17:18]
	s_wait_loadcnt 0x2
	v_lshl_add_u32 v9, s12, 2, v0
	scratch_load_b32 v0, off, off offset:716 ; 4-byte Folded Reload
	s_wait_alu 0xfffe
	s_lshl_b32 s12, s5, 3
	s_wait_loadcnt 0x2
	v_add_nc_u32_e32 v4, v8, v1
	scratch_load_b32 v1, off, off offset:728 ; 4-byte Folded Reload
	s_wait_loadcnt 0x2
	v_add_nc_u32_e32 v10, v8, v10
	v_mad_co_i64_i32 v[4:5], null, v4, 36, v[17:18]
	s_delay_alu instid0(VALU_DEP_2)
	v_mad_co_i64_i32 v[10:11], null, v10, 36, v[17:18]
	s_wait_loadcnt 0x1
	v_add_nc_u32_e32 v0, v8, v0
	s_wait_loadcnt 0x0
	v_add_nc_u32_e32 v6, v8, v1
	scratch_load_b32 v1, off, off offset:732 ; 4-byte Folded Reload
	v_mad_co_i64_i32 v[6:7], null, v6, 36, v[17:18]
	s_wait_loadcnt 0x0
	v_add_nc_u32_e32 v12, v8, v1
	v_mad_co_u64_u32 v[8:9], null, v9, 36, s[2:3]
	v_mad_co_i64_i32 v[0:1], null, v0, 36, v[17:18]
	s_delay_alu instid0(VALU_DEP_3)
	v_mad_co_i64_i32 v[12:13], null, v12, 36, v[17:18]
	v_mad_co_i64_i32 v[16:17], null, v16, 36, v[17:18]
	s_clause 0x8
	global_load_b32 v8, v[8:9], off
	global_load_b32 v9, v[10:11], off offset:4
	global_load_b32 v0, v[0:1], off offset:4
	;; [unrolled: 1-line block ×8, first 2 shown]
	s_wait_loadcnt 0x8
	v_cvt_f32_f16_e32 v7, v8
	scratch_load_b32 v8, off, off offset:784 ; 4-byte Folded Reload
	s_wait_loadcnt 0x0
	ds_store_b32 v8, v9
	scratch_load_b32 v8, off, off offset:756 ; 4-byte Folded Reload
	s_wait_loadcnt 0x0
	ds_store_b32 v8, v0
	;; [unrolled: 3-line block ×9, first 2 shown]
	s_wait_dscnt 0x0
	s_barrier_signal -1
	s_barrier_wait -1
	global_inv scope:SCOPE_SE
.LBB148_12:                             ;   Parent Loop BB148_6 Depth=1
                                        ;     Parent Loop BB148_8 Depth=2
                                        ; =>    This Inner Loop Header: Depth=3
	s_lshl_b32 s13, s7, 2
	s_clause 0x7
	scratch_store_b64 off, v[81:82], off offset:124
	scratch_store_b64 off, v[74:75], off offset:116
	scratch_store_b32 off, v64, off offset:112
	scratch_store_b32 off, v59, off offset:108
	;; [unrolled: 1-line block ×6, first 2 shown]
	s_wait_alu 0xfffe
	s_and_b32 s13, s13, 24
	s_and_b32 s19, s7, 0x3ffffff8
	s_wait_alu 0xfffe
	v_or_b32_e32 v0, s13, v41
	s_and_b32 s20, s7, 0x7ffffffe
	v_lshl_add_u32 v25, s19, 2, v42
	s_wait_alu 0xfffe
	s_add_co_i32 s19, s20, 0x6200
	s_and_b32 s18, s7, 6
	v_lshlrev_b32_e32 v4, 2, v0
	v_lshrrev_b32_e32 v0, 1, v0
	s_lshr_b32 s20, s7, 2
	s_wait_alu 0xfffe
	v_add3_u32 v209, s19, v56, v46
	s_and_b32 s20, s20, 0x3ffffffc
	ds_load_b32 v133, v0 offset:30368
	ds_load_b128 v[0:3], v4 offset:16896
	ds_load_b128 v[4:7], v4 offset:16912
	scratch_load_b32 v29, off, off offset:228 ; 4-byte Folded Reload
	s_wait_alu 0xfffe
	s_addk_co_i32 s20, 0x7280
	s_add_co_i32 s7, s7, 2
	s_wait_alu 0xfffe
	s_cmp_lt_u32 s7, s12
	s_wait_dscnt 0x1
	v_ashrrev_i32_e32 v171, 24, v3
	s_wait_dscnt 0x0
	v_bfe_i32 v10, v4, 0, 8
	v_bfe_i32 v14, v5, 0, 8
	;; [unrolled: 1-line block ×4, first 2 shown]
	v_ashrrev_i32_e32 v13, 24, v4
	v_bfe_i32 v15, v5, 8, 8
	v_bfe_i32 v22, v6, 0, 8
	;; [unrolled: 1-line block ×4, first 2 shown]
	v_ashrrev_i32_e32 v19, 24, v6
	v_bfe_i32 v6, v7, 0, 8
	v_add_nc_u32_e32 v4, v14, v10
	v_bfe_i32 v24, v7, 8, 8
	v_bfe_i32 v20, v5, 16, 8
	v_ashrrev_i32_e32 v21, 24, v5
	v_bfe_i32 v17, v7, 16, 8
	v_add3_u32 v197, v4, v22, v6
	v_add_nc_u32_e32 v4, v15, v11
	v_ashrrev_i32_e32 v200, 24, v7
	s_delay_alu instid0(VALU_DEP_2)
	v_add3_u32 v216, v4, v23, v24
	ds_load_2addr_b32 v[4:5], v25 offset1:1
	s_wait_dscnt 0x0
	v_ashrrev_i32_e32 v8, s18, v4
	v_ashrrev_i32_e32 v9, s18, v5
	ds_load_2addr_b32 v[4:5], v25 offset0:2 offset1:3
	v_bfe_u32 v98, v8, 8, 2
	v_bfe_u32 v207, v8, 16, 2
	;; [unrolled: 1-line block ×3, first 2 shown]
	v_and_b32_e32 v33, 3, v9
	v_bfe_u32 v167, v9, 8, 2
	v_bfe_u32 v159, v9, 16, 2
	;; [unrolled: 1-line block ×3, first 2 shown]
	s_wait_dscnt 0x0
	v_ashrrev_i32_e32 v26, s18, v4
	v_ashrrev_i32_e32 v27, s18, v5
	ds_load_2addr_b32 v[4:5], v25 offset0:4 offset1:5
	v_and_b32_e32 v106, 3, v26
	v_bfe_u32 v122, v26, 8, 2
	v_bfe_u32 v249, v26, 16, 2
	;; [unrolled: 1-line block ×3, first 2 shown]
	v_and_b32_e32 v189, 3, v27
	v_bfe_u32 v183, v27, 8, 2
	v_bfe_u32 v182, v27, 16, 2
	;; [unrolled: 1-line block ×3, first 2 shown]
	s_wait_dscnt 0x0
	v_ashrrev_i32_e32 v28, s18, v4
	v_ashrrev_i32_e32 v31, s18, v5
	ds_load_2addr_b32 v[4:5], v25 offset0:6 offset1:7
	v_and_b32_e32 v199, 3, v28
	v_bfe_u32 v192, v28, 8, 2
	v_bfe_u32 v26, v28, 16, 2
	;; [unrolled: 1-line block ×3, first 2 shown]
	v_and_b32_e32 v173, 3, v8
	v_mul_i32_i24_e32 v8, v199, v10
	s_delay_alu instid0(VALU_DEP_4) | instskip(SKIP_2) | instid1(VALU_DEP_4)
	v_dual_mov_b32 v90, v26 :: v_dual_add_nc_u32 v215, v21, v13
	v_mul_i32_i24_e32 v9, v26, v12
	v_mul_i32_i24_e32 v26, v28, v13
	v_mad_i32_i24 v8, v192, v11, v8
	v_and_b32_e32 v201, 3, v31
	v_bfe_u32 v202, v31, 8, 2
	v_mov_b32_e32 v102, v28
	v_bfe_u32 v28, v31, 16, 2
	v_add3_u32 v8, v8, v9, v26
	v_mul_i32_i24_e32 v9, v201, v14
	s_wait_dscnt 0x0
	v_ashrrev_i32_e32 v5, s18, v5
	v_mul_i32_i24_e32 v26, v202, v15
	v_ashrrev_i32_e32 v4, s18, v4
	v_bfe_u32 v250, v31, 24, 2
	v_mul_i32_i24_e32 v27, v28, v20
	v_and_b32_e32 v225, 3, v5
	v_bfe_u32 v226, v5, 8, 2
	v_bfe_u32 v227, v5, 16, 2
	;; [unrolled: 1-line block ×3, first 2 shown]
	v_add3_u32 v5, v8, v9, v26
	v_add_nc_u32_e32 v8, 0x1080, v25
	v_mov_b32_e32 v116, v28
	v_mul_i32_i24_e32 v28, v250, v21
	v_and_b32_e32 v217, 3, v4
	v_bfe_u32 v220, v4, 8, 2
	v_bfe_u32 v187, v4, 24, 2
	v_mul_i32_i24_e32 v44, v226, v24
	v_add3_u32 v5, v5, v27, v28
	v_mul_i32_i24_e32 v39, v217, v22
	v_mul_i32_i24_e32 v40, v220, v23
	;; [unrolled: 1-line block ×4, first 2 shown]
	ds_load_2addr_b32 v[8:9], v8 offset1:1
	v_mov_b32_e32 v165, v102
	v_add3_u32 v5, v5, v39, v40
	s_wait_dscnt 0x0
	v_ashrrev_i32_e32 v26, s18, v8
	v_add_nc_u32_e32 v8, 0x1088, v25
	v_ashrrev_i32_e32 v27, s18, v9
	s_delay_alu instid0(VALU_DEP_3)
	v_and_b32_e32 v191, 3, v26
	ds_load_2addr_b32 v[8:9], v8 offset1:1
	v_and_b32_e32 v185, 3, v27
	v_bfe_u32 v137, v27, 8, 2
	v_bfe_u32 v109, v27, 16, 2
	;; [unrolled: 1-line block ×6, first 2 shown]
	s_delay_alu instid0(VALU_DEP_2)
	v_mov_b32_e32 v53, v91
	s_wait_loadcnt 0x0
	v_add3_u32 v222, s19, v29, v43
	scratch_load_b32 v29, off, off offset:232 ; 4-byte Folded Reload
	v_mul_i32_i24_e32 v43, v225, v6
	s_wait_loadcnt 0x0
	v_add3_u32 v29, s20, v29, v36
	ds_load_b32 v164, v29
	v_bfe_u32 v29, v4, 16, 2
	v_mul_i32_i24_e32 v4, v227, v17
	s_delay_alu instid0(VALU_DEP_2) | instskip(SKIP_1) | instid1(VALU_DEP_2)
	v_mul_i32_i24_e32 v41, v29, v16
	v_mov_b32_e32 v131, v29
	v_add3_u32 v5, v5, v41, v42
	s_delay_alu instid0(VALU_DEP_1)
	v_add3_u32 v5, v5, v43, v44
	v_add3_u32 v43, s20, v68, v54
	ds_load_b32 v105, v43
	s_wait_dscnt 0x2
	v_ashrrev_i32_e32 v28, s18, v8
	v_add_nc_u32_e32 v8, 0x1090, v25
	v_ashrrev_i32_e32 v39, s18, v9
	s_delay_alu instid0(VALU_DEP_3)
	v_and_b32_e32 v125, 3, v28
	ds_load_2addr_b32 v[8:9], v8 offset1:1
	v_bfe_u32 v134, v28, 8, 2
	v_bfe_u32 v184, v28, 16, 2
	;; [unrolled: 1-line block ×3, first 2 shown]
	v_and_b32_e32 v117, 3, v39
	v_bfe_u32 v142, v39, 8, 2
	v_bfe_u32 v177, v39, 16, 2
	;; [unrolled: 1-line block ×3, first 2 shown]
	v_mov_b32_e32 v210, v124
	s_wait_dscnt 0x0
	v_ashrrev_i32_e32 v41, s18, v8
	v_add_nc_u32_e32 v8, 0x1098, v25
	v_ashrrev_i32_e32 v42, s18, v9
	s_delay_alu instid0(VALU_DEP_3)
	v_and_b32_e32 v27, 3, v41
	ds_load_2addr_b32 v[8:9], v8 offset1:1
	v_bfe_u32 v30, v41, 8, 2
	v_bfe_u32 v28, v41, 16, 2
	;; [unrolled: 1-line block ×3, first 2 shown]
	v_mul_i32_i24_e32 v26, v27, v10
	v_mov_b32_e32 v232, v27
	v_dual_mov_b32 v233, v30 :: v_dual_add_nc_u32 v18, v20, v12
	v_mul_i32_i24_e32 v27, v28, v12
	v_mov_b32_e32 v178, v28
	v_mul_i32_i24_e32 v28, v147, v13
	v_mad_i32_i24 v26, v30, v11, v26
	v_bfe_u32 v30, v42, 8, 2
	v_bfe_u32 v244, v42, 16, 2
	;; [unrolled: 1-line block ×3, first 2 shown]
	v_mov_b32_e32 v151, v189
	v_add3_u32 v26, v26, v27, v28
	v_dual_mov_b32 v235, v30 :: v_dual_and_b32 v28, 3, v42
	v_mul_i32_i24_e32 v39, v244, v20
	s_wait_dscnt 0x0
	v_ashrrev_i32_e32 v8, s18, v8
	v_ashrrev_i32_e32 v9, s18, v9
	v_mul_i32_i24_e32 v27, v28, v14
	v_mov_b32_e32 v234, v28
	v_mul_i32_i24_e32 v28, v30, v15
	v_and_b32_e32 v30, 3, v8
	v_bfe_u32 v208, v8, 8, 2
	v_mul_i32_i24_e32 v41, v246, v21
	v_bfe_u32 v101, v9, 24, 2
	v_mov_b32_e32 v61, v235
	v_mul_i32_i24_e32 v42, v30, v22
	v_mov_b32_e32 v236, v30
	v_bfe_u32 v30, v8, 16, 2
	v_mul_i32_i24_e32 v43, v208, v23
	v_mov_b32_e32 v174, v234
	s_delay_alu instid0(VALU_DEP_3) | instskip(SKIP_2) | instid1(VALU_DEP_1)
	v_mul_i32_i24_e32 v44, v30, v16
	v_mov_b32_e32 v206, v30
	v_bfe_u32 v30, v8, 24, 2
	v_mul_i32_i24_e32 v8, v30, v19
	v_dual_mov_b32 v81, v30 :: v_dual_and_b32 v30, 3, v9
	s_delay_alu instid0(VALU_DEP_1) | instskip(NEXT) | instid1(VALU_DEP_2)
	v_mov_b32_e32 v154, v81
	v_mul_i32_i24_e32 v46, v30, v6
	v_mov_b32_e32 v238, v30
	v_bfe_u32 v30, v9, 8, 2
	s_delay_alu instid0(VALU_DEP_1) | instskip(SKIP_3) | instid1(VALU_DEP_3)
	v_mul_i32_i24_e32 v64, v30, v24
	v_mov_b32_e32 v239, v30
	v_bfe_u32 v30, v9, 16, 2
	v_add3_u32 v9, v26, v27, v28
	v_mov_b32_e32 v237, v239
	s_delay_alu instid0(VALU_DEP_3) | instskip(SKIP_4) | instid1(VALU_DEP_2)
	v_mul_i32_i24_e32 v31, v30, v17
	v_mov_b32_e32 v108, v30
	scratch_load_b32 v30, off, off offset:188 ; 4-byte Folded Reload
	v_add3_u32 v9, v9, v39, v41
	v_mov_b32_e32 v156, v108
	v_add3_u32 v9, v9, v42, v43
	v_add3_u32 v43, s20, v146, v72
	s_delay_alu instid0(VALU_DEP_2) | instskip(NEXT) | instid1(VALU_DEP_1)
	v_add3_u32 v8, v9, v44, v8
	v_add3_u32 v8, v8, v46, v64
	scratch_store_b32 off, v8, off offset:384 ; 4-byte Folded Spill
	v_add_nc_u32_e32 v8, 0x2100, v25
	ds_load_2addr_b32 v[8:9], v8 offset1:1
	s_wait_loadcnt 0x0
	v_add3_u32 v30, s19, v69, v30
	s_clause 0x1
	scratch_store_b32 off, v31, off offset:380
	scratch_store_b32 off, v30, off offset:376
	ds_load_b32 v30, v43
	s_wait_dscnt 0x1
	v_ashrrev_i32_e32 v26, s18, v8
	v_add_nc_u32_e32 v8, 0x2108, v25
	v_ashrrev_i32_e32 v27, s18, v9
	s_delay_alu instid0(VALU_DEP_3)
	v_and_b32_e32 v55, 3, v26
	ds_load_2addr_b32 v[8:9], v8 offset1:1
	v_bfe_u32 v54, v26, 8, 2
	v_bfe_u32 v56, v26, 16, 2
	v_bfe_u32 v58, v26, 24, 2
	v_and_b32_e32 v40, 3, v27
	v_bfe_u32 v97, v27, 8, 2
	v_bfe_u32 v45, v27, 16, 2
	v_bfe_u32 v57, v27, 24, 2
	s_wait_dscnt 0x1
	scratch_store_b32 off, v30, off offset:452 ; 4-byte Folded Spill
	s_wait_dscnt 0x0
	v_ashrrev_i32_e32 v28, s18, v8
	v_add_nc_u32_e32 v8, 0x2110, v25
	v_ashrrev_i32_e32 v39, s18, v9
	s_delay_alu instid0(VALU_DEP_3)
	v_and_b32_e32 v62, 3, v28
	ds_load_2addr_b32 v[8:9], v8 offset1:1
	v_bfe_u32 v96, v28, 8, 2
	v_bfe_u32 v181, v28, 16, 2
	;; [unrolled: 1-line block ×3, first 2 shown]
	v_and_b32_e32 v195, 3, v39
	v_bfe_u32 v196, v39, 8, 2
	v_bfe_u32 v198, v39, 16, 2
	;; [unrolled: 1-line block ×3, first 2 shown]
	s_wait_dscnt 0x0
	v_ashrrev_i32_e32 v41, s18, v8
	v_add_nc_u32_e32 v8, 0x2118, v25
	v_ashrrev_i32_e32 v42, s18, v9
	s_delay_alu instid0(VALU_DEP_3)
	v_and_b32_e32 v149, 3, v41
	ds_load_2addr_b32 v[8:9], v8 offset1:1
	v_bfe_u32 v214, v41, 8, 2
	v_bfe_u32 v193, v41, 16, 2
	;; [unrolled: 1-line block ×3, first 2 shown]
	v_mul_i32_i24_e32 v26, v149, v10
	v_bfe_u32 v30, v42, 16, 2
	v_bfe_u32 v163, v42, 8, 2
	v_mul_i32_i24_e32 v27, v193, v12
	v_mul_i32_i24_e32 v28, v31, v13
	v_mad_i32_i24 v26, v214, v11, v26
	v_mov_b32_e32 v119, v31
	v_mul_i32_i24_e32 v39, v30, v20
	v_mov_b32_e32 v95, v30
	v_bfe_u32 v103, v42, 24, 2
	v_add3_u32 v26, v26, v27, v28
	v_dual_mov_b32 v157, v119 :: v_dual_and_b32 v28, 3, v42
	s_delay_alu instid0(VALU_DEP_4) | instskip(NEXT) | instid1(VALU_DEP_4)
	v_mov_b32_e32 v158, v95
	v_mul_i32_i24_e32 v41, v103, v21
	s_wait_dscnt 0x0
	v_ashrrev_i32_e32 v8, s18, v8
	v_ashrrev_i32_e32 v9, s18, v9
	v_mul_i32_i24_e32 v27, v28, v14
	v_mov_b32_e32 v107, v28
	v_mul_i32_i24_e32 v28, v163, v15
	v_and_b32_e32 v30, 3, v8
	v_bfe_u32 v144, v9, 8, 2
	v_bfe_u32 v218, v9, 16, 2
	;; [unrolled: 1-line block ×4, first 2 shown]
	v_mul_i32_i24_e32 v42, v30, v22
	v_mov_b32_e32 v112, v30
	v_bfe_u32 v30, v8, 8, 2
	v_bfe_u32 v132, v8, 24, 2
	v_mul_i32_i24_e32 v44, v247, v16
	v_mul_i32_i24_e32 v64, v144, v24
	v_mov_b32_e32 v108, v107
	v_mul_i32_i24_e32 v43, v30, v23
	v_dual_mov_b32 v113, v30 :: v_dual_and_b32 v30, 3, v9
	v_add3_u32 v9, v26, v27, v28
	v_mul_i32_i24_e32 v8, v132, v19
	s_delay_alu instid0(VALU_DEP_3) | instskip(NEXT) | instid1(VALU_DEP_4)
	v_dual_mov_b32 v138, v112 :: v_dual_mov_b32 v139, v113
	v_mul_i32_i24_e32 v46, v30, v6
	s_delay_alu instid0(VALU_DEP_4) | instskip(SKIP_2) | instid1(VALU_DEP_3)
	v_add3_u32 v9, v9, v39, v41
	v_dual_mov_b32 v114, v30 :: v_dual_mov_b32 v141, v157
	v_mul_i32_i24_e32 v99, v218, v17
	v_add3_u32 v9, v9, v42, v43
	s_delay_alu instid0(VALU_DEP_3) | instskip(NEXT) | instid1(VALU_DEP_2)
	v_mov_b32_e32 v140, v114
	v_add3_u32 v8, v9, v44, v8
	s_delay_alu instid0(VALU_DEP_1)
	v_add3_u32 v111, v8, v46, v64
	v_add_nc_u32_e32 v8, 0x3180, v25
	ds_load_2addr_b32 v[8:9], v8 offset1:1
	s_wait_dscnt 0x0
	v_ashrrev_i32_e32 v26, s18, v8
	v_add_nc_u32_e32 v8, 0x3188, v25
	v_ashrrev_i32_e32 v27, s18, v9
	s_delay_alu instid0(VALU_DEP_3)
	v_and_b32_e32 v39, 3, v26
	ds_load_2addr_b32 v[8:9], v8 offset1:1
	v_bfe_u32 v31, v26, 8, 2
	v_bfe_u32 v46, v26, 16, 2
	;; [unrolled: 1-line block ×5, first 2 shown]
	s_wait_dscnt 0x0
	v_ashrrev_i32_e32 v28, s18, v8
	v_add_nc_u32_e32 v8, 0x3190, v25
	v_ashrrev_i32_e32 v41, s18, v9
	s_delay_alu instid0(VALU_DEP_3)
	v_bfe_u32 v38, v28, 8, 2
	ds_load_2addr_b32 v[8:9], v8 offset1:1
	v_bfe_u32 v128, v28, 16, 2
	v_bfe_u32 v180, v28, 24, 2
	;; [unrolled: 1-line block ×5, first 2 shown]
	s_wait_dscnt 0x0
	v_ashrrev_i32_e32 v42, s18, v8
	v_add_nc_u32_e32 v8, 0x3198, v25
	v_add3_u32 v25, s19, v48, v50
	v_ashrrev_i32_e32 v43, s18, v9
	v_bfe_u32 v48, v26, 24, 2
	v_bfe_u32 v26, v42, 16, 2
	ds_load_2addr_b32 v[8:9], v8 offset1:1
	scratch_store_b32 off, v25, off offset:372 ; 4-byte Folded Spill
	v_add3_u32 v25, s20, v76, v51
	v_bfe_u32 v229, v43, 8, 2
	v_mul_i32_i24_e32 v12, v26, v12
	v_mov_b32_e32 v241, v26
	v_bfe_u32 v26, v42, 24, 2
	ds_load_b32 v25, v25
	v_bfe_u32 v228, v43, 16, 2
	v_dual_mov_b32 v51, v58 :: v_dual_and_b32 v224, 3, v43
	v_mul_i32_i24_e32 v13, v26, v13
	v_dual_mov_b32 v243, v26 :: v_dual_mov_b32 v50, v56
	s_delay_alu instid0(VALU_DEP_1) | instskip(SKIP_3) | instid1(VALU_DEP_1)
	v_dual_mov_b32 v59, v51 :: v_dual_mov_b32 v58, v50
	s_wait_dscnt 0x1
	v_ashrrev_i32_e32 v8, s18, v8
	v_ashrrev_i32_e32 v9, s18, v9
	v_bfe_u32 v145, v9, 24, 2
	s_wait_dscnt 0x0
	scratch_store_b32 off, v25, off offset:456 ; 4-byte Folded Spill
	v_and_b32_e32 v25, 3, v42
	s_delay_alu instid0(VALU_DEP_1) | instskip(SKIP_2) | instid1(VALU_DEP_2)
	v_mul_i32_i24_e32 v10, v25, v10
	v_mov_b32_e32 v240, v25
	v_bfe_u32 v25, v42, 8, 2
	v_mov_b32_e32 v118, v240
	s_delay_alu instid0(VALU_DEP_2) | instskip(SKIP_2) | instid1(VALU_DEP_3)
	v_mad_i32_i24 v10, v25, v11, v10
	v_mul_i32_i24_e32 v11, v224, v14
	v_mov_b32_e32 v242, v25
	v_add3_u32 v10, v10, v12, v13
	v_mul_i32_i24_e32 v12, v229, v15
	v_mul_i32_i24_e32 v13, v228, v20
	v_bfe_u32 v15, v43, 24, 2
	v_and_b32_e32 v20, 3, v8
	s_delay_alu instid0(VALU_DEP_2) | instskip(SKIP_1) | instid1(VALU_DEP_3)
	v_mul_i32_i24_e32 v14, v15, v21
	v_mov_b32_e32 v253, v15
	v_mul_i32_i24_e32 v15, v20, v22
	v_bfe_u32 v21, v8, 8, 2
	v_bfe_u32 v22, v8, 16, 2
	v_dual_mov_b32 v254, v20 :: v_dual_mov_b32 v221, v195
	s_delay_alu instid0(VALU_DEP_3) | instskip(SKIP_1) | instid1(VALU_DEP_4)
	v_mul_i32_i24_e32 v20, v21, v23
	v_mov_b32_e32 v255, v21
	v_mul_i32_i24_e32 v21, v22, v16
	v_mov_b32_e32 v52, v22
	v_bfe_u32 v22, v8, 24, 2
	v_bfe_u32 v23, v9, 8, 2
	s_delay_alu instid0(VALU_DEP_3) | instskip(NEXT) | instid1(VALU_DEP_3)
	v_dual_mov_b32 v160, v52 :: v_dual_and_b32 v37, 3, v28
	v_mul_i32_i24_e32 v8, v22, v19
	v_mov_b32_e32 v60, v22
	v_and_b32_e32 v22, 3, v9
	s_delay_alu instid0(VALU_DEP_2) | instskip(NEXT) | instid1(VALU_DEP_2)
	v_dual_mov_b32 v94, v23 :: v_dual_mov_b32 v161, v60
	v_mul_i32_i24_e32 v6, v22, v6
	v_mov_b32_e32 v93, v22
	v_mul_i32_i24_e32 v22, v23, v24
	v_bfe_u32 v23, v9, 16, 2
	v_add3_u32 v9, v10, v11, v12
	v_and_b32_e32 v175, 3, v41
	v_dual_mov_b32 v81, v93 :: v_dual_and_b32 v30, 3, v27
	s_delay_alu instid0(VALU_DEP_4) | instskip(NEXT) | instid1(VALU_DEP_4)
	v_mul_i32_i24_e32 v24, v23, v17
	v_add3_u32 v9, v9, v13, v14
	v_mov_b32_e32 v100, v23
	v_mov_b32_e32 v170, v94
	s_delay_alu instid0(VALU_DEP_3) | instskip(NEXT) | instid1(VALU_DEP_3)
	v_add3_u32 v9, v9, v15, v20
	v_mov_b32_e32 v135, v100
	s_delay_alu instid0(VALU_DEP_2) | instskip(NEXT) | instid1(VALU_DEP_1)
	v_add3_u32 v8, v9, v21, v8
	v_add3_u32 v6, v8, v6, v22
	scratch_store_b32 off, v6, off offset:448 ; 4-byte Folded Spill
	v_or_b32_e32 v6, s13, v129
	v_add3_u32 v129, v215, v19, v200
	s_delay_alu instid0(VALU_DEP_2)
	v_lshlrev_b32_e32 v104, 2, v6
	v_lshrrev_b32_e32 v6, 1, v6
	ds_load_b32 v6, v6 offset:30368
	scratch_store_b32 off, v24, off offset:444 ; 4-byte Folded Spill
	s_wait_dscnt 0x0
	scratch_store_b32 off, v6, off offset:388 ; 4-byte Folded Spill
	v_or_b32_e32 v6, s13, v47
	s_delay_alu instid0(VALU_DEP_1)
	v_lshlrev_b32_e32 v12, 2, v6
	v_lshrrev_b32_e32 v6, 1, v6
	ds_load_b32 v6, v6 offset:30368
	s_wait_dscnt 0x0
	scratch_store_b32 off, v6, off offset:420 ; 4-byte Folded Spill
	ds_load_b128 v[8:11], v12 offset:16896
	ds_load_b128 v[12:15], v12 offset:16912
	scratch_store_b32 off, v251, off offset:640 ; 4-byte Folded Spill
	s_wait_dscnt 0x1
	v_bfe_i32 v6, v8, 0, 8
	s_wait_dscnt 0x0
	v_bfe_i32 v43, v12, 0, 8
	v_bfe_i32 v44, v12, 8, 8
	v_bfe_i32 v64, v12, 16, 8
	v_ashrrev_i32_e32 v12, 24, v12
	v_bfe_i32 v65, v13, 0, 8
	v_bfe_i32 v66, v13, 8, 8
	v_bfe_i32 v67, v13, 16, 8
	v_ashrrev_i32_e32 v13, 24, v13
	;; [unrolled: 4-line block ×4, first 2 shown]
	v_add_nc_u32_e32 v74, v13, v12
	v_bfe_i32 v20, v8, 8, 8
	v_bfe_i32 v21, v8, 16, 8
	v_ashrrev_i32_e32 v8, 24, v8
	v_bfe_i32 v22, v9, 0, 8
	v_add3_u32 v47, v74, v14, v15
	v_add_nc_u32_e32 v74, v67, v64
	v_bfe_i32 v23, v9, 8, 8
	v_bfe_i32 v24, v9, 16, 8
	v_ashrrev_i32_e32 v9, 24, v9
	scratch_store_b32 off, v47, off offset:436 ; 4-byte Folded Spill
	v_add3_u32 v47, v74, v70, v73
	v_add_nc_u32_e32 v74, v65, v43
	v_bfe_i32 v25, v10, 0, 8
	v_bfe_i32 v26, v10, 8, 8
	;; [unrolled: 1-line block ×3, first 2 shown]
	scratch_store_b32 off, v47, off offset:512 ; 4-byte Folded Spill
	v_add3_u32 v47, v74, v68, v71
	v_add_nc_u32_e32 v74, v66, v44
	v_ashrrev_i32_e32 v10, 24, v10
	v_bfe_i32 v28, v11, 0, 8
	v_bfe_i32 v41, v11, 8, 8
	;; [unrolled: 1-line block ×3, first 2 shown]
	v_ashrrev_i32_e32 v11, 24, v11
	v_add3_u32 v29, v74, v69, v72
	v_add_nc_u32_e32 v74, v9, v8
	scratch_store_b32 off, v47, off offset:516 ; 4-byte Folded Spill
	v_mul_i32_i24_e32 v75, v21, v207
	v_mul_i32_i24_e32 v76, v8, v143
	v_mul_i32_i24_e32 v77, v159, v24
	v_add3_u32 v205, v74, v10, v11
	v_add_nc_u32_e32 v74, v24, v21
	v_mul_i32_i24_e32 v78, v63, v9
	v_mul_i32_i24_e32 v79, v106, v25
	v_mul_i32_i24_e32 v80, v122, v26
	v_mul_i32_i24_e32 v82, v249, v27
	v_add3_u32 v213, v74, v27, v42
	v_add_nc_u32_e32 v74, v23, v20
	v_mul_i32_i24_e32 v83, v155, v10
	;; [unrolled: 6-line block ×3, first 2 shown]
	scratch_store_b32 off, v47, off offset:440 ; 4-byte Folded Spill
	v_add3_u32 v223, v74, v25, v28
	v_mul_i32_i24_e32 v74, v6, v173
	s_delay_alu instid0(VALU_DEP_1) | instskip(NEXT) | instid1(VALU_DEP_1)
	v_mad_i32_i24 v74, v20, v98, v74
	v_add3_u32 v74, v74, v75, v76
	v_mul_i32_i24_e32 v75, v33, v22
	v_mul_i32_i24_e32 v76, v167, v23
	s_delay_alu instid0(VALU_DEP_1) | instskip(SKIP_2) | instid1(VALU_DEP_3)
	v_add3_u32 v74, v74, v75, v76
	v_mul_i32_i24_e32 v75, v90, v64
	v_mul_i32_i24_e32 v76, v102, v12
	v_add3_u32 v74, v74, v77, v78
	v_mul_i32_i24_e32 v77, v116, v67
	v_mul_i32_i24_e32 v78, v250, v13
	s_delay_alu instid0(VALU_DEP_3) | instskip(SKIP_2) | instid1(VALU_DEP_3)
	v_add3_u32 v74, v74, v79, v80
	v_mul_i32_i24_e32 v79, v217, v68
	v_mul_i32_i24_e32 v80, v220, v69
	v_add3_u32 v74, v74, v82, v83
	v_mul_i32_i24_e32 v82, v131, v70
	v_mul_i32_i24_e32 v83, v187, v14
	s_delay_alu instid0(VALU_DEP_3) | instskip(SKIP_2) | instid1(VALU_DEP_3)
	v_add3_u32 v74, v74, v84, v85
	v_mul_i32_i24_e32 v84, v225, v71
	v_mul_i32_i24_e32 v85, v226, v72
	v_add3_u32 v47, v74, v86, v87
	v_mul_i32_i24_e32 v74, v199, v43
	v_mul_i32_i24_e32 v86, v227, v73
	;; [unrolled: 1-line block ×3, first 2 shown]
	s_clause 0x1
	scratch_store_b32 off, v29, off offset:536
	scratch_store_b32 off, v47, off offset:312
	v_mad_i32_i24 v74, v192, v44, v74
	v_mov_b32_e32 v29, v241
	s_delay_alu instid0(VALU_DEP_2) | instskip(SKIP_2) | instid1(VALU_DEP_4)
	v_add3_u32 v74, v74, v75, v76
	v_mul_i32_i24_e32 v75, v201, v65
	v_mul_i32_i24_e32 v76, v202, v66
	v_dual_mov_b32 v130, v29 :: v_dual_mov_b32 v29, v38
	s_delay_alu instid0(VALU_DEP_2) | instskip(SKIP_2) | instid1(VALU_DEP_3)
	v_add3_u32 v74, v74, v75, v76
	v_mul_i32_i24_e32 v75, v21, v91
	v_mul_i32_i24_e32 v76, v8, v92
	v_add3_u32 v74, v74, v77, v78
	v_mul_i32_i24_e32 v77, v109, v24
	v_mul_i32_i24_e32 v78, v115, v9
	s_delay_alu instid0(VALU_DEP_3) | instskip(SKIP_2) | instid1(VALU_DEP_3)
	v_add3_u32 v74, v74, v79, v80
	v_mul_i32_i24_e32 v79, v125, v25
	v_mul_i32_i24_e32 v80, v134, v26
	v_add3_u32 v74, v74, v82, v83
	v_mul_i32_i24_e32 v82, v184, v27
	v_mul_i32_i24_e32 v83, v124, v10
	v_mov_b32_e32 v124, v90
	v_mov_b32_e32 v90, v161
	v_add3_u32 v74, v74, v84, v85
	v_mul_i32_i24_e32 v84, v117, v28
	v_mul_i32_i24_e32 v85, v142, v41
	s_delay_alu instid0(VALU_DEP_3)
	v_add3_u32 v47, v74, v86, v87
	v_mul_i32_i24_e32 v74, v6, v191
	v_mul_i32_i24_e32 v86, v177, v42
	;; [unrolled: 1-line block ×3, first 2 shown]
	scratch_store_b32 off, v47, off offset:316 ; 4-byte Folded Spill
	v_mad_i32_i24 v74, v20, v186, v74
	s_delay_alu instid0(VALU_DEP_1) | instskip(SKIP_2) | instid1(VALU_DEP_1)
	v_add3_u32 v74, v74, v75, v76
	v_mul_i32_i24_e32 v75, v185, v22
	v_mul_i32_i24_e32 v76, v137, v23
	v_add3_u32 v74, v74, v75, v76
	v_mul_i32_i24_e32 v75, v178, v64
	v_mul_i32_i24_e32 v76, v147, v12
	s_delay_alu instid0(VALU_DEP_3) | instskip(SKIP_2) | instid1(VALU_DEP_3)
	v_add3_u32 v74, v74, v77, v78
	v_mul_i32_i24_e32 v77, v244, v67
	v_mul_i32_i24_e32 v78, v246, v13
	v_add3_u32 v74, v74, v79, v80
	v_mul_i32_i24_e32 v79, v236, v68
	v_mul_i32_i24_e32 v80, v208, v69
	s_delay_alu instid0(VALU_DEP_3) | instskip(SKIP_2) | instid1(VALU_DEP_3)
	v_add3_u32 v74, v74, v82, v83
	v_mul_i32_i24_e32 v82, v206, v70
	v_mul_i32_i24_e32 v83, v154, v14
	v_add3_u32 v74, v74, v84, v85
	v_mul_i32_i24_e32 v84, v238, v71
	v_mul_i32_i24_e32 v85, v239, v72
	s_delay_alu instid0(VALU_DEP_3)
	v_add3_u32 v47, v74, v86, v87
	v_mul_i32_i24_e32 v74, v232, v43
	v_mul_i32_i24_e32 v86, v156, v73
	v_mul_i32_i24_e32 v87, v101, v15
	scratch_store_b32 off, v47, off offset:320 ; 4-byte Folded Spill
	v_mad_i32_i24 v74, v233, v44, v74
	s_delay_alu instid0(VALU_DEP_1) | instskip(SKIP_3) | instid1(VALU_DEP_2)
	v_add3_u32 v74, v74, v75, v76
	v_mul_i32_i24_e32 v75, v234, v65
	v_mul_i32_i24_e32 v76, v235, v66
	v_mov_b32_e32 v234, v120
	v_add3_u32 v74, v74, v75, v76
	v_mul_i32_i24_e32 v75, v21, v50
	v_mul_i32_i24_e32 v76, v8, v51
	;; [unrolled: 1-line block ×4, first 2 shown]
	v_add3_u32 v74, v74, v77, v78
	v_mul_i32_i24_e32 v77, v45, v24
	v_mul_i32_i24_e32 v78, v57, v9
	;; [unrolled: 1-line block ×3, first 2 shown]
	s_delay_alu instid0(VALU_DEP_4) | instskip(SKIP_1) | instid1(VALU_DEP_2)
	v_add3_u32 v74, v74, v79, v80
	v_mul_i32_i24_e32 v80, v96, v26
	v_add3_u32 v74, v74, v82, v83
	v_mul_i32_i24_e32 v82, v181, v27
	v_mul_i32_i24_e32 v83, v190, v10
	;; [unrolled: 1-line block ×3, first 2 shown]
	s_delay_alu instid0(VALU_DEP_4) | instskip(SKIP_2) | instid1(VALU_DEP_3)
	v_add3_u32 v74, v74, v84, v85
	v_mul_i32_i24_e32 v84, v195, v28
	v_mul_i32_i24_e32 v85, v196, v41
	v_add3_u32 v47, v74, v86, v87
	v_mul_i32_i24_e32 v74, v6, v55
	v_mul_i32_i24_e32 v86, v198, v42
	;; [unrolled: 1-line block ×4, first 2 shown]
	scratch_store_b32 off, v47, off offset:324 ; 4-byte Folded Spill
	v_mad_i32_i24 v74, v20, v54, v74
	v_mov_b32_e32 v47, v40
	v_mul_i32_i24_e32 v79, v62, v25
	s_delay_alu instid0(VALU_DEP_3) | instskip(NEXT) | instid1(VALU_DEP_3)
	v_add3_u32 v74, v74, v75, v76
	v_mul_i32_i24_e32 v75, v47, v22
	v_mul_i32_i24_e32 v76, v97, v23
	v_mov_b32_e32 v95, v47
	s_delay_alu instid0(VALU_DEP_2) | instskip(SKIP_2) | instid1(VALU_DEP_3)
	v_add3_u32 v74, v74, v75, v76
	v_mul_i32_i24_e32 v75, v193, v64
	v_mul_i32_i24_e32 v76, v157, v12
	v_add3_u32 v74, v74, v77, v78
	v_mul_i32_i24_e32 v77, v158, v67
	v_mul_i32_i24_e32 v78, v103, v13
	s_delay_alu instid0(VALU_DEP_3) | instskip(SKIP_2) | instid1(VALU_DEP_3)
	v_add3_u32 v74, v74, v79, v80
	v_mul_i32_i24_e32 v79, v138, v68
	v_mul_i32_i24_e32 v80, v139, v69
	v_add3_u32 v74, v74, v82, v83
	v_mul_i32_i24_e32 v82, v247, v70
	v_mul_i32_i24_e32 v83, v132, v14
	;; [unrolled: 1-line block ×3, first 2 shown]
	v_mov_b32_e32 v60, v55
	v_add3_u32 v74, v74, v84, v85
	v_mul_i32_i24_e32 v84, v140, v71
	v_mul_i32_i24_e32 v85, v144, v72
	s_delay_alu instid0(VALU_DEP_3)
	v_add3_u32 v40, v74, v86, v87
	v_mul_i32_i24_e32 v74, v149, v43
	v_mul_i32_i24_e32 v86, v218, v73
	;; [unrolled: 1-line block ×4, first 2 shown]
	scratch_store_b32 off, v40, off offset:392 ; 4-byte Folded Spill
	v_mad_i32_i24 v74, v214, v44, v74
	s_delay_alu instid0(VALU_DEP_1) | instskip(SKIP_2) | instid1(VALU_DEP_1)
	v_add3_u32 v74, v74, v75, v76
	v_mul_i32_i24_e32 v75, v108, v65
	v_mul_i32_i24_e32 v76, v163, v66
	v_add3_u32 v74, v74, v75, v76
	v_add3_u32 v75, v5, v4, v7
	v_lshrrev_b16 v5, 8, v1
	v_lshrrev_b16 v4, 8, v0
	v_lshrrev_b16 v7, 8, v2
	v_add3_u32 v74, v74, v77, v78
	v_ashrrev_i32_e32 v76, 24, v2
	v_bfe_i32 v5, v5, 0, 8
	v_bfe_i32 v77, v3, 16, 8
	;; [unrolled: 1-line block ×3, first 2 shown]
	v_add3_u32 v74, v74, v79, v80
	v_bfe_i32 v7, v7, 0, 8
	v_mul_i32_i24_e32 v88, v155, v76
	s_delay_alu instid0(VALU_DEP_4) | instskip(NEXT) | instid1(VALU_DEP_4)
	v_mul_i32_i24_e32 v78, v4, v98
	v_add3_u32 v74, v74, v82, v83
	s_delay_alu instid0(VALU_DEP_1) | instskip(NEXT) | instid1(VALU_DEP_1)
	v_add3_u32 v74, v74, v84, v85
	v_add3_u32 v40, v74, v86, v87
	v_bfe_i32 v74, v2, 16, 8
	v_bfe_i32 v2, v2, 0, 8
	v_mul_i32_i24_e32 v86, v122, v7
	scratch_store_b32 off, v40, off offset:404 ; 4-byte Folded Spill
	v_dual_mov_b32 v40, v39 :: v_dual_mov_b32 v39, v31
	v_mov_b32_e32 v31, v30
	v_mul_i32_i24_e32 v85, v106, v2
	v_mul_i32_i24_e32 v87, v249, v74
	s_delay_alu instid0(VALU_DEP_4) | instskip(SKIP_1) | instid1(VALU_DEP_2)
	v_mul_i32_i24_e32 v6, v6, v40
	v_mov_b32_e32 v32, v155
	v_mad_i32_i24 v6, v20, v39, v6
	v_mul_i32_i24_e32 v20, v34, v23
	v_mul_i32_i24_e32 v23, v38, v26
	;; [unrolled: 1-line block ×3, first 2 shown]
	v_add_nc_u32_e32 v41, v5, v4
	v_add3_u32 v6, v6, v21, v8
	v_mul_i32_i24_e32 v8, v31, v22
	v_mul_i32_i24_e32 v21, v35, v24
	v_mul_i32_i24_e32 v22, v37, v25
	v_mul_i32_i24_e32 v24, v128, v27
	v_mul_i32_i24_e32 v25, v175, v28
	v_add3_u32 v6, v6, v8, v20
	v_mul_i32_i24_e32 v27, v120, v42
	v_mul_i32_i24_e32 v8, v241, v64
	;; [unrolled: 1-line block ×3, first 2 shown]
	v_bfe_i32 v28, v1, 0, 8
	v_add3_u32 v6, v6, v21, v9
	v_mul_i32_i24_e32 v9, v243, v12
	v_mul_i32_i24_e32 v12, v254, v68
	;; [unrolled: 1-line block ×4, first 2 shown]
	v_add3_u32 v6, v6, v22, v23
	v_mul_i32_i24_e32 v22, v94, v72
	v_mul_i32_i24_e32 v23, v100, v73
	v_ashrrev_i32_e32 v73, 24, v1
	v_bfe_i32 v1, v1, 16, 8
	v_add3_u32 v6, v6, v24, v10
	v_mul_i32_i24_e32 v10, v228, v67
	v_mad_i32_i24 v82, v167, v5, v82
	v_mul_i32_i24_e32 v84, v63, v73
	v_mul_i32_i24_e32 v83, v159, v1
	v_add3_u32 v6, v6, v25, v26
	v_bfe_i32 v26, v0, 16, 8
	v_mov_b32_e32 v56, v92
	v_mul_i32_i24_e32 v93, v188, v171
	v_add3_u32 v82, v82, v83, v84
	v_add3_u32 v6, v6, v27, v11
	v_mul_i32_i24_e32 v11, v253, v13
	v_mul_i32_i24_e32 v13, v255, v69
	v_mul_i32_i24_e32 v79, v26, v207
	v_mul_i32_i24_e32 v83, v185, v28
	scratch_store_b32 off, v6, off offset:408 ; 4-byte Folded Spill
	v_mul_i32_i24_e32 v6, v240, v43
	v_mul_i32_i24_e32 v84, v109, v1
	;; [unrolled: 1-line block ×3, first 2 shown]
	v_mad_i32_i24 v83, v137, v5, v83
	v_mul_i32_i24_e32 v100, v194, v171
	v_mad_i32_i24 v6, v242, v44, v6
	v_mov_b32_e32 v43, v48
	v_mov_b32_e32 v241, v253
	v_dual_mov_b32 v253, v126 :: v_dual_mov_b32 v120, v238
	s_delay_alu instid0(VALU_DEP_4) | instskip(SKIP_2) | instid1(VALU_DEP_1)
	v_add3_u32 v6, v6, v8, v9
	v_mul_i32_i24_e32 v8, v224, v65
	v_mul_i32_i24_e32 v9, v229, v66
	v_add3_u32 v6, v6, v8, v9
	s_delay_alu instid0(VALU_DEP_1) | instskip(NEXT) | instid1(VALU_DEP_1)
	v_add3_u32 v6, v6, v10, v11
	v_add3_u32 v6, v6, v12, v13
	s_delay_alu instid0(VALU_DEP_1) | instskip(NEXT) | instid1(VALU_DEP_1)
	v_add3_u32 v6, v6, v20, v14
	v_add3_u32 v6, v6, v21, v22
	s_delay_alu instid0(VALU_DEP_1) | instskip(SKIP_4) | instid1(VALU_DEP_1)
	v_add3_u32 v6, v6, v23, v15
	scratch_store_b32 off, v6, off offset:412 ; 4-byte Folded Spill
	scratch_load_b32 v6, off, off offset:148 ; 4-byte Folded Reload
	s_wait_loadcnt 0x0
	v_or_b32_e32 v6, s13, v6
	v_lshlrev_b32_e32 v8, 2, v6
	v_lshrrev_b32_e32 v6, 1, v6
	ds_load_b32 v119, v6 offset:30368
	ds_load_b128 v[12:15], v8 offset:16896
	ds_load_b128 v[8:11], v8 offset:16912
	s_clause 0x2
	scratch_store_b32 off, v188, off offset:636
	scratch_store_b32 off, v198, off offset:668
	scratch_store_b32 off, v175, off offset:672
	s_wait_dscnt 0x1
	v_bfe_i32 v6, v12, 0, 8
	v_bfe_i32 v20, v12, 8, 8
	;; [unrolled: 1-line block ×3, first 2 shown]
	v_ashrrev_i32_e32 v22, 24, v12
	v_bfe_i32 v12, v13, 0, 8
	v_mul_i32_i24_e32 v23, v6, v173
	s_delay_alu instid0(VALU_DEP_4) | instskip(NEXT) | instid1(VALU_DEP_4)
	v_mul_i32_i24_e32 v24, v21, v207
	v_mul_i32_i24_e32 v25, v22, v143
	s_delay_alu instid0(VALU_DEP_4) | instskip(NEXT) | instid1(VALU_DEP_4)
	v_add_nc_u32_e32 v72, v12, v6
	v_mad_i32_i24 v23, v20, v98, v23
	v_mul_i32_i24_e32 v71, v33, v12
	v_mul_i32_i24_e32 v68, v47, v12
	;; [unrolled: 1-line block ×4, first 2 shown]
	v_add3_u32 v70, v23, v24, v25
	v_mul_i32_i24_e32 v23, v6, v191
	v_mul_i32_i24_e32 v24, v21, v91
	;; [unrolled: 1-line block ×5, first 2 shown]
	v_mad_i32_i24 v23, v20, v186, v23
	s_delay_alu instid0(VALU_DEP_1)
	v_add3_u32 v27, v23, v24, v25
	v_mul_i32_i24_e32 v23, v6, v55
	v_mul_i32_i24_e32 v24, v21, v50
	;; [unrolled: 1-line block ×4, first 2 shown]
	v_mov_b32_e32 v55, v54
	v_mad_i32_i24 v23, v20, v54, v23
	v_mov_b32_e32 v54, v190
	v_mov_b32_e32 v190, v131
	v_mad_i32_i24 v6, v20, v39, v6
	v_mov_b32_e32 v131, v243
	v_add3_u32 v67, v23, v24, v25
	v_mul_i32_i24_e32 v23, v21, v46
	v_mul_i32_i24_e32 v24, v22, v48
	v_ashrrev_i32_e32 v25, 24, v0
	s_delay_alu instid0(VALU_DEP_2)
	v_add3_u32 v30, v6, v23, v24
	s_clause 0x1
	scratch_load_b32 v6, off, off offset:152
	scratch_load_b32 v23, off, off offset:156
	v_mul_i32_i24_e32 v80, v25, v143
	v_add_nc_u32_e32 v44, v73, v25
	s_wait_loadcnt 0x1
	v_or_b32_e32 v6, s13, v6
	s_wait_loadcnt 0x0
	v_or_b32_e32 v23, s13, v23
	s_delay_alu instid0(VALU_DEP_1)
	v_lshlrev_b32_e32 v24, 2, v23
	v_lshrrev_b32_e32 v23, 1, v23
	s_clause 0x1
	scratch_store_b32 off, v24, off offset:460
	scratch_store_b32 off, v23, off offset:464
	scratch_load_b32 v23, off, off offset:160 ; 4-byte Folded Reload
	s_wait_loadcnt 0x0
	v_or_b32_e32 v23, s13, v23
	s_delay_alu instid0(VALU_DEP_1)
	v_lshlrev_b32_e32 v24, 2, v23
	v_lshrrev_b32_e32 v23, 1, v23
	s_clause 0x1
	scratch_store_b32 off, v24, off offset:240
	scratch_store_b32 off, v23, off offset:400
	v_bfe_i32 v24, v0, 0, 8
	v_add_nc_u32_e32 v0, v1, v26
	v_or_b32_e32 v23, s13, v49
	s_delay_alu instid0(VALU_DEP_3) | instskip(NEXT) | instid1(VALU_DEP_3)
	v_dual_mov_b32 v49, v183 :: v_dual_add_nc_u32 v42, v28, v24
	v_add3_u32 v166, v0, v74, v77
	v_mul_i32_i24_e32 v0, v24, v173
	s_delay_alu instid0(VALU_DEP_4)
	v_lshlrev_b32_e32 v65, 2, v23
	v_lshrrev_b32_e32 v64, 1, v23
	v_lshrrev_b16 v23, 8, v3
	v_bfe_i32 v3, v3, 0, 8
	v_add3_u32 v0, v82, v85, v0
	v_mul_i32_i24_e32 v85, v115, v73
	v_mul_i32_i24_e32 v82, v25, v56
	v_bfe_i32 v23, v23, 0, 8
	v_mul_i32_i24_e32 v89, v189, v3
	v_add3_u32 v0, v0, v78, v79
	v_mul_i32_i24_e32 v78, v24, v191
	v_add3_u32 v83, v83, v84, v85
	v_mul_i32_i24_e32 v79, v4, v186
	v_mul_i32_i24_e32 v91, v183, v23
	v_add3_u32 v0, v0, v80, v86
	v_mul_i32_i24_e32 v86, v125, v2
	v_mul_i32_i24_e32 v80, v26, v53
	v_add3_u32 v235, v41, v7, v23
	v_mul_i32_i24_e32 v41, v177, v77
	v_add3_u32 v0, v0, v87, v88
	v_add3_u32 v78, v83, v86, v78
	v_mul_i32_i24_e32 v87, v134, v7
	v_mul_i32_i24_e32 v88, v184, v74
	v_mul_i32_i24_e32 v83, v95, v28
	v_add3_u32 v0, v0, v89, v91
	v_add3_u32 v78, v78, v79, v80
	v_mul_i32_i24_e32 v89, v210, v76
	v_mul_i32_i24_e32 v91, v117, v3
	;; [unrolled: 1-line block ×3, first 2 shown]
	v_add3_u32 v0, v0, v92, v93
	v_add3_u32 v78, v78, v82, v87
	v_mul_i32_i24_e32 v92, v142, v23
	v_mul_i32_i24_e32 v85, v57, v73
	v_mad_i32_i24 v83, v97, v5, v83
	scratch_store_b32 off, v41, off offset:476 ; 4-byte Folded Spill
	v_add3_u32 v78, v78, v88, v89
	v_mul_i32_i24_e32 v86, v62, v2
	v_mul_i32_i24_e32 v79, v4, v55
	v_add3_u32 v83, v83, v84, v85
	v_mul_i32_i24_e32 v80, v26, v58
	v_add3_u32 v41, v78, v91, v92
	v_mul_i32_i24_e32 v78, v24, v60
	v_mul_i32_i24_e32 v82, v25, v59
	;; [unrolled: 1-line block ×5, first 2 shown]
	v_add3_u32 v78, v83, v86, v78
	v_mul_i32_i24_e32 v92, v221, v3
	v_mul_i32_i24_e32 v93, v196, v23
	v_mul_i32_i24_e32 v28, v31, v28
	scratch_store_b32 off, v41, off offset:480 ; 4-byte Folded Spill
	v_add3_u32 v78, v78, v79, v80
	v_mul_i32_i24_e32 v1, v35, v1
	v_mul_i32_i24_e32 v73, v36, v73
	v_mad_i32_i24 v5, v34, v5, v28
	v_add3_u32 v248, v42, v2, v3
	v_add3_u32 v78, v78, v82, v87
	v_mul_i32_i24_e32 v24, v24, v40
	v_mul_i32_i24_e32 v2, v37, v2
	v_add3_u32 v1, v5, v1, v73
	v_mul_i32_i24_e32 v4, v4, v39
	v_add3_u32 v78, v78, v88, v89
	v_mul_i32_i24_e32 v25, v25, v43
	v_mul_i32_i24_e32 v7, v38, v7
	v_add3_u32 v1, v1, v2, v24
	v_mul_i32_i24_e32 v74, v128, v74
	v_add3_u32 v78, v78, v92, v93
	v_mul_i32_i24_e32 v3, v175, v3
	v_bfe_i32 v2, v13, 16, 8
	v_bfe_i32 v5, v14, 8, 8
	;; [unrolled: 1-line block ×3, first 2 shown]
	v_add3_u32 v41, v78, v94, v100
	scratch_store_b32 off, v142, off offset:648 ; 4-byte Folded Spill
	v_dual_mov_b32 v100, v239 :: v_dual_mov_b32 v239, v254
	v_add3_u32 v48, v44, v76, v171
	scratch_store_b32 off, v41, off offset:416 ; 4-byte Folded Spill
	v_mov_b32_e32 v41, v46
	v_mul_i32_i24_e32 v76, v180, v76
	v_dual_mov_b32 v46, v153 :: v_dual_add_nc_u32 v21, v2, v21
	v_mul_i32_i24_e32 v92, v122, v5
	s_delay_alu instid0(VALU_DEP_4) | instskip(SKIP_1) | instid1(VALU_DEP_4)
	v_mul_i32_i24_e32 v26, v26, v41
	v_mov_b32_e32 v195, v154
	v_mul_i32_i24_e32 v23, v46, v23
	v_mul_i32_i24_e32 v110, v183, v73
	s_wait_dscnt 0x0
	v_bfe_i32 v77, v8, 8, 8
	v_add3_u32 v1, v1, v4, v26
	v_bfe_i32 v4, v14, 0, 8
	v_bfe_i32 v78, v8, 16, 8
	;; [unrolled: 1-line block ×4, first 2 shown]
	v_add3_u32 v1, v1, v25, v7
	v_bfe_i32 v7, v14, 16, 8
	v_bfe_i32 v82, v9, 16, 8
	v_ashrrev_i32_e32 v9, 24, v9
	v_bfe_i32 v83, v10, 0, 8
	v_add3_u32 v1, v1, v74, v76
	v_bfe_i32 v74, v15, 16, 8
	v_mul_i32_i24_e32 v93, v249, v7
	v_bfe_i32 v76, v8, 0, 8
	v_ashrrev_i32_e32 v8, 24, v8
	v_add3_u32 v1, v1, v3, v23
	scratch_store_b32 off, v196, off offset:664 ; 4-byte Folded Spill
	v_ashrrev_i32_e32 v3, 24, v13
	v_add3_u32 v51, v21, v7, v74
	v_mul_i32_i24_e32 v21, v159, v2
	scratch_store_b32 off, v1, off offset:472 ; 4-byte Folded Spill
	v_bfe_i32 v1, v13, 8, 8
	v_ashrrev_i32_e32 v13, 24, v14
	v_bfe_i32 v14, v15, 0, 8
	v_mul_i32_i24_e32 v28, v63, v3
	v_ashrrev_i32_e32 v15, 24, v15
	v_add_nc_u32_e32 v20, v1, v20
	v_mul_i32_i24_e32 v94, v155, v13
	v_add3_u32 v50, v72, v4, v14
	v_mul_i32_i24_e32 v72, v106, v4
	v_mul_i32_i24_e32 v107, v189, v14
	v_add3_u32 v52, v20, v5, v73
	v_mul_i32_i24_e32 v20, v167, v1
	v_mul_i32_i24_e32 v112, v182, v74
	;; [unrolled: 1-line block ×3, first 2 shown]
	v_mov_b32_e32 v188, v116
	v_bfe_i32 v84, v10, 8, 8
	v_add3_u32 v20, v70, v71, v20
	v_mul_i32_i24_e32 v71, v250, v9
	v_bfe_i32 v85, v10, 16, 8
	v_mul_i32_i24_e32 v70, v188, v82
	v_ashrrev_i32_e32 v10, 24, v10
	v_add3_u32 v20, v20, v21, v28
	v_mul_i32_i24_e32 v21, v124, v78
	v_mul_i32_i24_e32 v28, v165, v8
	v_bfe_i32 v86, v11, 0, 8
	v_bfe_i32 v87, v11, 8, 8
	v_add3_u32 v20, v20, v72, v92
	v_mul_i32_i24_e32 v72, v217, v83
	v_mul_i32_i24_e32 v92, v220, v84
	v_bfe_i32 v89, v11, 16, 8
	v_ashrrev_i32_e32 v11, 24, v11
	v_add3_u32 v20, v20, v93, v94
	v_mul_i32_i24_e32 v93, v190, v85
	v_mul_i32_i24_e32 v94, v187, v10
	v_add_nc_u32_e32 v23, v9, v8
	v_mul_i32_i24_e32 v114, v253, v11
	v_add3_u32 v20, v20, v107, v110
	v_mul_i32_i24_e32 v107, v225, v86
	v_mul_i32_i24_e32 v110, v226, v87
	v_add3_u32 v203, v23, v10, v11
	v_add_nc_u32_e32 v23, v82, v78
	v_add3_u32 v20, v20, v112, v113
	s_clause 0x1
	scratch_store_b32 off, v194, off offset:660
	scratch_store_b32 off, v47, off offset:468
	v_mul_i32_i24_e32 v112, v227, v89
	v_add3_u32 v179, v23, v85, v89
	scratch_store_b32 off, v20, off offset:328 ; 4-byte Folded Spill
	v_mul_i32_i24_e32 v20, v199, v76
	v_dual_mov_b32 v24, v137 :: v_dual_add_nc_u32 v23, v79, v76
	v_mov_b32_e32 v25, v98
	v_mov_b32_e32 v189, v233
	s_delay_alu instid0(VALU_DEP_4) | instskip(NEXT) | instid1(VALU_DEP_4)
	v_mad_i32_i24 v20, v192, v77, v20
	v_add3_u32 v162, v23, v83, v86
	v_add_nc_u32_e32 v23, v80, v77
	v_mov_b32_e32 v47, v174
	v_mov_b32_e32 v153, v61
	v_add3_u32 v20, v20, v21, v28
	v_mul_i32_i24_e32 v21, v201, v79
	v_mul_i32_i24_e32 v28, v202, v80
	v_add3_u32 v172, v23, v84, v87
	v_mov_b32_e32 v23, v125
	v_dual_mov_b32 v155, v236 :: v_dual_add_nc_u32 v22, v3, v22
	s_delay_alu instid0(VALU_DEP_4)
	v_add3_u32 v20, v20, v21, v28
	v_mul_i32_i24_e32 v21, v109, v2
	v_mul_i32_i24_e32 v28, v115, v3
	v_mov_b32_e32 v116, v170
	v_add3_u32 v168, v22, v13, v15
	v_add3_u32 v20, v20, v70, v71
	v_mul_i32_i24_e32 v70, v23, v4
	v_mul_i32_i24_e32 v71, v134, v5
	v_mov_b32_e32 v22, v101
	v_dual_mov_b32 v183, v140 :: v_dual_lshlrev_b32 v12, 2, v6
	v_add3_u32 v20, v20, v72, v92
	v_mul_i32_i24_e32 v72, v184, v7
	v_mul_i32_i24_e32 v92, v210, v13
	v_lshrrev_b32_e32 v6, 1, v6
	v_mov_b32_e32 v176, v138
	v_add3_u32 v20, v20, v93, v94
	v_mul_i32_i24_e32 v93, v117, v14
	v_mul_i32_i24_e32 v94, v142, v73
	v_mov_b32_e32 v26, v167
	v_mov_b32_e32 v42, v159
	v_add3_u32 v20, v20, v107, v110
	v_mul_i32_i24_e32 v107, v177, v74
	v_mul_i32_i24_e32 v110, v251, v15
	v_dual_mov_b32 v91, v156 :: v_dual_mov_b32 v88, v159
	s_delay_alu instid0(VALU_DEP_4)
	v_add3_u32 v20, v20, v112, v114
	scratch_store_b32 off, v182, off offset:632 ; 4-byte Folded Spill
	v_dual_mov_b32 v182, v232 :: v_dual_mov_b32 v61, v221
	v_mov_b32_e32 v233, v128
	scratch_store_b32 off, v20, off offset:332 ; 4-byte Folded Spill
	v_mul_i32_i24_e32 v20, v24, v1
	v_mov_b32_e32 v159, v147
	s_delay_alu instid0(VALU_DEP_2)
	v_add3_u32 v20, v27, v69, v20
	v_mul_i32_i24_e32 v27, v147, v8
	v_mul_i32_i24_e32 v69, v246, v9
	v_mov_b32_e32 v147, v151
	v_mov_b32_e32 v151, v49
	v_add3_u32 v20, v20, v21, v28
	v_mul_i32_i24_e32 v21, v178, v78
	v_mul_i32_i24_e32 v28, v244, v82
	s_delay_alu instid0(VALU_DEP_3) | instskip(SKIP_2) | instid1(VALU_DEP_3)
	v_add3_u32 v20, v20, v70, v71
	v_mul_i32_i24_e32 v70, v155, v83
	v_mul_i32_i24_e32 v71, v208, v84
	v_add3_u32 v20, v20, v72, v92
	v_mul_i32_i24_e32 v72, v206, v85
	v_mul_i32_i24_e32 v92, v154, v10
	v_mov_b32_e32 v154, v190
	s_delay_alu instid0(VALU_DEP_4)
	v_add3_u32 v20, v20, v93, v94
	v_mul_i32_i24_e32 v93, v238, v86
	v_mul_i32_i24_e32 v94, v237, v87
	v_mov_b32_e32 v238, v160
	v_mov_b32_e32 v160, v193
	v_add3_u32 v20, v20, v107, v110
	scratch_store_b32 off, v117, off offset:644 ; 4-byte Folded Spill
	v_mul_i32_i24_e32 v107, v156, v89
	v_mul_i32_i24_e32 v110, v22, v11
	v_mov_b32_e32 v117, v58
	scratch_store_b32 off, v20, off offset:336 ; 4-byte Folded Spill
	v_mul_i32_i24_e32 v20, v232, v76
	s_delay_alu instid0(VALU_DEP_1) | instskip(NEXT) | instid1(VALU_DEP_1)
	v_mad_i32_i24 v20, v189, v77, v20
	v_add3_u32 v20, v20, v21, v27
	v_mul_i32_i24_e32 v21, v47, v79
	v_mul_i32_i24_e32 v27, v153, v80
	s_delay_alu instid0(VALU_DEP_1)
	v_add3_u32 v20, v20, v21, v27
	v_mul_i32_i24_e32 v21, v45, v2
	v_mul_i32_i24_e32 v27, v57, v3
	;; [unrolled: 1-line block ×4, first 2 shown]
	v_add3_u32 v20, v20, v28, v69
	v_mul_i32_i24_e32 v69, v62, v4
	v_mul_i32_i24_e32 v4, v37, v4
	v_dual_mov_b32 v28, v33 :: v_dual_mov_b32 v33, v36
	s_delay_alu instid0(VALU_DEP_4)
	v_add3_u32 v20, v20, v70, v71
	v_mul_i32_i24_e32 v70, v96, v5
	v_mul_i32_i24_e32 v71, v181, v7
	;; [unrolled: 1-line block ×4, first 2 shown]
	v_add3_u32 v20, v20, v72, v92
	v_mul_i32_i24_e32 v72, v54, v13
	v_mul_i32_i24_e32 v92, v221, v14
	;; [unrolled: 1-line block ×4, first 2 shown]
	v_add3_u32 v20, v20, v93, v94
	v_mul_i32_i24_e32 v93, v196, v73
	v_mul_i32_i24_e32 v94, v198, v74
	v_dual_mov_b32 v175, v242 :: v_dual_mov_b32 v198, v122
	s_delay_alu instid0(VALU_DEP_4)
	v_add3_u32 v123, v20, v107, v110
	v_mul_i32_i24_e32 v20, v97, v1
	v_mul_i32_i24_e32 v1, v34, v1
	;; [unrolled: 1-line block ×5, first 2 shown]
	v_add3_u32 v20, v67, v68, v20
	v_add3_u32 v1, v30, v66, v1
	v_mul_i32_i24_e32 v67, v158, v82
	v_mul_i32_i24_e32 v68, v103, v9
	v_mul_i32_i24_e32 v11, v145, v11
	v_add3_u32 v20, v20, v21, v27
	v_add3_u32 v1, v1, v2, v3
	v_mul_i32_i24_e32 v21, v193, v78
	v_mul_i32_i24_e32 v27, v157, v8
	v_mul_i32_i24_e32 v2, v130, v78
	;; [unrolled: 5-line block ×3, first 2 shown]
	v_add3_u32 v20, v20, v71, v72
	v_add3_u32 v1, v1, v7, v13
	v_mul_i32_i24_e32 v7, v254, v83
	v_mov_b32_e32 v83, v115
	v_mul_i32_i24_e32 v72, v247, v85
	v_add3_u32 v20, v20, v92, v93
	v_mul_i32_i24_e32 v92, v132, v10
	v_mul_i32_i24_e32 v93, v140, v86
	;; [unrolled: 1-line block ×4, first 2 shown]
	v_add3_u32 v20, v20, v94, v107
	scratch_store_b32 off, v46, off offset:676 ; 4-byte Folded Spill
	v_mul_i32_i24_e32 v94, v144, v87
	v_mul_i32_i24_e32 v107, v218, v89
	;; [unrolled: 1-line block ×3, first 2 shown]
	scratch_store_b32 off, v20, off offset:524 ; 4-byte Folded Spill
	v_mul_i32_i24_e32 v20, v149, v76
	v_mul_i32_i24_e32 v10, v90, v10
	v_mov_b32_e32 v194, v139
	v_dual_mov_b32 v30, v145 :: v_dual_mov_b32 v145, v91
	s_delay_alu instid0(VALU_DEP_4) | instskip(SKIP_3) | instid1(VALU_DEP_4)
	v_mad_i32_i24 v20, v214, v77, v20
	v_mov_b32_e32 v84, v125
	v_mov_b32_e32 v122, v43
	;; [unrolled: 1-line block ×3, first 2 shown]
	v_add3_u32 v20, v20, v21, v27
	v_mul_i32_i24_e32 v21, v108, v79
	v_mul_i32_i24_e32 v27, v163, v80
	s_delay_alu instid0(VALU_DEP_1) | instskip(NEXT) | instid1(VALU_DEP_1)
	v_add3_u32 v20, v20, v21, v27
	v_add3_u32 v20, v20, v67, v68
	s_delay_alu instid0(VALU_DEP_1) | instskip(NEXT) | instid1(VALU_DEP_1)
	v_add3_u32 v20, v20, v69, v70
	v_add3_u32 v20, v20, v72, v92
	v_mov_b32_e32 v72, v133
	v_dual_mov_b32 v232, v81 :: v_dual_mov_b32 v81, v164
	v_mul_i32_i24_e32 v9, v238, v85
	s_delay_alu instid0(VALU_DEP_4)
	v_add3_u32 v20, v20, v93, v94
	v_mov_b32_e32 v85, v134
	v_mul_i32_i24_e32 v21, v234, v74
	v_mul_i32_i24_e32 v13, v232, v86
	v_mov_b32_e32 v74, v173
	v_add3_u32 v20, v20, v107, v110
	v_dual_mov_b32 v174, v135 :: v_dual_mov_b32 v93, v207
	v_mov_b32_e32 v92, v143
	v_mov_b32_e32 v94, v106
	scratch_store_b32 off, v20, off offset:528 ; 4-byte Folded Spill
	v_mul_i32_i24_e32 v20, v46, v73
	v_dual_mov_b32 v143, v195 :: v_dual_mov_b32 v164, v28
	v_mov_b32_e32 v195, v66
	s_delay_alu instid0(VALU_DEP_3) | instskip(SKIP_3) | instid1(VALU_DEP_4)
	v_add3_u32 v1, v1, v14, v20
	v_mul_i32_i24_e32 v14, v116, v87
	v_mov_b32_e32 v87, v167
	v_mov_b32_e32 v167, v218
	v_add3_u32 v1, v1, v21, v15
	v_mul_i32_i24_e32 v15, v174, v89
	v_mov_b32_e32 v89, v63
	s_clause 0x1
	scratch_store_b32 off, v54, off offset:656
	scratch_store_b32 off, v1, off offset:532
	v_mul_i32_i24_e32 v1, v118, v76
	v_mov_b32_e32 v76, v40
	s_delay_alu instid0(VALU_DEP_2) | instskip(SKIP_1) | instid1(VALU_DEP_2)
	v_mad_i32_i24 v1, v175, v77, v1
	v_mov_b32_e32 v77, v62
	v_add3_u32 v1, v1, v2, v3
	v_mul_i32_i24_e32 v2, v224, v79
	v_mul_i32_i24_e32 v3, v229, v80
	v_mov_b32_e32 v79, v97
	s_delay_alu instid0(VALU_DEP_2) | instskip(NEXT) | instid1(VALU_DEP_1)
	v_add3_u32 v1, v1, v2, v3
	v_add3_u32 v1, v1, v4, v5
	s_delay_alu instid0(VALU_DEP_1) | instskip(NEXT) | instid1(VALU_DEP_1)
	v_add3_u32 v1, v1, v7, v8
	v_add3_u32 v1, v1, v9, v10
	s_delay_alu instid0(VALU_DEP_1) | instskip(NEXT) | instid1(VALU_DEP_1)
	v_add3_u32 v1, v1, v13, v14
	v_add3_u32 v1, v1, v15, v11
	scratch_store_b32 off, v1, off offset:540 ; 4-byte Folded Spill
	ds_load_b32 v252, v6 offset:30368
	ds_load_b128 v[68:71], v12 offset:16896
	ds_load_b128 v[137:140], v12 offset:16912
	s_wait_dscnt 0x1
	v_bfe_i32 v1, v68, 0, 8
	v_bfe_i32 v2, v68, 8, 8
	;; [unrolled: 1-line block ×3, first 2 shown]
	v_ashrrev_i32_e32 v4, 24, v68
	v_ashrrev_i32_e32 v5, 24, v69
	v_mul_i32_i24_e32 v11, v1, v74
	v_bfe_i32 v8, v69, 0, 8
	v_bfe_i32 v9, v69, 8, 8
	v_bfe_i32 v10, v69, 16, 8
	v_add_nc_u32_e32 v6, v5, v4
	v_mul_i32_i24_e32 v12, v3, v93
	v_mul_i32_i24_e32 v13, v4, v92
	v_mad_i32_i24 v11, v2, v25, v11
	v_bfe_i32 v148, v70, 0, 8
	scratch_store_b32 off, v6, off offset:496 ; 4-byte Folded Spill
	v_add_nc_u32_e32 v6, v10, v3
	v_bfe_i32 v146, v70, 8, 8
	v_add3_u32 v11, v11, v12, v13
	v_mul_i32_i24_e32 v12, v28, v8
	v_mul_i32_i24_e32 v13, v26, v9
	scratch_store_b32 off, v6, off offset:500 ; 4-byte Folded Spill
	v_add_nc_u32_e32 v6, v9, v2
	v_mul_i32_i24_e32 v14, v42, v10
	v_mul_i32_i24_e32 v15, v89, v5
	v_add3_u32 v11, v11, v12, v13
	v_mul_i32_i24_e32 v20, v94, v148
	scratch_store_b32 off, v6, off offset:504 ; 4-byte Folded Spill
	v_add_nc_u32_e32 v6, v8, v1
	v_mul_i32_i24_e32 v21, v198, v146
	v_add3_u32 v11, v11, v14, v15
	v_mul_i32_i24_e32 v12, v3, v53
	v_mul_i32_i24_e32 v13, v4, v56
	scratch_store_b32 off, v6, off offset:508 ; 4-byte Folded Spill
	v_mul_i32_i24_e32 v14, v109, v10
	v_add3_u32 v6, v11, v20, v21
	v_mul_i32_i24_e32 v11, v1, v191
	v_mul_i32_i24_e32 v15, v115, v5
	;; [unrolled: 1-line block ×4, first 2 shown]
	scratch_store_b32 off, v6, off offset:520 ; 4-byte Folded Spill
	v_mad_i32_i24 v11, v2, v186, v11
	v_mov_b32_e32 v23, v25
	s_delay_alu instid0(VALU_DEP_2) | instskip(SKIP_2) | instid1(VALU_DEP_4)
	v_add3_u32 v11, v11, v12, v13
	v_mul_i32_i24_e32 v12, v185, v8
	v_mul_i32_i24_e32 v13, v24, v9
	v_mov_b32_e32 v218, v23
	s_delay_alu instid0(VALU_DEP_2)
	v_add3_u32 v11, v11, v12, v13
	v_mul_i32_i24_e32 v12, v3, v58
	v_mul_i32_i24_e32 v13, v4, v59
	;; [unrolled: 1-line block ×4, first 2 shown]
	v_add3_u32 v11, v11, v14, v15
	v_mul_i32_i24_e32 v14, v45, v10
	v_mul_i32_i24_e32 v15, v57, v5
	;; [unrolled: 1-line block ×3, first 2 shown]
	s_delay_alu instid0(VALU_DEP_4)
	v_add3_u32 v6, v11, v20, v21
	v_mul_i32_i24_e32 v11, v1, v60
	v_mul_i32_i24_e32 v1, v1, v40
	;; [unrolled: 1-line block ×4, first 2 shown]
	scratch_store_b32 off, v6, off offset:492 ; 4-byte Folded Spill
	v_mad_i32_i24 v11, v2, v55, v11
	v_mad_i32_i24 v1, v2, v39, v1
	v_mul_i32_i24_e32 v2, v31, v8
	v_mov_b32_e32 v62, v35
	s_delay_alu instid0(VALU_DEP_4)
	v_add3_u32 v11, v11, v12, v13
	v_mul_i32_i24_e32 v12, v95, v8
	v_mul_i32_i24_e32 v13, v97, v9
	v_add3_u32 v1, v1, v3, v4
	v_mul_i32_i24_e32 v3, v34, v9
	v_mul_i32_i24_e32 v4, v35, v10
	;; [unrolled: 1-line block ×3, first 2 shown]
	v_add3_u32 v11, v11, v12, v13
	v_mul_i32_i24_e32 v9, v38, v146
	v_add3_u32 v1, v1, v2, v3
	ds_load_u16 v3, v209
	v_mov_b32_e32 v136, v210
	v_add3_u32 v11, v11, v14, v15
	v_mov_b32_e32 v107, v62
	v_add3_u32 v1, v1, v4, v5
	v_dual_mov_b32 v97, v37 :: v_dual_mov_b32 v62, v204
	s_delay_alu instid0(VALU_DEP_4) | instskip(NEXT) | instid1(VALU_DEP_3)
	v_add3_u32 v6, v11, v20, v21
	v_add3_u32 v1, v1, v8, v9
	s_clause 0x1
	scratch_store_b32 off, v6, off offset:488
	scratch_store_b32 off, v1, off offset:484
	ds_load_u16 v1, v222
	ds_load_b128 v[112:115], v65 offset:16896
	ds_load_b128 v[125:128], v65 offset:16912
	s_wait_dscnt 0x3
	v_lshrrev_b16 v4, 8, v3
	s_wait_dscnt 0x2
	v_bfe_u32 v5, v1, 4, 4
	v_lshrrev_b16 v2, 8, v1
	v_and_b32_e32 v1, 15, v1
	s_wait_dscnt 0x0
	v_ashrrev_i32_e32 v9, 24, v125
	v_ashrrev_i32_e32 v6, 24, v126
	v_mul_lo_u32 v5, 0x1010101, v5
	v_ashrrev_i32_e32 v7, 24, v128
	v_and_b32_e32 v236, 0xffff, v1
	s_delay_alu instid0(VALU_DEP_4)
	v_dual_mov_b32 v14, v6 :: v_dual_and_b32 v1, 0xffff, v4
	v_bfe_i32 v11, v125, 16, 8
	v_dual_mov_b32 v150, v108 :: v_dual_mov_b32 v15, v9
	v_lshrrev_b32_e32 v210, 24, v5
	v_lshrrev_b16 v8, 8, v5
	v_bfe_i32 v211, v5, 0, 8
	v_bfe_i32 v212, v5, 16, 8
	v_and_b32_e32 v5, 15, v3
	v_lshrrev_b32_e32 v1, 4, v1
	v_bfe_i32 v209, v8, 0, 8
	v_ashrrev_i32_e32 v8, 24, v127
	s_delay_alu instid0(VALU_DEP_4)
	v_dual_mov_b32 v54, v158 :: v_dual_and_b32 v173, 0xffff, v5
	v_and_b32_e32 v5, 0xffff, v2
	v_mul_lo_u32 v27, 0x1010101, v1
	v_add_nc_u32_e32 v1, v6, v9
	v_mov_b32_e32 v13, v8
	v_bfe_i32 v10, v127, 16, 8
	v_lshrrev_b32_e32 v5, 4, v5
	v_bfe_i32 v9, v128, 16, 8
	v_add3_u32 v6, v1, v8, v7
	v_mov_b32_e32 v8, v7
	v_bfe_i32 v7, v126, 16, 8
	v_mul_lo_u32 v5, 0x1010101, v5
	v_add3_u32 v108, v18, v16, v17
	v_mul_i32_i24_e32 v17, v166, v212
	v_mul_i32_i24_e32 v18, v48, v210
	v_mul_lo_u32 v0, v0, v236
	v_dual_mov_b32 v21, v7 :: v_dual_mov_b32 v82, v109
	v_mov_b32_e32 v67, v194
	v_bfe_i32 v221, v5, 0, 8
	v_bfe_i32 v219, v5, 8, 8
	v_lshrrev_b32_e32 v222, 24, v5
	v_bfe_i32 v230, v5, 16, 8
	v_add_nc_u32_e32 v5, v7, v11
	v_mul_i32_i24_e32 v16, v197, v221
	v_mad_i32_i24 v17, v248, v211, v17
	v_mad_i32_i24 v18, v235, v209, v18
	v_mul_i32_i24_e32 v1, v129, v222
	v_add3_u32 v68, v5, v10, v9
	v_mul_i32_i24_e32 v5, v108, v230
	v_mov_b32_e32 v109, v31
	v_add3_u32 v16, v17, v18, v16
	v_ashrrev_i32_e32 v251, 24, v113
	v_mov_b32_e32 v19, v9
	v_mad_i32_i24 v5, v216, v219, v5
	v_mov_b32_e32 v193, v109
	v_mov_b32_e32 v109, v33
	v_bfe_i32 v231, v27, 0, 8
	v_bfe_i32 v142, v113, 16, 8
	v_add3_u32 v5, v16, v5, v1
	v_and_b32_e32 v1, 15, v2
	v_and_b32_e32 v2, 15, v4
	v_lshrrev_b32_e32 v4, 16, v81
	v_mov_b32_e32 v46, v255
	v_bfe_i32 v69, v112, 8, 8
	v_and_b32_e32 v240, 0xffff, v1
                                        ; kill: def $vgpr1 killed $sgpr0 killed $exec
	v_and_b32_e32 v255, 0xffff, v2
	v_cvt_f32_f16_e32 v31, v4
	v_bfe_i32 v98, v113, 0, 8
	v_mov_b32_e32 v73, v6
	v_mad_co_u64_u32 v[0:1], null, v75, v240, v[0:1]
	v_ashrrev_i32_e32 v75, 24, v112
	v_cvt_f32_i32_e32 v1, v5
	v_mul_i32_i24_e32 v5, v197, v231
	v_bfe_i32 v12, v114, 0, 8
	v_bfe_i32 v16, v114, 8, 8
	v_dual_mov_b32 v78, v96 :: v_dual_add_nc_u32 v9, v251, v75
	v_dual_mov_b32 v207, v116 :: v_dual_mov_b32 v96, v34
	v_dual_mov_b32 v237, v136 :: v_dual_mov_b32 v34, v105
	v_cvt_f32_i32_e32 v0, v0
	v_mul_f32_e32 v1, v31, v1
	v_mul_i32_i24_e32 v4, v89, v251
	v_mov_b32_e32 v157, v120
	v_lshrrev_b32_e32 v2, 16, v34
	v_mov_b32_e32 v105, v150
	v_fma_mix_f32 v0, v81, v0, -v1 op_sel_hi:[1,0,0]
	v_dual_mov_b32 v86, v24 :: v_dual_mov_b32 v161, v54
	s_delay_alu instid0(VALU_DEP_4)
	v_cvt_f32_f16_e32 v106, v2
	scratch_load_b64 v[1:2], off, off offset:76 ; 8-byte Folded Reload
	v_mov_b32_e32 v24, v11
	v_mov_b32_e32 v20, v10
	v_lshrrev_b32_e32 v242, 24, v27
	v_bfe_i32 v245, v27, 16, 8
	v_bfe_i32 v17, v114, 16, 8
	;; [unrolled: 1-line block ×3, first 2 shown]
	v_dual_mov_b32 v135, v182 :: v_dual_mov_b32 v120, v144
	v_mov_b32_e32 v156, v47
	v_mov_b32_e32 v150, v32
	v_dual_mov_b32 v196, v57 :: v_dual_mov_b32 v215, v90
	v_mov_b32_e32 v66, v31
	v_ashrrev_i32_e32 v57, 24, v128
	s_wait_loadcnt 0x0
	v_dual_mov_b32 v144, v178 :: v_dual_fmac_f32 v1, v72, v0
	v_bfe_u32 v0, v3, 4, 4
	scratch_store_b32 off, v72, off offset:396 ; 4-byte Folded Spill
	v_mul_i32_i24_e32 v3, v42, v142
	scratch_store_b64 off, v[1:2], off offset:76 ; 8-byte Folded Spill
	v_mul_lo_u32 v0, 0x1010101, v0
	s_delay_alu instid0(VALU_DEP_1) | instskip(SKIP_3) | instid1(VALU_DEP_4)
	v_bfe_i32 v102, v0, 0, 8
	v_bfe_i32 v65, v0, 8, 8
	;; [unrolled: 1-line block ×3, first 2 shown]
	v_lshrrev_b32_e32 v170, 24, v0
	v_mul_i32_i24_e32 v2, v248, v102
	s_delay_alu instid0(VALU_DEP_3) | instskip(NEXT) | instid1(VALU_DEP_3)
	v_mul_i32_i24_e32 v1, v166, v169
	v_mul_i32_i24_e32 v0, v48, v170
	s_delay_alu instid0(VALU_DEP_3) | instskip(NEXT) | instid1(VALU_DEP_1)
	v_mad_i32_i24 v2, v235, v65, v2
	v_add3_u32 v0, v2, v1, v0
	v_bfe_i32 v2, v112, 16, 8
	v_bfe_i32 v1, v112, 0, 8
	scratch_store_b32 off, v0, off offset:548 ; 4-byte Folded Spill
	ds_load_b32 v0, v64 offset:30368
	s_clause 0x1
	scratch_store_b32 off, v197, off offset:652
	scratch_store_b32 off, v5, off offset:544
	v_bfe_i32 v64, v113, 8, 8
	v_mov_b32_e32 v197, v74
	v_mul_i32_i24_e32 v5, v94, v12
	v_mul_i32_i24_e32 v12, v198, v16
	s_wait_dscnt 0x0
	scratch_store_b32 off, v0, off offset:236 ; 4-byte Folded Spill
	v_add_nc_u32_e32 v0, v142, v2
	scratch_store_b32 off, v9, off offset:600 ; 4-byte Folded Spill
	v_mul_i32_i24_e32 v9, v249, v17
	scratch_store_b32 off, v0, off offset:604 ; 4-byte Folded Spill
	v_add_nc_u32_e32 v0, v64, v69
	s_clause 0x1
	scratch_store_b32 off, v0, off offset:608
	scratch_store_b32 off, v1, off offset:132
	v_add_nc_u32_e32 v0, v98, v1
	scratch_store_b32 off, v0, off offset:612 ; 4-byte Folded Spill
	v_mul_i32_i24_e32 v0, v1, v74
	v_mul_i32_i24_e32 v1, v2, v93
	v_mov_b32_e32 v74, v2
	v_mul_i32_i24_e32 v2, v75, v92
	s_delay_alu instid0(VALU_DEP_4) | instskip(NEXT) | instid1(VALU_DEP_1)
	v_mad_i32_i24 v0, v69, v25, v0
	v_add3_u32 v0, v0, v1, v2
	v_mul_i32_i24_e32 v1, v28, v98
	v_mul_i32_i24_e32 v2, v26, v64
	s_delay_alu instid0(VALU_DEP_1) | instskip(NEXT) | instid1(VALU_DEP_1)
	v_add3_u32 v0, v0, v1, v2
	v_add3_u32 v0, v0, v3, v4
	s_delay_alu instid0(VALU_DEP_1)
	v_add3_u32 v0, v0, v5, v12
	scratch_store_b32 off, v0, off offset:628 ; 4-byte Folded Spill
	v_mul_i32_i24_e32 v0, v124, v24
	scratch_store_b32 off, v0, off offset:616 ; 4-byte Folded Spill
	v_mul_i32_i24_e32 v0, v165, v15
	;; [unrolled: 2-line block ×5, first 2 shown]
	v_dual_mov_b32 v190, v101 :: v_dual_mov_b32 v101, v122
	v_mov_b32_e32 v122, v56
	scratch_store_b32 off, v0, off offset:576 ; 4-byte Folded Spill
	v_mul_i32_i24_e32 v0, v187, v13
	scratch_store_b32 off, v0, off offset:592 ; 4-byte Folded Spill
	v_mul_i32_i24_e32 v0, v227, v19
	;; [unrolled: 2-line block ×9, first 2 shown]
	s_delay_alu instid0(VALU_DEP_1)
	v_add3_u32 v0, v111, v99, v0
	s_clause 0x1
	scratch_store_b32 off, v9, off offset:624
	scratch_store_b32 off, v0, off offset:552
	ds_load_b128 v[25:28], v104 offset:16896
	ds_load_b128 v[0:3], v104 offset:16912
	s_clause 0x5
	scratch_load_b32 v49, off, off offset:632 th:TH_LOAD_LU
	scratch_load_b32 v152, off, off offset:636 th:TH_LOAD_LU
	;; [unrolled: 1-line block ×6, first 2 shown]
	scratch_store_b32 off, v109, off offset:424 ; 4-byte Folded Spill
	s_wait_dscnt 0x0
	v_lshrrev_b16 v4, 8, v0
	v_lshrrev_b16 v5, 8, v1
	;; [unrolled: 1-line block ×4, first 2 shown]
	v_bfe_i32 v104, v0, 0, 8
	v_bfe_i32 v111, v4, 0, 8
	;; [unrolled: 1-line block ×3, first 2 shown]
	v_ashrrev_i32_e32 v10, 24, v0
	v_bfe_i32 v134, v1, 0, 8
	v_ashrrev_i32_e32 v9, 24, v1
	v_bfe_i32 v12, v12, 0, 8
	v_bfe_i32 v6, v13, 0, 8
	v_add_nc_u32_e32 v13, v8, v111
	v_bfe_i32 v99, v0, 16, 8
	v_bfe_i32 v133, v1, 16, 8
	v_ashrrev_i32_e32 v7, 24, v2
	v_bfe_i32 v4, v2, 0, 8
	v_ashrrev_i32_e32 v5, 24, v3
	v_bfe_i32 v0, v3, 0, 8
	v_bfe_i32 v1, v3, 16, 8
	v_add_nc_u32_e32 v3, v9, v10
	v_add_nc_u32_e32 v11, v134, v104
	v_add3_u32 v36, v13, v12, v6
	v_mul_i32_i24_e32 v13, v199, v104
	v_mul_i32_i24_e32 v22, v201, v134
	v_add3_u32 v35, v3, v7, v5
	v_add3_u32 v39, v11, v4, v0
	v_mul_i32_i24_e32 v11, v124, v99
	v_mul_i32_i24_e32 v3, v165, v10
	v_mad_i32_i24 v13, v192, v111, v13
	v_mul_i32_i24_e32 v19, v202, v8
	v_mul_i32_i24_e32 v20, v188, v133
	;; [unrolled: 1-line block ×3, first 2 shown]
	v_bfe_i32 v2, v2, 16, 8
	v_add3_u32 v3, v13, v11, v3
	v_mul_i32_i24_e32 v18, v217, v4
	v_mul_i32_i24_e32 v16, v220, v12
	;; [unrolled: 1-line block ×4, first 2 shown]
	v_add3_u32 v3, v3, v22, v19
	v_mul_i32_i24_e32 v15, v225, v0
	v_mul_i32_i24_e32 v11, v226, v6
	v_mul_i32_i24_e32 v13, v227, v1
	v_mul_i32_i24_e32 v112, v253, v5
	v_add3_u32 v3, v3, v20, v21
	v_add_nc_u32_e32 v24, v133, v99
	v_mul_i32_i24_e32 v19, v206, v2
	v_mul_i32_i24_e32 v20, v143, v7
	;; [unrolled: 1-line block ×3, first 2 shown]
	v_add3_u32 v3, v3, v18, v16
	v_mul_i32_i24_e32 v16, v246, v9
	v_mul_i32_i24_e32 v18, v208, v12
	v_add3_u32 v40, v24, v2, v1
	v_mov_b32_e32 v24, v60
	v_add3_u32 v3, v3, v17, v14
	v_mul_i32_i24_e32 v14, v159, v10
	v_mul_i32_i24_e32 v17, v155, v4
	v_mov_b32_e32 v158, v100
	v_mul_i32_i24_e32 v113, v190, v5
	v_add3_u32 v3, v3, v15, v11
	v_mul_i32_i24_e32 v11, v135, v104
	v_mul_i32_i24_e32 v15, v244, v133
	;; [unrolled: 1-line block ×3, first 2 shown]
	v_mov_b32_e32 v60, v45
	v_add3_u32 v38, v3, v13, v112
	v_mul_i32_i24_e32 v13, v178, v99
	v_mad_i32_i24 v11, v189, v111, v11
	v_mul_i32_i24_e32 v112, v145, v1
	v_mul_i32_i24_e32 v3, v121, v5
	v_mov_b32_e32 v254, v46
	scratch_load_b32 v45, off, off offset:668 th:TH_LOAD_LU ; 4-byte Folded Reload
	v_add3_u32 v11, v11, v13, v14
	v_mul_i32_i24_e32 v13, v47, v134
	v_mul_i32_i24_e32 v14, v153, v8
	v_mov_b32_e32 v100, v30
	v_mul_i32_i24_e32 v42, v35, v222
	v_mul_i32_i24_e32 v43, v36, v219
	;; [unrolled: 1-line block ×3, first 2 shown]
	v_add3_u32 v11, v11, v13, v14
	v_mul_i32_i24_e32 v13, v149, v104
	v_mul_i32_i24_e32 v14, v160, v99
	;; [unrolled: 1-line block ×3, first 2 shown]
	s_delay_alu instid0(VALU_DEP_4)
	v_add3_u32 v11, v11, v15, v16
	v_mul_i32_i24_e32 v15, v141, v10
	v_mad_i32_i24 v13, v214, v111, v13
	v_mul_i32_i24_e32 v16, v161, v133
	v_mul_i32_i24_e32 v10, v131, v10
	v_add3_u32 v11, v11, v17, v18
	v_mul_i32_i24_e32 v17, v103, v9
	v_add3_u32 v13, v13, v14, v15
	v_mul_i32_i24_e32 v14, v105, v134
	v_mul_i32_i24_e32 v15, v163, v8
	v_add3_u32 v11, v11, v19, v20
	v_mul_i32_i24_e32 v18, v176, v4
	v_mul_i32_i24_e32 v19, v67, v12
	v_mul_i32_i24_e32 v20, v247, v2
	v_add3_u32 v13, v13, v14, v15
	v_add3_u32 v11, v11, v21, v22
	v_mul_i32_i24_e32 v21, v132, v7
	v_mul_i32_i24_e32 v22, v183, v0
	v_mul_i32_i24_e32 v14, v130, v99
	v_add3_u32 v13, v13, v16, v17
	;; [unrolled: 5-line block ×3, first 2 shown]
	v_mul_i32_i24_e32 v12, v46, v12
	v_bfe_i32 v15, v26, 0, 8
	v_mov_b32_e32 v46, v61
	s_clause 0x1
	scratch_load_b32 v61, off, off offset:660 th:TH_LOAD_LU
	scratch_load_b32 v110, off, off offset:640 th:TH_LOAD_LU
	v_add3_u32 v13, v13, v20, v21
	v_mul_i32_i24_e32 v6, v116, v6
	v_dual_mov_b32 v116, v95 :: v_dual_mov_b32 v95, v181
	scratch_load_b32 v181, off, off offset:672 th:TH_LOAD_LU ; 4-byte Folded Reload
	v_add3_u32 v13, v13, v22, v112
	v_mul_i32_i24_e32 v9, v241, v9
	v_mul_i32_i24_e32 v4, v239, v4
	;; [unrolled: 1-line block ×4, first 2 shown]
	v_add3_u32 v47, v13, v113, v3
	v_mul_i32_i24_e32 v3, v118, v104
	v_mul_i32_i24_e32 v0, v232, v0
	;; [unrolled: 1-line block ×3, first 2 shown]
	v_ashrrev_i32_e32 v19, 24, v27
	v_bfe_i32 v20, v28, 16, 8
	v_mad_i32_i24 v3, v175, v111, v3
	v_bfe_i32 v21, v28, 0, 8
	v_ashrrev_i32_e32 v22, 24, v28
	v_bfe_i32 v16, v26, 16, 8
	v_bfe_i32 v18, v27, 0, 8
	v_add3_u32 v3, v3, v14, v10
	v_mul_i32_i24_e32 v10, v224, v134
	v_mul_i32_i24_e32 v14, v228, v133
	;; [unrolled: 1-line block ×3, first 2 shown]
	v_bfe_i32 v17, v27, 16, 8
	v_mul_i32_i24_e32 v133, v94, v18
	v_add3_u32 v3, v3, v10, v8
	v_bfe_i32 v10, v25, 0, 8
	v_mov_b32_e32 v80, v41
	scratch_load_b32 v41, off, off offset:664 th:TH_LOAD_LU ; 4-byte Folded Reload
	v_lshrrev_b16 v8, 8, v28
	v_add3_u32 v3, v3, v14, v9
	v_ashrrev_i32_e32 v9, 24, v25
	v_ashrrev_i32_e32 v14, 24, v26
	v_mul_i32_i24_e32 v11, v249, v17
	v_bfe_i32 v8, v8, 0, 8
	v_add3_u32 v3, v3, v4, v12
	v_bfe_i32 v12, v25, 16, 8
	v_add_nc_u32_e32 v28, v14, v9
	v_mul_i32_i24_e32 v104, v9, v92
	v_mul_i32_i24_e32 v113, v89, v14
	v_add3_u32 v2, v3, v2, v7
	v_mul_i32_i24_e32 v99, v12, v93
	v_add3_u32 v112, v28, v19, v22
	v_mul_i32_i24_e32 v28, v10, v197
	v_lshrrev_b16 v7, 8, v27
	v_add3_u32 v0, v2, v0, v6
	v_lshrrev_b16 v6, 8, v26
	v_mul_i32_i24_e32 v4, v150, v19
	v_mul_i32_i24_e32 v3, v147, v21
	v_bfe_i32 v7, v7, 0, 8
	v_add3_u32 v44, v0, v1, v5
	v_lshrrev_b16 v5, 8, v25
	v_bfe_i32 v6, v6, 0, 8
	v_mul_i32_i24_e32 v2, v151, v8
	v_mul_i32_i24_e32 v134, v198, v7
	v_add_nc_u32_e32 v27, v15, v10
	v_bfe_i32 v5, v5, 0, 8
	v_add_nc_u32_e32 v26, v16, v12
	v_mul_i32_i24_e32 v90, v39, v221
	s_delay_alu instid0(VALU_DEP_4) | instskip(NEXT) | instid1(VALU_DEP_4)
	v_add3_u32 v27, v27, v18, v21
	v_mad_i32_i24 v28, v5, v218, v28
	v_add_nc_u32_e32 v25, v6, v5
	v_add3_u32 v26, v26, v17, v20
	s_delay_alu instid0(VALU_DEP_3) | instskip(SKIP_3) | instid1(VALU_DEP_2)
	v_add3_u32 v28, v28, v99, v104
	v_mul_i32_i24_e32 v99, v164, v15
	v_mul_i32_i24_e32 v104, v87, v6
	v_add3_u32 v25, v25, v7, v8
	v_add3_u32 v28, v28, v99, v104
	v_mul_i32_i24_e32 v99, v85, v7
	v_mul_i32_i24_e32 v104, v184, v17
	s_delay_alu instid0(VALU_DEP_3) | instskip(SKIP_1) | instid1(VALU_DEP_2)
	v_add3_u32 v28, v28, v111, v113
	v_mul_i32_i24_e32 v111, v237, v19
	v_add3_u32 v28, v28, v133, v134
	v_mul_i32_i24_e32 v134, v177, v20
	s_delay_alu instid0(VALU_DEP_2) | instskip(SKIP_2) | instid1(VALU_DEP_3)
	v_add3_u32 v4, v28, v11, v4
	v_mul_i32_i24_e32 v11, v83, v14
	v_mul_i32_i24_e32 v28, v84, v18
	v_add3_u32 v2, v4, v3, v2
	v_mul_i32_i24_e32 v3, v9, v56
	v_mul_i32_i24_e32 v4, v82, v16
	s_wait_loadcnt 0xa
	v_mul_i32_i24_e32 v1, v49, v20
	s_wait_loadcnt 0x9
	v_mul_i32_i24_e32 v0, v152, v22
	s_wait_loadcnt 0x8
	v_mul_i32_i24_e32 v113, v136, v21
	s_wait_loadcnt 0x7
	v_mul_i32_i24_e32 v133, v194, v8
	v_add3_u32 v23, v2, v1, v0
	v_mul_i32_i24_e32 v1, v10, v191
	v_mul_i32_i24_e32 v2, v12, v53
	s_delay_alu instid0(VALU_DEP_2) | instskip(NEXT) | instid1(VALU_DEP_1)
	v_mad_i32_i24 v1, v5, v186, v1
	v_add3_u32 v1, v1, v2, v3
	v_mul_i32_i24_e32 v2, v185, v15
	v_mul_i32_i24_e32 v3, v86, v6
	s_delay_alu instid0(VALU_DEP_1) | instskip(SKIP_2) | instid1(VALU_DEP_3)
	v_add3_u32 v1, v1, v2, v3
	v_mul_i32_i24_e32 v2, v12, v117
	v_mul_i32_i24_e32 v3, v9, v59
	v_add3_u32 v1, v1, v4, v11
	v_mul_i32_i24_e32 v4, v60, v16
	v_mul_i32_i24_e32 v11, v196, v14
	s_delay_alu instid0(VALU_DEP_3) | instskip(SKIP_2) | instid1(VALU_DEP_3)
	v_add3_u32 v1, v1, v28, v99
	v_mul_i32_i24_e32 v28, v77, v18
	v_mul_i32_i24_e32 v99, v78, v7
	v_add3_u32 v1, v1, v104, v111
	v_mul_i32_i24_e32 v104, v95, v17
	s_wait_loadcnt 0x6
	v_mul_i32_i24_e32 v111, v63, v19
	s_delay_alu instid0(VALU_DEP_3) | instskip(SKIP_3) | instid1(VALU_DEP_1)
	v_add3_u32 v1, v1, v113, v133
	v_mul_i32_i24_e32 v113, v46, v21
	s_wait_loadcnt 0x2
	v_mul_i32_i24_e32 v0, v110, v22
	v_add3_u32 v13, v1, v134, v0
	v_mul_i32_i24_e32 v1, v10, v24
	v_mul_i32_i24_e32 v134, v45, v20
	;; [unrolled: 1-line block ×3, first 2 shown]
	s_delay_alu instid0(VALU_DEP_3) | instskip(NEXT) | instid1(VALU_DEP_1)
	v_mad_i32_i24 v1, v5, v55, v1
	v_add3_u32 v1, v1, v2, v3
	v_mul_i32_i24_e32 v2, v116, v15
	v_mul_i32_i24_e32 v3, v79, v6
	s_delay_alu instid0(VALU_DEP_1) | instskip(SKIP_2) | instid1(VALU_DEP_3)
	v_add3_u32 v1, v1, v2, v3
	v_mul_i32_i24_e32 v3, v9, v101
	v_mul_i32_i24_e32 v9, v233, v17
	v_add3_u32 v1, v1, v4, v11
	v_mul_i32_i24_e32 v4, v107, v16
	s_wait_loadcnt 0x1
	v_mul_i32_i24_e32 v11, v181, v21
	s_wait_loadcnt 0x0
	v_mul_i32_i24_e32 v133, v41, v8
	v_mul_i32_i24_e32 v8, v182, v8
	v_add3_u32 v1, v1, v28, v99
	v_dual_mov_b32 v99, v80 :: v_dual_mov_b32 v80, v97
	v_mov_b32_e32 v97, v55
	s_delay_alu instid0(VALU_DEP_3) | instskip(SKIP_1) | instid1(VALU_DEP_4)
	v_add3_u32 v1, v1, v104, v111
	v_mov_b32_e32 v111, v76
	v_mul_i32_i24_e32 v2, v12, v99
	v_mov_b32_e32 v76, v96
	v_mov_b32_e32 v104, v29
	v_add3_u32 v1, v1, v113, v133
	v_mul_i32_i24_e32 v12, v234, v20
	v_mov_b32_e32 v96, v98
	v_bfe_i32 v98, v114, 16, 8
	v_mul_i32_i24_e32 v7, v104, v7
	v_add3_u32 v1, v1, v134, v0
	v_mul_i32_i24_e32 v0, v10, v111
	v_mul_i32_i24_e32 v10, v180, v19
	v_dual_mov_b32 v58, v98 :: v_dual_mov_b32 v113, v106
	s_delay_alu instid0(VALU_DEP_3) | instskip(SKIP_2) | instid1(VALU_DEP_3)
	v_mad_i32_i24 v0, v5, v195, v0
	v_mul_i32_i24_e32 v5, v109, v14
	v_mul_i32_i24_e32 v14, v62, v22
	v_add3_u32 v0, v0, v2, v3
	v_mul_i32_i24_e32 v2, v193, v15
	v_mul_i32_i24_e32 v3, v76, v6
	;; [unrolled: 1-line block ×3, first 2 shown]
	v_ashrrev_i32_e32 v15, 24, v127
	s_delay_alu instid0(VALU_DEP_3) | instskip(SKIP_3) | instid1(VALU_DEP_4)
	v_add3_u32 v0, v0, v2, v3
	v_mad_i32_i24 v3, v26, v212, v91
	v_mov_b32_e32 v91, v251
	v_mov_b32_e32 v251, v59
	v_add3_u32 v0, v0, v4, v5
	v_mad_i32_i24 v5, v112, v210, v42
	v_mad_i32_i24 v4, v27, v211, v90
	v_dual_mov_b32 v90, v65 :: v_dual_mov_b32 v65, v142
	s_delay_alu instid0(VALU_DEP_4) | instskip(SKIP_3) | instid1(VALU_DEP_4)
	v_add3_u32 v0, v0, v6, v7
	v_mul_i32_i24_e32 v6, v112, v170
	v_mul_i32_i24_e32 v7, v26, v169
	v_mov_b32_e32 v142, v206
	v_add3_u32 v0, v0, v9, v10
	v_bfe_i32 v10, v127, 16, 8
	s_delay_alu instid0(VALU_DEP_2) | instskip(SKIP_2) | instid1(VALU_DEP_3)
	v_add3_u32 v0, v0, v11, v8
	v_mul_i32_i24_e32 v8, v27, v102
	v_bfe_i32 v11, v126, 16, 8
	v_add3_u32 v32, v0, v12, v14
	v_mul_i32_i24_e32 v0, v25, v209
	v_mul_lo_u32 v12, v23, v236
	v_mad_i32_i24 v8, v25, v90, v8
	v_bfe_i32 v14, v114, 8, 8
	s_delay_alu instid0(VALU_DEP_4) | instskip(SKIP_1) | instid1(VALU_DEP_4)
	v_add3_u32 v0, v0, v43, v5
	v_mul_i32_i24_e32 v5, v36, v243
	v_add3_u32 v6, v8, v7, v6
	v_mul_i32_i24_e32 v8, v223, v211
	v_mad_co_u64_u32 v[16:17], null, v38, v240, v[12:13]
	v_add3_u32 v0, v4, v3, v0
	v_mul_i32_i24_e32 v4, v39, v231
	v_mul_lo_u32 v12, v13, v173
	v_mul_i32_i24_e32 v7, v213, v212
	s_delay_alu instid0(VALU_DEP_4) | instskip(SKIP_3) | instid1(VALU_DEP_4)
	v_cvt_f32_i32_e32 v0, v0
	v_cvt_f32_i32_e32 v3, v16
	v_add3_u32 v4, v6, v4, v5
	v_mul_i32_i24_e32 v6, v205, v210
	v_mul_f32_e32 v0, v66, v0
	v_mad_co_u64_u32 v[16:17], null, v37, v255, v[12:13]
	v_mov_b32_e32 v37, v34
	s_delay_alu instid0(VALU_DEP_3)
	v_fma_mix_f32 v0, v81, v3, -v0 op_sel_hi:[1,0,0]
	s_clause 0x6
	scratch_load_b32 v3, off, off offset:56
	scratch_load_b32 v9, off, off offset:388 th:TH_LOAD_LU
	scratch_load_b32 v30, off, off offset:516 th:TH_LOAD_LU
	;; [unrolled: 1-line block ×6, first 2 shown]
	s_wait_loadcnt 0x5
	v_fmac_f32_e32 v3, v9, v0
	v_mul_i32_i24_e32 v0, v35, v242
	v_mov_b32_e32 v38, v9
	s_wait_loadcnt 0x3
	v_mad_i32_i24 v8, v22, v209, v8
	scratch_store_b32 off, v3, off offset:56 ; 4-byte Folded Spill
	v_mul_i32_i24_e32 v3, v40, v245
	s_wait_loadcnt 0x0
	v_mul_i32_i24_e32 v5, v204, v219
	v_add3_u32 v6, v8, v7, v6
	v_mul_i32_i24_e32 v8, v223, v102
	v_mul_i32_i24_e32 v7, v213, v169
	v_add3_u32 v0, v4, v3, v0
	v_cvt_f32_i32_e32 v3, v16
	v_mul_i32_i24_e32 v4, v30, v221
	v_mad_i32_i24 v8, v22, v90, v8
	s_delay_alu instid0(VALU_DEP_4) | instskip(NEXT) | instid1(VALU_DEP_3)
	v_cvt_f32_i32_e32 v0, v0
	v_add3_u32 v4, v6, v4, v5
	v_mul_i32_i24_e32 v6, v205, v170
	v_mul_i32_i24_e32 v5, v204, v243
	s_delay_alu instid0(VALU_DEP_4) | instskip(NEXT) | instid1(VALU_DEP_3)
	v_mul_f32_e32 v0, v106, v0
	v_add3_u32 v6, v8, v7, v6
	v_mul_i32_i24_e32 v8, v50, v211
	s_delay_alu instid0(VALU_DEP_3)
	v_fma_mix_f32 v0, v37, v3, -v0 op_sel_hi:[1,0,0]
	scratch_load_b32 v3, off, off offset:40 ; 4-byte Folded Reload
	v_mul_i32_i24_e32 v7, v51, v212
	v_mad_i32_i24 v8, v52, v209, v8
	s_wait_loadcnt 0x0
	v_fmac_f32_e32 v3, v9, v0
	scratch_load_b32 v0, off, off offset:312 th:TH_LOAD_LU ; 4-byte Folded Reload
	v_mul_i32_i24_e32 v9, v184, v98
	scratch_store_b32 off, v3, off offset:40 ; 4-byte Folded Spill
	v_mul_i32_i24_e32 v3, v29, v230
	s_wait_loadcnt 0x0
	v_mul_lo_u32 v12, v0, v236
	v_mul_i32_i24_e32 v0, v23, v222
	s_delay_alu instid0(VALU_DEP_1) | instskip(SKIP_3) | instid1(VALU_DEP_2)
	v_add3_u32 v0, v4, v3, v0
	scratch_load_b32 v3, off, off offset:316 th:TH_LOAD_LU ; 4-byte Folded Reload
	v_mul_i32_i24_e32 v4, v30, v231
	v_cvt_f32_i32_e32 v0, v0
	v_add3_u32 v4, v6, v4, v5
	v_mul_i32_i24_e32 v6, v168, v210
	v_mul_i32_i24_e32 v5, v172, v219
	s_delay_alu instid0(VALU_DEP_4) | instskip(NEXT) | instid1(VALU_DEP_3)
	v_mul_f32_e32 v0, v66, v0
	v_add3_u32 v6, v8, v7, v6
	v_mul_i32_i24_e32 v8, v50, v102
	v_mul_i32_i24_e32 v7, v51, v169
	s_delay_alu instid0(VALU_DEP_2) | instskip(SKIP_2) | instid1(VALU_DEP_1)
	v_mad_i32_i24 v8, v52, v90, v8
	s_wait_loadcnt 0x0
	v_mad_co_u64_u32 v[16:17], null, v3, v240, v[12:13]
	v_cvt_f32_i32_e32 v3, v16
	s_delay_alu instid0(VALU_DEP_1)
	v_fma_mix_f32 v0, v81, v3, -v0 op_sel_hi:[1,0,0]
	s_clause 0x1
	scratch_load_b32 v3, off, off offset:64
	scratch_load_b32 v21, off, off offset:420 th:TH_LOAD_LU
	scratch_store_b32 off, v9, off offset:364 ; 4-byte Folded Spill
	v_ashrrev_i32_e32 v9, 24, v126
	s_clause 0x1
	scratch_load_b32 v2, off, off offset:332 th:TH_LOAD_LU
	scratch_load_b32 v19, off, off offset:132
	s_clause 0x4
	scratch_store_b32 off, v15, off offset:244
	scratch_store_b32 off, v96, off offset:284
	;; [unrolled: 1-line block ×5, first 2 shown]
	s_wait_loadcnt 0x2
	v_fmac_f32_e32 v3, v21, v0
	scratch_load_b32 v0, off, off offset:320 th:TH_LOAD_LU ; 4-byte Folded Reload
	scratch_store_b32 off, v3, off offset:64 ; 4-byte Folded Spill
	v_mul_i32_i24_e32 v3, v29, v245
	s_wait_loadcnt 0x0
	v_mul_lo_u32 v12, v0, v173
	v_mul_i32_i24_e32 v0, v23, v242
	s_delay_alu instid0(VALU_DEP_1) | instskip(SKIP_3) | instid1(VALU_DEP_2)
	v_add3_u32 v0, v4, v3, v0
	scratch_load_b32 v3, off, off offset:324 th:TH_LOAD_LU ; 4-byte Folded Reload
	v_mul_i32_i24_e32 v4, v162, v221
	v_cvt_f32_i32_e32 v0, v0
	v_add3_u32 v4, v6, v4, v5
	v_mul_i32_i24_e32 v6, v168, v170
	v_mul_i32_i24_e32 v5, v172, v243
	s_delay_alu instid0(VALU_DEP_4) | instskip(NEXT) | instid1(VALU_DEP_3)
	v_mul_f32_e32 v0, v106, v0
	v_add3_u32 v6, v8, v7, v6
	v_mul_i32_i24_e32 v8, v85, v14
	s_wait_loadcnt 0x0
	v_mad_co_u64_u32 v[16:17], null, v3, v255, v[12:13]
	s_delay_alu instid0(VALU_DEP_1) | instskip(NEXT) | instid1(VALU_DEP_1)
	v_cvt_f32_i32_e32 v3, v16
	v_fma_mix_f32 v0, v37, v3, -v0 op_sel_hi:[1,0,0]
	scratch_load_b32 v3, off, off offset:48 ; 4-byte Folded Reload
	s_wait_loadcnt 0x0
	v_fmac_f32_e32 v3, v21, v0
	scratch_load_b32 v0, off, off offset:328 th:TH_LOAD_LU ; 4-byte Folded Reload
	scratch_store_b32 off, v3, off offset:48 ; 4-byte Folded Spill
	v_mul_i32_i24_e32 v3, v179, v230
	s_wait_loadcnt 0x0
	v_mul_lo_u32 v12, v0, v236
	v_mul_i32_i24_e32 v0, v203, v222
	s_delay_alu instid0(VALU_DEP_1) | instskip(SKIP_1) | instid1(VALU_DEP_4)
	v_add3_u32 v0, v4, v3, v0
	v_mul_i32_i24_e32 v4, v162, v231
	v_mad_co_u64_u32 v[16:17], null, v2, v240, v[12:13]
	s_delay_alu instid0(VALU_DEP_3) | instskip(NEXT) | instid1(VALU_DEP_3)
	v_cvt_f32_i32_e32 v0, v0
	v_add3_u32 v4, v6, v4, v5
	v_mul_i32_i24_e32 v5, v82, v65
	v_mul_i32_i24_e32 v6, v83, v91
	v_cvt_f32_i32_e32 v3, v16
	v_mul_f32_e32 v0, v66, v0
	s_delay_alu instid0(VALU_DEP_1)
	v_fma_mix_f32 v0, v81, v3, -v0 op_sel_hi:[1,0,0]
	scratch_load_b32 v3, off, off offset:72 ; 4-byte Folded Reload
	s_wait_loadcnt 0x0
	v_fmac_f32_e32 v3, v119, v0
	scratch_load_b32 v0, off, off offset:336 th:TH_LOAD_LU ; 4-byte Folded Reload
	scratch_store_b32 off, v3, off offset:72 ; 4-byte Folded Spill
	v_mul_i32_i24_e32 v3, v179, v245
	s_wait_loadcnt 0x0
	v_mul_lo_u32 v12, v0, v173
	v_mul_i32_i24_e32 v0, v203, v242
	s_delay_alu instid0(VALU_DEP_1) | instskip(SKIP_1) | instid1(VALU_DEP_4)
	v_add3_u32 v0, v4, v3, v0
	v_mul_i32_i24_e32 v4, v75, v56
	v_mad_co_u64_u32 v[16:17], null, v123, v255, v[12:13]
	v_bfe_i32 v13, v114, 0, 8
	s_delay_alu instid0(VALU_DEP_4)
	v_cvt_f32_i32_e32 v0, v0
	v_bfe_i32 v12, v125, 16, 8
	v_bfe_i32 v17, v128, 16, 8
	scratch_store_b32 off, v11, off offset:256 ; 4-byte Folded Spill
	v_mul_i32_i24_e32 v7, v84, v13
	v_cvt_f32_i32_e32 v3, v16
	v_mul_f32_e32 v0, v106, v0
	v_ashrrev_i32_e32 v16, 24, v125
	s_clause 0x2
	scratch_store_b32 off, v65, off offset:292
	scratch_store_b32 off, v12, off offset:276
	;; [unrolled: 1-line block ×3, first 2 shown]
	v_fma_mix_f32 v0, v37, v3, -v0 op_sel_hi:[1,0,0]
	scratch_load_b32 v3, off, off offset:52 ; 4-byte Folded Reload
	v_mov_b32_e32 v56, v68
	v_mov_b32_e32 v54, v13
	v_mul_i32_i24_e32 v68, v160, v12
	v_dual_mov_b32 v123, v119 :: v_dual_mov_b32 v106, v247
	s_wait_loadcnt 0x0
	v_fmac_f32_e32 v3, v119, v0
	v_mul_i32_i24_e32 v0, v19, v191
	s_clause 0x2
	scratch_store_b32 off, v3, off offset:52
	scratch_store_b32 off, v64, off offset:288
	;; [unrolled: 1-line block ×3, first 2 shown]
	v_mul_i32_i24_e32 v3, v74, v53
	v_mad_i32_i24 v0, v69, v186, v0
	s_delay_alu instid0(VALU_DEP_1) | instskip(SKIP_2) | instid1(VALU_DEP_1)
	v_add3_u32 v0, v0, v3, v4
	v_mul_i32_i24_e32 v3, v185, v96
	v_mul_i32_i24_e32 v4, v86, v64
	v_add3_u32 v0, v0, v3, v4
	v_mul_i32_i24_e32 v3, v74, v117
	v_mul_i32_i24_e32 v4, v75, v59
	v_mov_b32_e32 v59, v216
	s_delay_alu instid0(VALU_DEP_4) | instskip(SKIP_3) | instid1(VALU_DEP_4)
	v_add3_u32 v0, v0, v5, v6
	v_mul_i32_i24_e32 v5, v60, v65
	v_mul_i32_i24_e32 v6, v196, v91
	;; [unrolled: 1-line block ×3, first 2 shown]
	v_add3_u32 v0, v0, v7, v8
	v_mul_i32_i24_e32 v7, v77, v13
	v_mul_i32_i24_e32 v8, v78, v14
	scratch_store_b32 off, v0, off offset:368 ; 4-byte Folded Spill
	v_mul_i32_i24_e32 v0, v178, v12
	scratch_store_b32 off, v0, off offset:344 ; 4-byte Folded Spill
	;; [unrolled: 2-line block ×7, first 2 shown]
	v_mul_i32_i24_e32 v0, v206, v10
	s_clause 0x1
	scratch_store_b32 off, v69, off offset:300
	scratch_store_b32 off, v0, off offset:324
	v_mul_i32_i24_e32 v0, v143, v15
	scratch_store_b32 off, v0, off offset:336 ; 4-byte Folded Spill
	v_mul_i32_i24_e32 v0, v145, v17
	scratch_store_b32 off, v75, off offset:304 ; 4-byte Folded Spill
	;; [unrolled: 2-line block ×3, first 2 shown]
	v_mul_i32_i24_e32 v0, v190, v57
	s_clause 0x1
	scratch_store_b32 off, v0, off offset:340
	scratch_store_b32 off, v73, off offset:260
	v_mul_i32_i24_e32 v0, v73, v242
	scratch_store_b32 off, v0, off offset:312 ; 4-byte Folded Spill
	v_mul_i32_i24_e32 v0, v56, v245
	scratch_store_b32 off, v0, off offset:316 ; 4-byte Folded Spill
	v_mul_i32_i24_e32 v0, v19, v24
	s_delay_alu instid0(VALU_DEP_1) | instskip(SKIP_2) | instid1(VALU_DEP_3)
	v_mad_i32_i24 v0, v69, v55, v0
	v_mul_i32_i24_e32 v69, v161, v11
	v_mov_b32_e32 v55, v14
	v_add3_u32 v0, v0, v3, v4
	v_mul_i32_i24_e32 v3, v116, v96
	v_mul_i32_i24_e32 v4, v79, v64
	;; [unrolled: 1-line block ×4, first 2 shown]
	v_dual_mov_b32 v96, v79 :: v_dual_mov_b32 v79, v60
	s_delay_alu instid0(VALU_DEP_4) | instskip(SKIP_2) | instid1(VALU_DEP_1)
	v_add3_u32 v0, v0, v3, v4
	scratch_load_b32 v4, off, off offset:372 th:TH_LOAD_LU ; 4-byte Folded Reload
	v_add3_u32 v0, v0, v5, v6
	v_add3_u32 v34, v0, v7, v8
	scratch_load_b32 v0, off, off offset:376 th:TH_LOAD_LU ; 4-byte Folded Reload
	s_wait_loadcnt 0x1
	ds_load_u16 v4, v4
	s_wait_loadcnt 0x0
	ds_load_u16 v0, v0
	s_wait_dscnt 0x1
	v_lshrrev_b16 v9, 8, v4
	s_delay_alu instid0(VALU_DEP_1) | instskip(SKIP_4) | instid1(VALU_DEP_3)
	v_and_b32_e32 v10, 0xffff, v9
	s_wait_dscnt 0x0
	v_bfe_u32 v8, v0, 4, 4
	v_lshrrev_b16 v3, 8, v0
	v_and_b32_e32 v0, 15, v0
	v_mul_lo_u32 v8, 0x1010101, v8
	s_delay_alu instid0(VALU_DEP_3) | instskip(NEXT) | instid1(VALU_DEP_3)
	v_and_b32_e32 v11, 0xffff, v3
	v_and_b32_e32 v178, 0xffff, v0
	scratch_load_b32 v0, off, off offset:416 th:TH_LOAD_LU ; 4-byte Folded Reload
	v_and_b32_e32 v3, 15, v3
	v_lshrrev_b32_e32 v11, 4, v11
	v_mul_lo_u32 v28, v1, v178
	v_bfe_i32 v5, v8, 0, 8
	v_bfe_i32 v2, v8, 8, 8
	;; [unrolled: 1-line block ×3, first 2 shown]
	v_lshrrev_b32_e32 v7, 24, v8
	v_and_b32_e32 v8, 15, v4
	v_mul_lo_u32 v11, 0x1010101, v11
	v_mul_i32_i24_e32 v17, v248, v5
	v_bfe_u32 v4, v4, 4, 4
	v_mul_i32_i24_e32 v15, v48, v7
	v_and_b32_e32 v6, 0xffff, v8
	scratch_load_b32 v8, off, off offset:652 th:TH_LOAD_LU ; 4-byte Folded Reload
	v_mul_i32_i24_e32 v16, v166, v20
	v_mad_i32_i24 v17, v235, v2, v17
	v_bfe_i32 v19, v11, 0, 8
	v_bfe_i32 v18, v11, 8, 8
	v_mul_lo_u32 v4, 0x1010101, v4
	v_lshrrev_b32_e32 v133, 24, v11
	v_add3_u32 v15, v17, v16, v15
	v_bfe_i32 v206, v11, 16, 8
	v_mul_i32_i24_e32 v14, v59, v18
	v_dual_mov_b32 v216, v5 :: v_dual_mov_b32 v31, v2
	v_and_b32_e32 v247, 0xffff, v3
	v_bfe_i32 v12, v4, 8, 8
	v_lshrrev_b32_e32 v16, 24, v4
	v_mov_b32_e32 v119, v24
	v_mul_i32_i24_e32 v1, v35, v133
	s_wait_loadcnt 0x0
	v_mul_i32_i24_e32 v13, v8, v19
	s_delay_alu instid0(VALU_DEP_1) | instskip(SKIP_3) | instid1(VALU_DEP_3)
	v_add3_u32 v42, v15, v13, v14
	v_bfe_i32 v13, v4, 0, 8
	v_bfe_i32 v14, v4, 16, 8
	v_lshrrev_b32_e32 v4, 4, v10
	v_mul_i32_i24_e32 v11, v248, v13
	scratch_load_b32 v248, off, off offset:452 th:TH_LOAD_LU ; 4-byte Folded Reload
	v_mul_lo_u32 v4, 0x1010101, v4
	v_mul_lo_u32 v33, v0, v178
	v_mul_i32_i24_e32 v10, v166, v14
	v_mad_i32_i24 v11, v235, v12, v11
	v_mov_b32_e32 v60, v13
	v_mul_i32_i24_e32 v13, v27, v216
	v_dual_mov_b32 v166, v14 :: v_dual_mov_b32 v235, v133
	v_bfe_i32 v0, v4, 0, 8
	v_bfe_i32 v5, v4, 8, 8
	v_lshrrev_b32_e32 v2, 24, v4
	v_bfe_i32 v15, v4, 16, 8
	v_mul_i32_i24_e32 v4, v48, v16
	v_mul_i32_i24_e32 v43, v8, v0
	scratch_load_b32 v8, off, off offset:456 th:TH_LOAD_LU ; 4-byte Folded Reload
	v_mad_i32_i24 v13, v25, v31, v13
	v_mad_co_u64_u32 v[133:134], null, v47, v247, v[28:29]
	v_add3_u32 v48, v11, v10, v4
	v_and_b32_e32 v4, 15, v9
	v_mul_i32_i24_e32 v10, v112, v7
	v_mul_i32_i24_e32 v11, v26, v20
	v_mul_i32_i24_e32 v9, v36, v18
	v_mov_b32_e32 v28, v2
	v_and_b32_e32 v24, 0xffff, v4
	v_mov_b32_e32 v134, v6
	v_add3_u32 v10, v13, v11, v10
	v_mul_i32_i24_e32 v11, v27, v60
	v_mul_lo_u32 v13, v32, v6
	s_delay_alu instid0(VALU_DEP_2) | instskip(SKIP_3) | instid1(VALU_DEP_1)
	v_mad_i32_i24 v11, v25, v12, v11
	v_mov_b32_e32 v25, v24
	s_wait_loadcnt 0x1
	v_lshrrev_b32_e32 v4, 16, v248
	v_cvt_f32_f16_e32 v17, v4
	v_mul_i32_i24_e32 v4, v39, v19
	s_delay_alu instid0(VALU_DEP_1)
	v_add3_u32 v4, v10, v4, v9
	v_mul_i32_i24_e32 v9, v112, v16
	v_mul_i32_i24_e32 v10, v26, v166
	v_mov_b32_e32 v112, v163
	s_wait_loadcnt 0x0
	v_lshrrev_b32_e32 v3, 16, v8
	v_dual_mov_b32 v163, v222 :: v_dual_mov_b32 v222, v212
	v_add3_u32 v9, v11, v10, v9
	v_mul_i32_i24_e32 v10, v205, v7
	s_delay_alu instid0(VALU_DEP_4) | instskip(SKIP_2) | instid1(VALU_DEP_3)
	v_cvt_f32_f16_e32 v14, v3
	v_mul_i32_i24_e32 v3, v40, v206
	v_mul_i32_i24_e32 v11, v213, v20
	v_mov_b32_e32 v24, v14
	s_delay_alu instid0(VALU_DEP_3)
	v_add3_u32 v1, v4, v3, v1
	v_cvt_f32_i32_e32 v3, v133
	v_mov_b32_e32 v133, v15
	v_mul_i32_i24_e32 v4, v36, v5
	v_mov_b32_e32 v15, v166
	v_cvt_f32_i32_e32 v1, v1
	s_delay_alu instid0(VALU_DEP_4) | instskip(NEXT) | instid1(VALU_DEP_2)
	v_mul_i32_i24_e32 v2, v40, v133
	v_dual_mov_b32 v40, v216 :: v_dual_mul_f32 v1, v17, v1
	s_delay_alu instid0(VALU_DEP_1)
	v_fma_mix_f32 v1, v248, v3, -v1 op_sel_hi:[1,0,0]
	scratch_load_b32 v3, off, off offset:16 ; 4-byte Folded Reload
	s_wait_loadcnt 0x0
	v_fmac_f32_e32 v3, v38, v1
	scratch_store_b32 off, v54, off offset:360 ; 4-byte Folded Spill
	v_mul_i32_i24_e32 v1, v35, v28
	scratch_store_b32 off, v3, off offset:16 ; 4-byte Folded Spill
	v_mul_i32_i24_e32 v3, v39, v0
	s_delay_alu instid0(VALU_DEP_1) | instskip(SKIP_2) | instid1(VALU_DEP_3)
	v_add3_u32 v3, v9, v3, v4
	v_mul_i32_i24_e32 v4, v30, v19
	v_mul_i32_i24_e32 v9, v204, v18
	v_add3_u32 v3, v3, v2, v1
	v_mad_co_u64_u32 v[1:2], null, v44, v25, v[13:14]
	v_mov_b32_e32 v14, v8
	v_mul_i32_i24_e32 v13, v223, v216
	s_delay_alu instid0(VALU_DEP_4) | instskip(SKIP_1) | instid1(VALU_DEP_4)
	v_cvt_f32_i32_e32 v2, v3
	v_mul_i32_i24_e32 v3, v29, v206
	v_dual_mov_b32 v8, v12 :: v_dual_mov_b32 v35, v14
	v_cvt_f32_i32_e32 v1, v1
	s_delay_alu instid0(VALU_DEP_4) | instskip(SKIP_1) | instid1(VALU_DEP_2)
	v_mul_f32_e32 v2, v24, v2
	v_mad_i32_i24 v13, v22, v31, v13
	v_fma_mix_f32 v1, v14, v1, -v2 op_sel_hi:[1,0,0]
	scratch_load_b32 v2, off, off           ; 4-byte Folded Reload
	v_add3_u32 v10, v13, v11, v10
	v_mul_i32_i24_e32 v13, v223, v60
	v_mul_i32_i24_e32 v11, v213, v166
	v_bfe_i32 v213, v125, 8, 8
	v_bfe_i32 v223, v115, 16, 8
	v_add3_u32 v4, v10, v4, v9
	v_mul_i32_i24_e32 v10, v205, v16
	v_mad_i32_i24 v13, v22, v12, v13
	v_mul_i32_i24_e32 v9, v204, v5
	v_bfe_i32 v205, v125, 0, 8
	v_bfe_i32 v125, v126, 0, 8
	v_mov_b32_e32 v166, v188
	v_add3_u32 v10, v13, v11, v10
	v_mul_i32_i24_e32 v13, v50, v216
	v_mul_i32_i24_e32 v11, v51, v20
	v_dual_mov_b32 v216, v113 :: v_dual_mov_b32 v113, v176
	s_delay_alu instid0(VALU_DEP_3)
	v_mad_i32_i24 v13, v52, v31, v13
	s_wait_loadcnt 0x0
	v_fmac_f32_e32 v2, v38, v1
	scratch_load_b32 v1, off, off offset:392 th:TH_LOAD_LU ; 4-byte Folded Reload
	scratch_store_b32 off, v56, off offset:264 ; 4-byte Folded Spill
	v_mov_b32_e32 v38, v24
	scratch_store_b32 off, v2, off          ; 4-byte Folded Spill
	v_mul_i32_i24_e32 v2, v23, v235
	s_delay_alu instid0(VALU_DEP_1) | instskip(SKIP_2) | instid1(VALU_DEP_1)
	v_add3_u32 v3, v4, v3, v2
	scratch_load_b32 v2, off, off offset:404 th:TH_LOAD_LU ; 4-byte Folded Reload
	v_mul_i32_i24_e32 v4, v30, v0
	v_add3_u32 v4, v10, v4, v9
	v_mul_i32_i24_e32 v10, v168, v7
	v_mul_i32_i24_e32 v9, v172, v18
	s_delay_alu instid0(VALU_DEP_2) | instskip(SKIP_2) | instid1(VALU_DEP_2)
	v_add3_u32 v10, v13, v11, v10
	v_mul_i32_i24_e32 v13, v50, v60
	v_mul_i32_i24_e32 v11, v51, v15
	v_mad_i32_i24 v13, v52, v8, v13
	v_mov_b32_e32 v52, v25
	s_wait_loadcnt 0x1
	v_mul_lo_u32 v1, v1, v178
	s_wait_loadcnt 0x0
	s_delay_alu instid0(VALU_DEP_1) | instskip(SKIP_3) | instid1(VALU_DEP_3)
	v_mad_co_u64_u32 v[1:2], null, v2, v247, v[1:2]
	v_cvt_f32_i32_e32 v2, v3
	v_mul_i32_i24_e32 v3, v29, v133
	v_bfe_i32 v29, v115, 8, 8
	v_mul_f32_e32 v2, v17, v2
	v_cvt_f32_i32_e32 v1, v1
	s_delay_alu instid0(VALU_DEP_1)
	v_fma_mix_f32 v1, v248, v1, -v2 op_sel_hi:[1,0,0]
	scratch_load_b32 v2, off, off offset:24 ; 4-byte Folded Reload
	s_wait_loadcnt 0x0
	v_fmac_f32_e32 v2, v21, v1
	scratch_load_b32 v1, off, off offset:408 th:TH_LOAD_LU ; 4-byte Folded Reload
	scratch_store_b32 off, v2, off offset:24 ; 4-byte Folded Spill
	v_mul_i32_i24_e32 v2, v23, v28
	v_mov_b32_e32 v23, v20
	v_mul_i32_i24_e32 v20, v100, v200
	s_delay_alu instid0(VALU_DEP_3) | instskip(SKIP_2) | instid1(VALU_DEP_1)
	v_add3_u32 v3, v4, v3, v2
	scratch_load_b32 v2, off, off offset:412 th:TH_LOAD_LU ; 4-byte Folded Reload
	v_mul_i32_i24_e32 v4, v162, v19
	v_add3_u32 v4, v10, v4, v9
	v_mul_i32_i24_e32 v10, v168, v16
	v_dual_mov_b32 v168, v81 :: v_dual_mov_b32 v81, v253
	s_delay_alu instid0(VALU_DEP_2)
	v_add3_u32 v10, v13, v11, v10
	s_wait_loadcnt 0x1
	v_mul_lo_u32 v1, v1, v6
	v_mov_b32_e32 v6, v28
	v_mov_b32_e32 v28, v235
	s_wait_loadcnt 0x0
	s_delay_alu instid0(VALU_DEP_3) | instskip(SKIP_2) | instid1(VALU_DEP_2)
	v_mad_co_u64_u32 v[1:2], null, v2, v25, v[1:2]
	v_cvt_f32_i32_e32 v2, v3
	v_mul_i32_i24_e32 v3, v179, v206
	v_mul_f32_e32 v2, v24, v2
	s_delay_alu instid0(VALU_DEP_4) | instskip(NEXT) | instid1(VALU_DEP_1)
	v_cvt_f32_i32_e32 v1, v1
	v_fma_mix_f32 v1, v14, v1, -v2 op_sel_hi:[1,0,0]
	scratch_load_b32 v2, off, off offset:8  ; 4-byte Folded Reload
	s_wait_loadcnt 0x0
	v_fmac_f32_e32 v2, v21, v1
	scratch_load_b32 v1, off, off offset:524 th:TH_LOAD_LU ; 4-byte Folded Reload
	scratch_store_b32 off, v58, off offset:352 ; 4-byte Folded Spill
	v_mov_b32_e32 v21, v19
	v_mov_b32_e32 v19, v18
	scratch_store_b32 off, v2, off offset:8 ; 4-byte Folded Spill
	v_mul_i32_i24_e32 v2, v203, v235
	v_dual_mov_b32 v235, v31 :: v_dual_mov_b32 v204, v5
	v_bfe_i32 v5, v126, 8, 8
	v_mov_b32_e32 v18, v8
	s_delay_alu instid0(VALU_DEP_4)
	v_add3_u32 v3, v4, v3, v2
	scratch_load_b32 v2, off, off offset:528 th:TH_LOAD_LU ; 4-byte Folded Reload
	v_mul_i32_i24_e32 v4, v162, v0
	v_mov_b32_e32 v162, v0
	v_mul_i32_i24_e32 v9, v172, v204
	v_mov_b32_e32 v172, v250
	v_mov_b32_e32 v250, v230
	scratch_load_b32 v0, off, off offset:540 th:TH_LOAD_LU ; 4-byte Folded Reload
	v_add3_u32 v4, v10, v4, v9
	v_dual_mov_b32 v9, v110 :: v_dual_mov_b32 v110, v35
	v_mov_b32_e32 v30, v66
	s_wait_loadcnt 0x2
	v_mul_lo_u32 v1, v1, v178
	s_wait_loadcnt 0x1
	s_delay_alu instid0(VALU_DEP_1) | instskip(SKIP_3) | instid1(VALU_DEP_3)
	v_mad_co_u64_u32 v[1:2], null, v2, v247, v[1:2]
	v_cvt_f32_i32_e32 v2, v3
	v_mul_i32_i24_e32 v3, v179, v133
	v_bfe_i32 v179, v115, 0, 8
	v_mul_f32_e32 v2, v17, v2
	v_cvt_f32_i32_e32 v1, v1
	s_delay_alu instid0(VALU_DEP_1)
	v_fma_mix_f32 v1, v248, v1, -v2 op_sel_hi:[1,0,0]
	scratch_load_b32 v2, off, off offset:32 ; 4-byte Folded Reload
	s_wait_loadcnt 0x0
	v_fmac_f32_e32 v2, v123, v1
	scratch_load_b32 v1, off, off offset:532 th:TH_LOAD_LU ; 4-byte Folded Reload
	scratch_store_b32 off, v2, off offset:32 ; 4-byte Folded Spill
	v_mul_i32_i24_e32 v2, v203, v6
	s_delay_alu instid0(VALU_DEP_1) | instskip(SKIP_1) | instid1(VALU_DEP_1)
	v_add3_u32 v3, v4, v3, v2
                                        ; kill: def $vgpr2 killed $sgpr0 killed $exec
	v_bfe_i32 v4, v127, 8, 8
	v_mov_b32_e32 v8, v4
	s_delay_alu instid0(VALU_DEP_1) | instskip(SKIP_2) | instid1(VALU_DEP_1)
	v_mul_i32_i24_e32 v26, v220, v8
	s_wait_loadcnt 0x0
	v_mul_lo_u32 v1, v1, v134
	v_mad_co_u64_u32 v[1:2], null, v0, v25, v[1:2]
	v_cvt_f32_i32_e32 v2, v3
	v_bfe_i32 v0, v127, 0, 8
	v_ashrrev_i32_e32 v25, 24, v114
	v_bfe_i32 v3, v128, 8, 8
	v_mov_b32_e32 v114, v67
	v_mul_f32_e32 v2, v24, v2
	v_cvt_f32_i32_e32 v1, v1
	s_delay_alu instid0(VALU_DEP_4) | instskip(SKIP_1) | instid1(VALU_DEP_3)
	v_dual_mov_b32 v127, v0 :: v_dual_mov_b32 v10, v3
	v_mul_i32_i24_e32 v24, v9, v171
	v_fma_mix_f32 v1, v14, v1, -v2 op_sel_hi:[1,0,0]
	scratch_load_b32 v2, off, off offset:12 ; 4-byte Folded Reload
	v_ashrrev_i32_e32 v14, 24, v115
	v_mov_b32_e32 v115, v183
	v_mov_b32_e32 v183, v61
	s_delay_alu instid0(VALU_DEP_3)
	v_mul_i32_i24_e32 v13, v152, v14
	s_wait_loadcnt 0x0
	v_fmac_f32_e32 v2, v123, v1
	scratch_store_b32 off, v55, off offset:356 ; 4-byte Folded Spill
	v_add_nc_u32_e32 v1, v125, v205
	v_mov_b32_e32 v123, v21
	scratch_store_b32 off, v2, off offset:12 ; 4-byte Folded Spill
	v_bfe_i32 v2, v128, 0, 8
	v_mov_b32_e32 v128, v5
	s_delay_alu instid0(VALU_DEP_2)
	v_add3_u32 v32, v1, v0, v2
	scratch_load_b32 v0, off, off offset:600 th:TH_LOAD_LU ; 4-byte Folded Reload
	v_add_nc_u32_e32 v1, v5, v213
	v_mov_b32_e32 v31, v2
	v_mul_i32_i24_e32 v2, v147, v179
	v_mov_b32_e32 v44, v32
	s_delay_alu instid0(VALU_DEP_4)
	v_add3_u32 v50, v1, v4, v3
	v_mul_i32_i24_e32 v1, v150, v25
	v_mul_i32_i24_e32 v3, v151, v29
	;; [unrolled: 1-line block ×4, first 2 shown]
	s_wait_loadcnt 0x0
	v_add3_u32 v51, v0, v25, v14
	scratch_load_b32 v0, off, off offset:604 th:TH_LOAD_LU ; 4-byte Folded Reload
	s_wait_loadcnt 0x0
	v_add3_u32 v47, v0, v58, v223
	scratch_load_b32 v0, off, off offset:608 th:TH_LOAD_LU ; 4-byte Folded Reload
	v_mov_b32_e32 v58, v46
	s_wait_loadcnt 0x0
	v_add3_u32 v36, v0, v55, v29
	scratch_load_b32 v0, off, off offset:612 th:TH_LOAD_LU ; 4-byte Folded Reload
	v_mov_b32_e32 v55, v63
	v_mov_b32_e32 v63, v102
	v_dual_mov_b32 v203, v6 :: v_dual_mov_b32 v102, v232
	s_delay_alu instid0(VALU_DEP_1)
	v_mov_b32_e32 v66, v203
	s_wait_loadcnt 0x0
	v_add3_u32 v39, v0, v54, v179
	s_clause 0x1
	scratch_load_b32 v0, off, off offset:624 th:TH_LOAD_LU
	scratch_load_b32 v5, off, off offset:628 th:TH_LOAD_LU
	v_mov_b32_e32 v54, v8
	v_mov_b32_e32 v8, v31
	v_mul_i32_i24_e32 v31, v226, v10
	s_delay_alu instid0(VALU_DEP_3) | instskip(SKIP_2) | instid1(VALU_DEP_1)
	v_mul_i32_i24_e32 v6, v114, v54
	s_wait_loadcnt 0x0
	v_add3_u32 v1, v5, v0, v1
	v_add3_u32 v1, v1, v2, v3
	s_clause 0x1
	scratch_load_b32 v2, off, off offset:476 th:TH_LOAD_LU
	scratch_load_b32 v3, off, off offset:480 th:TH_LOAD_LU
	v_add3_u32 v1, v1, v4, v13
	s_clause 0x1
	scratch_load_b32 v0, off, off offset:616 th:TH_LOAD_LU
	scratch_load_b32 v4, off, off offset:620 th:TH_LOAD_LU
	v_mul_i32_i24_e32 v13, v202, v128
	s_clause 0x2
	scratch_store_b32 off, v54, off offset:436
	scratch_store_b32 off, v8, off offset:420
	;; [unrolled: 1-line block ×3, first 2 shown]
	v_mul_lo_u32 v1, v1, v236
	s_wait_loadcnt 0x2
	v_add3_u32 v2, v3, v2, v24
	v_mul_i32_i24_e32 v3, v199, v205
	v_mul_i32_i24_e32 v24, v217, v127
	s_delay_alu instid0(VALU_DEP_3) | instskip(NEXT) | instid1(VALU_DEP_3)
	v_mul_lo_u32 v2, v2, v173
	v_mad_i32_i24 v3, v192, v213, v3
	s_wait_loadcnt 0x0
	s_delay_alu instid0(VALU_DEP_1) | instskip(SKIP_1) | instid1(VALU_DEP_1)
	v_add3_u32 v3, v3, v0, v4
	v_mul_i32_i24_e32 v4, v201, v125
	v_add3_u32 v3, v3, v4, v13
	s_clause 0x1
	scratch_load_b32 v0, off, off offset:572 th:TH_LOAD_LU
	scratch_load_b32 v4, off, off offset:588 th:TH_LOAD_LU
	v_mul_i32_i24_e32 v13, v32, v221
	v_mul_i32_i24_e32 v32, v39, v211
	s_delay_alu instid0(VALU_DEP_1)
	v_mad_i32_i24 v32, v36, v209, v32
	s_wait_loadcnt 0x0
	v_add3_u32 v3, v3, v0, v4
	s_clause 0x1
	scratch_load_b32 v0, off, off offset:576 th:TH_LOAD_LU
	scratch_load_b32 v4, off, off offset:592 th:TH_LOAD_LU
	v_add3_u32 v3, v3, v24, v26
	v_mul_i32_i24_e32 v24, v50, v219
	s_wait_loadcnt 0x0
	s_delay_alu instid0(VALU_DEP_2)
	v_add3_u32 v3, v3, v0, v4
	s_clause 0x1
	scratch_load_b32 v0, off, off offset:580 th:TH_LOAD_LU
	scratch_load_b32 v4, off, off offset:596 th:TH_LOAD_LU
	v_add3_u32 v3, v3, v27, v31
	v_mul_i32_i24_e32 v27, v51, v210
	v_mul_i32_i24_e32 v31, v47, v212
	s_delay_alu instid0(VALU_DEP_1) | instskip(SKIP_2) | instid1(VALU_DEP_3)
	v_add3_u32 v27, v32, v31, v27
	v_ashrrev_i32_e32 v31, 24, v138
	v_bfe_i32 v32, v139, 0, 8
	v_add3_u32 v13, v27, v13, v24
	v_dual_mov_b32 v27, v214 :: v_dual_mov_b32 v214, v151
	s_delay_alu instid0(VALU_DEP_3) | instskip(NEXT) | instid1(VALU_DEP_2)
	v_mul_i32_i24_e32 v67, v217, v32
	v_mov_b32_e32 v176, v27
	s_wait_loadcnt 0x0
	v_add3_u32 v4, v3, v0, v4
	s_clause 0x2
	scratch_load_b32 v3, off, off offset:380 th:TH_LOAD_LU
	scratch_load_b32 v11, off, off offset:384 th:TH_LOAD_LU
	scratch_load_b32 v0, off, off offset:584 th:TH_LOAD_LU
	s_clause 0x5
	scratch_store_b32 off, v44, off offset:408
	scratch_store_b32 off, v50, off offset:404
	;; [unrolled: 1-line block ×6, first 2 shown]
	s_wait_loadcnt 0x0
	v_add3_u32 v3, v11, v3, v0
	s_clause 0x1
	scratch_load_b32 v0, off, off offset:544 th:TH_LOAD_LU
	scratch_load_b32 v5, off, off offset:548 th:TH_LOAD_LU
	v_mov_b32_e32 v11, v59
	v_dual_mov_b32 v59, v41 :: v_dual_mov_b32 v22, v7
	v_mad_co_u64_u32 v[2:3], null, v3, v255, v[2:3]
	s_delay_alu instid0(VALU_DEP_3)
	v_mul_i32_i24_e32 v26, v11, v243
	v_mul_i32_i24_e32 v21, v11, v204
	v_dual_mov_b32 v11, v152 :: v_dual_mov_b32 v12, v60
	v_mov_b32_e32 v60, v45
	v_mul_i32_i24_e32 v7, v115, v8
	v_mad_co_u64_u32 v[3:4], null, v4, v240, v[1:2]
	v_cvt_f32_i32_e32 v2, v2
	v_add3_u32 v21, v48, v43, v21
	v_ashrrev_i32_e32 v43, 24, v140
	v_bfe_i32 v41, v140, 8, 8
	v_cvt_f32_i32_e32 v1, v3
	s_wait_loadcnt 0x0
	v_add3_u32 v26, v5, v0, v26
	s_clause 0x1
	scratch_load_b32 v0, off, off offset:560 th:TH_LOAD_LU
	scratch_load_b32 v5, off, off offset:568 th:TH_LOAD_LU
	s_wait_loadcnt 0x0
	v_add3_u32 v13, v13, v5, v0
	s_clause 0x1
	scratch_load_b32 v0, off, off offset:556 th:TH_LOAD_LU
	scratch_load_b32 v5, off, off offset:564 th:TH_LOAD_LU
	v_cvt_f32_i32_e32 v4, v13
	v_mul_i32_i24_e32 v13, v62, v171
	v_mov_b32_e32 v171, v40
	v_bfe_i32 v40, v140, 0, 8
	s_delay_alu instid0(VALU_DEP_4) | instskip(NEXT) | instid1(VALU_DEP_1)
	v_mul_f32_e32 v4, v30, v4
	v_fma_mix_f32 v1, v168, v1, -v4 op_sel_hi:[1,0,0]
	v_mul_i32_i24_e32 v4, v61, v14
	scratch_store_b32 off, v1, off offset:392 ; 4-byte Folded Spill
	v_mul_i32_i24_e32 v1, v129, v28
	s_wait_loadcnt 0x0
	v_add3_u32 v24, v26, v5, v0
	scratch_load_b32 v0, off, off offset:552 th:TH_LOAD_LU ; 4-byte Folded Reload
	v_mul_i32_i24_e32 v5, v113, v127
	v_bfe_i32 v26, v138, 16, 8
	v_cvt_f32_i32_e32 v3, v24
	v_mul_i32_i24_e32 v24, v121, v57
	s_delay_alu instid0(VALU_DEP_2) | instskip(NEXT) | instid1(VALU_DEP_1)
	v_mul_f32_e32 v3, v216, v3
	v_fma_mix_f32 v2, v37, v2, -v3 op_sel_hi:[1,0,0]
	v_mul_i32_i24_e32 v3, v60, v223
	scratch_store_b32 off, v2, off offset:388 ; 4-byte Folded Spill
	v_mul_i32_i24_e32 v2, v108, v206
	s_delay_alu instid0(VALU_DEP_1)
	v_add3_u32 v2, v42, v2, v1
	v_bfe_i32 v42, v140, 16, 8
	v_mov_b32_e32 v140, v167
	s_wait_loadcnt 0x0
	v_mad_co_u64_u32 v[0:1], null, v0, v247, v[33:34]
	v_cvt_f32_i32_e32 v1, v2
	v_mul_i32_i24_e32 v2, v59, v29
	v_mov_b32_e32 v33, v219
	s_delay_alu instid0(VALU_DEP_3) | instskip(SKIP_1) | instid1(VALU_DEP_1)
	v_mul_f32_e32 v1, v17, v1
	v_cvt_f32_i32_e32 v0, v0
	v_fma_mix_f32 v0, v248, v0, -v1 op_sel_hi:[1,0,0]
	scratch_load_b32 v1, off, off offset:4  ; 4-byte Folded Reload
	s_wait_loadcnt 0x0
	v_fmac_f32_e32 v1, v72, v0
	v_mul_i32_i24_e32 v0, v55, v25
	v_mov_b32_e32 v72, v22
	scratch_store_b32 off, v1, off offset:4 ; 4-byte Folded Spill
	v_mul_i32_i24_e32 v1, v58, v179
	v_add3_u32 v0, v34, v64, v0
	v_mov_b32_e32 v34, v23
	v_mul_i32_i24_e32 v22, v51, v72
	s_delay_alu instid0(VALU_DEP_3)
	v_add3_u32 v0, v0, v1, v2
	s_clause 0x1
	scratch_load_b32 v1, off, off offset:468 th:TH_LOAD_LU
	scratch_load_b32 v2, off, off offset:472 th:TH_LOAD_LU
	v_mul_i32_i24_e32 v23, v47, v34
	v_add3_u32 v0, v0, v3, v4
	v_mul_i32_i24_e32 v3, v105, v125
	v_mul_i32_i24_e32 v4, v112, v128
	s_wait_loadcnt 0x0
	v_add3_u32 v1, v2, v1, v13
	v_mul_i32_i24_e32 v2, v149, v205
	v_mul_i32_i24_e32 v13, v120, v10
	s_delay_alu instid0(VALU_DEP_2) | instskip(NEXT) | instid1(VALU_DEP_1)
	v_mad_i32_i24 v2, v27, v213, v2
	v_add3_u32 v2, v2, v68, v65
	s_delay_alu instid0(VALU_DEP_1) | instskip(NEXT) | instid1(VALU_DEP_1)
	v_add3_u32 v2, v2, v3, v4
	v_add3_u32 v2, v2, v69, v91
	v_mul_i32_i24_e32 v91, v81, v43
	s_delay_alu instid0(VALU_DEP_2)
	v_add3_u32 v2, v2, v5, v6
	v_mul_i32_i24_e32 v5, v73, v28
	v_mul_i32_i24_e32 v6, v108, v133
	v_mov_b32_e32 v108, v38
	v_mul_i32_i24_e32 v73, v226, v41
	v_add3_u32 v2, v2, v75, v74
	v_mov_b32_e32 v75, v246
	v_mul_lo_u32 v1, v1, v134
	v_mul_i32_i24_e32 v74, v227, v42
	v_mov_b32_e32 v246, v100
	v_add3_u32 v2, v2, v7, v13
	v_mul_i32_i24_e32 v13, v44, v123
	v_mul_i32_i24_e32 v7, v56, v206
	s_delay_alu instid0(VALU_DEP_3)
	v_add3_u32 v3, v2, v98, v24
	s_clause 0x1
	scratch_load_b32 v2, off, off offset:444 th:TH_LOAD_LU
	scratch_load_b32 v4, off, off offset:448 th:TH_LOAD_LU
	v_mul_i32_i24_e32 v24, v39, v171
	v_ashrrev_i32_e32 v39, 24, v139
	s_wait_loadcnt 0x0
	v_add3_u32 v2, v4, v2, v20
	v_mul_i32_i24_e32 v4, v129, v203
	v_mov_b32_e32 v129, v52
	v_mul_lo_u32 v0, v0, v178
	v_mul_i32_i24_e32 v20, v50, v19
	v_mad_co_u64_u32 v[1:2], null, v2, v52, v[1:2]
	v_mov_b32_e32 v52, v237
	v_mov_b32_e32 v200, v235
	v_add3_u32 v4, v21, v6, v4
	v_bfe_i32 v21, v137, 16, 8
	v_bfe_i32 v6, v71, 16, 8
	v_mov_b32_e32 v203, v249
	v_mad_i32_i24 v24, v36, v200, v24
	v_mad_co_u64_u32 v[2:3], null, v3, v247, v[0:1]
	v_cvt_f32_i32_e32 v1, v1
	v_mul_i32_i24_e32 v64, v49, v6
	s_delay_alu instid0(VALU_DEP_4)
	v_add3_u32 v22, v24, v23, v22
	v_bfe_i32 v23, v138, 0, 8
	v_bfe_i32 v24, v138, 8, 8
	v_mov_b32_e32 v237, v90
	v_cvt_f32_i32_e32 v0, v2
	v_add3_u32 v13, v22, v13, v20
	v_cvt_f32_i32_e32 v2, v4
	v_ashrrev_i32_e32 v22, 24, v137
	v_bfe_i32 v20, v137, 8, 8
	v_bfe_i32 v4, v71, 0, 8
	v_add3_u32 v5, v13, v7, v5
	v_mul_f32_e32 v2, v38, v2
	v_bfe_i32 v13, v137, 0, 8
	v_bfe_i32 v38, v139, 16, 8
	v_ashrrev_i32_e32 v7, 24, v71
	v_cvt_f32_i32_e32 v3, v5
	v_fma_mix_f32 v1, v35, v1, -v2 op_sel_hi:[1,0,0]
	v_bfe_i32 v35, v139, 8, 8
	v_mov_b32_e32 v139, v160
	v_bfe_i32 v2, v70, 16, 8
	v_mul_f32_e32 v3, v17, v3
	v_bfe_i32 v5, v71, 8, 8
	v_mul_i32_i24_e32 v56, v147, v4
	v_mul_i32_i24_e32 v65, v152, v7
	;; [unrolled: 1-line block ×3, first 2 shown]
	v_fma_mix_f32 v0, v248, v0, -v3 op_sel_hi:[1,0,0]
	scratch_store_b32 off, v1, off offset:380 ; 4-byte Folded Spill
	v_ashrrev_i32_e32 v3, 24, v70
	v_mul_i32_i24_e32 v57, v151, v5
	v_mov_b32_e32 v151, v154
	scratch_store_b32 off, v0, off offset:384 ; 4-byte Folded Spill
	v_add_nc_u32_e32 v0, v31, v22
	v_mul_i32_i24_e32 v1, v150, v3
	v_mul_i32_i24_e32 v70, v187, v39
	;; [unrolled: 1-line block ×4, first 2 shown]
	v_add3_u32 v44, v0, v39, v43
	v_add_nc_u32_e32 v0, v26, v21
	v_dual_mov_b32 v138, v161 :: v_dual_mov_b32 v161, v114
	v_dual_mov_b32 v90, v215 :: v_dual_mov_b32 v215, v162
	s_delay_alu instid0(VALU_DEP_3)
	v_add3_u32 v45, v0, v38, v42
	v_add_nc_u32_e32 v0, v23, v13
	v_mov_b32_e32 v162, v108
	v_mov_b32_e32 v154, v189
	;; [unrolled: 1-line block ×4, first 2 shown]
	v_add3_u32 v46, v0, v32, v40
	v_add_nc_u32_e32 v0, v24, v20
	v_mov_b32_e32 v156, v208
	v_dual_mov_b32 v244, v149 :: v_dual_mov_b32 v253, v129
	v_mov_b32_e32 v189, v135
	s_delay_alu instid0(VALU_DEP_4)
	v_add3_u32 v47, v0, v35, v41
	scratch_load_b32 v0, off, off offset:496 th:TH_LOAD_LU ; 4-byte Folded Reload
	v_mov_b32_e32 v167, v203
	v_dual_mov_b32 v249, v49 :: v_dual_mov_b32 v188, v115
	v_mov_b32_e32 v208, v34
	s_wait_loadcnt 0x0
	v_add3_u32 v48, v0, v3, v7
	scratch_load_b32 v0, off, off offset:500 th:TH_LOAD_LU ; 4-byte Folded Reload
	s_wait_loadcnt 0x0
	v_add3_u32 v50, v0, v2, v6
	scratch_load_b32 v0, off, off offset:504 th:TH_LOAD_LU ; 4-byte Folded Reload
	s_wait_loadcnt 0x0
	v_add3_u32 v51, v0, v146, v5
	s_clause 0x2
	scratch_load_b32 v126, off, off offset:88
	scratch_load_b32 v0, off, off offset:508 th:TH_LOAD_LU
	scratch_load_b32 v8, off, off offset:520 th:TH_LOAD_LU
	v_mov_b32_e32 v146, v221
	s_wait_loadcnt 0x1
	v_add3_u32 v54, v0, v148, v4
	v_mul_i32_i24_e32 v0, v203, v2
	s_wait_loadcnt 0x0
	s_delay_alu instid0(VALU_DEP_1)
	v_add3_u32 v0, v8, v0, v1
	v_mul_i32_i24_e32 v1, v199, v13
	scratch_load_b32 v8, off, off offset:492 th:TH_LOAD_LU ; 4-byte Folded Reload
	v_add3_u32 v0, v0, v56, v57
	v_mul_i32_i24_e32 v56, v124, v21
	v_mul_i32_i24_e32 v57, v165, v22
	v_mad_i32_i24 v1, v192, v20, v1
	s_delay_alu instid0(VALU_DEP_4) | instskip(SKIP_2) | instid1(VALU_DEP_4)
	v_add3_u32 v0, v0, v64, v65
	v_mul_i32_i24_e32 v64, v166, v26
	v_mul_i32_i24_e32 v65, v172, v31
	v_add3_u32 v1, v1, v56, v57
	v_mul_i32_i24_e32 v56, v201, v23
	v_mul_i32_i24_e32 v57, v202, v24
	v_mul_lo_u32 v0, v0, v236
	s_delay_alu instid0(VALU_DEP_2) | instskip(SKIP_2) | instid1(VALU_DEP_3)
	v_add3_u32 v1, v1, v56, v57
	v_mul_i32_i24_e32 v56, v44, v163
	v_mul_i32_i24_e32 v57, v45, v250
	v_add3_u32 v1, v1, v64, v65
	v_mul_i32_i24_e32 v64, v46, v221
	v_mul_i32_i24_e32 v65, v47, v219
	v_mov_b32_e32 v219, v210
	v_mov_b32_e32 v221, v211
	v_add3_u32 v1, v1, v67, v68
	v_mul_i32_i24_e32 v67, v48, v210
	v_mul_i32_i24_e32 v68, v50, v212
	v_mov_b32_e32 v210, v173
	s_delay_alu instid0(VALU_DEP_4) | instskip(SKIP_3) | instid1(VALU_DEP_4)
	v_add3_u32 v1, v1, v69, v70
	v_mul_i32_i24_e32 v69, v54, v211
	v_mul_i32_i24_e32 v70, v143, v39
	v_mov_b32_e32 v211, v209
	v_add3_u32 v1, v1, v71, v73
	s_delay_alu instid0(VALU_DEP_4)
	v_mad_i32_i24 v69, v51, v209, v69
	v_mul_i32_i24_e32 v71, v157, v40
	v_mul_i32_i24_e32 v73, v158, v41
	v_mov_b32_e32 v209, v59
	v_add3_u32 v1, v1, v74, v91
	v_add3_u32 v67, v69, v68, v67
	v_mul_i32_i24_e32 v68, v156, v35
	v_mul_i32_i24_e32 v69, v142, v38
	;; [unrolled: 1-line block ×3, first 2 shown]
	v_mad_co_u64_u32 v[0:1], null, v1, v240, v[0:1]
	v_add3_u32 v64, v67, v64, v65
	v_mul_i32_i24_e32 v65, v9, v7
	v_mul_i32_i24_e32 v67, v155, v32
	;; [unrolled: 1-line block ×3, first 2 shown]
	s_delay_alu instid0(VALU_DEP_4) | instskip(SKIP_3) | instid1(VALU_DEP_4)
	v_add3_u32 v56, v64, v57, v56
	v_cvt_f32_i32_e32 v0, v0
	v_mul_i32_i24_e32 v57, v194, v5
	v_mul_i32_i24_e32 v64, v177, v6
	v_cvt_f32_i32_e32 v1, v56
	v_mul_i32_i24_e32 v56, v136, v4
	s_delay_alu instid0(VALU_DEP_2) | instskip(NEXT) | instid1(VALU_DEP_1)
	v_mul_f32_e32 v1, v30, v1
	v_fma_mix_f32 v0, v168, v0, -v1 op_sel_hi:[1,0,0]
	scratch_load_b32 v1, off, off offset:84 ; 4-byte Folded Reload
	s_wait_loadcnt 0x0
	v_fmac_f32_e32 v1, v252, v0
	v_mul_i32_i24_e32 v0, v184, v2
	scratch_store_b32 off, v1, off offset:84 ; 4-byte Folded Spill
	v_mul_i32_i24_e32 v1, v52, v3
	s_delay_alu instid0(VALU_DEP_1)
	v_add3_u32 v0, v8, v0, v1
	v_mul_i32_i24_e32 v1, v135, v13
	scratch_load_b32 v8, off, off offset:488 th:TH_LOAD_LU ; 4-byte Folded Reload
	v_add3_u32 v0, v0, v56, v57
	v_mul_i32_i24_e32 v56, v144, v21
	v_mul_i32_i24_e32 v57, v159, v22
	v_mad_i32_i24 v1, v154, v20, v1
	s_delay_alu instid0(VALU_DEP_4) | instskip(SKIP_2) | instid1(VALU_DEP_4)
	v_add3_u32 v0, v0, v64, v65
	v_mul_i32_i24_e32 v64, v36, v26
	v_mul_i32_i24_e32 v65, v75, v31
	v_add3_u32 v1, v1, v56, v57
	v_mul_i32_i24_e32 v56, v152, v23
	v_mul_i32_i24_e32 v57, v153, v24
	v_mul_lo_u32 v0, v0, v173
	v_mov_b32_e32 v173, v55
	s_delay_alu instid0(VALU_DEP_3) | instskip(SKIP_2) | instid1(VALU_DEP_3)
	v_add3_u32 v1, v1, v56, v57
	v_mul_i32_i24_e32 v56, v44, v242
	v_mul_i32_i24_e32 v57, v45, v245
	v_add3_u32 v1, v1, v64, v65
	v_mul_i32_i24_e32 v64, v46, v231
	v_mul_i32_i24_e32 v65, v47, v243
	s_delay_alu instid0(VALU_DEP_3) | instskip(SKIP_2) | instid1(VALU_DEP_3)
	v_add3_u32 v1, v1, v67, v68
	v_mul_i32_i24_e32 v67, v48, v170
	v_mul_i32_i24_e32 v68, v50, v169
	v_add3_u32 v1, v1, v69, v70
	v_mul_i32_i24_e32 v69, v54, v63
	v_mul_i32_i24_e32 v70, v132, v39
	s_delay_alu instid0(VALU_DEP_3) | instskip(NEXT) | instid1(VALU_DEP_3)
	v_add3_u32 v1, v1, v71, v73
	v_mad_i32_i24 v69, v51, v237, v69
	v_mul_i32_i24_e32 v71, v115, v40
	v_mul_i32_i24_e32 v73, v120, v41
	s_delay_alu instid0(VALU_DEP_4) | instskip(NEXT) | instid1(VALU_DEP_4)
	v_add3_u32 v1, v1, v74, v91
	v_add3_u32 v67, v69, v68, v67
	v_mul_i32_i24_e32 v68, v114, v35
	v_mul_i32_i24_e32 v69, v106, v38
	;; [unrolled: 1-line block ×3, first 2 shown]
	v_mad_co_u64_u32 v[0:1], null, v1, v255, v[0:1]
	v_add3_u32 v64, v67, v64, v65
	v_mul_i32_i24_e32 v65, v61, v7
	v_mov_b32_e32 v61, v241
	v_mov_b32_e32 v241, v87
	v_mul_i32_i24_e32 v67, v113, v32
	v_add3_u32 v56, v64, v57, v56
	v_cvt_f32_i32_e32 v0, v0
	v_mul_i32_i24_e32 v57, v59, v5
	v_mul_i32_i24_e32 v64, v60, v6
	v_mov_b32_e32 v59, v229
	v_cvt_f32_i32_e32 v1, v56
	v_mov_b32_e32 v229, v88
	v_mul_i32_i24_e32 v91, v121, v43
	v_mov_b32_e32 v212, v60
	v_mov_b32_e32 v60, v228
	v_dual_mul_f32 v1, v216, v1 :: v_dual_mov_b32 v98, v9
	v_dual_mov_b32 v9, v112 :: v_dual_mov_b32 v228, v159
	s_delay_alu instid0(VALU_DEP_2)
	v_fma_mix_f32 v0, v37, v0, -v1 op_sel_hi:[1,0,0]
	scratch_load_b32 v1, off, off offset:60 ; 4-byte Folded Reload
	s_wait_loadcnt 0x0
	v_fmac_f32_e32 v1, v252, v0
	v_mul_i32_i24_e32 v0, v95, v2
	scratch_store_b32 off, v1, off offset:60 ; 4-byte Folded Spill
	v_mul_i32_i24_e32 v1, v55, v3
	v_mov_b32_e32 v55, v233
	v_mov_b32_e32 v233, v164
	v_mul_i32_i24_e32 v56, v58, v4
	v_mov_b32_e32 v235, v58
	v_add3_u32 v0, v8, v0, v1
	v_mul_i32_i24_e32 v1, v149, v13
	v_dual_mov_b32 v8, v105 :: v_dual_mov_b32 v149, v234
	v_mov_b32_e32 v58, v224
	s_delay_alu instid0(VALU_DEP_4)
	v_add3_u32 v0, v0, v56, v57
	v_mul_i32_i24_e32 v56, v139, v21
	v_mul_i32_i24_e32 v57, v141, v22
	v_mad_i32_i24 v1, v27, v20, v1
	v_mov_b32_e32 v27, v62
	v_add3_u32 v0, v0, v64, v65
	v_mul_i32_i24_e32 v64, v138, v26
	v_mul_i32_i24_e32 v65, v103, v31
	v_add3_u32 v1, v1, v56, v57
	v_mul_i32_i24_e32 v56, v105, v23
	v_mul_i32_i24_e32 v57, v112, v24
	v_mov_b32_e32 v105, v207
	v_mov_b32_e32 v207, v163
	v_mul_lo_u32 v0, v0, v178
	v_mov_b32_e32 v224, v151
	v_add3_u32 v1, v1, v56, v57
	v_mul_i32_i24_e32 v56, v44, v28
	v_mul_i32_i24_e32 v57, v45, v206
	v_mov_b32_e32 v234, v187
	s_delay_alu instid0(VALU_DEP_4) | instskip(SKIP_2) | instid1(VALU_DEP_3)
	v_add3_u32 v1, v1, v64, v65
	v_mul_i32_i24_e32 v64, v46, v123
	v_mul_i32_i24_e32 v65, v47, v19
	v_add3_u32 v1, v1, v67, v68
	v_mul_i32_i24_e32 v67, v48, v72
	v_mul_i32_i24_e32 v68, v50, v34
	v_mov_b32_e32 v34, v171
	s_delay_alu instid0(VALU_DEP_4) | instskip(SKIP_3) | instid1(VALU_DEP_4)
	v_add3_u32 v1, v1, v69, v70
	v_mul_i32_i24_e32 v69, v54, v171
	v_dual_mov_b32 v171, v92 :: v_dual_mov_b32 v230, v168
	v_mov_b32_e32 v168, v120
	v_add3_u32 v1, v1, v71, v73
	s_delay_alu instid0(VALU_DEP_4) | instskip(NEXT) | instid1(VALU_DEP_2)
	v_mad_i32_i24 v69, v51, v200, v69
	v_add3_u32 v1, v1, v74, v91
	s_delay_alu instid0(VALU_DEP_2) | instskip(NEXT) | instid1(VALU_DEP_2)
	v_add3_u32 v67, v69, v68, v67
	v_mad_co_u64_u32 v[0:1], null, v1, v247, v[0:1]
	s_delay_alu instid0(VALU_DEP_2) | instskip(NEXT) | instid1(VALU_DEP_1)
	v_add3_u32 v64, v67, v64, v65
	v_add3_u32 v56, v64, v57, v56
	s_delay_alu instid0(VALU_DEP_3) | instskip(NEXT) | instid1(VALU_DEP_2)
	v_cvt_f32_i32_e32 v0, v0
	v_cvt_f32_i32_e32 v1, v56
	s_delay_alu instid0(VALU_DEP_1) | instskip(NEXT) | instid1(VALU_DEP_1)
	v_mul_f32_e32 v1, v17, v1
	v_fma_mix_f32 v0, v248, v0, -v1 op_sel_hi:[1,0,0]
	scratch_load_b32 v1, off, off offset:36 ; 4-byte Folded Reload
	s_wait_loadcnt 0x0
	v_fmac_f32_e32 v1, v252, v0
	v_mul_i32_i24_e32 v0, v55, v2
	v_mul_i32_i24_e32 v2, v181, v4
	;; [unrolled: 1-line block ×3, first 2 shown]
	scratch_load_b32 v6, off, off offset:484 th:TH_LOAD_LU ; 4-byte Folded Reload
	s_clause 0x1
	scratch_store_b32 off, v103, off offset:432
	scratch_store_b32 off, v1, off offset:36
	v_mul_i32_i24_e32 v1, v180, v3
	v_mul_i32_i24_e32 v3, v182, v5
	;; [unrolled: 1-line block ×3, first 2 shown]
	v_mov_b32_e32 v62, v239
	v_mul_i32_i24_e32 v7, v254, v35
	v_mov_b32_e32 v239, v197
	s_wait_loadcnt 0x0
	v_add3_u32 v0, v6, v0, v1
	v_mul_i32_i24_e32 v1, v118, v13
	v_mul_i32_i24_e32 v6, v62, v32
	;; [unrolled: 1-line block ×3, first 2 shown]
	s_delay_alu instid0(VALU_DEP_4)
	v_add3_u32 v0, v0, v2, v3
	v_mul_i32_i24_e32 v2, v130, v21
	v_mul_i32_i24_e32 v3, v131, v22
	v_mad_i32_i24 v1, v175, v20, v1
	v_mul_i32_i24_e32 v20, v90, v39
	v_add3_u32 v0, v0, v4, v5
	v_mul_i32_i24_e32 v4, v60, v26
	v_mul_i32_i24_e32 v5, v61, v31
	v_add3_u32 v1, v1, v2, v3
	v_mul_i32_i24_e32 v2, v58, v23
	v_mul_i32_i24_e32 v3, v59, v24
	;; [unrolled: 1-line block ×6, first 2 shown]
	v_add3_u32 v1, v1, v2, v3
	v_mul_lo_u32 v0, v0, v134
	v_mul_i32_i24_e32 v2, v44, v66
	v_mul_i32_i24_e32 v3, v45, v133
	s_delay_alu instid0(VALU_DEP_4) | instskip(SKIP_2) | instid1(VALU_DEP_3)
	v_add3_u32 v1, v1, v4, v5
	v_mul_i32_i24_e32 v4, v46, v215
	v_mul_i32_i24_e32 v5, v47, v204
	v_add3_u32 v1, v1, v6, v7
	v_mul_i32_i24_e32 v6, v48, v16
	v_mul_i32_i24_e32 v7, v50, v15
	s_delay_alu instid0(VALU_DEP_3) | instskip(NEXT) | instid1(VALU_DEP_1)
	v_add3_u32 v1, v1, v13, v20
	v_add3_u32 v1, v1, v21, v22
	s_delay_alu instid0(VALU_DEP_1) | instskip(NEXT) | instid1(VALU_DEP_1)
	v_add3_u32 v1, v1, v23, v24
	v_mad_co_u64_u32 v[0:1], null, v1, v129, v[0:1]
	v_dual_mov_b32 v129, v110 :: v_dual_mov_b32 v148, v30
	v_dual_mov_b32 v30, v37 :: v_dual_mov_b32 v37, v121
	v_mov_b32_e32 v160, v12
	v_mov_b32_e32 v12, v124
	v_cvt_f32_i32_e32 v0, v0
	s_delay_alu instid0(VALU_DEP_3) | instskip(NEXT) | instid1(VALU_DEP_1)
	v_mul_i32_i24_e32 v13, v54, v160
	v_mad_i32_i24 v13, v51, v18, v13
	s_delay_alu instid0(VALU_DEP_1) | instskip(NEXT) | instid1(VALU_DEP_1)
	v_add3_u32 v6, v13, v7, v6
	v_add3_u32 v4, v6, v4, v5
	s_delay_alu instid0(VALU_DEP_1) | instskip(SKIP_2) | instid1(VALU_DEP_1)
	v_add3_u32 v2, v4, v3, v2
	scratch_load_b32 v4, off, off offset:460 th:TH_LOAD_LU ; 4-byte Folded Reload
	v_cvt_f32_i32_e32 v1, v2
	v_mul_f32_e32 v1, v162, v1
	s_delay_alu instid0(VALU_DEP_1)
	v_fma_mix_f32 v0, v129, v0, -v1 op_sel_hi:[1,0,0]
	scratch_load_b32 v1, off, off offset:20 ; 4-byte Folded Reload
	s_wait_loadcnt 0x0
	v_fmac_f32_e32 v1, v252, v0
	scratch_load_b32 v0, off, off offset:464 th:TH_LOAD_LU ; 4-byte Folded Reload
	scratch_store_b32 off, v138, off offset:428 ; 4-byte Folded Spill
	v_mov_b32_e32 v10, v113
	scratch_store_b32 off, v1, off offset:20 ; 4-byte Folded Spill
	s_wait_loadcnt 0x0
	ds_load_b32 v13, v0 offset:30368
	ds_load_b128 v[0:3], v4 offset:16896
	ds_load_b128 v[4:7], v4 offset:16912
	s_wait_dscnt 0x1
	v_bfe_i32 v20, v0, 0, 8
	s_wait_dscnt 0x0
	v_bfe_i32 v43, v4, 0, 8
	v_bfe_i32 v44, v4, 8, 8
	;; [unrolled: 1-line block ×3, first 2 shown]
	v_ashrrev_i32_e32 v4, 24, v4
	v_bfe_i32 v46, v5, 0, 8
	v_bfe_i32 v47, v5, 8, 8
	;; [unrolled: 1-line block ×3, first 2 shown]
	v_ashrrev_i32_e32 v5, 24, v5
	v_bfe_i32 v21, v0, 8, 8
	v_bfe_i32 v22, v0, 16, 8
	v_ashrrev_i32_e32 v23, 24, v0
	v_bfe_i32 v49, v6, 0, 8
	v_bfe_i32 v50, v6, 8, 8
	;; [unrolled: 1-line block ×3, first 2 shown]
	v_ashrrev_i32_e32 v6, 24, v6
	v_bfe_i32 v54, v7, 0, 8
	v_bfe_i32 v56, v7, 8, 8
	;; [unrolled: 1-line block ×3, first 2 shown]
	v_ashrrev_i32_e32 v7, 24, v7
	v_add_nc_u32_e32 v0, v5, v4
	v_ashrrev_i32_e32 v32, 24, v1
	v_bfe_i32 v31, v1, 16, 8
	v_bfe_i32 v35, v2, 0, 8
	;; [unrolled: 1-line block ×3, first 2 shown]
	v_add3_u32 v64, v0, v6, v7
	v_add_nc_u32_e32 v0, v48, v45
	v_bfe_i32 v39, v2, 16, 8
	v_ashrrev_i32_e32 v2, 24, v2
	v_bfe_i32 v40, v3, 0, 8
	v_bfe_i32 v41, v3, 8, 8
	v_add3_u32 v65, v0, v51, v57
	v_add_nc_u32_e32 v0, v46, v43
	v_bfe_i32 v42, v3, 16, 8
	v_ashrrev_i32_e32 v3, 24, v3
	v_bfe_i32 v26, v1, 8, 8
	v_bfe_i32 v24, v1, 0, 8
	v_add3_u32 v67, v0, v49, v54
	v_add_nc_u32_e32 v0, v47, v44
	v_mul_i32_i24_e32 v1, v22, v93
	v_mul_i32_i24_e32 v74, v23, v92
	v_mul_i32_i24_e32 v91, v88, v31
	v_mul_i32_i24_e32 v100, v89, v32
	v_add3_u32 v68, v0, v50, v56
	v_add_nc_u32_e32 v0, v32, v23
	v_mul_i32_i24_e32 v108, v94, v35
	v_mul_i32_i24_e32 v110, v198, v38
	v_mul_i32_i24_e32 v112, v203, v39
	v_mul_i32_i24_e32 v113, v150, v2
	;; [unrolled: 6-line block ×3, first 2 shown]
	v_add3_u32 v70, v0, v39, v42
	v_add_nc_u32_e32 v0, v26, v21
	v_dual_mov_b32 v203, v142 :: v_dual_mov_b32 v92, v143
	v_mov_b32_e32 v88, v75
	s_delay_alu instid0(VALU_DEP_3) | instskip(SKIP_1) | instid1(VALU_DEP_1)
	v_add3_u32 v71, v0, v38, v41
	v_add_nc_u32_e32 v0, v24, v20
	v_add3_u32 v73, v0, v35, v40
	v_mul_i32_i24_e32 v0, v20, v197
	v_mov_b32_e32 v197, v140
	s_delay_alu instid0(VALU_DEP_2) | instskip(NEXT) | instid1(VALU_DEP_1)
	v_mad_i32_i24 v0, v21, v218, v0
	v_add3_u32 v0, v0, v1, v74
	v_mul_i32_i24_e32 v1, v164, v24
	v_mul_i32_i24_e32 v74, v87, v26
	v_dual_mov_b32 v164, v227 :: v_dual_mov_b32 v87, v94
	v_mov_b32_e32 v94, v198
	v_mov_b32_e32 v198, v144
	s_delay_alu instid0(VALU_DEP_4) | instskip(SKIP_3) | instid1(VALU_DEP_4)
	v_add3_u32 v0, v0, v1, v74
	v_mul_i32_i24_e32 v1, v199, v43
	v_mul_i32_i24_e32 v74, v124, v45
	;; [unrolled: 1-line block ×3, first 2 shown]
	v_add3_u32 v0, v0, v91, v100
	v_mul_i32_i24_e32 v91, v165, v4
	v_mad_i32_i24 v1, v192, v44, v1
	v_mul_i32_i24_e32 v100, v166, v48
	s_delay_alu instid0(VALU_DEP_4) | instskip(SKIP_1) | instid1(VALU_DEP_4)
	v_add3_u32 v0, v0, v108, v110
	v_mul_i32_i24_e32 v108, v172, v5
	v_add3_u32 v1, v1, v74, v91
	v_mul_i32_i24_e32 v74, v201, v46
	v_mul_i32_i24_e32 v91, v202, v47
	v_add3_u32 v0, v0, v112, v113
	v_mul_i32_i24_e32 v110, v217, v49
	v_mul_i32_i24_e32 v112, v220, v50
	v_mul_i32_i24_e32 v113, v151, v51
	v_add3_u32 v1, v1, v74, v91
	v_add3_u32 v0, v0, v114, v115
	v_mul_i32_i24_e32 v114, v187, v6
	v_mul_i32_i24_e32 v115, v225, v54
	v_mul_i32_i24_e32 v74, v64, v163
	v_add3_u32 v1, v1, v100, v108
	;; [unrolled: 5-line block ×3, first 2 shown]
	v_mul_i32_i24_e32 v110, v69, v219
	v_mul_i32_i24_e32 v112, v70, v222
	;; [unrolled: 1-line block ×3, first 2 shown]
	v_mul_lo_u32 v0, v0, v236
	v_add3_u32 v1, v1, v113, v114
	v_mul_i32_i24_e32 v113, v73, v221
	v_mul_i32_i24_e32 v91, v65, v250
	;; [unrolled: 1-line block ×3, first 2 shown]
	v_mov_b32_e32 v227, v52
	v_add3_u32 v1, v1, v115, v120
	v_mad_i32_i24 v113, v71, v211, v113
	v_mul_i32_i24_e32 v115, v194, v41
	v_mul_i32_i24_e32 v120, v177, v42
	v_mov_b32_e32 v151, v136
	v_add3_u32 v1, v1, v121, v124
	v_add3_u32 v110, v113, v112, v110
	v_mul_i32_i24_e32 v112, v184, v39
	v_mul_i32_i24_e32 v113, v52, v2
	;; [unrolled: 1-line block ×3, first 2 shown]
	v_mad_co_u64_u32 v[0:1], null, v1, v240, v[0:1]
	v_add3_u32 v100, v110, v100, v108
	v_mul_i32_i24_e32 v108, v84, v35
	v_mul_i32_i24_e32 v110, v85, v38
	;; [unrolled: 1-line block ×3, first 2 shown]
	v_mov_b32_e32 v52, v141
	v_add3_u32 v74, v100, v91, v74
	v_cvt_f32_i32_e32 v0, v0
	v_mul_i32_i24_e32 v91, v82, v31
	v_mul_i32_i24_e32 v100, v83, v32
	v_mov_b32_e32 v187, v177
	v_cvt_f32_i32_e32 v1, v74
	v_mul_i32_i24_e32 v74, v23, v122
	v_mov_b32_e32 v177, v170
	v_mov_b32_e32 v163, v63
	s_delay_alu instid0(VALU_DEP_4) | instskip(NEXT) | instid1(VALU_DEP_1)
	v_mul_f32_e32 v1, v148, v1
	v_fma_mix_f32 v0, v230, v0, -v1 op_sel_hi:[1,0,0]
	v_mul_i32_i24_e32 v1, v22, v53
	s_delay_alu instid0(VALU_DEP_2) | instskip(SKIP_1) | instid1(VALU_DEP_1)
	v_fmac_f32_e32 v126, v13, v0
	v_mul_i32_i24_e32 v0, v20, v191
	v_mad_i32_i24 v0, v21, v186, v0
	s_delay_alu instid0(VALU_DEP_1) | instskip(SKIP_2) | instid1(VALU_DEP_1)
	v_add3_u32 v0, v0, v1, v74
	v_mul_i32_i24_e32 v1, v185, v24
	v_mul_i32_i24_e32 v74, v86, v26
	v_add3_u32 v0, v0, v1, v74
	v_mul_i32_i24_e32 v1, v135, v43
	v_mul_i32_i24_e32 v74, v144, v45
	s_delay_alu instid0(VALU_DEP_3) | instskip(SKIP_1) | instid1(VALU_DEP_4)
	v_add3_u32 v0, v0, v91, v100
	v_mul_i32_i24_e32 v91, v159, v4
	v_mad_i32_i24 v1, v154, v44, v1
	v_mul_i32_i24_e32 v100, v36, v48
	v_mov_b32_e32 v159, v106
	v_add3_u32 v0, v0, v108, v110
	v_mul_i32_i24_e32 v108, v75, v5
	v_add3_u32 v1, v1, v74, v91
	v_mul_i32_i24_e32 v74, v152, v46
	v_mul_i32_i24_e32 v91, v153, v47
	v_add3_u32 v0, v0, v112, v113
	v_mul_i32_i24_e32 v110, v155, v49
	v_mul_i32_i24_e32 v112, v156, v50
	v_mul_i32_i24_e32 v113, v142, v51
	v_add3_u32 v1, v1, v74, v91
	v_add3_u32 v0, v0, v114, v115
	v_mul_i32_i24_e32 v114, v143, v6
	v_mul_i32_i24_e32 v115, v157, v54
	v_mul_i32_i24_e32 v74, v64, v242
	v_add3_u32 v1, v1, v100, v108
	;; [unrolled: 5-line block ×3, first 2 shown]
	v_mul_i32_i24_e32 v110, v69, v170
	v_mul_i32_i24_e32 v112, v70, v169
	;; [unrolled: 1-line block ×3, first 2 shown]
	v_mul_lo_u32 v0, v0, v210
	v_add3_u32 v1, v1, v113, v114
	v_mul_i32_i24_e32 v113, v73, v63
	v_mul_i32_i24_e32 v91, v65, v245
	;; [unrolled: 1-line block ×3, first 2 shown]
	v_mov_b32_e32 v75, v139
	v_add3_u32 v1, v1, v115, v120
	v_mad_i32_i24 v113, v71, v237, v113
	v_mul_i32_i24_e32 v115, v209, v41
	v_mul_i32_i24_e32 v120, v212, v42
	v_mov_b32_e32 v170, v169
	v_add3_u32 v1, v1, v121, v124
	v_add3_u32 v110, v113, v112, v110
	v_mul_i32_i24_e32 v112, v95, v39
	v_mul_i32_i24_e32 v113, v173, v2
	;; [unrolled: 1-line block ×3, first 2 shown]
	v_mad_co_u64_u32 v[0:1], null, v1, v255, v[0:1]
	v_add3_u32 v100, v110, v100, v108
	v_mul_i32_i24_e32 v108, v77, v35
	v_mul_i32_i24_e32 v110, v78, v38
	;; [unrolled: 1-line block ×4, first 2 shown]
	v_add3_u32 v74, v100, v91, v74
	v_cvt_f32_i32_e32 v0, v0
	v_mul_i32_i24_e32 v91, v79, v31
	v_mul_i32_i24_e32 v100, v196, v32
	;; [unrolled: 1-line block ×3, first 2 shown]
	v_cvt_f32_i32_e32 v1, v74
	v_mul_i32_i24_e32 v74, v23, v251
	v_mul_i32_i24_e32 v7, v246, v7
	v_mov_b32_e32 v169, v132
	s_delay_alu instid0(VALU_DEP_4) | instskip(NEXT) | instid1(VALU_DEP_1)
	v_mul_f32_e32 v1, v216, v1
	v_fma_mix_f32 v0, v30, v0, -v1 op_sel_hi:[1,0,0]
	scratch_load_b32 v1, off, off offset:68 ; 4-byte Folded Reload
	s_wait_loadcnt 0x0
	v_fmac_f32_e32 v1, v13, v0
	v_mul_i32_i24_e32 v0, v20, v119
	v_mov_b32_e32 v232, v166
	v_mov_b32_e32 v166, v145
	scratch_store_b32 off, v1, off offset:68 ; 4-byte Folded Spill
	v_mul_i32_i24_e32 v1, v22, v117
	v_mad_i32_i24 v0, v21, v97, v0
	s_delay_alu instid0(VALU_DEP_1) | instskip(SKIP_2) | instid1(VALU_DEP_1)
	v_add3_u32 v0, v0, v1, v74
	v_mul_i32_i24_e32 v1, v116, v24
	v_mul_i32_i24_e32 v74, v96, v26
	v_add3_u32 v0, v0, v1, v74
	v_mul_i32_i24_e32 v1, v244, v43
	v_mul_i32_i24_e32 v74, v139, v45
	s_delay_alu instid0(VALU_DEP_3) | instskip(SKIP_1) | instid1(VALU_DEP_4)
	v_add3_u32 v0, v0, v91, v100
	v_mul_i32_i24_e32 v91, v141, v4
	v_mad_i32_i24 v1, v176, v44, v1
	v_mul_i32_i24_e32 v100, v138, v48
	s_delay_alu instid0(VALU_DEP_4) | instskip(SKIP_1) | instid1(VALU_DEP_4)
	v_add3_u32 v0, v0, v108, v110
	v_mul_i32_i24_e32 v108, v103, v5
	v_add3_u32 v1, v1, v74, v91
	v_mul_i32_i24_e32 v74, v8, v46
	v_mul_i32_i24_e32 v91, v9, v47
	v_add3_u32 v0, v0, v112, v113
	v_mul_i32_i24_e32 v110, v10, v49
	v_mul_i32_i24_e32 v112, v161, v50
	v_mul_i32_i24_e32 v113, v106, v51
	v_add3_u32 v1, v1, v74, v91
	v_add3_u32 v0, v0, v114, v115
	v_mul_i32_i24_e32 v114, v132, v6
	v_mul_i32_i24_e32 v115, v188, v54
	v_mul_i32_i24_e32 v74, v64, v28
	v_add3_u32 v1, v1, v100, v108
	;; [unrolled: 5-line block ×3, first 2 shown]
	v_mul_i32_i24_e32 v110, v69, v72
	v_mul_i32_i24_e32 v112, v70, v208
	;; [unrolled: 1-line block ×3, first 2 shown]
	v_mul_lo_u32 v0, v0, v178
	v_add3_u32 v1, v1, v113, v114
	v_mul_i32_i24_e32 v113, v73, v34
	v_mul_i32_i24_e32 v91, v65, v206
	;; [unrolled: 1-line block ×4, first 2 shown]
	v_add3_u32 v1, v1, v115, v120
	v_mad_i32_i24 v113, v71, v200, v113
	v_dual_mov_b32 v103, v131 :: v_dual_mov_b32 v106, v55
	s_delay_alu instid0(VALU_DEP_3) | instskip(NEXT) | instid1(VALU_DEP_3)
	v_add3_u32 v1, v1, v121, v124
	v_add3_u32 v110, v113, v112, v110
	v_dual_mov_b32 v112, v60 :: v_dual_mov_b32 v113, v61
	s_delay_alu instid0(VALU_DEP_3) | instskip(NEXT) | instid1(VALU_DEP_3)
	v_mad_co_u64_u32 v[0:1], null, v1, v247, v[0:1]
	v_add3_u32 v100, v110, v100, v108
	v_mov_b32_e32 v110, v59
	s_delay_alu instid0(VALU_DEP_2) | instskip(NEXT) | instid1(VALU_DEP_4)
	v_add3_u32 v74, v100, v91, v74
	v_cvt_f32_i32_e32 v0, v0
	v_mov_b32_e32 v91, v58
	s_delay_alu instid0(VALU_DEP_3) | instskip(NEXT) | instid1(VALU_DEP_1)
	v_cvt_f32_i32_e32 v1, v74
	v_mul_f32_e32 v1, v17, v1
	s_delay_alu instid0(VALU_DEP_1)
	v_fma_mix_f32 v0, v248, v0, -v1 op_sel_hi:[1,0,0]
	scratch_load_b32 v1, off, off offset:44 ; 4-byte Folded Reload
	s_wait_loadcnt 0x0
	v_fmac_f32_e32 v1, v13, v0
	v_mul_i32_i24_e32 v0, v20, v111
	v_mul_i32_i24_e32 v20, v23, v101
	;; [unrolled: 1-line block ×4, first 2 shown]
	scratch_store_b32 off, v1, off offset:44 ; 4-byte Folded Spill
	v_mul_i32_i24_e32 v1, v22, v99
	v_mad_i32_i24 v0, v21, v195, v0
	v_mul_i32_i24_e32 v21, v107, v31
	v_mul_i32_i24_e32 v22, v109, v32
	;; [unrolled: 1-line block ×4, first 2 shown]
	v_add3_u32 v0, v0, v1, v20
	v_mul_i32_i24_e32 v1, v193, v24
	v_mul_i32_i24_e32 v20, v76, v26
	;; [unrolled: 1-line block ×4, first 2 shown]
	v_mov_b32_e32 v55, v18
	s_delay_alu instid0(VALU_DEP_4) | instskip(SKIP_2) | instid1(VALU_DEP_3)
	v_add3_u32 v0, v0, v1, v20
	v_mul_i32_i24_e32 v1, v118, v43
	v_mul_i32_i24_e32 v20, v62, v49
	v_add3_u32 v0, v0, v21, v22
	s_delay_alu instid0(VALU_DEP_3)
	v_mad_i32_i24 v1, v175, v44, v1
	v_mul_i32_i24_e32 v21, v254, v50
	v_mul_i32_i24_e32 v22, v238, v51
	s_clause 0x1
	scratch_load_b32 v50, off, off offset:196
	scratch_load_b32 v51, off, off offset:200
	v_add3_u32 v0, v0, v23, v24
	v_mul_i32_i24_e32 v23, v102, v54
	v_mul_i32_i24_e32 v24, v105, v56
	s_delay_alu instid0(VALU_DEP_3) | instskip(SKIP_3) | instid1(VALU_DEP_4)
	v_add3_u32 v0, v0, v26, v2
	v_mul_i32_i24_e32 v2, v130, v45
	v_mul_i32_i24_e32 v26, v174, v57
	v_mov_b32_e32 v57, v129
	v_add3_u32 v0, v0, v31, v32
	s_delay_alu instid0(VALU_DEP_1) | instskip(SKIP_2) | instid1(VALU_DEP_3)
	v_add3_u32 v0, v0, v35, v3
	v_mul_i32_i24_e32 v3, v131, v4
	v_mul_i32_i24_e32 v4, v60, v48
	v_mul_lo_u32 v0, v0, v134
	s_delay_alu instid0(VALU_DEP_3) | instskip(SKIP_2) | instid1(VALU_DEP_1)
	v_add3_u32 v1, v1, v2, v3
	v_mul_i32_i24_e32 v2, v58, v46
	v_mul_i32_i24_e32 v3, v59, v47
	v_add3_u32 v1, v1, v2, v3
	v_mul_i32_i24_e32 v2, v64, v66
	v_mul_i32_i24_e32 v3, v65, v133
	s_delay_alu instid0(VALU_DEP_3) | instskip(SKIP_2) | instid1(VALU_DEP_3)
	v_add3_u32 v1, v1, v4, v5
	v_mul_i32_i24_e32 v4, v67, v215
	v_mul_i32_i24_e32 v5, v68, v204
	v_add3_u32 v1, v1, v20, v21
	v_mul_i32_i24_e32 v20, v73, v160
	s_delay_alu instid0(VALU_DEP_2) | instskip(SKIP_1) | instid1(VALU_DEP_3)
	v_add3_u32 v1, v1, v22, v6
	v_mul_i32_i24_e32 v6, v69, v16
	v_mad_i32_i24 v20, v71, v18, v20
	s_delay_alu instid0(VALU_DEP_3) | instskip(NEXT) | instid1(VALU_DEP_1)
	v_add3_u32 v1, v1, v23, v24
	v_add3_u32 v1, v1, v26, v7
	v_mul_i32_i24_e32 v7, v70, v15
	s_delay_alu instid0(VALU_DEP_2) | instskip(NEXT) | instid1(VALU_DEP_2)
	v_mad_co_u64_u32 v[0:1], null, v1, v253, v[0:1]
	v_add3_u32 v6, v20, v7, v6
	s_delay_alu instid0(VALU_DEP_1) | instskip(NEXT) | instid1(VALU_DEP_3)
	v_add3_u32 v4, v6, v4, v5
	v_cvt_f32_i32_e32 v0, v0
	scratch_load_b32 v5, off, off offset:240 th:TH_LOAD_LU ; 4-byte Folded Reload
	v_add3_u32 v2, v4, v3, v2
	s_delay_alu instid0(VALU_DEP_1) | instskip(NEXT) | instid1(VALU_DEP_1)
	v_cvt_f32_i32_e32 v1, v2
	v_mul_f32_e32 v1, v162, v1
	s_delay_alu instid0(VALU_DEP_1)
	v_fma_mix_f32 v0, v129, v0, -v1 op_sel_hi:[1,0,0]
	scratch_load_b32 v1, off, off offset:28 ; 4-byte Folded Reload
	s_wait_loadcnt 0x0
	v_fmac_f32_e32 v1, v13, v0
	scratch_load_b32 v0, off, off offset:400 th:TH_LOAD_LU ; 4-byte Folded Reload
	s_clause 0x1
	scratch_store_b32 off, v126, off offset:88
	scratch_store_b32 off, v1, off offset:28
	s_wait_loadcnt 0x0
	ds_load_b32 v0, v0 offset:30368
	ds_load_b128 v[1:4], v5 offset:16896
	ds_load_b128 v[142:145], v5 offset:16912
	s_clause 0x3
	scratch_load_b32 v60, off, off offset:100 th:TH_LOAD_LU
	scratch_load_b32 v61, off, off offset:104 th:TH_LOAD_LU
	;; [unrolled: 1-line block ×3, first 2 shown]
	scratch_load_b32 v49, off, off offset:164
	s_wait_dscnt 0x1
	v_ashrrev_i32_e32 v141, 24, v1
	s_wait_dscnt 0x0
	v_bfe_i32 v70, v142, 8, 8
	v_bfe_i32 v5, v143, 8, 8
	v_ashrrev_i32_e32 v121, 24, v2
	v_bfe_i32 v22, v144, 8, 8
	v_bfe_i32 v43, v145, 8, 8
	;; [unrolled: 1-line block ×3, first 2 shown]
	v_add_nc_u32_e32 v20, v5, v70
	v_bfe_i32 v120, v2, 16, 8
	v_ashrrev_i32_e32 v131, 24, v3
	v_ashrrev_i32_e32 v137, 24, v4
	v_bfe_i32 v138, v1, 8, 8
	v_add3_u32 v64, v20, v22, v43
	v_add_nc_u32_e32 v20, v121, v141
	v_bfe_i32 v115, v2, 8, 8
	v_bfe_i32 v129, v3, 16, 8
	;; [unrolled: 1-line block ×4, first 2 shown]
	v_add3_u32 v65, v20, v131, v137
	v_add_nc_u32_e32 v20, v120, v140
	v_bfe_i32 v108, v2, 0, 8
	v_bfe_i32 v126, v3, 8, 8
	;; [unrolled: 1-line block ×4, first 2 shown]
	v_add3_u32 v68, v20, v129, v136
	v_add_nc_u32_e32 v20, v115, v138
	v_bfe_i32 v132, v4, 0, 8
	v_mul_i32_i24_e32 v21, v140, v93
	v_mul_i32_i24_e32 v31, v141, v171
	v_bfe_i32 v73, v142, 0, 8
	v_add3_u32 v69, v20, v126, v135
	v_add_nc_u32_e32 v20, v108, v139
	v_bfe_i32 v74, v142, 16, 8
	v_ashrrev_i32_e32 v100, 24, v142
	v_mul_i32_i24_e32 v32, v229, v120
	v_mul_i32_i24_e32 v35, v89, v121
	v_add3_u32 v71, v20, v124, v132
	v_mul_i32_i24_e32 v20, v139, v239
	v_bfe_i32 v4, v143, 0, 8
	v_bfe_i32 v6, v143, 16, 8
	v_ashrrev_i32_e32 v7, 24, v143
	v_mul_i32_i24_e32 v38, v87, v124
	v_mad_i32_i24 v20, v138, v218, v20
	v_mul_i32_i24_e32 v39, v94, v126
	v_bfe_i32 v13, v144, 0, 8
	v_mul_i32_i24_e32 v40, v167, v129
	v_mul_i32_i24_e32 v41, v150, v131
	v_add3_u32 v20, v20, v21, v31
	v_mul_i32_i24_e32 v21, v233, v108
	v_mul_i32_i24_e32 v31, v241, v115
	v_bfe_i32 v23, v144, 16, 8
	v_ashrrev_i32_e32 v24, 24, v144
	v_mul_i32_i24_e32 v42, v147, v132
	v_mul_i32_i24_e32 v45, v214, v135
	v_add3_u32 v20, v20, v21, v31
	v_mul_i32_i24_e32 v21, v199, v73
	v_mul_i32_i24_e32 v31, v12, v74
	v_bfe_i32 v26, v145, 0, 8
	v_add_nc_u32_e32 v3, v4, v73
	v_add3_u32 v20, v20, v32, v35
	v_mul_i32_i24_e32 v32, v165, v100
	v_mad_i32_i24 v21, v192, v70, v21
	v_mul_i32_i24_e32 v35, v232, v6
	v_bfe_i32 v44, v145, 16, 8
	v_add3_u32 v20, v20, v38, v39
	v_mul_i32_i24_e32 v38, v172, v7
	v_add3_u32 v21, v21, v31, v32
	v_mul_i32_i24_e32 v31, v201, v4
	v_mul_i32_i24_e32 v32, v202, v5
	v_add3_u32 v20, v20, v40, v41
	v_mul_i32_i24_e32 v39, v217, v13
	v_mul_i32_i24_e32 v40, v220, v22
	;; [unrolled: 1-line block ×3, first 2 shown]
	v_add3_u32 v21, v21, v31, v32
	v_add3_u32 v20, v20, v42, v45
	v_mul_i32_i24_e32 v42, v234, v24
	v_ashrrev_i32_e32 v67, 24, v145
	v_add_nc_u32_e32 v1, v7, v100
	v_add3_u32 v21, v21, v35, v38
	v_add_nc_u32_e32 v2, v6, v74
	v_add3_u32 v3, v3, v13, v26
	v_mul_i32_i24_e32 v38, v64, v33
	v_add3_u32 v1, v1, v24, v67
	v_add3_u32 v21, v21, v39, v40
	v_mul_i32_i24_e32 v39, v65, v219
	v_mul_i32_i24_e32 v40, v68, v222
	v_add3_u32 v2, v2, v23, v44
	v_mul_i32_i24_e32 v35, v3, v146
	v_add3_u32 v21, v21, v41, v42
	v_mul_i32_i24_e32 v41, v71, v221
	v_mul_i32_i24_e32 v31, v1, v207
	;; [unrolled: 1-line block ×4, first 2 shown]
	scratch_load_b32 v146, off, off offset:216 ; 4-byte Folded Reload
	v_mad_i32_i24 v41, v69, v211, v41
	v_mul_i32_i24_e32 v46, v249, v136
	v_mul_i32_i24_e32 v47, v11, v137
	;; [unrolled: 1-line block ×4, first 2 shown]
	v_add3_u32 v39, v41, v40, v39
	v_mul_i32_i24_e32 v40, v184, v129
	v_add3_u32 v20, v20, v46, v47
	v_mul_i32_i24_e32 v46, v226, v43
	v_mul_i32_i24_e32 v47, v164, v44
	v_add3_u32 v35, v39, v35, v38
	v_mul_i32_i24_e32 v38, v84, v124
	v_mul_lo_u32 v20, v20, v236
	v_add3_u32 v21, v21, v45, v46
	v_mul_i32_i24_e32 v39, v85, v126
	v_add3_u32 v31, v35, v32, v31
	v_mul_i32_i24_e32 v32, v82, v120
	s_clause 0x1
	scratch_load_b64 v[81:82], off, off offset:124 th:TH_LOAD_LU
	scratch_load_b32 v58, off, off offset:96 th:TH_LOAD_LU
	v_add3_u32 v21, v21, v47, v48
	v_mul_i32_i24_e32 v35, v83, v121
	v_mul_i32_i24_e32 v41, v227, v131
	;; [unrolled: 1-line block ×4, first 2 shown]
	v_mad_co_u64_u32 v[20:21], null, v21, v240, v[20:21]
	v_cvt_f32_i32_e32 v21, v31
	v_mul_i32_i24_e32 v31, v141, v122
	v_mul_i32_i24_e32 v47, v98, v137
	;; [unrolled: 1-line block ×3, first 2 shown]
	v_mov_b32_e32 v83, v76
	v_mul_f32_e32 v21, v148, v21
	v_cvt_f32_i32_e32 v20, v20
	v_mul_i32_i24_e32 v12, v71, v34
	s_delay_alu instid0(VALU_DEP_2) | instskip(SKIP_1) | instid1(VALU_DEP_3)
	v_fma_mix_f32 v20, v230, v20, -v21 op_sel_hi:[1,0,0]
	v_mul_i32_i24_e32 v21, v140, v53
	v_mad_i32_i24 v12, v69, v200, v12
	s_wait_loadcnt 0x0
	s_delay_alu instid0(VALU_DEP_3) | instskip(SKIP_1) | instid1(VALU_DEP_1)
	v_fmac_f32_e32 v58, v0, v20
	v_mul_i32_i24_e32 v20, v139, v191
	v_mad_i32_i24 v20, v138, v186, v20
	s_delay_alu instid0(VALU_DEP_1) | instskip(SKIP_2) | instid1(VALU_DEP_1)
	v_add3_u32 v20, v20, v21, v31
	v_mul_i32_i24_e32 v21, v185, v108
	v_mul_i32_i24_e32 v31, v86, v115
	v_add3_u32 v20, v20, v21, v31
	v_mul_i32_i24_e32 v21, v189, v73
	v_mul_i32_i24_e32 v31, v198, v74
	s_delay_alu instid0(VALU_DEP_3) | instskip(SKIP_1) | instid1(VALU_DEP_4)
	v_add3_u32 v20, v20, v32, v35
	v_mul_i32_i24_e32 v32, v228, v100
	v_mad_i32_i24 v21, v154, v70, v21
	v_mul_i32_i24_e32 v35, v36, v6
	v_mul_i32_i24_e32 v36, v104, v126
	v_add3_u32 v20, v20, v38, v39
	v_mul_i32_i24_e32 v38, v88, v7
	v_add3_u32 v21, v21, v31, v32
	v_mul_i32_i24_e32 v31, v152, v4
	v_mul_i32_i24_e32 v32, v153, v5
	v_add3_u32 v20, v20, v40, v41
	v_mul_i32_i24_e32 v39, v155, v13
	v_mul_i32_i24_e32 v40, v156, v22
	v_mul_i32_i24_e32 v41, v203, v23
	v_add3_u32 v21, v21, v31, v32
	v_add3_u32 v20, v20, v42, v45
	v_mul_i32_i24_e32 v42, v92, v24
	v_mul_i32_i24_e32 v45, v157, v26
	v_mul_i32_i24_e32 v31, v1, v242
	v_add3_u32 v21, v21, v35, v38
	;; [unrolled: 5-line block ×3, first 2 shown]
	v_mul_i32_i24_e32 v39, v65, v177
	v_mul_i32_i24_e32 v40, v68, v170
	;; [unrolled: 1-line block ×3, first 2 shown]
	v_mul_lo_u32 v20, v20, v210
	v_add3_u32 v21, v21, v41, v42
	v_mul_i32_i24_e32 v41, v71, v163
	v_mul_i32_i24_e32 v32, v2, v245
	;; [unrolled: 1-line block ×3, first 2 shown]
	s_delay_alu instid0(VALU_DEP_4) | instskip(NEXT) | instid1(VALU_DEP_4)
	v_add3_u32 v21, v21, v45, v46
	v_mad_i32_i24 v41, v69, v237, v41
	v_mul_i32_i24_e32 v45, v209, v135
	v_mul_i32_i24_e32 v46, v212, v136
	s_delay_alu instid0(VALU_DEP_4) | instskip(NEXT) | instid1(VALU_DEP_4)
	v_add3_u32 v21, v21, v47, v48
	v_add3_u32 v39, v41, v40, v39
	v_mul_i32_i24_e32 v40, v95, v129
	v_mul_i32_i24_e32 v41, v173, v131
	;; [unrolled: 1-line block ×3, first 2 shown]
	v_mad_co_u64_u32 v[20:21], null, v21, v255, v[20:21]
	v_add3_u32 v35, v39, v35, v38
	v_mul_i32_i24_e32 v38, v77, v124
	v_mul_i32_i24_e32 v39, v78, v126
	v_mul_i32_i24_e32 v48, v37, v67
	s_delay_alu instid0(VALU_DEP_4) | instskip(SKIP_3) | instid1(VALU_DEP_4)
	v_add3_u32 v31, v35, v32, v31
	v_cvt_f32_i32_e32 v20, v20
	v_mul_i32_i24_e32 v32, v79, v120
	v_mul_i32_i24_e32 v35, v196, v121
	v_cvt_f32_i32_e32 v21, v31
	v_mul_i32_i24_e32 v31, v141, v251
	s_delay_alu instid0(VALU_DEP_2) | instskip(NEXT) | instid1(VALU_DEP_1)
	v_mul_f32_e32 v21, v216, v21
	v_fma_mix_f32 v20, v30, v20, -v21 op_sel_hi:[1,0,0]
	v_mul_i32_i24_e32 v21, v140, v117
	s_delay_alu instid0(VALU_DEP_2) | instskip(SKIP_1) | instid1(VALU_DEP_1)
	v_fmac_f32_e32 v61, v0, v20
	v_mul_i32_i24_e32 v20, v139, v119
	v_mad_i32_i24 v20, v138, v97, v20
	s_delay_alu instid0(VALU_DEP_1) | instskip(SKIP_2) | instid1(VALU_DEP_1)
	v_add3_u32 v20, v20, v21, v31
	v_mul_i32_i24_e32 v21, v116, v108
	v_mul_i32_i24_e32 v31, v96, v115
	v_add3_u32 v20, v20, v21, v31
	v_mul_i32_i24_e32 v21, v244, v73
	v_mul_i32_i24_e32 v31, v75, v74
	s_delay_alu instid0(VALU_DEP_3) | instskip(SKIP_1) | instid1(VALU_DEP_4)
	v_add3_u32 v20, v20, v32, v35
	v_mul_i32_i24_e32 v32, v52, v100
	v_mad_i32_i24 v21, v176, v70, v21
	s_delay_alu instid0(VALU_DEP_3) | instskip(SKIP_1) | instid1(VALU_DEP_3)
	v_add3_u32 v20, v20, v38, v39
	v_mul_i32_i24_e32 v39, v10, v13
	v_add3_u32 v21, v21, v31, v32
	v_mul_i32_i24_e32 v31, v8, v4
	scratch_load_b32 v8, off, off offset:428 th:TH_LOAD_LU ; 4-byte Folded Reload
	v_mul_i32_i24_e32 v32, v9, v5
	v_add3_u32 v20, v20, v40, v41
	v_mul_i32_i24_e32 v40, v161, v22
	v_mul_i32_i24_e32 v41, v159, v23
	;; [unrolled: 1-line block ×3, first 2 shown]
	v_add3_u32 v21, v21, v31, v32
	v_add3_u32 v20, v20, v42, v45
	v_mul_i32_i24_e32 v42, v169, v24
	v_mul_i32_i24_e32 v45, v188, v26
	;; [unrolled: 1-line block ×4, first 2 shown]
	v_add3_u32 v20, v20, v46, v47
	v_mul_i32_i24_e32 v46, v168, v43
	v_mul_i32_i24_e32 v47, v197, v44
	;; [unrolled: 1-line block ×4, first 2 shown]
	v_mul_lo_u32 v20, v20, v178
	v_mul_i32_i24_e32 v1, v1, v66
	v_mul_i32_i24_e32 v2, v2, v133
	s_wait_loadcnt 0x0
	v_mul_i32_i24_e32 v35, v8, v6
	scratch_load_b32 v8, off, off offset:432 th:TH_LOAD_LU ; 4-byte Folded Reload
	v_mul_i32_i24_e32 v6, v112, v6
	s_wait_loadcnt 0x0
	v_mul_i32_i24_e32 v38, v8, v7
	v_mul_i32_i24_e32 v7, v113, v7
	s_delay_alu instid0(VALU_DEP_2) | instskip(SKIP_3) | instid1(VALU_DEP_4)
	v_add3_u32 v21, v21, v35, v38
	v_mul_i32_i24_e32 v35, v3, v123
	v_mul_i32_i24_e32 v38, v64, v19
	;; [unrolled: 1-line block ×3, first 2 shown]
	v_add3_u32 v21, v21, v39, v40
	v_mul_i32_i24_e32 v39, v65, v72
	v_mul_i32_i24_e32 v40, v68, v208
	s_delay_alu instid0(VALU_DEP_3) | instskip(SKIP_1) | instid1(VALU_DEP_3)
	v_add3_u32 v21, v21, v41, v42
	v_mul_i32_i24_e32 v41, v182, v135
	v_add3_u32 v12, v12, v40, v39
	v_mul_i32_i24_e32 v39, v180, v131
	v_mul_i32_i24_e32 v40, v181, v132
	v_add3_u32 v21, v21, v45, v46
	scratch_load_b32 v46, off, off offset:180 ; 4-byte Folded Reload
	v_add3_u32 v12, v12, v35, v38
	v_mul_i32_i24_e32 v35, v80, v124
	v_mul_i32_i24_e32 v38, v106, v129
	v_add3_u32 v21, v21, v47, v48
	s_clause 0x2
	scratch_load_b32 v54, off, off offset:184
	scratch_load_b32 v47, off, off offset:144
	scratch_load_b32 v85, off, off offset:424 th:TH_LOAD_LU
	v_add3_u32 v12, v12, v32, v31
	v_mul_i32_i24_e32 v31, v107, v120
	v_mad_co_u64_u32 v[20:21], null, v21, v247, v[20:21]
	v_mul_i32_i24_e32 v21, v141, v101
	s_delay_alu instid0(VALU_DEP_4) | instskip(SKIP_3) | instid1(VALU_DEP_4)
	v_cvt_f32_i32_e32 v12, v12
	v_mul_i32_i24_e32 v42, v149, v136
	v_mul_i32_i24_e32 v45, v27, v137
	v_cvt_f32_i32_e32 v20, v20
	v_mul_f32_e32 v12, v17, v12
	s_delay_alu instid0(VALU_DEP_1) | instskip(SKIP_1) | instid1(VALU_DEP_2)
	v_fma_mix_f32 v12, v248, v20, -v12 op_sel_hi:[1,0,0]
	v_mul_i32_i24_e32 v20, v140, v99
	v_fmac_f32_e32 v60, v0, v12
	v_mul_i32_i24_e32 v12, v139, v111
	s_delay_alu instid0(VALU_DEP_1) | instskip(NEXT) | instid1(VALU_DEP_1)
	v_mad_i32_i24 v12, v138, v195, v12
	v_add3_u32 v12, v12, v20, v21
	v_mul_i32_i24_e32 v20, v193, v108
	v_mul_i32_i24_e32 v21, v83, v115
	s_delay_alu instid0(VALU_DEP_1) | instskip(SKIP_2) | instid1(VALU_DEP_2)
	v_add3_u32 v12, v12, v20, v21
	v_mul_i32_i24_e32 v20, v118, v73
	v_mul_i32_i24_e32 v21, v130, v74
	v_mad_i32_i24 v20, v175, v70, v20
	s_wait_loadcnt 0x0
	v_mul_i32_i24_e32 v32, v85, v121
	s_delay_alu instid0(VALU_DEP_1) | instskip(SKIP_2) | instid1(VALU_DEP_3)
	v_add3_u32 v12, v12, v31, v32
	v_mul_i32_i24_e32 v31, v103, v100
	v_mul_i32_i24_e32 v32, v246, v67
	v_add3_u32 v12, v12, v35, v36
	s_delay_alu instid0(VALU_DEP_3)
	v_add3_u32 v20, v20, v21, v31
	v_mul_i32_i24_e32 v21, v254, v22
	s_clause 0x1
	scratch_load_b32 v35, off, off offset:92 th:TH_LOAD_LU
	scratch_load_b32 v36, off, off offset:176
	v_mul_i32_i24_e32 v22, v238, v23
	v_add3_u32 v12, v12, v38, v39
	v_add3_u32 v4, v20, v4, v5
	v_mul_i32_i24_e32 v23, v90, v24
	v_mul_i32_i24_e32 v24, v102, v26
	;; [unrolled: 1-line block ×3, first 2 shown]
	v_add3_u32 v12, v12, v40, v41
	v_add3_u32 v4, v4, v6, v7
	scratch_load_b32 v41, off, off offset:136 ; 4-byte Folded Reload
	v_mul_i32_i24_e32 v5, v64, v204
	v_mul_i32_i24_e32 v7, v68, v15
	v_add3_u32 v12, v12, v42, v45
	v_add3_u32 v4, v4, v13, v21
	v_mul_i32_i24_e32 v13, v71, v160
	s_clause 0x3
	scratch_load_b32 v42, off, off offset:168
	scratch_load_b32 v129, off, off offset:140
	;; [unrolled: 1-line block ×4, first 2 shown]
	v_mul_i32_i24_e32 v6, v65, v16
	v_mad_i32_i24 v13, v69, v55, v13
	s_clause 0x1
	scratch_load_b32 v69, off, off offset:212
	scratch_load_b32 v64, off, off offset:112 th:TH_LOAD_LU
	v_add3_u32 v4, v4, v22, v23
	v_mul_i32_i24_e32 v31, v174, v44
	v_add3_u32 v6, v13, v7, v6
	v_mul_lo_u32 v12, v12, v134
	v_mul_i32_i24_e32 v20, v182, v29
	v_add3_u32 v4, v4, v24, v26
	v_mul_i32_i24_e32 v21, v149, v223
	v_add3_u32 v3, v6, v3, v5
	v_mul_i32_i24_e32 v22, v27, v14
	s_delay_alu instid0(VALU_DEP_4) | instskip(NEXT) | instid1(VALU_DEP_3)
	v_add3_u32 v4, v4, v31, v32
	v_add3_u32 v3, v3, v2, v1
	s_delay_alu instid0(VALU_DEP_2) | instskip(NEXT) | instid1(VALU_DEP_2)
	v_mad_co_u64_u32 v[1:2], null, v4, v253, v[12:13]
	v_cvt_f32_i32_e32 v2, v3
	v_mul_i32_i24_e32 v3, v187, v223
	v_mul_i32_i24_e32 v4, v98, v14
	;; [unrolled: 1-line block ×3, first 2 shown]
	s_delay_alu instid0(VALU_DEP_4) | instskip(SKIP_1) | instid1(VALU_DEP_1)
	v_mul_f32_e32 v2, v162, v2
	v_cvt_f32_i32_e32 v1, v1
	v_fma_mix_f32 v1, v57, v1, -v2 op_sel_hi:[1,0,0]
	v_mul_i32_i24_e32 v2, v194, v29
	s_wait_loadcnt 0x0
	s_delay_alu instid0(VALU_DEP_2)
	v_fmac_f32_e32 v64, v0, v1
	s_clause 0x1
	scratch_load_b32 v23, off, off offset:236 th:TH_LOAD_LU
	scratch_load_b32 v0, off, off offset:392 th:TH_LOAD_LU
	v_mul_i32_i24_e32 v1, v151, v179
	s_wait_loadcnt 0x0
	v_fma_f32 v82, v23, v0, v82
	s_clause 0x3
	scratch_load_b32 v12, off, off offset:396 th:TH_LOAD_LU
	scratch_load_b32 v0, off, off offset:388 th:TH_LOAD_LU
	scratch_load_b32 v5, off, off offset:364 th:TH_LOAD_LU
	scratch_load_b32 v6, off, off offset:368 th:TH_LOAD_LU
	s_wait_loadcnt 0x2
	v_fmac_f32_e32 v81, v12, v0
	v_mul_i32_i24_e32 v0, v227, v25
	s_wait_loadcnt 0x0
	s_delay_alu instid0(VALU_DEP_1) | instskip(NEXT) | instid1(VALU_DEP_1)
	v_add3_u32 v0, v6, v5, v0
	v_add3_u32 v0, v0, v1, v2
	v_mul_i32_i24_e32 v1, v189, v205
	s_delay_alu instid0(VALU_DEP_2)
	v_add3_u32 v0, v0, v3, v4
	s_clause 0x1
	scratch_load_b32 v2, off, off offset:344 th:TH_LOAD_LU
	scratch_load_b32 v3, off, off offset:348 th:TH_LOAD_LU
	v_mad_i32_i24 v1, v154, v213, v1
	s_clause 0x2
	scratch_load_b32 v8, off, off offset:436 th:TH_LOAD_LU
	scratch_load_b32 v10, off, off offset:440 th:TH_LOAD_LU
	;; [unrolled: 1-line block ×3, first 2 shown]
	v_mul_i32_i24_e32 v4, v155, v127
	v_mul_lo_u32 v0, v0, v210
	s_wait_loadcnt 0x3
	v_add3_u32 v1, v1, v2, v3
	v_mul_i32_i24_e32 v2, v152, v125
	v_mul_i32_i24_e32 v3, v153, v128
	s_wait_loadcnt 0x2
	v_mul_i32_i24_e32 v5, v156, v8
	s_wait_loadcnt 0x0
	v_mul_i32_i24_e32 v6, v157, v37
	v_mul_i32_i24_e32 v7, v158, v10
	v_add3_u32 v1, v1, v2, v3
	s_clause 0x1
	scratch_load_b32 v2, off, off offset:320 th:TH_LOAD_LU
	scratch_load_b32 v3, off, off offset:332 th:TH_LOAD_LU
	s_wait_loadcnt 0x0
	v_add3_u32 v1, v1, v2, v3
	s_clause 0x1
	scratch_load_b32 v2, off, off offset:324 th:TH_LOAD_LU
	scratch_load_b32 v3, off, off offset:336 th:TH_LOAD_LU
	v_add3_u32 v1, v1, v4, v5
	s_wait_loadcnt 0x0
	s_delay_alu instid0(VALU_DEP_1)
	v_add3_u32 v1, v1, v2, v3
	s_clause 0xa
	scratch_load_b32 v2, off, off offset:328 th:TH_LOAD_LU
	scratch_load_b32 v3, off, off offset:340 th:TH_LOAD_LU
	;; [unrolled: 1-line block ×5, first 2 shown]
	scratch_load_b32 v76, off, off offset:224
	scratch_load_b32 v32, off, off offset:416 th:TH_LOAD_LU
	scratch_load_b32 v48, off, off offset:220
	scratch_load_b32 v24, off, off offset:376 th:TH_LOAD_LU
	;; [unrolled: 2-line block ×3, first 2 shown]
	v_add3_u32 v1, v1, v6, v7
	scratch_load_b64 v[74:75], off, off offset:116 th:TH_LOAD_LU ; 8-byte Folded Reload
	s_wait_loadcnt 0xa
	v_add3_u32 v1, v1, v2, v3
	s_wait_loadcnt 0x9
	v_mul_i32_i24_e32 v2, v26, v231
	s_wait_loadcnt 0x8
	v_mul_i32_i24_e32 v4, v31, v177
	;; [unrolled: 2-line block ×5, first 2 shown]
	v_mad_co_u64_u32 v[0:1], null, v1, v255, v[0:1]
	s_wait_loadcnt 0x1
	s_delay_alu instid0(VALU_DEP_2) | instskip(NEXT) | instid1(VALU_DEP_2)
	v_mad_i32_i24 v6, v18, v237, v6
	v_cvt_f32_i32_e32 v0, v0
	s_delay_alu instid0(VALU_DEP_2) | instskip(NEXT) | instid1(VALU_DEP_1)
	v_add3_u32 v4, v6, v5, v4
	v_add3_u32 v2, v4, v2, v3
	s_clause 0x6
	scratch_load_b32 v3, off, off offset:312 th:TH_LOAD_LU
	scratch_load_b32 v4, off, off offset:316 th:TH_LOAD_LU
	scratch_load_b32 v56, off, off offset:204
	scratch_load_b32 v6, off, off offset:356 th:TH_LOAD_LU
	scratch_load_b32 v9, off, off offset:244 th:TH_LOAD_LU
	;; [unrolled: 1-line block ×4, first 2 shown]
	s_wait_loadcnt 0x5
	v_add3_u32 v2, v2, v4, v3
	s_clause 0x1
	scratch_load_b32 v3, off, off offset:300 th:TH_LOAD_LU
	scratch_load_b32 v4, off, off offset:296 th:TH_LOAD_LU
	s_wait_loadcnt 0x5
	v_mul_i32_i24_e32 v6, v104, v6
	s_wait_loadcnt 0x3
	v_mul_i32_i24_e32 v5, v80, v5
	v_cvt_f32_i32_e32 v1, v2
	scratch_load_b32 v2, off, off offset:304 th:TH_LOAD_LU ; 4-byte Folded Reload
	s_wait_loadcnt 0x3
	v_mul_i32_i24_e32 v7, v106, v7
	v_mul_f32_e32 v1, v216, v1
	s_delay_alu instid0(VALU_DEP_1)
	v_fma_mix_f32 v0, v30, v0, -v1 op_sel_hi:[1,0,0]
	scratch_load_b32 v1, off, off offset:308 th:TH_LOAD_LU ; 4-byte Folded Reload
	v_fmac_f32_e32 v35, v23, v0
	scratch_load_b32 v0, off, off offset:384 th:TH_LOAD_LU ; 4-byte Folded Reload
	s_wait_loadcnt 0x3
	v_mul_i32_i24_e32 v4, v85, v4
	s_wait_loadcnt 0x2
	v_mul_i32_i24_e32 v2, v2, v101
	s_wait_loadcnt 0x1
	v_mul_i32_i24_e32 v1, v1, v99
	s_wait_loadcnt 0x0
	v_fma_f32 v75, v23, v0, v75
	scratch_load_b32 v0, off, off offset:380 th:TH_LOAD_LU ; 4-byte Folded Reload
	s_wait_loadcnt 0x0
	v_fmac_f32_e32 v74, v12, v0
	scratch_load_b32 v0, off, off offset:132 th:TH_LOAD_LU ; 4-byte Folded Reload
	v_mul_i32_i24_e32 v12, v180, v25
	s_wait_loadcnt 0x0
	v_mul_i32_i24_e32 v0, v0, v111
	s_delay_alu instid0(VALU_DEP_1)
	v_mad_i32_i24 v0, v3, v195, v0
	scratch_load_b32 v3, off, off offset:292 th:TH_LOAD_LU ; 4-byte Folded Reload
	v_add3_u32 v0, v0, v1, v2
	s_clause 0x1
	scratch_load_b32 v1, off, off offset:284 th:TH_LOAD_LU
	scratch_load_b32 v2, off, off offset:288 th:TH_LOAD_LU
	s_wait_loadcnt 0x2
	v_mul_i32_i24_e32 v3, v107, v3
	s_wait_loadcnt 0x1
	v_mul_i32_i24_e32 v1, v193, v1
	;; [unrolled: 2-line block ×3, first 2 shown]
	s_delay_alu instid0(VALU_DEP_1)
	v_add3_u32 v0, v0, v1, v2
	scratch_load_b32 v2, off, off offset:276 th:TH_LOAD_LU ; 4-byte Folded Reload
	v_mul_i32_i24_e32 v1, v118, v205
	v_add3_u32 v0, v0, v3, v4
	s_clause 0x1
	scratch_load_b32 v3, off, off offset:272 th:TH_LOAD_LU
	scratch_load_b32 v4, off, off offset:256 th:TH_LOAD_LU
	v_mad_i32_i24 v1, v175, v213, v1
	v_add3_u32 v0, v0, v5, v6
	v_mul_i32_i24_e32 v6, v62, v127
	s_delay_alu instid0(VALU_DEP_2)
	v_add3_u32 v0, v0, v7, v12
	v_mul_i32_i24_e32 v12, v90, v9
	scratch_load_b32 v9, off, off offset:280 th:TH_LOAD_LU ; 4-byte Folded Reload
	v_mul_i32_i24_e32 v7, v254, v8
	scratch_load_b32 v8, off, off offset:248 th:TH_LOAD_LU ; 4-byte Folded Reload
	v_add3_u32 v0, v0, v13, v20
	v_mul_i32_i24_e32 v13, v102, v37
	v_mul_i32_i24_e32 v20, v105, v10
	s_delay_alu instid0(VALU_DEP_3) | instskip(NEXT) | instid1(VALU_DEP_1)
	v_add3_u32 v0, v0, v21, v22
	v_mul_lo_u32 v0, v0, v134
	s_wait_loadcnt 0x4
	v_mul_i32_i24_e32 v2, v130, v2
	s_wait_loadcnt 0x1
	v_mul_i32_i24_e32 v21, v174, v9
	scratch_load_b32 v9, off, off offset:268 th:TH_LOAD_LU ; 4-byte Folded Reload
	v_mul_i32_i24_e32 v3, v103, v3
	s_wait_loadcnt 0x1
	v_mul_i32_i24_e32 v8, v238, v8
	s_delay_alu instid0(VALU_DEP_2) | instskip(SKIP_2) | instid1(VALU_DEP_1)
	v_add3_u32 v1, v1, v2, v3
	v_mul_i32_i24_e32 v2, v91, v125
	v_mul_i32_i24_e32 v3, v110, v128
	v_add3_u32 v1, v1, v2, v3
	s_clause 0x2
	scratch_load_b32 v2, off, off offset:260 th:TH_LOAD_LU
	scratch_load_b32 v3, off, off offset:264 th:TH_LOAD_LU
	;; [unrolled: 1-line block ×3, first 2 shown]
	v_mul_i32_i24_e32 v4, v112, v4
	s_wait_loadcnt 0x3
	v_mul_i32_i24_e32 v22, v246, v9
	s_wait_loadcnt 0x2
	;; [unrolled: 2-line block ×4, first 2 shown]
	v_mul_i32_i24_e32 v5, v113, v5
	s_delay_alu instid0(VALU_DEP_1) | instskip(SKIP_2) | instid1(VALU_DEP_3)
	v_add3_u32 v1, v1, v4, v5
	v_mul_i32_i24_e32 v4, v26, v215
	v_mul_i32_i24_e32 v5, v19, v204
	v_add3_u32 v1, v1, v6, v7
	v_mul_i32_i24_e32 v6, v31, v16
	v_mul_i32_i24_e32 v7, v32, v15
	s_delay_alu instid0(VALU_DEP_3) | instskip(SKIP_1) | instid1(VALU_DEP_2)
	v_add3_u32 v1, v1, v8, v12
	v_mul_i32_i24_e32 v8, v24, v160
	v_add3_u32 v1, v1, v13, v20
	s_delay_alu instid0(VALU_DEP_2) | instskip(NEXT) | instid1(VALU_DEP_2)
	v_mad_i32_i24 v8, v18, v55, v8
	v_add3_u32 v1, v1, v21, v22
	s_delay_alu instid0(VALU_DEP_2) | instskip(NEXT) | instid1(VALU_DEP_2)
	v_add3_u32 v6, v8, v7, v6
	v_mad_co_u64_u32 v[0:1], null, v1, v253, v[0:1]
	s_delay_alu instid0(VALU_DEP_2) | instskip(NEXT) | instid1(VALU_DEP_1)
	v_add3_u32 v4, v6, v4, v5
	v_add3_u32 v2, v4, v3, v2
	s_delay_alu instid0(VALU_DEP_3) | instskip(NEXT) | instid1(VALU_DEP_2)
	v_cvt_f32_i32_e32 v0, v0
	v_cvt_f32_i32_e32 v1, v2
	s_delay_alu instid0(VALU_DEP_1) | instskip(NEXT) | instid1(VALU_DEP_1)
	v_mul_f32_e32 v1, v162, v1
	v_fma_mix_f32 v0, v57, v0, -v1 op_sel_hi:[1,0,0]
	s_delay_alu instid0(VALU_DEP_1)
	v_fmac_f32_e32 v59, v23, v0
	s_cbranch_scc1 .LBB148_12
; %bb.13:                               ;   in Loop: Header=BB148_8 Depth=2
	s_wait_storecnt 0x0
	s_barrier_signal -1
	s_barrier_wait -1
	global_inv scope:SCOPE_SE
	s_clause 0x16
	scratch_load_b64 v[37:38], off, off offset:76
	scratch_load_b32 v39, off, off offset:696
	scratch_load_b32 v40, off, off offset:700
	;; [unrolled: 1-line block ×21, first 2 shown]
	scratch_load_b32 v91, off, off
	s_cmp_eq_u32 s5, 4
	s_cselect_b32 s7, -1, 0
	s_wait_alu 0xfffe
	s_and_b32 vcc_lo, exec_lo, s7
	s_wait_alu 0xfffe
	s_cbranch_vccz .LBB148_8
	s_branch .LBB148_5
.LBB148_14:
	scratch_store_b32 off, v1, off offset:1044 ; 4-byte Folded Spill
	v_dual_mov_b32 v0, 0 :: v_dual_mov_b32 v1, 0
	v_dual_mov_b32 v3, 0 :: v_dual_mov_b32 v6, 0
	;; [unrolled: 1-line block ×14, first 2 shown]
	v_mov_b32_e32 v32, 0
	v_mov_b32_e32 v12, 0
	scratch_load_b32 v13, off, off offset:1044 ; 4-byte Folded Reload
	s_mov_b32 s0, exec_lo
	s_wait_loadcnt 0x0
	v_cmpx_gt_u32_e64 s6, v13
	s_cbranch_execnz .LBB148_17
.LBB148_15:
	s_nop 0
	s_sendmsg sendmsg(MSG_DEALLOC_VGPRS)
	s_endpgm
.LBB148_16:
	scratch_load_b32 v0, off, off offset:88 th:TH_LOAD_LU ; 4-byte Folded Reload
	v_cvt_f16_f32_e32 v1, v81
	v_cvt_f16_f32_e32 v4, v75
	;; [unrolled: 1-line block ×3, first 2 shown]
	s_wait_loadcnt 0x17
	v_cvt_f16_f32_e32 v12, v37
	s_wait_loadcnt 0x3
	v_cvt_f16_f32_e32 v14, v89
	v_cvt_f16_f32_e32 v32, v71
	;; [unrolled: 1-line block ×4, first 2 shown]
	s_wait_loadcnt 0x1
	v_cvt_f16_f32_e32 v29, v91
	v_cvt_f16_f32_e32 v28, v67
	;; [unrolled: 1-line block ×21, first 2 shown]
	s_wait_loadcnt 0x0
	v_cvt_f16_f32_e32 v16, v0
	v_cvt_f16_f32_e32 v0, v82
	s_delay_alu instid0(VALU_DEP_1)
	v_pack_b32_f16 v3, v1, v0
	v_pack_b32_f16 v1, v11, v4
	s_clause 0x1
	scratch_load_b32 v4, off, off offset:1048 th:TH_LOAD_LU
	scratch_load_b32 v11, off, off offset:708 th:TH_LOAD_LU
	v_cvt_f16_f32_e32 v0, v59
	scratch_load_b32 v13, off, off offset:1044 ; 4-byte Folded Reload
	s_mov_b32 s0, exec_lo
	s_wait_loadcnt 0x0
	v_cmpx_gt_u32_e64 s6, v13
	s_cbranch_execz .LBB148_15
.LBB148_17:
	v_add_nc_u32_e32 v11, s16, v11
	v_mul_lo_u32 v33, v13, s14
	s_delay_alu instid0(VALU_DEP_2)
	v_cmp_gt_u32_e32 vcc_lo, s14, v11
	s_and_saveexec_b32 s1, vcc_lo
	s_cbranch_execz .LBB148_19
; %bb.18:
	s_delay_alu instid0(VALU_DEP_2) | instskip(NEXT) | instid1(VALU_DEP_1)
	v_dual_mov_b32 v35, 0 :: v_dual_add_nc_u32 v34, v11, v33
	v_lshlrev_b64_e32 v[34:35], 1, v[34:35]
	s_wait_kmcnt 0x0
	s_delay_alu instid0(VALU_DEP_1) | instskip(NEXT) | instid1(VALU_DEP_1)
	v_add_co_u32 v34, s0, s8, v34
	v_add_co_ci_u32_e64 v35, null, s9, v35, s0
	global_store_b16 v[34:35], v12, off
.LBB148_19:
	s_or_b32 exec_lo, exec_lo, s1
	v_add_nc_u32_e32 v12, 32, v11
	s_delay_alu instid0(VALU_DEP_1)
	v_cmp_gt_u32_e64 s0, s14, v12
	s_and_saveexec_b32 s2, s0
	s_cbranch_execz .LBB148_21
; %bb.20:
	v_dual_mov_b32 v35, 0 :: v_dual_add_nc_u32 v34, v12, v33
	s_delay_alu instid0(VALU_DEP_1) | instskip(SKIP_1) | instid1(VALU_DEP_1)
	v_lshlrev_b64_e32 v[34:35], 1, v[34:35]
	s_wait_kmcnt 0x0
	v_add_co_u32 v34, s1, s8, v34
	s_wait_alu 0xf1ff
	s_delay_alu instid0(VALU_DEP_2)
	v_add_co_ci_u32_e64 v35, null, s9, v35, s1
	global_store_b16 v[34:35], v3, off
.LBB148_21:
	s_wait_alu 0xfffe
	s_or_b32 exec_lo, exec_lo, s2
	v_add_nc_u32_e32 v13, 64, v11
	s_delay_alu instid0(VALU_DEP_1)
	v_cmp_gt_u32_e64 s1, s14, v13
	s_and_saveexec_b32 s3, s1
	s_cbranch_execz .LBB148_23
; %bb.22:
	v_dual_mov_b32 v35, 0 :: v_dual_add_nc_u32 v34, v13, v33
	s_delay_alu instid0(VALU_DEP_1) | instskip(SKIP_1) | instid1(VALU_DEP_1)
	v_lshlrev_b64_e32 v[34:35], 1, v[34:35]
	s_wait_kmcnt 0x0
	v_add_co_u32 v34, s2, s8, v34
	s_wait_alu 0xf1ff
	s_delay_alu instid0(VALU_DEP_2)
	v_add_co_ci_u32_e64 v35, null, s9, v35, s2
	global_store_b16 v[34:35], v14, off
.LBB148_23:
	s_wait_alu 0xfffe
	;; [unrolled: 18-line block ×3, first 2 shown]
	s_or_b32 exec_lo, exec_lo, s4
	v_add3_u32 v33, v4, s15, 8
	s_delay_alu instid0(VALU_DEP_1)
	v_cmp_gt_u32_e64 s3, s6, v33
	s_and_b32 exec_lo, exec_lo, s3
	s_cbranch_execz .LBB148_15
; %bb.26:
	v_mul_lo_u32 v33, v33, s14
	s_and_saveexec_b32 s4, vcc_lo
	s_cbranch_execnz .LBB148_66
; %bb.27:
	s_wait_alu 0xfffe
	s_or_b32 exec_lo, exec_lo, s4
	s_and_saveexec_b32 s4, s0
	s_cbranch_execnz .LBB148_67
.LBB148_28:
	s_wait_alu 0xfffe
	s_or_b32 exec_lo, exec_lo, s4
	s_and_saveexec_b32 s4, s1
	s_cbranch_execnz .LBB148_68
.LBB148_29:
	s_wait_alu 0xfffe
	s_or_b32 exec_lo, exec_lo, s4
	s_and_saveexec_b32 s4, s2
	s_cbranch_execz .LBB148_31
.LBB148_30:
	v_dual_mov_b32 v31, 0 :: v_dual_add_nc_u32 v30, v33, v14
	s_delay_alu instid0(VALU_DEP_1) | instskip(SKIP_1) | instid1(VALU_DEP_1)
	v_lshlrev_b64_e32 v[30:31], 1, v[30:31]
	s_wait_kmcnt 0x0
	v_add_co_u32 v30, s3, s8, v30
	s_wait_alu 0xf1ff
	s_delay_alu instid0(VALU_DEP_2)
	v_add_co_ci_u32_e64 v31, null, s9, v31, s3
	global_store_b16 v[30:31], v29, off
.LBB148_31:
	s_wait_alu 0xfffe
	s_or_b32 exec_lo, exec_lo, s4
	v_add3_u32 v29, v4, s15, 16
	s_delay_alu instid0(VALU_DEP_1)
	v_cmp_gt_u32_e64 s3, s6, v29
	s_and_b32 exec_lo, exec_lo, s3
	s_cbranch_execz .LBB148_15
; %bb.32:
	v_mul_lo_u32 v29, v29, s14
	s_and_saveexec_b32 s4, vcc_lo
	s_cbranch_execnz .LBB148_69
; %bb.33:
	s_wait_alu 0xfffe
	s_or_b32 exec_lo, exec_lo, s4
	s_and_saveexec_b32 s4, s0
	s_cbranch_execnz .LBB148_70
.LBB148_34:
	s_wait_alu 0xfffe
	s_or_b32 exec_lo, exec_lo, s4
	s_and_saveexec_b32 s4, s1
	s_cbranch_execnz .LBB148_71
.LBB148_35:
	s_wait_alu 0xfffe
	s_or_b32 exec_lo, exec_lo, s4
	s_and_saveexec_b32 s4, s2
	s_cbranch_execz .LBB148_37
.LBB148_36:
	v_dual_mov_b32 v27, 0 :: v_dual_add_nc_u32 v26, v29, v14
	s_delay_alu instid0(VALU_DEP_1) | instskip(SKIP_1) | instid1(VALU_DEP_1)
	v_lshlrev_b64_e32 v[26:27], 1, v[26:27]
	s_wait_kmcnt 0x0
	v_add_co_u32 v26, s3, s8, v26
	s_wait_alu 0xf1ff
	s_delay_alu instid0(VALU_DEP_2)
	v_add_co_ci_u32_e64 v27, null, s9, v27, s3
	global_store_b16 v[26:27], v25, off
.LBB148_37:
	s_wait_alu 0xfffe
	s_or_b32 exec_lo, exec_lo, s4
	v_add3_u32 v25, v4, s15, 24
	s_delay_alu instid0(VALU_DEP_1)
	v_cmp_gt_u32_e64 s3, s6, v25
	s_and_b32 exec_lo, exec_lo, s3
	s_cbranch_execz .LBB148_15
; %bb.38:
	v_mul_lo_u32 v25, v25, s14
	s_and_saveexec_b32 s4, vcc_lo
	s_cbranch_execnz .LBB148_72
; %bb.39:
	s_wait_alu 0xfffe
	s_or_b32 exec_lo, exec_lo, s4
	s_and_saveexec_b32 s4, s0
	s_cbranch_execnz .LBB148_73
.LBB148_40:
	s_wait_alu 0xfffe
	s_or_b32 exec_lo, exec_lo, s4
	s_and_saveexec_b32 s4, s1
	s_cbranch_execnz .LBB148_74
.LBB148_41:
	s_wait_alu 0xfffe
	s_or_b32 exec_lo, exec_lo, s4
	s_and_saveexec_b32 s4, s2
	s_cbranch_execz .LBB148_43
.LBB148_42:
	v_dual_mov_b32 v23, 0 :: v_dual_add_nc_u32 v22, v25, v14
	s_delay_alu instid0(VALU_DEP_1) | instskip(SKIP_1) | instid1(VALU_DEP_1)
	v_lshlrev_b64_e32 v[22:23], 1, v[22:23]
	s_wait_kmcnt 0x0
	v_add_co_u32 v22, s3, s8, v22
	s_wait_alu 0xf1ff
	s_delay_alu instid0(VALU_DEP_2)
	v_add_co_ci_u32_e64 v23, null, s9, v23, s3
	global_store_b16 v[22:23], v21, off
.LBB148_43:
	s_wait_alu 0xfffe
	s_or_b32 exec_lo, exec_lo, s4
	v_add3_u32 v21, v4, s15, 32
	s_delay_alu instid0(VALU_DEP_1)
	v_cmp_gt_u32_e64 s3, s6, v21
	s_and_b32 exec_lo, exec_lo, s3
	s_cbranch_execz .LBB148_15
; %bb.44:
	v_mul_lo_u32 v21, v21, s14
	s_and_saveexec_b32 s4, vcc_lo
	s_cbranch_execnz .LBB148_75
; %bb.45:
	s_wait_alu 0xfffe
	s_or_b32 exec_lo, exec_lo, s4
	s_and_saveexec_b32 s4, s0
	s_cbranch_execnz .LBB148_76
.LBB148_46:
	s_wait_alu 0xfffe
	s_or_b32 exec_lo, exec_lo, s4
	s_and_saveexec_b32 s4, s1
	s_cbranch_execnz .LBB148_77
.LBB148_47:
	s_wait_alu 0xfffe
	s_or_b32 exec_lo, exec_lo, s4
	s_and_saveexec_b32 s4, s2
	s_cbranch_execz .LBB148_49
.LBB148_48:
	v_dual_mov_b32 v19, 0 :: v_dual_add_nc_u32 v18, v21, v14
	s_delay_alu instid0(VALU_DEP_1) | instskip(SKIP_1) | instid1(VALU_DEP_1)
	v_lshlrev_b64_e32 v[18:19], 1, v[18:19]
	s_wait_kmcnt 0x0
	v_add_co_u32 v18, s3, s8, v18
	s_wait_alu 0xf1ff
	s_delay_alu instid0(VALU_DEP_2)
	v_add_co_ci_u32_e64 v19, null, s9, v19, s3
	global_store_b16 v[18:19], v17, off
.LBB148_49:
	s_wait_alu 0xfffe
	s_or_b32 exec_lo, exec_lo, s4
	v_add3_u32 v17, v4, s15, 40
	s_delay_alu instid0(VALU_DEP_1)
	v_cmp_gt_u32_e64 s3, s6, v17
	s_and_b32 exec_lo, exec_lo, s3
	s_cbranch_execz .LBB148_15
; %bb.50:
	v_mul_lo_u32 v17, v17, s14
	s_and_saveexec_b32 s4, vcc_lo
	s_cbranch_execnz .LBB148_78
; %bb.51:
	s_wait_alu 0xfffe
	s_or_b32 exec_lo, exec_lo, s4
	s_and_saveexec_b32 s4, s0
	s_cbranch_execnz .LBB148_79
.LBB148_52:
	s_wait_alu 0xfffe
	s_or_b32 exec_lo, exec_lo, s4
	s_and_saveexec_b32 s4, s1
	s_cbranch_execnz .LBB148_80
.LBB148_53:
	s_wait_alu 0xfffe
	s_or_b32 exec_lo, exec_lo, s4
	s_and_saveexec_b32 s4, s2
	s_cbranch_execz .LBB148_55
.LBB148_54:
	v_dual_mov_b32 v16, 0 :: v_dual_add_nc_u32 v15, v17, v14
	s_delay_alu instid0(VALU_DEP_1) | instskip(SKIP_1) | instid1(VALU_DEP_1)
	v_lshlrev_b64_e32 v[15:16], 1, v[15:16]
	s_wait_kmcnt 0x0
	v_add_co_u32 v15, s3, s8, v15
	s_wait_alu 0xf1ff
	s_delay_alu instid0(VALU_DEP_2)
	v_add_co_ci_u32_e64 v16, null, s9, v16, s3
	global_store_b16 v[15:16], v9, off
.LBB148_55:
	s_wait_alu 0xfffe
	s_or_b32 exec_lo, exec_lo, s4
	v_add3_u32 v9, v4, s15, 48
	s_delay_alu instid0(VALU_DEP_1)
	v_cmp_gt_u32_e64 s3, s6, v9
	s_and_b32 exec_lo, exec_lo, s3
	s_cbranch_execz .LBB148_15
; %bb.56:
	v_mul_lo_u32 v9, v9, s14
	s_and_saveexec_b32 s4, vcc_lo
	s_cbranch_execnz .LBB148_81
; %bb.57:
	s_wait_alu 0xfffe
	s_or_b32 exec_lo, exec_lo, s4
	s_and_saveexec_b32 s4, s0
	s_cbranch_execnz .LBB148_82
.LBB148_58:
	s_wait_alu 0xfffe
	s_or_b32 exec_lo, exec_lo, s4
	s_and_saveexec_b32 s4, s1
	s_cbranch_execnz .LBB148_83
.LBB148_59:
	s_wait_alu 0xfffe
	s_or_b32 exec_lo, exec_lo, s4
	s_and_saveexec_b32 s4, s2
	s_cbranch_execz .LBB148_61
.LBB148_60:
	v_dual_mov_b32 v7, 0 :: v_dual_add_nc_u32 v6, v9, v14
	s_delay_alu instid0(VALU_DEP_1) | instskip(SKIP_1) | instid1(VALU_DEP_1)
	v_lshlrev_b64_e32 v[6:7], 1, v[6:7]
	s_wait_kmcnt 0x0
	v_add_co_u32 v6, s3, s8, v6
	s_wait_alu 0xf1ff
	s_delay_alu instid0(VALU_DEP_2)
	v_add_co_ci_u32_e64 v7, null, s9, v7, s3
	global_store_b16 v[6:7], v5, off
.LBB148_61:
	s_wait_alu 0xfffe
	s_or_b32 exec_lo, exec_lo, s4
	v_add3_u32 v4, v4, s15, 56
	s_delay_alu instid0(VALU_DEP_1)
	v_cmp_gt_u32_e64 s3, s6, v4
	s_and_b32 exec_lo, exec_lo, s3
	s_cbranch_execz .LBB148_15
; %bb.62:
	v_mul_lo_u32 v4, v4, s14
	s_and_saveexec_b32 s3, vcc_lo
	s_cbranch_execnz .LBB148_84
; %bb.63:
	s_wait_alu 0xfffe
	s_or_b32 exec_lo, exec_lo, s3
	s_and_saveexec_b32 s3, s0
	s_cbranch_execnz .LBB148_85
.LBB148_64:
	s_wait_alu 0xfffe
	s_or_b32 exec_lo, exec_lo, s3
	s_and_saveexec_b32 s0, s1
	s_cbranch_execnz .LBB148_86
.LBB148_65:
	s_wait_alu 0xfffe
	s_or_b32 exec_lo, exec_lo, s0
	s_delay_alu instid0(SALU_CYCLE_1)
	s_and_b32 exec_lo, exec_lo, s2
	s_cbranch_execz .LBB148_15
	s_branch .LBB148_87
.LBB148_66:
	s_delay_alu instid0(VALU_DEP_1) | instskip(NEXT) | instid1(VALU_DEP_1)
	v_dual_mov_b32 v35, 0 :: v_dual_add_nc_u32 v34, v33, v11
	v_lshlrev_b64_e32 v[34:35], 1, v[34:35]
	s_wait_kmcnt 0x0
	s_delay_alu instid0(VALU_DEP_1) | instskip(SKIP_1) | instid1(VALU_DEP_2)
	v_add_co_u32 v34, s3, s8, v34
	s_wait_alu 0xf1ff
	v_add_co_ci_u32_e64 v35, null, s9, v35, s3
	global_store_b16 v[34:35], v32, off
	s_wait_alu 0xfffe
	s_or_b32 exec_lo, exec_lo, s4
	s_and_saveexec_b32 s4, s0
	s_cbranch_execz .LBB148_28
.LBB148_67:
	s_delay_alu instid0(VALU_DEP_1) | instskip(NEXT) | instid1(VALU_DEP_1)
	v_dual_mov_b32 v35, 0 :: v_dual_add_nc_u32 v34, v33, v12
	v_lshlrev_b64_e32 v[34:35], 1, v[34:35]
	s_wait_kmcnt 0x0
	s_delay_alu instid0(VALU_DEP_1) | instskip(SKIP_1) | instid1(VALU_DEP_2)
	v_add_co_u32 v34, s3, s8, v34
	s_wait_alu 0xf1ff
	v_add_co_ci_u32_e64 v35, null, s9, v35, s3
	global_store_b16 v[34:35], v31, off
	s_wait_alu 0xfffe
	s_or_b32 exec_lo, exec_lo, s4
	s_and_saveexec_b32 s4, s1
	s_cbranch_execz .LBB148_29
.LBB148_68:
	v_dual_mov_b32 v32, 0 :: v_dual_add_nc_u32 v31, v33, v13
	s_delay_alu instid0(VALU_DEP_1) | instskip(SKIP_1) | instid1(VALU_DEP_1)
	v_lshlrev_b64_e32 v[31:32], 1, v[31:32]
	s_wait_kmcnt 0x0
	v_add_co_u32 v31, s3, s8, v31
	s_wait_alu 0xf1ff
	s_delay_alu instid0(VALU_DEP_2)
	v_add_co_ci_u32_e64 v32, null, s9, v32, s3
	global_store_b16 v[31:32], v30, off
	s_wait_alu 0xfffe
	s_or_b32 exec_lo, exec_lo, s4
	s_and_saveexec_b32 s4, s2
	s_cbranch_execnz .LBB148_30
	s_branch .LBB148_31
.LBB148_69:
	s_delay_alu instid0(VALU_DEP_1) | instskip(NEXT) | instid1(VALU_DEP_1)
	v_dual_mov_b32 v31, 0 :: v_dual_add_nc_u32 v30, v29, v11
	v_lshlrev_b64_e32 v[30:31], 1, v[30:31]
	s_wait_kmcnt 0x0
	s_delay_alu instid0(VALU_DEP_1) | instskip(SKIP_1) | instid1(VALU_DEP_2)
	v_add_co_u32 v30, s3, s8, v30
	s_wait_alu 0xf1ff
	v_add_co_ci_u32_e64 v31, null, s9, v31, s3
	global_store_b16 v[30:31], v28, off
	s_wait_alu 0xfffe
	s_or_b32 exec_lo, exec_lo, s4
	s_and_saveexec_b32 s4, s0
	s_cbranch_execz .LBB148_34
.LBB148_70:
	s_delay_alu instid0(VALU_DEP_1) | instskip(NEXT) | instid1(VALU_DEP_1)
	v_dual_mov_b32 v31, 0 :: v_dual_add_nc_u32 v30, v29, v12
	v_lshlrev_b64_e32 v[30:31], 1, v[30:31]
	s_wait_kmcnt 0x0
	s_delay_alu instid0(VALU_DEP_1) | instskip(SKIP_1) | instid1(VALU_DEP_2)
	v_add_co_u32 v30, s3, s8, v30
	s_wait_alu 0xf1ff
	v_add_co_ci_u32_e64 v31, null, s9, v31, s3
	global_store_b16 v[30:31], v27, off
	s_wait_alu 0xfffe
	s_or_b32 exec_lo, exec_lo, s4
	s_and_saveexec_b32 s4, s1
	s_cbranch_execz .LBB148_35
.LBB148_71:
	v_dual_mov_b32 v28, 0 :: v_dual_add_nc_u32 v27, v29, v13
	s_delay_alu instid0(VALU_DEP_1) | instskip(SKIP_1) | instid1(VALU_DEP_1)
	v_lshlrev_b64_e32 v[27:28], 1, v[27:28]
	s_wait_kmcnt 0x0
	v_add_co_u32 v27, s3, s8, v27
	s_wait_alu 0xf1ff
	s_delay_alu instid0(VALU_DEP_2)
	v_add_co_ci_u32_e64 v28, null, s9, v28, s3
	global_store_b16 v[27:28], v26, off
	s_wait_alu 0xfffe
	s_or_b32 exec_lo, exec_lo, s4
	s_and_saveexec_b32 s4, s2
	s_cbranch_execnz .LBB148_36
	s_branch .LBB148_37
.LBB148_72:
	s_delay_alu instid0(VALU_DEP_1) | instskip(NEXT) | instid1(VALU_DEP_1)
	v_dual_mov_b32 v27, 0 :: v_dual_add_nc_u32 v26, v25, v11
	v_lshlrev_b64_e32 v[26:27], 1, v[26:27]
	s_wait_kmcnt 0x0
	s_delay_alu instid0(VALU_DEP_1) | instskip(SKIP_1) | instid1(VALU_DEP_2)
	v_add_co_u32 v26, s3, s8, v26
	s_wait_alu 0xf1ff
	v_add_co_ci_u32_e64 v27, null, s9, v27, s3
	global_store_b16 v[26:27], v24, off
	s_wait_alu 0xfffe
	s_or_b32 exec_lo, exec_lo, s4
	s_and_saveexec_b32 s4, s0
	s_cbranch_execz .LBB148_40
.LBB148_73:
	s_delay_alu instid0(VALU_DEP_1) | instskip(NEXT) | instid1(VALU_DEP_1)
	v_dual_mov_b32 v27, 0 :: v_dual_add_nc_u32 v26, v25, v12
	v_lshlrev_b64_e32 v[26:27], 1, v[26:27]
	s_wait_kmcnt 0x0
	s_delay_alu instid0(VALU_DEP_1) | instskip(SKIP_1) | instid1(VALU_DEP_2)
	v_add_co_u32 v26, s3, s8, v26
	s_wait_alu 0xf1ff
	v_add_co_ci_u32_e64 v27, null, s9, v27, s3
	global_store_b16 v[26:27], v23, off
	s_wait_alu 0xfffe
	s_or_b32 exec_lo, exec_lo, s4
	s_and_saveexec_b32 s4, s1
	s_cbranch_execz .LBB148_41
.LBB148_74:
	v_dual_mov_b32 v24, 0 :: v_dual_add_nc_u32 v23, v25, v13
	s_delay_alu instid0(VALU_DEP_1) | instskip(SKIP_1) | instid1(VALU_DEP_1)
	v_lshlrev_b64_e32 v[23:24], 1, v[23:24]
	s_wait_kmcnt 0x0
	v_add_co_u32 v23, s3, s8, v23
	s_wait_alu 0xf1ff
	s_delay_alu instid0(VALU_DEP_2)
	v_add_co_ci_u32_e64 v24, null, s9, v24, s3
	global_store_b16 v[23:24], v22, off
	s_wait_alu 0xfffe
	s_or_b32 exec_lo, exec_lo, s4
	s_and_saveexec_b32 s4, s2
	s_cbranch_execnz .LBB148_42
	s_branch .LBB148_43
.LBB148_75:
	s_delay_alu instid0(VALU_DEP_1) | instskip(NEXT) | instid1(VALU_DEP_1)
	v_dual_mov_b32 v23, 0 :: v_dual_add_nc_u32 v22, v21, v11
	v_lshlrev_b64_e32 v[22:23], 1, v[22:23]
	s_wait_kmcnt 0x0
	s_delay_alu instid0(VALU_DEP_1) | instskip(SKIP_1) | instid1(VALU_DEP_2)
	v_add_co_u32 v22, s3, s8, v22
	s_wait_alu 0xf1ff
	v_add_co_ci_u32_e64 v23, null, s9, v23, s3
	global_store_b16 v[22:23], v20, off
	s_wait_alu 0xfffe
	s_or_b32 exec_lo, exec_lo, s4
	s_and_saveexec_b32 s4, s0
	s_cbranch_execz .LBB148_46
.LBB148_76:
	s_delay_alu instid0(VALU_DEP_1) | instskip(NEXT) | instid1(VALU_DEP_1)
	v_dual_mov_b32 v23, 0 :: v_dual_add_nc_u32 v22, v21, v12
	v_lshlrev_b64_e32 v[22:23], 1, v[22:23]
	s_wait_kmcnt 0x0
	s_delay_alu instid0(VALU_DEP_1) | instskip(SKIP_1) | instid1(VALU_DEP_2)
	v_add_co_u32 v22, s3, s8, v22
	s_wait_alu 0xf1ff
	v_add_co_ci_u32_e64 v23, null, s9, v23, s3
	global_store_b16 v[22:23], v19, off
	s_wait_alu 0xfffe
	s_or_b32 exec_lo, exec_lo, s4
	s_and_saveexec_b32 s4, s1
	s_cbranch_execz .LBB148_47
.LBB148_77:
	v_dual_mov_b32 v20, 0 :: v_dual_add_nc_u32 v19, v21, v13
	s_delay_alu instid0(VALU_DEP_1) | instskip(SKIP_1) | instid1(VALU_DEP_1)
	v_lshlrev_b64_e32 v[19:20], 1, v[19:20]
	s_wait_kmcnt 0x0
	v_add_co_u32 v19, s3, s8, v19
	s_wait_alu 0xf1ff
	s_delay_alu instid0(VALU_DEP_2)
	v_add_co_ci_u32_e64 v20, null, s9, v20, s3
	global_store_b16 v[19:20], v18, off
	s_wait_alu 0xfffe
	s_or_b32 exec_lo, exec_lo, s4
	s_and_saveexec_b32 s4, s2
	s_cbranch_execnz .LBB148_48
	s_branch .LBB148_49
.LBB148_78:
	s_delay_alu instid0(VALU_DEP_1) | instskip(NEXT) | instid1(VALU_DEP_1)
	v_dual_mov_b32 v19, 0 :: v_dual_add_nc_u32 v18, v17, v11
	v_lshlrev_b64_e32 v[18:19], 1, v[18:19]
	s_wait_kmcnt 0x0
	s_delay_alu instid0(VALU_DEP_1) | instskip(SKIP_1) | instid1(VALU_DEP_2)
	v_add_co_u32 v18, s3, s8, v18
	s_wait_alu 0xf1ff
	v_add_co_ci_u32_e64 v19, null, s9, v19, s3
	global_store_b16 v[18:19], v16, off
	s_wait_alu 0xfffe
	s_or_b32 exec_lo, exec_lo, s4
	s_and_saveexec_b32 s4, s0
	s_cbranch_execz .LBB148_52
.LBB148_79:
	s_delay_alu instid0(VALU_DEP_1) | instskip(NEXT) | instid1(VALU_DEP_1)
	v_dual_mov_b32 v19, 0 :: v_dual_add_nc_u32 v18, v17, v12
	v_lshlrev_b64_e32 v[18:19], 1, v[18:19]
	s_wait_kmcnt 0x0
	s_delay_alu instid0(VALU_DEP_1) | instskip(SKIP_1) | instid1(VALU_DEP_2)
	v_add_co_u32 v18, s3, s8, v18
	s_wait_alu 0xf1ff
	v_add_co_ci_u32_e64 v19, null, s9, v19, s3
	global_store_b16 v[18:19], v15, off
	s_wait_alu 0xfffe
	s_or_b32 exec_lo, exec_lo, s4
	s_and_saveexec_b32 s4, s1
	s_cbranch_execz .LBB148_53
.LBB148_80:
	v_dual_mov_b32 v16, 0 :: v_dual_add_nc_u32 v15, v17, v13
	s_delay_alu instid0(VALU_DEP_1) | instskip(SKIP_1) | instid1(VALU_DEP_1)
	v_lshlrev_b64_e32 v[15:16], 1, v[15:16]
	s_wait_kmcnt 0x0
	v_add_co_u32 v15, s3, s8, v15
	s_wait_alu 0xf1ff
	s_delay_alu instid0(VALU_DEP_2)
	v_add_co_ci_u32_e64 v16, null, s9, v16, s3
	global_store_b16 v[15:16], v10, off
	s_wait_alu 0xfffe
	s_or_b32 exec_lo, exec_lo, s4
	s_and_saveexec_b32 s4, s2
	s_cbranch_execnz .LBB148_54
	s_branch .LBB148_55
.LBB148_81:
	s_delay_alu instid0(VALU_DEP_1) | instskip(NEXT) | instid1(VALU_DEP_1)
	v_dual_mov_b32 v16, 0 :: v_dual_add_nc_u32 v15, v9, v11
	v_lshlrev_b64_e32 v[15:16], 1, v[15:16]
	s_wait_kmcnt 0x0
	s_delay_alu instid0(VALU_DEP_1) | instskip(SKIP_1) | instid1(VALU_DEP_2)
	v_add_co_u32 v15, s3, s8, v15
	s_wait_alu 0xf1ff
	v_add_co_ci_u32_e64 v16, null, s9, v16, s3
	global_store_b16 v[15:16], v8, off
	s_wait_alu 0xfffe
	s_or_b32 exec_lo, exec_lo, s4
	s_and_saveexec_b32 s4, s0
	s_cbranch_execz .LBB148_58
.LBB148_82:
	s_delay_alu instid0(VALU_DEP_1) | instskip(NEXT) | instid1(VALU_DEP_1)
	v_dual_mov_b32 v16, 0 :: v_dual_add_nc_u32 v15, v9, v12
	v_lshlrev_b64_e32 v[15:16], 1, v[15:16]
	s_wait_kmcnt 0x0
	s_delay_alu instid0(VALU_DEP_1) | instskip(SKIP_1) | instid1(VALU_DEP_2)
	v_add_co_u32 v15, s3, s8, v15
	s_wait_alu 0xf1ff
	v_add_co_ci_u32_e64 v16, null, s9, v16, s3
	global_store_b16 v[15:16], v7, off
	s_wait_alu 0xfffe
	s_or_b32 exec_lo, exec_lo, s4
	s_and_saveexec_b32 s4, s1
	s_cbranch_execz .LBB148_59
.LBB148_83:
	v_dual_mov_b32 v8, 0 :: v_dual_add_nc_u32 v7, v9, v13
	s_delay_alu instid0(VALU_DEP_1) | instskip(SKIP_1) | instid1(VALU_DEP_1)
	v_lshlrev_b64_e32 v[7:8], 1, v[7:8]
	s_wait_kmcnt 0x0
	v_add_co_u32 v7, s3, s8, v7
	s_wait_alu 0xf1ff
	s_delay_alu instid0(VALU_DEP_2)
	v_add_co_ci_u32_e64 v8, null, s9, v8, s3
	global_store_b16 v[7:8], v6, off
	s_wait_alu 0xfffe
	s_or_b32 exec_lo, exec_lo, s4
	s_and_saveexec_b32 s4, s2
	s_cbranch_execnz .LBB148_60
	s_branch .LBB148_61
.LBB148_84:
	s_delay_alu instid0(VALU_DEP_1) | instskip(NEXT) | instid1(VALU_DEP_1)
	v_dual_mov_b32 v6, 0 :: v_dual_add_nc_u32 v5, v4, v11
	v_lshlrev_b64_e32 v[5:6], 1, v[5:6]
	s_wait_kmcnt 0x0
	s_delay_alu instid0(VALU_DEP_1) | instskip(SKIP_1) | instid1(VALU_DEP_2)
	v_add_co_u32 v5, vcc_lo, s8, v5
	s_wait_alu 0xfffd
	v_add_co_ci_u32_e64 v6, null, s9, v6, vcc_lo
	global_store_d16_hi_b16 v[5:6], v3, off
	s_wait_alu 0xfffe
	s_or_b32 exec_lo, exec_lo, s3
	s_and_saveexec_b32 s3, s0
	s_cbranch_execz .LBB148_64
.LBB148_85:
	s_delay_alu instid0(VALU_DEP_1) | instskip(NEXT) | instid1(VALU_DEP_1)
	v_dual_mov_b32 v6, 0 :: v_dual_add_nc_u32 v5, v4, v12
	v_lshlrev_b64_e32 v[5:6], 1, v[5:6]
	s_wait_kmcnt 0x0
	s_delay_alu instid0(VALU_DEP_1) | instskip(SKIP_1) | instid1(VALU_DEP_2)
	v_add_co_u32 v5, vcc_lo, s8, v5
	s_wait_alu 0xfffd
	v_add_co_ci_u32_e64 v6, null, s9, v6, vcc_lo
	global_store_b16 v[5:6], v2, off
	s_wait_alu 0xfffe
	s_or_b32 exec_lo, exec_lo, s3
	s_and_saveexec_b32 s0, s1
	s_cbranch_execz .LBB148_65
.LBB148_86:
	v_dual_mov_b32 v3, 0 :: v_dual_add_nc_u32 v2, v4, v13
	s_delay_alu instid0(VALU_DEP_1) | instskip(SKIP_1) | instid1(VALU_DEP_1)
	v_lshlrev_b64_e32 v[2:3], 1, v[2:3]
	s_wait_kmcnt 0x0
	v_add_co_u32 v2, vcc_lo, s8, v2
	s_wait_alu 0xfffd
	s_delay_alu instid0(VALU_DEP_2) | instskip(SKIP_3) | instid1(SALU_CYCLE_1)
	v_add_co_ci_u32_e64 v3, null, s9, v3, vcc_lo
	global_store_d16_hi_b16 v[2:3], v1, off
	s_wait_alu 0xfffe
	s_or_b32 exec_lo, exec_lo, s0
	s_and_b32 exec_lo, exec_lo, s2
	s_cbranch_execz .LBB148_15
.LBB148_87:
	v_dual_mov_b32 v2, 0 :: v_dual_add_nc_u32 v1, v4, v14
	s_delay_alu instid0(VALU_DEP_1) | instskip(SKIP_1) | instid1(VALU_DEP_1)
	v_lshlrev_b64_e32 v[1:2], 1, v[1:2]
	s_wait_kmcnt 0x0
	v_add_co_u32 v1, vcc_lo, s8, v1
	s_wait_alu 0xfffd
	s_delay_alu instid0(VALU_DEP_2)
	v_add_co_ci_u32_e64 v2, null, s9, v2, vcc_lo
	global_store_b16 v[1:2], v0, off
	s_nop 0
	s_sendmsg sendmsg(MSG_DEALLOC_VGPRS)
	s_endpgm
	.section	.rodata,"a",@progbits
	.p2align	6, 0x0
	.amdhsa_kernel _ZL12mul_mat_q2_KIN3c104HalfELb1EEvPKvS3_PT_iiiii
		.amdhsa_group_segment_fixed_size 31392
		.amdhsa_private_segment_fixed_size 1056
		.amdhsa_kernarg_size 44
		.amdhsa_user_sgpr_count 2
		.amdhsa_user_sgpr_dispatch_ptr 0
		.amdhsa_user_sgpr_queue_ptr 0
		.amdhsa_user_sgpr_kernarg_segment_ptr 1
		.amdhsa_user_sgpr_dispatch_id 0
		.amdhsa_user_sgpr_private_segment_size 0
		.amdhsa_wavefront_size32 1
		.amdhsa_uses_dynamic_stack 0
		.amdhsa_enable_private_segment 1
		.amdhsa_system_sgpr_workgroup_id_x 1
		.amdhsa_system_sgpr_workgroup_id_y 1
		.amdhsa_system_sgpr_workgroup_id_z 0
		.amdhsa_system_sgpr_workgroup_info 0
		.amdhsa_system_vgpr_workitem_id 1
		.amdhsa_next_free_vgpr 256
		.amdhsa_next_free_sgpr 22
		.amdhsa_reserve_vcc 1
		.amdhsa_float_round_mode_32 0
		.amdhsa_float_round_mode_16_64 0
		.amdhsa_float_denorm_mode_32 3
		.amdhsa_float_denorm_mode_16_64 3
		.amdhsa_fp16_overflow 0
		.amdhsa_workgroup_processor_mode 1
		.amdhsa_memory_ordered 1
		.amdhsa_forward_progress 1
		.amdhsa_inst_pref_size 255
		.amdhsa_round_robin_scheduling 0
		.amdhsa_exception_fp_ieee_invalid_op 0
		.amdhsa_exception_fp_denorm_src 0
		.amdhsa_exception_fp_ieee_div_zero 0
		.amdhsa_exception_fp_ieee_overflow 0
		.amdhsa_exception_fp_ieee_underflow 0
		.amdhsa_exception_fp_ieee_inexact 0
		.amdhsa_exception_int_div_zero 0
	.end_amdhsa_kernel
	.section	.text._ZL12mul_mat_q2_KIN3c104HalfELb1EEvPKvS3_PT_iiiii,"axG",@progbits,_ZL12mul_mat_q2_KIN3c104HalfELb1EEvPKvS3_PT_iiiii,comdat
.Lfunc_end148:
	.size	_ZL12mul_mat_q2_KIN3c104HalfELb1EEvPKvS3_PT_iiiii, .Lfunc_end148-_ZL12mul_mat_q2_KIN3c104HalfELb1EEvPKvS3_PT_iiiii
                                        ; -- End function
	.set _ZL12mul_mat_q2_KIN3c104HalfELb1EEvPKvS3_PT_iiiii.num_vgpr, 256
	.set _ZL12mul_mat_q2_KIN3c104HalfELb1EEvPKvS3_PT_iiiii.num_agpr, 0
	.set _ZL12mul_mat_q2_KIN3c104HalfELb1EEvPKvS3_PT_iiiii.numbered_sgpr, 22
	.set _ZL12mul_mat_q2_KIN3c104HalfELb1EEvPKvS3_PT_iiiii.num_named_barrier, 0
	.set _ZL12mul_mat_q2_KIN3c104HalfELb1EEvPKvS3_PT_iiiii.private_seg_size, 1056
	.set _ZL12mul_mat_q2_KIN3c104HalfELb1EEvPKvS3_PT_iiiii.uses_vcc, 1
	.set _ZL12mul_mat_q2_KIN3c104HalfELb1EEvPKvS3_PT_iiiii.uses_flat_scratch, 1
	.set _ZL12mul_mat_q2_KIN3c104HalfELb1EEvPKvS3_PT_iiiii.has_dyn_sized_stack, 0
	.set _ZL12mul_mat_q2_KIN3c104HalfELb1EEvPKvS3_PT_iiiii.has_recursion, 0
	.set _ZL12mul_mat_q2_KIN3c104HalfELb1EEvPKvS3_PT_iiiii.has_indirect_call, 0
	.section	.AMDGPU.csdata,"",@progbits
; Kernel info:
; codeLenInByte = 58400
; TotalNumSgprs: 24
; NumVgprs: 256
; ScratchSize: 1056
; MemoryBound: 0
; FloatMode: 240
; IeeeMode: 1
; LDSByteSize: 31392 bytes/workgroup (compile time only)
; SGPRBlocks: 0
; VGPRBlocks: 31
; NumSGPRsForWavesPerEU: 24
; NumVGPRsForWavesPerEU: 256
; Occupancy: 5
; WaveLimiterHint : 0
; COMPUTE_PGM_RSRC2:SCRATCH_EN: 1
; COMPUTE_PGM_RSRC2:USER_SGPR: 2
; COMPUTE_PGM_RSRC2:TRAP_HANDLER: 0
; COMPUTE_PGM_RSRC2:TGID_X_EN: 1
; COMPUTE_PGM_RSRC2:TGID_Y_EN: 1
; COMPUTE_PGM_RSRC2:TGID_Z_EN: 0
; COMPUTE_PGM_RSRC2:TIDIG_COMP_CNT: 1
	.section	.text._ZL12mul_mat_q3_KIN3c104HalfELb0EEvPKvS3_PT_iiiii,"axG",@progbits,_ZL12mul_mat_q3_KIN3c104HalfELb0EEvPKvS3_PT_iiiii,comdat
	.globl	_ZL12mul_mat_q3_KIN3c104HalfELb0EEvPKvS3_PT_iiiii ; -- Begin function _ZL12mul_mat_q3_KIN3c104HalfELb0EEvPKvS3_PT_iiiii
	.p2align	8
	.type	_ZL12mul_mat_q3_KIN3c104HalfELb0EEvPKvS3_PT_iiiii,@function
_ZL12mul_mat_q3_KIN3c104HalfELb0EEvPKvS3_PT_iiiii: ; @_ZL12mul_mat_q3_KIN3c104HalfELb0EEvPKvS3_PT_iiiii
; %bb.0:
	s_clause 0x1
	s_load_b32 s10, s[0:1], 0x18
	s_load_b96 s[4:6], s[0:1], 0x20
	v_bfe_u32 v11, v0, 10, 10
	v_and_b32_e32 v12, 0x3ff, v0
	s_lshl_b32 s7, ttmp7, 6
	s_wait_kmcnt 0x0
	s_cmp_gt_i32 s10, 0xff
	s_cbranch_scc1 .LBB149_2
; %bb.1:
	v_bfe_u32 v6, v0, 10, 10
	v_and_b32_e32 v37, 0x3ff, v0
	s_mov_b32 s2, 0
	s_delay_alu instid0(VALU_DEP_2)
	v_add_nc_u32_e32 v18, s7, v6
	s_branch .LBB149_3
.LBB149_2:
	s_mov_b32 s2, -1
                                        ; implicit-def: $vgpr6
                                        ; implicit-def: $vgpr37
                                        ; implicit-def: $vgpr18
.LBB149_3:
	s_load_b64 s[8:9], s[0:1], 0x10
	v_dual_mov_b32 v1, 0 :: v_dual_mov_b32 v10, 0
	v_dual_mov_b32 v5, 0 :: v_dual_mov_b32 v22, 0
	;; [unrolled: 1-line block ×15, first 2 shown]
	v_mov_b32_e32 v29, 0
	v_mov_b32_e32 v33, 0
	s_and_not1_b32 vcc_lo, exec_lo, s2
	s_lshl_b32 s14, ttmp9, 7
	s_cbranch_vccnz .LBB149_15
; %bb.4:
	s_ashr_i32 s11, s10, 31
	v_bfe_u32 v13, v0, 4, 6
	v_bfe_u32 v20, v0, 1, 9
	v_lshlrev_b32_e32 v4, 1, v11
	s_lshr_b32 s12, s11, 24
	v_dual_mov_b32 v14, 0 :: v_dual_and_b32 v3, 15, v0
	s_add_co_i32 s10, s10, s12
	v_dual_mov_b32 v134, 0 :: v_dual_and_b32 v19, 1, v0
	v_lshl_add_u32 v5, v11, 4, v20
	v_dual_mov_b32 v127, 0 :: v_dual_add_nc_u32 v54, v13, v4
	s_ashr_i32 s15, s10, 8
	v_dual_mov_b32 v132, 0 :: v_dual_add_nc_u32 v15, s7, v11
	s_lshl_b32 s10, s15, 3
	v_dual_mov_b32 v133, 0 :: v_dual_lshlrev_b32 v18, 2, v19
	v_mad_i32_i24 v1, s15, v11, s10
	v_cmp_lt_u32_e32 vcc_lo, 7, v3
	v_dual_mov_b32 v131, 0 :: v_dual_and_b32 v26, 0x7f, v5
	v_lshrrev_b32_e32 v36, 2, v5
	v_add_nc_u32_e32 v42, 16, v54
	v_lshlrev_b32_e32 v23, 2, v3
	v_cndmask_b32_e64 v3, 0, 1, vcc_lo
	s_clause 0x1
	scratch_store_b32 off, v1, off
	scratch_store_b32 off, v15, off offset:100
	v_dual_mov_b32 v130, 0 :: v_dual_add_nc_u32 v1, s10, v1
	v_add_nc_u16 v6, v13, v4
	v_add_nc_u32_e32 v7, 8, v15
	v_add_nc_u32_e32 v8, 16, v15
	;; [unrolled: 1-line block ×5, first 2 shown]
	v_mul_i32_i24_e32 v5, s15, v54
	v_lshl_or_b32 v18, v26, 3, v18
	v_and_b32_e32 v44, 28, v36
	v_lshlrev_b32_e32 v45, 1, v42
	v_mul_i32_i24_e32 v16, s15, v26
	v_add_nc_u32_e32 v49, 48, v15
	v_add_nc_u32_e32 v51, 56, v15
	s_add_co_i32 s16, s4, -1
	scratch_store_b32 off, v1, off offset:4 ; 4-byte Folded Spill
	v_dual_mov_b32 v136, 0 :: v_dual_add_nc_u32 v17, s10, v1
	v_cvt_f64_i32_e32 v[1:2], s16
	s_clause 0x1
	scratch_store_b32 off, v3, off offset:8
	scratch_store_b32 off, v16, off offset:16
	v_cvt_f64_u32_e32 v[3:4], v15
	v_lshrrev_b16 v35, 1, v6
	v_cvt_f64_u32_e32 v[9:10], v9
	v_add3_u32 v16, v18, v44, 0x9380
	scratch_store_b32 off, v5, off offset:12 ; 4-byte Folded Spill
	v_cvt_f64_u32_e32 v[5:6], v7
	v_cvt_f64_u32_e32 v[7:8], v8
	v_dual_mov_b32 v139, 0 :: v_dual_and_b32 v44, 0xffc, v45
	v_cvt_f64_u32_e32 v[45:46], v40
	v_cvt_f64_u32_e32 v[47:48], v41
	;; [unrolled: 1-line block ×4, first 2 shown]
	v_add_nc_u32_e32 v43, 32, v54
	v_add_nc_u32_e32 v55, 48, v54
	;; [unrolled: 1-line block ×3, first 2 shown]
	v_dual_mov_b32 v140, 0 :: v_dual_add_nc_u32 v21, s10, v17
	s_delay_alu instid0(VALU_DEP_4) | instskip(SKIP_3) | instid1(VALU_DEP_4)
	v_lshlrev_b32_e32 v41, 1, v43
	v_add3_u32 v87, v44, v23, 0x4200
	v_dual_mov_b32 v129, 0 :: v_dual_add_nc_u32 v56, 64, v54
	v_dual_mov_b32 v125, 0 :: v_dual_lshlrev_b32 v88, 6, v42
	v_dual_mov_b32 v135, 0 :: v_dual_and_b32 v44, 0xffc, v41
	v_lshlrev_b32_e32 v42, 1, v55
	v_lshlrev_b32_e32 v59, 1, v57
	v_add_nc_u32_e32 v61, 0x60, v54
	v_add_nc_u32_e32 v22, s10, v21
	s_ashr_i32 s11, s5, 31
	v_add3_u32 v89, v44, v23, 0x4200
	v_lshlrev_b32_e32 v44, 1, v56
	v_and_b32_e32 v58, 0xffc, v42
	v_lshlrev_b32_e32 v92, 6, v55
	v_and_b32_e32 v55, 0xffc, v59
	v_lshlrev_b32_e32 v94, 6, v56
	v_lshlrev_b32_e32 v56, 1, v61
	s_wait_alu 0xfffe
	s_lshr_b32 s11, s11, 27
	v_add_nc_u32_e32 v25, s10, v22
	s_wait_alu 0xfffe
	s_add_co_i32 s5, s5, s11
	s_lshl_b32 s11, s15, 4
	v_lshlrev_b32_e32 v85, 6, v54
	s_wait_alu 0xfffe
	v_mad_i32_i24 v40, s15, v54, s11
	v_add3_u32 v91, v58, v23, 0x4200
	v_min_num_f64_e32 v[3:4], v[3:4], v[1:2]
	v_add3_u32 v95, v55, v23, 0x4200
	v_min_num_f64_e32 v[5:6], v[5:6], v[1:2]
	v_min_num_f64_e32 v[7:8], v[7:8], v[1:2]
	v_add_nc_u32_e32 v62, 0x70, v54
	v_min_num_f64_e32 v[9:10], v[9:10], v[1:2]
	v_lshlrev_b32_e32 v96, 6, v57
	v_min_num_f64_e32 v[54:55], v[45:46], v[1:2]
	v_and_b32_e32 v46, 0xffc, v56
	v_min_num_f64_e32 v[56:57], v[47:48], v[1:2]
	v_min_num_f64_e32 v[58:59], v[49:50], v[1:2]
	;; [unrolled: 1-line block ×3, first 2 shown]
	v_add_nc_u32_e32 v27, s10, v25
	v_add_nc_u32_e32 v41, s11, v40
	;; [unrolled: 1-line block ×3, first 2 shown]
	v_lshlrev_b32_e32 v90, 6, v43
	v_and_b32_e32 v44, 0xffc, v44
	v_add_nc_u32_e32 v29, s10, v27
	v_add_nc_u32_e32 v42, s11, v41
	v_lshrrev_b32_e32 v117, 1, v82
	v_and_b32_e32 v60, 3, v0
	v_bfe_u32 v49, v0, 3, 7
	v_add_nc_u32_e32 v30, s10, v29
	v_add_nc_u32_e32 v43, s11, v42
	v_and_b32_e32 v39, 0xffff, v35
	v_add3_u32 v93, v44, v23, 0x4200
	v_lshlrev_b32_e32 v120, 2, v117
	v_add_nc_u32_e32 v31, s10, v30
	v_dual_mov_b32 v117, 0 :: v_dual_add_nc_u32 v44, s11, v43
	v_dual_mov_b32 v128, 0 :: v_dual_and_b32 v53, 7, v0
	s_delay_alu instid0(VALU_DEP_3)
	v_add_nc_u32_e32 v33, s10, v31
	v_lshlrev_b32_e32 v98, 6, v61
	v_add_nc_u16 v48, v60, -2
	v_cmp_gt_u32_e32 vcc_lo, 2, v60
	v_lshl_add_u32 v61, v11, 2, v49
	v_add_nc_u32_e32 v34, s10, v33
	v_add_nc_u32_e32 v45, s11, v44
	s_wait_alu 0xfffd
	v_dual_cndmask_b32 v48, v48, v60 :: v_dual_add_nc_u32 v71, 16, v11
	v_lshlrev_b32_e32 v28, 2, v53
	v_add_nc_u32_e32 v35, s10, v34
	v_cmp_lt_u32_e32 vcc_lo, 3, v53
	v_and_b32_e32 v53, 0x7fc, v61
	v_cvt_i32_f64_e32 v3, v[3:4]
	v_add_nc_u32_e32 v4, 32, v61
	v_dual_mov_b32 v141, 0 :: v_dual_add_nc_u32 v36, s10, v35
	v_cvt_i32_f64_e32 v1, v[1:2]
	v_add_nc_u32_e32 v15, s11, v45
	scratch_store_b32 off, v16, off offset:20 ; 4-byte Folded Spill
	v_dual_mov_b32 v137, 0 :: v_dual_add_nc_u32 v16, s10, v36
	s_lshl_b32 s10, s15, 5
	v_add3_u32 v101, v53, v28, 0x8300
	v_cvt_i32_f64_e32 v5, v[5:6]
	v_cvt_i32_f64_e32 v6, v[7:8]
	s_wait_alu 0xfffe
	v_mad_i32_i24 v53, s15, v61, s10
	v_cvt_i32_f64_e32 v7, v[9:10]
	v_and_b32_e32 v8, 0xffc, v4
	v_cvt_i32_f64_e32 v10, v[54:55]
	v_bfe_u32 v54, v0, 2, 8
	v_add_nc_u32_e32 v9, 64, v61
	v_add_nc_u32_e32 v2, 0x60, v61
	v_add3_u32 v103, v8, v28, 0x8300
	v_lshlrev_b32_e32 v47, 1, v62
	v_lshl_add_u32 v8, v11, 3, v54
	v_add_nc_u32_e32 v54, s10, v53
	v_and_b32_e32 v55, 0xffc, v9
	v_lshlrev_b32_e32 v105, 5, v9
	v_lshlrev_b32_e32 v100, 6, v62
	v_and_b32_e32 v8, 63, v8
	v_add_nc_u32_e32 v9, s10, v54
	scratch_store_b32 off, v15, off offset:28 ; 4-byte Folded Spill
	v_cvt_i32_f64_e32 v62, v[56:57]
	v_and_b32_e32 v56, 0xffc, v2
	s_ashr_i32 s5, s5, 5
	scratch_store_b32 off, v9, off offset:40 ; 4-byte Folded Spill
	v_or_b32_e32 v9, s7, v8
	v_lshlrev_b32_e32 v39, 2, v39
	v_add3_u32 v106, v56, v28, 0x8300
	v_lshlrev_b32_e32 v56, 2, v60
	s_wait_alu 0xfffd
	v_cndmask_b32_e64 v15, 0, 1, vcc_lo
	v_min_i32_e32 v9, s16, v9
	v_add3_u32 v86, v39, v23, 0x4200
	scratch_store_b32 off, v16, off offset:24 ; 4-byte Folded Spill
	v_lshl_or_b32 v56, v8, 4, v56
	v_and_b32_e32 v57, 31, v0
	v_mad_co_u64_u32 v[8:9], null, v9, s5, v[60:61]
	scratch_store_b32 off, v15, off offset:32 ; 4-byte Folded Spill
	v_mul_lo_u32 v64, s5, v1
	v_add_nc_u32_e32 v1, 32, v12
	v_and_b32_e32 v0, 0xfc, v0
	v_mul_i32_i24_e32 v15, s15, v61
	v_lshlrev_b32_e32 v102, 5, v61
	scratch_store_b64 off, v[8:9], off offset:44 ; 8-byte Folded Spill
	v_lshlrev_b32_e32 v9, 5, v12
	v_mul_lo_u32 v61, s5, v10
	v_lshlrev_b32_e32 v10, 5, v1
	v_and_b32_e32 v67, 0x1fc, v1
	v_lshrrev_b32_e32 v115, 4, v1
	v_add3_u32 v66, v9, v0, 0x8300
	v_lshrrev_b32_e32 v0, 1, v1
	v_lshlrev_b32_e32 v79, 6, v1
	v_lshlrev_b32_e32 v80, 3, v1
	v_add_nc_u32_e32 v1, v86, v85
	scratch_store_b32 off, v15, off offset:36 ; 4-byte Folded Spill
	v_cvt_i32_f64_e32 v63, v[58:59]
	v_add3_u32 v97, v46, v23, 0x4200
	v_and_b32_e32 v47, 0xffc, v47
	scratch_store_b32 off, v1, off offset:52 ; 4-byte Folded Spill
	v_add_nc_u32_e32 v1, v87, v88
	s_load_b128 s[0:3], s[0:1], 0x0
	v_add_nc_u32_e32 v9, 0x60, v12
	v_add3_u32 v99, v47, v23, 0x4200
	v_add_nc_u32_e32 v76, 56, v11
	scratch_store_b32 off, v1, off offset:56 ; 4-byte Folded Spill
	v_add_nc_u32_e32 v1, v89, v90
	v_lshlrev_b32_e32 v4, 5, v4
	v_lshrrev_b32_e32 v121, 1, v9
	v_lshlrev_b32_e32 v37, 2, v12
	v_add_nc_u32_e32 v38, 8, v11
	scratch_store_b32 off, v1, off offset:60 ; 4-byte Folded Spill
	v_add_nc_u32_e32 v1, v91, v92
	v_add_nc_u32_e32 v72, 24, v11
	;; [unrolled: 1-line block ×4, first 2 shown]
	v_dual_mov_b32 v138, 0 :: v_dual_add_nc_u32 v75, 48, v11
	scratch_store_b32 off, v1, off offset:64 ; 4-byte Folded Spill
	v_add_nc_u32_e32 v1, v93, v94
	v_lshl_or_b32 v107, v57, 2, 0x6300
	v_lshrrev_b32_e32 v119, 4, v82
	v_dual_mov_b32 v121, 0 :: v_dual_lshlrev_b32 v124, 2, v121
	scratch_store_b32 off, v1, off offset:68 ; 4-byte Folded Spill
	v_add_nc_u32_e32 v1, v95, v96
	v_add3_u32 v104, v55, v28, 0x8300
	v_lshlrev_b32_e32 v47, 1, v12
	v_and_b32_e32 v50, 0xff, v48
	v_lshlrev_b32_e32 v51, 1, v60
	scratch_store_b32 off, v1, off offset:72 ; 4-byte Folded Spill
	v_add_nc_u32_e32 v1, v97, v98
	v_mov_b32_e32 v97, 0
	v_lshlrev_b32_e32 v113, 7, v76
	v_lshlrev_b32_e32 v2, 5, v2
	v_mul_lo_u32 v57, s5, v3
	scratch_store_b32 off, v1, off offset:76 ; 4-byte Folded Spill
	v_add_nc_u32_e32 v1, v99, v100
	v_lshlrev_b32_e32 v3, 7, v11
	v_mul_lo_u32 v58, s5, v5
	v_mul_lo_u32 v59, s5, v6
	v_lshlrev_b32_e32 v6, 7, v71
	scratch_store_b32 off, v1, off offset:80 ; 4-byte Folded Spill
	v_dual_mov_b32 v102, 0 :: v_dual_add_nc_u32 v1, v101, v102
	v_mad_u32_u24 v24, 0x84, v11, v37
	v_and_b32_e32 v37, 28, v37
	v_mul_lo_u32 v60, s5, v7
	scratch_store_b32 off, v1, off offset:84 ; 4-byte Folded Spill
	v_add_nc_u32_e32 v1, v103, v4
	v_lshlrev_b32_e32 v109, 7, v74
	v_lshlrev_b32_e32 v111, 7, v75
	v_add3_u32 v67, v10, v67, 0x8300
	v_lshlrev_b32_e32 v10, 5, v82
	v_and_b32_e32 v68, 0x1fc, v82
	v_lshlrev_b32_e32 v69, 5, v9
	v_and_b32_e32 v70, 0x1fc, v9
	v_lshrrev_b32_e32 v123, 4, v9
	scratch_store_b32 off, v1, off offset:88 ; 4-byte Folded Spill
	v_add_nc_u32_e32 v1, v104, v105
	v_add_nc_u32_e32 v114, v107, v113
	v_dual_mov_b32 v119, 0 :: v_dual_lshlrev_b32 v122, 2, v119
	v_lshlrev_b32_e32 v5, 7, v38
	v_mov_b32_e32 v113, 0
	v_dual_mov_b32 v104, 0 :: v_dual_lshlrev_b32 v7, 7, v72
	v_lshlrev_b32_e32 v108, 7, v73
	s_mul_i32 s12, s15, s14
	v_mul_lo_u32 v62, s5, v62
	v_mul_lo_u32 v63, s5, v63
	v_lshlrev_b32_e32 v83, 6, v9
	v_lshlrev_b32_e32 v84, 3, v9
	s_wait_kmcnt 0x0
	v_add_co_u32 v9, s5, s2, v37
	s_ashr_i32 s13, s12, 31
	v_and_b32_e32 v49, 4, v47
	v_lshlrev_b32_e32 v50, 2, v50
	v_add_nc_u32_e32 v56, 0x97a0, v56
	v_lshlrev_b32_e32 v65, 5, v11
	v_add3_u32 v68, v10, v68, 0x8300
	v_add3_u32 v69, v69, v70, 0x8300
	v_lshlrev_b32_e32 v70, 5, v38
	v_lshlrev_b32_e32 v71, 5, v71
	v_lshlrev_b32_e32 v72, 5, v72
	v_lshlrev_b32_e32 v73, 5, v73
	v_lshlrev_b32_e32 v75, 5, v75
	v_lshlrev_b32_e32 v76, 5, v76
	v_mul_u32_u24_e32 v77, 0x84, v12
	v_lshlrev_b32_e32 v78, 6, v12
	v_lshlrev_b32_e32 v81, 6, v82
	;; [unrolled: 1-line block ×3, first 2 shown]
	s_wait_alu 0xf1ff
	v_add_co_ci_u32_e64 v10, null, s3, 0, s5
	scratch_store_b32 off, v1, off offset:92 ; 4-byte Folded Spill
	v_add_nc_u32_e32 v1, v106, v2
	v_add_nc_u32_e32 v101, v107, v3
	;; [unrolled: 1-line block ×8, first 2 shown]
	v_lshlrev_b32_e32 v116, 2, v0
	v_lshlrev_b32_e32 v118, 2, v115
	v_dual_mov_b32 v107, 0 :: v_dual_lshlrev_b32 v126, 2, v123
	v_dual_mov_b32 v93, 0 :: v_dual_lshlrev_b32 v74, 5, v74
	v_mov_b32_e32 v89, 0
	v_mov_b32_e32 v115, 0
	;; [unrolled: 1-line block ×6, first 2 shown]
	s_mul_u64 s[12:13], s[12:13], 0x6e
	s_mov_b32 s11, 0
	s_add_nc_u64 s[0:1], s[0:1], s[12:13]
	s_wait_alu 0xfffe
	s_mov_b32 s10, s11
	scratch_store_b32 off, v1, off offset:96 ; 4-byte Folded Spill
	s_branch .LBB149_6
.LBB149_5:                              ;   in Loop: Header=BB149_6 Depth=1
	s_add_co_i32 s10, s10, 2
	s_wait_alu 0xfffe
	s_cmp_ge_i32 s10, s15
	s_cbranch_scc1 .LBB149_14
.LBB149_6:                              ; =>This Loop Header: Depth=1
                                        ;     Child Loop BB149_8 Depth 2
                                        ;       Child Loop BB149_10 Depth 3
                                        ;       Child Loop BB149_12 Depth 3
	s_clause 0x1
	scratch_load_b32 v4, off, off
	scratch_load_b32 v6, off, off offset:4
	s_wait_alu 0xfffe
	s_mul_u64 s[12:13], s[10:11], 0x6e
	v_mul_i32_i24_e32 v2, s15, v11
	s_wait_alu 0xfffe
	s_add_nc_u64 s[12:13], s[0:1], s[12:13]
	v_add_nc_u32_e32 v179, 0x39c0, v24
	s_wait_alu 0xfffe
	v_mad_co_u64_u32 v[0:1], null, 0x6e, v13, s[12:13]
	v_add_nc_u32_e32 v180, 0x3de0, v24
	s_lshl_b32 s5, s10, 3
	s_delay_alu instid0(VALU_DEP_2) | instskip(SKIP_3) | instid1(VALU_DEP_4)
	v_mad_co_u64_u32 v[2:3], null, 0x6e, v2, v[0:1]
	v_mad_co_u64_u32 v[142:143], null, 0x6e, v17, v[0:1]
	;; [unrolled: 1-line block ×4, first 2 shown]
	v_add_co_u32 v2, vcc_lo, v2, v23
	s_wait_alu 0xfffd
	v_add_co_ci_u32_e64 v3, null, 0, v3, vcc_lo
	v_mad_co_u64_u32 v[148:149], null, 0x6e, v25, v[0:1]
	v_mad_co_u64_u32 v[150:151], null, 0x6e, v27, v[0:1]
	;; [unrolled: 1-line block ×3, first 2 shown]
	s_wait_loadcnt 0x1
	v_mad_co_u64_u32 v[4:5], null, 0x6e, v4, v[0:1]
	s_wait_loadcnt 0x0
	v_mad_co_u64_u32 v[6:7], null, 0x6e, v6, v[0:1]
	s_delay_alu instid0(VALU_DEP_2) | instskip(SKIP_1) | instid1(VALU_DEP_3)
	v_add_co_u32 v4, vcc_lo, v4, v23
	s_wait_alu 0xfffd
	v_add_co_ci_u32_e64 v5, null, 0, v5, vcc_lo
	s_delay_alu instid0(VALU_DEP_3) | instskip(SKIP_1) | instid1(VALU_DEP_4)
	v_add_co_u32 v6, vcc_lo, v6, v23
	s_wait_alu 0xfffd
	v_add_co_ci_u32_e64 v7, null, 0, v7, vcc_lo
	v_add_co_u32 v142, vcc_lo, v142, v23
	s_wait_alu 0xfffd
	v_add_co_ci_u32_e64 v143, null, 0, v143, vcc_lo
	;; [unrolled: 3-line block ×6, first 2 shown]
	s_clause 0x7
	global_load_b32 v37, v[2:3], off offset:32
	global_load_b32 v38, v[4:5], off offset:32
	;; [unrolled: 1-line block ×8, first 2 shown]
	scratch_load_b32 v8, off, off offset:24 ; 4-byte Folded Reload
	v_mad_co_u64_u32 v[2:3], null, 0x6e, v30, v[0:1]
	v_mad_co_u64_u32 v[6:7], null, 0x6e, v31, v[0:1]
	;; [unrolled: 1-line block ×6, first 2 shown]
	v_add_co_u32 v4, vcc_lo, v152, v23
	s_wait_alu 0xfffd
	v_add_co_ci_u32_e64 v5, null, 0, v153, vcc_lo
	v_add_co_u32 v2, vcc_lo, v2, v23
	s_wait_alu 0xfffd
	v_add_co_ci_u32_e64 v3, null, 0, v3, vcc_lo
	;; [unrolled: 3-line block ×7, first 2 shown]
	s_wait_loadcnt 0x0
	v_mad_co_u64_u32 v[0:1], null, 0x6e, v8, v[0:1]
	scratch_load_b32 v8, off, off offset:8  ; 4-byte Folded Reload
	v_add_co_u32 v0, vcc_lo, v0, v23
	s_wait_alu 0xfffd
	v_add_co_ci_u32_e64 v1, null, 0, v1, vcc_lo
	s_wait_loadcnt 0x0
	v_mad_co_u64_u32 v[150:151], null, 0x6e, v8, s[12:13]
	scratch_load_b32 v8, off, off offset:16 ; 4-byte Folded Reload
	s_clause 0x7
	global_load_b32 v166, v[4:5], off offset:32
	global_load_b32 v167, v[2:3], off offset:32
	;; [unrolled: 1-line block ×8, first 2 shown]
	scratch_load_b32 v2, off, off offset:12 ; 4-byte Folded Reload
	v_add_co_u32 v150, vcc_lo, v150, v28
	s_wait_alu 0xfffd
	v_add_co_ci_u32_e64 v151, null, 0, v151, vcc_lo
	s_delay_alu instid0(VALU_DEP_1)
	v_mad_co_u64_u32 v[4:5], null, 0x6e, v40, v[150:151]
	v_mad_co_u64_u32 v[6:7], null, 0x6e, v41, v[150:151]
	;; [unrolled: 1-line block ×5, first 2 shown]
	s_wait_loadcnt 0x9
	v_mad_co_u64_u32 v[152:153], null, 0x6e, v8, s[12:13]
	scratch_load_b32 v8, off, off offset:32 ; 4-byte Folded Reload
	s_wait_loadcnt 0x1
	v_mad_co_u64_u32 v[2:3], null, 0x6e, v2, v[150:151]
	v_mad_co_u64_u32 v[0:1], null, 0x6e, v19, v[152:153]
	;; [unrolled: 1-line block ×3, first 2 shown]
	s_wait_loadcnt 0x0
	v_mad_co_u64_u32 v[144:145], null, 0x6e, v8, s[12:13]
	scratch_load_b32 v8, off, off offset:36 ; 4-byte Folded Reload
	s_mov_b32 s12, 0
	v_mad_co_u64_u32 v[156:157], null, 0x6e, v54, v[144:145]
	s_wait_loadcnt 0x0
	v_mad_co_u64_u32 v[154:155], null, 0x6e, v8, v[144:145]
	scratch_load_b32 v8, off, off offset:40 ; 4-byte Folded Reload
	s_wait_loadcnt 0x0
	v_mad_co_u64_u32 v[158:159], null, 0x6e, v8, v[144:145]
	s_clause 0x9
	global_load_u16 v174, v[0:1], off offset:108
	global_load_b32 v175, v[2:3], off
	global_load_b32 v176, v[4:5], off
	;; [unrolled: 1-line block ×7, first 2 shown]
	global_load_b32 v149, v[156:157], off offset:104
	global_load_b32 v152, v[158:159], off offset:104
	scratch_load_b32 v2, off, off offset:28 ; 4-byte Folded Reload
	v_mad_co_u64_u32 v[0:1], null, 0x6e, v53, v[144:145]
	v_add_co_u32 v4, vcc_lo, v154, v50
	s_wait_alu 0xfffd
	v_add_co_ci_u32_e64 v5, null, 0, v155, vcc_lo
	v_add_nc_u32_e32 v153, 0x1ce0, v24
	s_delay_alu instid0(VALU_DEP_4)
	v_add_co_u32 v6, vcc_lo, v0, v50
	s_wait_alu 0xfffd
	v_add_co_ci_u32_e64 v7, null, 0, v1, vcc_lo
	v_add_co_u32 v142, vcc_lo, v156, v50
	s_wait_alu 0xfffd
	v_add_co_ci_u32_e64 v143, null, 0, v157, vcc_lo
	;; [unrolled: 3-line block ×3, first 2 shown]
	v_add_nc_u32_e32 v156, 0x2940, v24
	v_add_nc_u32_e32 v157, 0x2d60, v24
	;; [unrolled: 1-line block ×4, first 2 shown]
	s_wait_loadcnt 0xa
	v_cvt_f32_f16_e64 v174, v174
	s_wait_loadcnt 0x2
	v_ashrrev_i32_e32 v149, v51, v149
	s_wait_loadcnt 0x1
	v_ashrrev_i32_e32 v152, v51, v152
	s_wait_loadcnt 0x0
	v_mad_co_u64_u32 v[2:3], null, 0x6e, v2, v[150:151]
	s_clause 0x6
	global_load_b32 v2, v[2:3], off
	global_load_b32 v3, v[4:5], off offset:96
	global_load_b32 v0, v[0:1], off offset:104
	global_load_b32 v1, v[142:143], off offset:96
	global_load_b32 v4, v[6:7], off offset:96
	global_load_b32 v5, v[154:155], off offset:104
	global_load_b32 v6, v[144:145], off offset:96
	v_add_nc_u32_e32 v7, 0x420, v24
	v_add_nc_u32_e32 v143, 0x840, v24
	;; [unrolled: 1-line block ×8, first 2 shown]
	scratch_load_b64 v[15:16], off, off offset:44 ; 8-byte Folded Reload
	ds_store_b32 v24, v37
	ds_store_b32 v7, v38
	;; [unrolled: 1-line block ×16, first 2 shown]
	scratch_load_b32 v8, off, off offset:20 ; 4-byte Folded Reload
	v_not_b32_e32 v7, v175
	v_not_b32_e32 v37, v176
	;; [unrolled: 1-line block ×7, first 2 shown]
	v_lshlrev_b32_e32 v147, 4, v149
	v_lshlrev_b32_e32 v148, 4, v152
	s_wait_loadcnt 0x8
	v_not_b32_e32 v2, v2
	s_wait_loadcnt 0x7
	v_ashrrev_i32_e32 v3, v49, v3
	s_wait_loadcnt 0x6
	v_ashrrev_i32_e32 v0, v51, v0
	;; [unrolled: 2-line block ×5, first 2 shown]
	v_and_b32_e32 v3, 0xf0f0f0f, v3
	s_wait_loadcnt 0x2
	v_ashrrev_i32_e32 v6, v49, v6
	v_lshlrev_b32_e32 v0, 4, v0
	v_and_b32_e32 v4, 0xf0f0f0f, v4
	v_lshlrev_b32_e32 v5, 4, v5
	v_and_b32_e32 v1, 0xf0f0f0f, v1
	v_and_b32_e32 v6, 0xf0f0f0f, v6
	s_delay_alu instid0(VALU_DEP_4) | instskip(NEXT) | instid1(VALU_DEP_4)
	v_and_or_b32 v0, 0x30303030, v0, v4
	v_and_or_b32 v3, 0x30303030, v5, v3
	scratch_load_b32 v5, off, off offset:72 ; 4-byte Folded Reload
	s_wait_loadcnt 0x1
	ds_store_b32 v8, v174
	scratch_load_b32 v8, off, off offset:52 ; 4-byte Folded Reload
	v_and_or_b32 v1, 0x30303030, v147, v1
	v_and_or_b32 v4, 0x30303030, v148, v6
	v_and_b32_e32 v6, 0x3f00, v3
	s_wait_alu 0xfffe
	v_add_nc_u32_e32 v142, s5, v15
	s_wait_loadcnt 0x0
	ds_store_b32 v8, v7
	s_clause 0x1
	scratch_load_b32 v7, off, off offset:56
	scratch_load_b32 v8, off, off offset:76
	s_wait_loadcnt 0x1
	ds_store_b32 v7, v37
	scratch_load_b32 v7, off, off offset:60 ; 4-byte Folded Reload
	v_and_b32_e32 v37, 0x3f00, v0
	s_wait_loadcnt 0x0
	ds_store_b32 v7, v38
	scratch_load_b32 v7, off, off offset:64 ; 4-byte Folded Reload
	v_lshrrev_b32_e32 v38, 16, v1
	s_delay_alu instid0(VALU_DEP_1) | instskip(SKIP_1) | instid1(VALU_DEP_1)
	v_and_b32_e32 v149, 0x3f00, v38
	v_lshlrev_b16 v38, 8, v38
	v_add_nc_u16 v38, 0xe000, v38
	s_wait_loadcnt 0x0
	ds_store_b32 v7, v143
	scratch_load_b32 v7, off, off offset:68 ; 4-byte Folded Reload
	v_and_b32_e32 v143, 0x3f00, v1
	v_lshlrev_b16 v1, 8, v1
	s_delay_alu instid0(VALU_DEP_1) | instskip(NEXT) | instid1(VALU_DEP_1)
	v_add_nc_u16 v1, 0xe000, v1
	v_lshrrev_b16 v1, 8, v1
	s_delay_alu instid0(VALU_DEP_1) | instskip(NEXT) | instid1(VALU_DEP_1)
	v_or_b32_e32 v1, v143, v1
	v_add_nc_u16 v1, 0xe000, v1
	s_delay_alu instid0(VALU_DEP_1)
	v_and_b32_e32 v1, 0xffff, v1
	s_wait_loadcnt 0x0
	ds_store_b32 v7, v144
	ds_store_b32 v5, v145
	v_lshrrev_b32_e32 v5, 16, v3
	v_lshlrev_b16 v3, 8, v3
	ds_store_b32 v8, v146
	v_lshrrev_b32_e32 v7, 16, v0
	v_lshlrev_b16 v0, 8, v0
	v_and_b32_e32 v147, 0x3f00, v5
	v_lshlrev_b16 v5, 8, v5
	v_add_nc_u16 v3, 0xe000, v3
	v_and_b32_e32 v148, 0x3f00, v7
	v_lshlrev_b16 v7, 8, v7
	v_add_nc_u16 v0, 0xe000, v0
	v_add_nc_u16 v5, 0xe000, v5
	v_lshrrev_b16 v3, 8, v3
	v_lshrrev_b32_e32 v144, 16, v4
	v_add_nc_u16 v7, 0xe000, v7
	v_lshrrev_b16 v0, 8, v0
	v_lshrrev_b16 v5, 8, v5
	v_or_b32_e32 v3, v6, v3
	v_and_b32_e32 v145, 0x3f00, v4
	v_lshrrev_b16 v6, 8, v7
	v_or_b32_e32 v0, v37, v0
	v_or_b32_e32 v5, v147, v5
	v_add_nc_u16 v3, 0xe000, v3
	v_lshrrev_b16 v7, 8, v38
	v_or_b32_e32 v6, v148, v6
	v_add_nc_u16 v0, 0xe000, v0
	v_add_nc_u16 v5, 0xe000, v5
	v_and_b32_e32 v3, 0xffff, v3
	v_or_b32_e32 v7, v149, v7
	v_add_nc_u16 v6, 0xe000, v6
	v_and_b32_e32 v0, 0xffff, v0
	v_lshlrev_b32_e32 v5, 16, v5
	v_lshlrev_b16 v4, 8, v4
	v_add_nc_u16 v7, 0xe000, v7
	v_lshlrev_b32_e32 v6, 16, v6
	v_and_b32_e32 v150, 0x3f00, v144
	v_or_b32_e32 v3, v3, v5
	scratch_load_b32 v5, off, off offset:80 ; 4-byte Folded Reload
	v_lshlrev_b32_e32 v7, 16, v7
	v_or_b32_e32 v0, v0, v6
	v_lshlrev_b16 v144, 8, v144
	v_add_nc_u16 v4, 0xe000, v4
	s_delay_alu instid0(VALU_DEP_4) | instskip(NEXT) | instid1(VALU_DEP_3)
	v_or_b32_e32 v1, v1, v7
	v_add_nc_u16 v144, 0xe000, v144
	s_delay_alu instid0(VALU_DEP_3) | instskip(NEXT) | instid1(VALU_DEP_2)
	v_lshrrev_b16 v4, 8, v4
	v_lshrrev_b16 v37, 8, v144
	s_delay_alu instid0(VALU_DEP_2) | instskip(NEXT) | instid1(VALU_DEP_2)
	v_or_b32_e32 v4, v145, v4
	v_or_b32_e32 v37, v150, v37
	s_delay_alu instid0(VALU_DEP_2) | instskip(NEXT) | instid1(VALU_DEP_2)
	v_add_nc_u16 v4, 0xe000, v4
	v_add_nc_u16 v37, 0xe000, v37
	s_delay_alu instid0(VALU_DEP_2) | instskip(NEXT) | instid1(VALU_DEP_2)
	v_and_b32_e32 v4, 0xffff, v4
	v_lshlrev_b32_e32 v37, 16, v37
	s_delay_alu instid0(VALU_DEP_1)
	v_or_b32_e32 v4, v4, v37
	s_wait_loadcnt 0x0
	ds_store_b32 v5, v2
	scratch_load_b32 v2, off, off offset:84 ; 4-byte Folded Reload
	s_wait_loadcnt 0x0
	ds_store_b32 v2, v3
	scratch_load_b32 v2, off, off offset:88 ; 4-byte Folded Reload
	;; [unrolled: 3-line block ×4, first 2 shown]
	s_wait_loadcnt 0x0
	ds_store_b32 v0, v4
	s_branch .LBB149_8
.LBB149_7:                              ;   in Loop: Header=BB149_8 Depth=2
                                        ; implicit-def: $sgpr12
	s_wait_alu 0xfffe
	s_and_b32 vcc_lo, exec_lo, s13
	s_wait_alu 0xfffe
	s_cbranch_vccnz .LBB149_5
.LBB149_8:                              ;   Parent Loop BB149_6 Depth=1
                                        ; =>  This Loop Header: Depth=2
                                        ;       Child Loop BB149_10 Depth 3
                                        ;       Child Loop BB149_12 Depth 3
	s_lshr_b32 s13, s12, 1
	s_wait_alu 0xfffe
	s_or_b32 s13, s13, s10
	s_wait_alu 0xfffe
	s_cmp_lt_i32 s13, s15
	s_mov_b32 s13, -1
	s_cbranch_scc0 .LBB149_7
; %bb.9:                                ;   in Loop: Header=BB149_8 Depth=2
	v_lshl_add_u32 v0, s12, 5, v12
	v_lshl_add_u32 v37, s12, 2, v142
	s_or_b32 s16, s12, 1
	s_lshl_b32 s17, s12, 3
	s_wait_alu 0xfffe
	s_lshl_b32 s13, s16, 3
	v_lshrrev_b32_e32 v0, 3, v0
	v_mad_co_u64_u32 v[143:144], null, v37, 36, s[2:3]
	s_delay_alu instid0(VALU_DEP_2) | instskip(NEXT) | instid1(VALU_DEP_1)
	v_add_nc_u32_e32 v0, s5, v0
	v_add_nc_u32_e32 v145, v0, v64
	;; [unrolled: 1-line block ×7, first 2 shown]
	v_mad_co_i64_i32 v[145:146], null, v145, 36, v[9:10]
	v_add_nc_u32_e32 v149, v0, v62
	v_add_nc_u32_e32 v151, v0, v63
	v_mad_co_i64_i32 v[0:1], null, v1, 36, v[9:10]
	v_mad_co_i64_i32 v[2:3], null, v2, 36, v[9:10]
	;; [unrolled: 1-line block ×7, first 2 shown]
	s_clause 0x8
	global_load_b32 v37, v[143:144], off
	global_load_b32 v38, v[145:146], off offset:4
	global_load_b32 v0, v[0:1], off offset:4
	;; [unrolled: 1-line block ×8, first 2 shown]
	s_wait_loadcnt 0x8
	v_cvt_f32_f16_e32 v7, v37
	s_wait_loadcnt 0x7
	ds_store_b32 v114, v38
	s_wait_loadcnt 0x6
	ds_store_b32 v101, v0
	;; [unrolled: 2-line block ×8, first 2 shown]
	ds_store_b32 v56, v7
	s_wait_storecnt_dscnt 0x0
	s_barrier_signal -1
	s_barrier_wait -1
	global_inv scope:SCOPE_SE
.LBB149_10:                             ;   Parent Loop BB149_6 Depth=1
                                        ;     Parent Loop BB149_8 Depth=2
                                        ; =>    This Inner Loop Header: Depth=3
	s_lshl_b32 s18, s17, 2
	s_lshr_b32 s21, s17, 4
	s_wait_alu 0xfffe
	s_and_b32 s18, s18, 24
	v_lshlrev_b32_e32 v143, 2, v20
	s_wait_alu 0xfffe
	v_or_b32_e32 v1, s18, v65
	s_lshl_b32 s23, s21, 5
	s_and_b32 s22, s17, 0x3ffffff8
	s_wait_alu 0xfffe
	s_addk_co_i32 s23, 0x4200
	v_lshl_add_u32 v146, s22, 2, v77
	v_lshlrev_b32_e32 v0, 2, v1
	v_lshrrev_b32_e32 v1, 1, v1
	s_wait_alu 0xfffe
	v_add3_u32 v37, s23, v143, v78
	s_bfe_u32 s19, s17, 0x30001
	s_and_b32 s20, s17, 6
	s_lshl_b32 s24, s21, 2
	ds_load_b32 v244, v1 offset:38816
	ds_load_2addr_b32 v[3:4], v37 offset1:1
	ds_load_2addr_b32 v[1:2], v146 offset1:1
	s_add_co_i32 s22, s24, 0x9380
	s_and_b32 s21, s17, -2
	s_add_co_i32 s17, s17, 2
	s_wait_alu 0xfffe
	v_add_nc_u32_e32 v158, s21, v66
	s_cmp_lt_u32 s17, s13
	s_wait_dscnt 0x1
	v_ashrrev_i32_e32 v3, s19, v3
	s_wait_dscnt 0x0
	v_ashrrev_i32_e32 v1, s20, v1
	v_ashrrev_i32_e32 v4, s19, v4
	s_delay_alu instid0(VALU_DEP_3) | instskip(NEXT) | instid1(VALU_DEP_3)
	v_lshlrev_b32_e32 v3, 2, v3
	v_and_b32_e32 v5, 0x3030303, v1
	v_bfe_u32 v1, v1, 24, 2
	s_delay_alu instid0(VALU_DEP_4) | instskip(NEXT) | instid1(VALU_DEP_4)
	v_lshlrev_b32_e32 v4, 2, v4
	v_and_b32_e32 v3, 0x4040404, v3
	s_delay_alu instid0(VALU_DEP_4) | instskip(SKIP_1) | instid1(VALU_DEP_4)
	v_lshrrev_b32_e32 v6, 16, v5
	v_lshrrev_b16 v7, 8, v5
	v_and_b32_e32 v4, 0x4040404, v4
	s_delay_alu instid0(VALU_DEP_4) | instskip(SKIP_3) | instid1(VALU_DEP_4)
	v_lshrrev_b32_e32 v144, 24, v3
	v_lshrrev_b32_e32 v38, 16, v3
	v_lshrrev_b16 v145, 8, v3
	v_sub_nc_u16 v159, v5, v3
	v_sub_nc_u16 v161, v1, v144
	v_ashrrev_i32_e32 v1, s20, v2
	s_delay_alu instid0(VALU_DEP_4)
	v_sub_nc_u16 v149, v7, v145
	v_sub_nc_u16 v160, v6, v38
	v_lshrrev_b32_e32 v6, 24, v4
	v_lshrrev_b32_e32 v7, 16, v4
	v_bfe_u32 v2, v1, 24, 2
	v_and_b32_e32 v1, 0x3030303, v1
	v_lshrrev_b16 v38, 8, v4
	v_bfe_i32 v162, v149, 0, 16
	v_bfe_i32 v159, v159, 0, 8
	v_sub_nc_u16 v164, v2, v6
	v_lshrrev_b32_e32 v3, 16, v1
	v_lshrrev_b16 v5, 8, v1
	v_sub_nc_u16 v150, v1, v4
	ds_load_2addr_b32 v[1:2], v146 offset0:2 offset1:3
	v_bfe_i32 v164, v164, 0, 16
	v_sub_nc_u16 v165, v3, v7
	ds_load_2addr_b32 v[3:4], v37 offset0:2 offset1:3
	v_sub_nc_u16 v166, v5, v38
	v_bfe_i32 v167, v150, 0, 8
	v_bfe_i32 v160, v160, 0, 8
	;; [unrolled: 1-line block ×5, first 2 shown]
	s_wait_dscnt 0x1
	v_ashrrev_i32_e32 v1, s20, v1
	s_wait_dscnt 0x0
	v_ashrrev_i32_e32 v3, s19, v3
	v_ashrrev_i32_e32 v4, s19, v4
	s_delay_alu instid0(VALU_DEP_3) | instskip(SKIP_1) | instid1(VALU_DEP_4)
	v_bfe_u32 v5, v1, 24, 2
	v_and_b32_e32 v1, 0x3030303, v1
	v_lshlrev_b32_e32 v3, 2, v3
	s_delay_alu instid0(VALU_DEP_4) | instskip(NEXT) | instid1(VALU_DEP_3)
	v_lshlrev_b32_e32 v4, 2, v4
	v_lshrrev_b32_e32 v6, 16, v1
	v_lshrrev_b16 v7, 8, v1
	s_delay_alu instid0(VALU_DEP_4) | instskip(NEXT) | instid1(VALU_DEP_4)
	v_and_b32_e32 v3, 0x4040404, v3
	v_and_b32_e32 v4, 0x4040404, v4
	s_delay_alu instid0(VALU_DEP_2) | instskip(SKIP_4) | instid1(VALU_DEP_4)
	v_sub_nc_u16 v151, v1, v3
	v_ashrrev_i32_e32 v1, s20, v2
	v_lshrrev_b32_e32 v144, 16, v3
	v_lshrrev_b16 v145, 8, v3
	v_lshrrev_b32_e32 v38, 24, v3
	v_bfe_u32 v2, v1, 24, 2
	v_and_b32_e32 v1, 0x3030303, v1
	s_delay_alu instid0(VALU_DEP_4)
	v_sub_nc_u16 v180, v7, v145
	v_sub_nc_u16 v179, v6, v144
	v_lshrrev_b32_e32 v6, 24, v4
	v_lshrrev_b32_e32 v7, 16, v4
	;; [unrolled: 1-line block ×3, first 2 shown]
	v_sub_nc_u16 v176, v5, v38
	v_lshrrev_b16 v5, 8, v1
	v_lshrrev_b16 v38, 8, v4
	v_sub_nc_u16 v152, v1, v4
	v_sub_nc_u16 v172, v3, v7
	;; [unrolled: 1-line block ×3, first 2 shown]
	ds_load_2addr_b32 v[1:2], v146 offset0:4 offset1:5
	ds_load_2addr_b32 v[3:4], v37 offset0:4 offset1:5
	v_sub_nc_u16 v153, v5, v38
	v_bfe_i32 v176, v176, 0, 16
	v_bfe_i32 v180, v180, 0, 16
	;; [unrolled: 1-line block ×3, first 2 shown]
	s_wait_dscnt 0x1
	v_ashrrev_i32_e32 v1, s20, v1
	s_wait_dscnt 0x0
	v_ashrrev_i32_e32 v3, s19, v3
	v_ashrrev_i32_e32 v4, s19, v4
	s_delay_alu instid0(VALU_DEP_3) | instskip(NEXT) | instid1(VALU_DEP_3)
	v_and_b32_e32 v5, 0x3030303, v1
	v_lshlrev_b32_e32 v3, 2, v3
	v_bfe_u32 v1, v1, 24, 2
	s_delay_alu instid0(VALU_DEP_4) | instskip(NEXT) | instid1(VALU_DEP_4)
	v_lshlrev_b32_e32 v4, 2, v4
	v_lshrrev_b32_e32 v6, 16, v5
	s_delay_alu instid0(VALU_DEP_4) | instskip(SKIP_1) | instid1(VALU_DEP_4)
	v_and_b32_e32 v3, 0x4040404, v3
	v_lshrrev_b16 v7, 8, v5
	v_and_b32_e32 v4, 0x4040404, v4
	s_delay_alu instid0(VALU_DEP_3) | instskip(SKIP_3) | instid1(VALU_DEP_4)
	v_lshrrev_b32_e32 v144, 24, v3
	v_lshrrev_b32_e32 v38, 16, v3
	v_lshrrev_b16 v145, 8, v3
	v_sub_nc_u16 v163, v5, v3
	v_sub_nc_u16 v155, v1, v144
	v_ashrrev_i32_e32 v1, s20, v2
	s_delay_alu instid0(VALU_DEP_4)
	v_sub_nc_u16 v154, v7, v145
	v_sub_nc_u16 v157, v6, v38
	v_lshrrev_b32_e32 v6, 24, v4
	v_lshrrev_b32_e32 v7, 16, v4
	v_bfe_u32 v2, v1, 24, 2
	v_and_b32_e32 v1, 0x3030303, v1
	v_lshrrev_b16 v38, 8, v4
	v_lshlrev_b32_e32 v145, 2, v47
	s_delay_alu instid0(VALU_DEP_4) | instskip(NEXT) | instid1(VALU_DEP_4)
	v_sub_nc_u16 v173, v2, v6
	v_lshrrev_b32_e32 v3, 16, v1
	v_lshrrev_b16 v5, 8, v1
	v_sub_nc_u16 v168, v1, v4
	ds_load_2addr_b32 v[1:2], v146 offset0:6 offset1:7
	v_sub_nc_u16 v170, v3, v7
	ds_load_2addr_b32 v[3:4], v37 offset0:6 offset1:7
	v_sub_nc_u16 v169, v5, v38
	s_wait_dscnt 0x1
	v_ashrrev_i32_e32 v1, s20, v1
	s_wait_dscnt 0x0
	v_ashrrev_i32_e32 v3, s19, v3
	v_ashrrev_i32_e32 v4, s19, v4
	s_delay_alu instid0(VALU_DEP_3) | instskip(SKIP_1) | instid1(VALU_DEP_4)
	v_bfe_u32 v5, v1, 24, 2
	v_and_b32_e32 v1, 0x3030303, v1
	v_lshlrev_b32_e32 v3, 2, v3
	s_delay_alu instid0(VALU_DEP_4) | instskip(NEXT) | instid1(VALU_DEP_3)
	v_lshlrev_b32_e32 v4, 2, v4
	v_lshrrev_b32_e32 v6, 16, v1
	v_lshrrev_b16 v7, 8, v1
	s_delay_alu instid0(VALU_DEP_4) | instskip(NEXT) | instid1(VALU_DEP_4)
	v_and_b32_e32 v3, 0x4040404, v3
	v_and_b32_e32 v4, 0x4040404, v4
	s_delay_alu instid0(VALU_DEP_2)
	v_lshrrev_b16 v144, 8, v3
	v_sub_nc_u16 v171, v1, v3
	v_ashrrev_i32_e32 v1, s20, v2
	v_lshrrev_b32_e32 v37, 24, v3
	v_lshrrev_b32_e32 v38, 16, v3
	v_sub_nc_u16 v174, v7, v144
	v_lshlrev_b32_e32 v144, 2, v13
	v_bfe_u32 v2, v1, 24, 2
	v_and_b32_e32 v1, 0x3030303, v1
	v_sub_nc_u16 v178, v6, v38
	v_sub_nc_u16 v194, v5, v37
	v_lshrrev_b32_e32 v6, 24, v4
	v_lshrrev_b32_e32 v7, 16, v4
	;; [unrolled: 1-line block ×3, first 2 shown]
	v_lshrrev_b16 v5, 8, v1
	v_lshrrev_b16 v37, 8, v4
	v_sub_nc_u16 v177, v1, v4
	v_add3_u32 v1, s22, v144, v145
	v_sub_nc_u16 v199, v3, v7
	v_sub_nc_u16 v198, v2, v6
	;; [unrolled: 1-line block ×3, first 2 shown]
	ds_load_b32 v156, v1
	ds_load_b128 v[4:7], v0 offset:25344
	ds_load_b128 v[0:3], v0 offset:25360
	v_bfe_i32 v194, v194, 0, 16
	v_bfe_i32 v198, v198, 0, 16
	;; [unrolled: 1-line block ×4, first 2 shown]
	s_wait_dscnt 0x1
	v_lshrrev_b16 v181, 8, v6
	v_ashrrev_i32_e32 v183, 24, v5
	v_lshrrev_b16 v37, 8, v4
	v_lshrrev_b16 v38, 8, v5
	;; [unrolled: 1-line block ×3, first 2 shown]
	v_bfe_i32 v184, v5, 16, 8
	v_bfe_i32 v149, v5, 0, 8
	v_mul_i32_i24_e32 v190, v164, v183
	v_ashrrev_i32_e32 v183, 24, v6
	v_bfe_i32 v185, v181, 0, 8
	v_bfe_i32 v147, v4, 0, 8
	;; [unrolled: 1-line block ×3, first 2 shown]
	v_ashrrev_i32_e32 v187, 24, v4
	v_bfe_i32 v148, v37, 0, 8
	v_bfe_i32 v38, v38, 0, 8
	v_mul_i32_i24_e32 v188, v167, v149
	v_mul_i32_i24_e32 v189, v165, v184
	v_bfe_i32 v184, v6, 16, 8
	v_bfe_i32 v150, v6, 0, 8
	;; [unrolled: 1-line block ×3, first 2 shown]
	v_mul_i32_i24_e32 v192, v180, v185
	v_mul_i32_i24_e32 v195, v176, v183
	v_ashrrev_i32_e32 v196, 24, v7
	v_bfe_i32 v197, v7, 16, 8
	v_bfe_i32 v201, v182, 0, 8
	;; [unrolled: 1-line block ×6, first 2 shown]
	v_mul_i32_i24_e32 v37, v162, v148
	v_mul_i32_i24_e32 v38, v166, v38
	;; [unrolled: 1-line block ×4, first 2 shown]
	v_bfe_i32 v184, v153, 0, 16
	v_mul_i32_i24_e32 v152, v185, v151
	v_mul_i32_i24_e32 v172, v183, v197
	;; [unrolled: 1-line block ×3, first 2 shown]
	v_mad_i32_i24 v187, v161, v187, v190
	v_mad_i32_i24 v186, v160, v186, v189
	;; [unrolled: 1-line block ×3, first 2 shown]
	v_mul_i32_i24_e32 v153, v184, v201
	v_add3_u32 v37, v37, v38, v192
	v_bfe_i32 v189, v154, 0, 16
	s_wait_dscnt 0x0
	v_ashrrev_i32_e32 v154, 24, v1
	v_add3_u32 v38, v188, v191, v152
	v_add3_u32 v152, v186, v193, v172
	v_add3_u32 v172, v187, v195, v175
	v_lshrrev_b16 v175, 8, v2
	v_bfe_i32 v190, v173, 0, 16
	v_lshrrev_b16 v201, 8, v3
	v_ashrrev_i32_e32 v203, 24, v0
	v_add3_u32 v37, v37, v153, v172
	v_lshrrev_b16 v172, 8, v1
	v_bfe_i32 v187, v157, 0, 8
	v_bfe_i32 v188, v155, 0, 16
	;; [unrolled: 1-line block ×3, first 2 shown]
	v_add3_u32 v37, v38, v152, v37
	v_lshrrev_b16 v38, 8, v0
	v_bfe_i32 v157, v172, 0, 8
	v_bfe_i32 v192, v169, 0, 16
	;; [unrolled: 1-line block ×3, first 2 shown]
	v_mul_i32_i24_e32 v154, v190, v154
	v_bfe_i32 v153, v38, 0, 8
	v_ashrrev_i32_e32 v168, 24, v2
	v_bfe_i32 v170, v175, 0, 8
	v_bfe_i32 v196, v174, 0, 16
	v_ashrrev_i32_e32 v172, 24, v3
	v_mul_i32_i24_e32 v38, v189, v153
	v_mul_i32_i24_e32 v157, v192, v157
	;; [unrolled: 1-line block ×4, first 2 shown]
	v_bfe_i32 v174, v201, 0, 8
	v_mul_i32_i24_e32 v172, v198, v172
	v_mad_i32_i24 v154, v188, v203, v154
	v_bfe_i32 v155, v1, 16, 8
	v_add3_u32 v38, v38, v157, v170
	v_mul_i32_i24_e32 v174, v200, v174
	v_bfe_i32 v245, v1, 0, 8
	v_add3_u32 v154, v154, v168, v172
	v_bfe_i32 v152, v0, 0, 8
	v_bfe_i32 v202, v0, 16, 8
	v_bfe_i32 v186, v163, 0, 8
	v_mul_i32_i24_e32 v163, v193, v245
	v_add3_u32 v38, v38, v174, v154
	ds_load_u16 v154, v158
	v_mul_i32_i24_e32 v155, v191, v155
	v_bfe_i32 v169, v2, 16, 8
	v_bfe_i32 v246, v2, 0, 8
	;; [unrolled: 1-line block ×7, first 2 shown]
	v_mul_i32_i24_e32 v169, v195, v169
	v_mul_i32_i24_e32 v171, v197, v246
	;; [unrolled: 1-line block ×3, first 2 shown]
	v_mad_i32_i24 v155, v187, v202, v155
	v_mul_i32_i24_e32 v175, v201, v247
	v_mad_i32_i24 v163, v186, v152, v163
	v_perm_b32 v4, v4, v4, 0xc0c0302
	v_perm_b32 v5, v5, v5, 0xc030201
	v_add3_u32 v155, v155, v169, v173
	v_add3_u32 v169, s23, v116, v79
	;; [unrolled: 1-line block ×3, first 2 shown]
	s_wait_dscnt 0x0
	v_bfe_i32 v203, v154, 0, 8
	v_perm_b32 v6, v6, v6, 0xc030201
	v_perm_b32 v7, v7, v7, 0xc030201
	;; [unrolled: 1-line block ×3, first 2 shown]
	v_add3_u32 v38, v157, v155, v38
	v_lshrrev_b16 v155, 8, v154
	v_mul_lo_u32 v154, v37, v203
	v_mul_f32_e32 v37, v244, v156
	ds_load_2addr_b32 v[157:158], v169 offset1:1
	v_perm_b32 v249, v3, v3, 0xc030201
	v_bfe_i32 v202, v155, 0, 8
	ds_load_2addr_b32 v[177:178], v169 offset0:6 offset1:7
	v_mad_co_u64_u32 v[154:155], null, v38, v202, v[154:155]
	s_delay_alu instid0(VALU_DEP_1) | instskip(NEXT) | instid1(VALU_DEP_1)
	v_cvt_f32_i32_e32 v38, v154
	v_fmac_f32_e32 v14, v37, v38
	v_add_nc_u32_e32 v37, 0x1080, v146
	s_wait_dscnt 0x1
	v_ashrrev_i32_e32 v157, s19, v157
	v_ashrrev_i32_e32 v158, s19, v158
	s_wait_dscnt 0x0
	v_ashrrev_i32_e32 v178, s19, v178
	ds_load_2addr_b32 v[154:155], v37 offset1:1
	v_lshlrev_b32_e32 v157, 2, v157
	v_lshlrev_b32_e32 v158, 2, v158
	;; [unrolled: 1-line block ×3, first 2 shown]
	s_delay_alu instid0(VALU_DEP_3) | instskip(NEXT) | instid1(VALU_DEP_3)
	v_and_b32_e32 v157, 0x4040404, v157
	v_and_b32_e32 v158, 0x4040404, v158
	s_delay_alu instid0(VALU_DEP_3) | instskip(NEXT) | instid1(VALU_DEP_3)
	v_and_b32_e32 v178, 0x4040404, v178
	v_lshrrev_b32_e32 v170, 16, v157
	v_lshrrev_b32_e32 v171, 24, v157
	v_lshrrev_b16 v168, 8, v157
	s_delay_alu instid0(VALU_DEP_4) | instskip(SKIP_3) | instid1(VALU_DEP_1)
	v_lshrrev_b32_e32 v222, 24, v178
	v_lshrrev_b32_e32 v215, 16, v178
	s_wait_dscnt 0x0
	v_ashrrev_i32_e32 v37, s20, v154
	v_and_b32_e32 v38, 0x3030303, v37
	v_bfe_u32 v37, v37, 24, 2
	s_delay_alu instid0(VALU_DEP_2) | instskip(NEXT) | instid1(VALU_DEP_2)
	v_lshrrev_b32_e32 v163, 16, v38
	v_sub_nc_u16 v37, v37, v171
	v_lshrrev_b16 v154, 8, v38
	v_lshrrev_b32_e32 v171, 24, v158
	v_sub_nc_u16 v38, v38, v157
	v_sub_nc_u16 v213, v163, v170
	v_lshlrev_b16 v37, 8, v37
	v_lshrrev_b32_e32 v170, 16, v158
	s_delay_alu instid0(VALU_DEP_3) | instskip(NEXT) | instid1(VALU_DEP_1)
	v_and_b32_e32 v163, 0xff, v213
	v_or_b32_e32 v216, v163, v37
	v_sub_nc_u16 v37, v154, v168
	v_ashrrev_i32_e32 v154, s20, v155
	v_lshrrev_b16 v168, 8, v158
	s_delay_alu instid0(VALU_DEP_4) | instskip(NEXT) | instid1(VALU_DEP_4)
	v_perm_b32 v242, v216, v213, 0xc0c0500
	v_lshlrev_b16 v37, 8, v37
	s_delay_alu instid0(VALU_DEP_4) | instskip(SKIP_1) | instid1(VALU_DEP_2)
	v_and_b32_e32 v155, 0x3030303, v154
	v_bfe_u32 v154, v154, 24, 2
	v_lshrrev_b32_e32 v163, 16, v155
	s_delay_alu instid0(VALU_DEP_2) | instskip(SKIP_2) | instid1(VALU_DEP_4)
	v_sub_nc_u16 v154, v154, v171
	v_lshrrev_b16 v157, 8, v155
	v_sub_nc_u16 v219, v155, v158
	v_sub_nc_u16 v205, v163, v170
	s_delay_alu instid0(VALU_DEP_4) | instskip(NEXT) | instid1(VALU_DEP_3)
	v_lshlrev_b16 v154, 8, v154
	v_bfe_i32 v243, v219, 0, 8
	s_delay_alu instid0(VALU_DEP_3) | instskip(NEXT) | instid1(VALU_DEP_1)
	v_and_b32_e32 v163, 0xff, v205
	v_or_b32_e32 v208, v163, v154
	v_sub_nc_u16 v154, v157, v168
	ds_load_2addr_b32 v[157:158], v169 offset0:2 offset1:3
	v_lshlrev_b16 v210, 8, v154
	v_add_nc_u32_e32 v154, 0x1088, v146
	ds_load_2addr_b32 v[154:155], v154 offset1:1
	s_wait_dscnt 0x1
	v_ashrrev_i32_e32 v157, s19, v157
	v_ashrrev_i32_e32 v158, s19, v158
	s_delay_alu instid0(VALU_DEP_2) | instskip(NEXT) | instid1(VALU_DEP_2)
	v_lshlrev_b32_e32 v157, 2, v157
	v_lshlrev_b32_e32 v158, 2, v158
	s_wait_dscnt 0x0
	v_ashrrev_i32_e32 v154, s20, v154
	s_delay_alu instid0(VALU_DEP_3) | instskip(NEXT) | instid1(VALU_DEP_3)
	v_and_b32_e32 v157, 0x4040404, v157
	v_and_b32_e32 v158, 0x4040404, v158
	s_delay_alu instid0(VALU_DEP_3) | instskip(SKIP_1) | instid1(VALU_DEP_4)
	v_and_b32_e32 v163, 0x3030303, v154
	v_bfe_u32 v154, v154, 24, 2
	v_lshrrev_b32_e32 v172, 16, v157
	v_lshrrev_b32_e32 v173, 24, v157
	v_lshrrev_b16 v171, 8, v157
	v_lshrrev_b32_e32 v170, 16, v163
	v_lshrrev_b16 v168, 8, v163
	v_sub_nc_u16 v220, v163, v157
	v_sub_nc_u16 v154, v154, v173
	s_delay_alu instid0(VALU_DEP_4) | instskip(NEXT) | instid1(VALU_DEP_3)
	v_sub_nc_u16 v206, v170, v172
	v_bfe_i32 v235, v220, 0, 8
	s_delay_alu instid0(VALU_DEP_3) | instskip(NEXT) | instid1(VALU_DEP_3)
	v_lshlrev_b16 v154, 8, v154
	v_and_b32_e32 v170, 0xff, v206
	s_delay_alu instid0(VALU_DEP_1) | instskip(SKIP_4) | instid1(VALU_DEP_4)
	v_or_b32_e32 v211, v170, v154
	v_sub_nc_u16 v154, v168, v171
	v_lshrrev_b32_e32 v170, 16, v158
	v_lshrrev_b32_e32 v171, 24, v158
	v_lshrrev_b16 v168, 8, v158
	v_lshlrev_b16 v212, 8, v154
	v_ashrrev_i32_e32 v154, s20, v155
	s_delay_alu instid0(VALU_DEP_1) | instskip(SKIP_1) | instid1(VALU_DEP_2)
	v_and_b32_e32 v155, 0x3030303, v154
	v_bfe_u32 v154, v154, 24, 2
	v_lshrrev_b32_e32 v163, 16, v155
	s_delay_alu instid0(VALU_DEP_2) | instskip(SKIP_2) | instid1(VALU_DEP_4)
	v_sub_nc_u16 v154, v154, v171
	v_lshrrev_b16 v157, 8, v155
	v_sub_nc_u16 v221, v155, v158
	v_sub_nc_u16 v204, v163, v170
	s_delay_alu instid0(VALU_DEP_4) | instskip(NEXT) | instid1(VALU_DEP_3)
	v_lshlrev_b16 v154, 8, v154
	v_bfe_i32 v234, v221, 0, 8
	s_delay_alu instid0(VALU_DEP_3) | instskip(NEXT) | instid1(VALU_DEP_1)
	v_and_b32_e32 v163, 0xff, v204
	v_or_b32_e32 v207, v163, v154
	v_sub_nc_u16 v154, v157, v168
	ds_load_2addr_b32 v[157:158], v169 offset0:4 offset1:5
	v_ashrrev_i32_e32 v169, s19, v177
	v_lshlrev_b16 v209, 8, v154
	v_add_nc_u32_e32 v154, 0x1090, v146
	s_delay_alu instid0(VALU_DEP_3) | instskip(SKIP_2) | instid1(VALU_DEP_1)
	v_lshlrev_b32_e32 v169, 2, v169
	ds_load_2addr_b32 v[154:155], v154 offset1:1
	v_and_b32_e32 v169, 0x4040404, v169
	v_lshrrev_b32_e32 v214, 24, v169
	v_lshrrev_b16 v177, 8, v169
	s_wait_dscnt 0x1
	v_ashrrev_i32_e32 v157, s19, v157
	v_ashrrev_i32_e32 v158, s19, v158
	s_delay_alu instid0(VALU_DEP_2) | instskip(NEXT) | instid1(VALU_DEP_2)
	v_lshlrev_b32_e32 v157, 2, v157
	v_lshlrev_b32_e32 v158, 2, v158
	s_wait_dscnt 0x0
	v_ashrrev_i32_e32 v154, s20, v154
	s_delay_alu instid0(VALU_DEP_3) | instskip(NEXT) | instid1(VALU_DEP_3)
	v_and_b32_e32 v157, 0x4040404, v157
	v_and_b32_e32 v158, 0x4040404, v158
	s_delay_alu instid0(VALU_DEP_3) | instskip(SKIP_1) | instid1(VALU_DEP_4)
	v_and_b32_e32 v163, 0x3030303, v154
	v_bfe_u32 v154, v154, 24, 2
	v_lshrrev_b32_e32 v172, 16, v157
	v_lshrrev_b32_e32 v173, 24, v157
	v_lshrrev_b16 v171, 8, v157
	v_lshrrev_b32_e32 v170, 16, v163
	v_lshrrev_b16 v168, 8, v163
	v_sub_nc_u16 v218, v163, v157
	v_sub_nc_u16 v154, v154, v173
	s_delay_alu instid0(VALU_DEP_4) | instskip(NEXT) | instid1(VALU_DEP_3)
	v_sub_nc_u16 v173, v170, v172
	v_bfe_i32 v240, v218, 0, 8
	s_delay_alu instid0(VALU_DEP_3) | instskip(NEXT) | instid1(VALU_DEP_3)
	v_lshlrev_b16 v154, 8, v154
	v_and_b32_e32 v170, 0xff, v173
	s_delay_alu instid0(VALU_DEP_1) | instskip(SKIP_4) | instid1(VALU_DEP_4)
	v_or_b32_e32 v174, v170, v154
	v_sub_nc_u16 v154, v168, v171
	v_lshrrev_b32_e32 v168, 16, v158
	v_lshrrev_b32_e32 v171, 24, v158
	v_lshrrev_b16 v170, 8, v158
	v_lshlrev_b16 v217, 8, v154
	v_ashrrev_i32_e32 v154, s20, v155
	s_delay_alu instid0(VALU_DEP_2) | instskip(NEXT) | instid1(VALU_DEP_2)
	v_bfe_i32 v241, v217, 8, 8
	v_and_b32_e32 v155, 0x3030303, v154
	v_bfe_u32 v154, v154, 24, 2
	s_delay_alu instid0(VALU_DEP_2) | instskip(NEXT) | instid1(VALU_DEP_2)
	v_lshrrev_b32_e32 v157, 16, v155
	v_sub_nc_u16 v154, v154, v171
	v_lshrrev_b16 v163, 8, v155
	v_sub_nc_u16 v175, v155, v158
	v_lshrrev_b32_e32 v171, 16, v169
	v_sub_nc_u16 v157, v157, v168
	v_lshlrev_b16 v154, 8, v154
	s_delay_alu instid0(VALU_DEP_2) | instskip(NEXT) | instid1(VALU_DEP_1)
	v_and_b32_e32 v168, 0xff, v157
	v_or_b32_e32 v168, v168, v154
	v_sub_nc_u16 v154, v163, v170
	s_delay_alu instid0(VALU_DEP_1) | instskip(SKIP_4) | instid1(VALU_DEP_1)
	v_lshlrev_b16 v170, 8, v154
	v_add_nc_u32_e32 v154, 0x1098, v146
	ds_load_2addr_b32 v[154:155], v154 offset1:1
	s_wait_dscnt 0x0
	v_ashrrev_i32_e32 v154, s20, v154
	v_and_b32_e32 v163, 0x3030303, v154
	v_bfe_u32 v154, v154, 24, 2
	s_delay_alu instid0(VALU_DEP_2) | instskip(NEXT) | instid1(VALU_DEP_2)
	v_lshrrev_b32_e32 v158, 16, v163
	v_sub_nc_u16 v154, v154, v214
	v_lshrrev_b16 v172, 8, v163
	v_lshrrev_b16 v214, 8, v178
	s_delay_alu instid0(VALU_DEP_4) | instskip(NEXT) | instid1(VALU_DEP_4)
	v_sub_nc_u16 v158, v158, v171
	v_lshlrev_b16 v154, 8, v154
	s_delay_alu instid0(VALU_DEP_2) | instskip(NEXT) | instid1(VALU_DEP_1)
	v_and_b32_e32 v171, 0xff, v158
	v_or_b32_e32 v171, v171, v154
	v_sub_nc_u16 v154, v172, v177
	v_sub_nc_u16 v177, v163, v169
	s_delay_alu instid0(VALU_DEP_2) | instskip(SKIP_1) | instid1(VALU_DEP_3)
	v_lshlrev_b16 v172, 8, v154
	v_ashrrev_i32_e32 v154, s20, v155
	v_bfe_i32 v217, v177, 0, 8
	s_delay_alu instid0(VALU_DEP_3) | instskip(NEXT) | instid1(VALU_DEP_3)
	v_perm_b32 v2, v172, v172, 0xc0c0c01
	v_and_b32_e32 v155, 0x3030303, v154
	v_bfe_u32 v154, v154, 24, 2
	s_delay_alu instid0(VALU_DEP_2) | instskip(SKIP_1) | instid1(VALU_DEP_3)
	v_lshrrev_b16 v169, 8, v155
	v_lshrrev_b32_e32 v163, 16, v155
	v_sub_nc_u16 v154, v154, v222
	v_sub_nc_u16 v178, v155, v178
	v_add3_u32 v155, s22, v118, v80
	v_sub_nc_u16 v169, v169, v214
	v_bfe_i32 v214, v38, 0, 8
	v_lshlrev_b16 v222, 8, v154
	v_sub_nc_u16 v154, v163, v215
	v_bfe_i32 v215, v37, 8, 8
	ds_load_b32 v155, v155
	v_mul_i32_i24_e32 v38, v147, v214
	v_lshlrev_b16 v169, 8, v169
	v_and_b32_e32 v163, 0xff, v154
	v_bfe_i32 v216, v178, 0, 8
	s_delay_alu instid0(VALU_DEP_4)
	v_mad_i32_i24 v223, v148, v215, v38
	v_perm_b32 v38, v208, v205, 0xc05000c
	v_perm_b32 v205, v210, v210, 0xc0c0c01
	v_or_b32_e32 v163, v163, v222
	v_add_nc_u32_e32 v222, s21, v67
	v_dot4_i32_iu8 v37, v4, v242, v223 neg_lo:[1,1,0]
	v_bfe_i32 v223, v175, 0, 8
	v_or_b32_e32 v236, v38, v205
	v_perm_b32 v38, v211, v206, 0xc05000c
	v_perm_b32 v205, v212, v212, 0xc0c0c01
	v_mad_i32_i24 v37, v149, v243, v37
	s_delay_alu instid0(VALU_DEP_2) | instskip(SKIP_2) | instid1(VALU_DEP_4)
	v_or_b32_e32 v237, v38, v205
	v_perm_b32 v38, v207, v204, 0xc05000c
	v_perm_b32 v204, v209, v209, 0xc0c0c01
	v_dot4_i32_iu8 v37, v5, v236, v37 neg_lo:[1,1,0]
	s_delay_alu instid0(VALU_DEP_2) | instskip(SKIP_3) | instid1(VALU_DEP_2)
	v_or_b32_e32 v238, v38, v204
	ds_load_u16 v38, v222
	v_mad_i32_i24 v37, v150, v235, v37
	v_perm_b32 v222, v174, v173, 0xc0c0500
	v_dot4_i32_iu8 v37, v6, v237, v37 neg_lo:[1,1,0]
	s_delay_alu instid0(VALU_DEP_1) | instskip(NEXT) | instid1(VALU_DEP_1)
	v_mad_i32_i24 v37, v151, v234, v37
	v_dot4_i32_iu8 v37, v7, v238, v37 neg_lo:[1,1,0]
	s_wait_dscnt 0x0
	v_bfe_i32 v239, v38, 0, 8
	v_lshrrev_b16 v205, 8, v38
	v_perm_b32 v38, v0, v0, 0xc0c0302
	s_delay_alu instid0(VALU_DEP_3) | instskip(SKIP_1) | instid1(VALU_DEP_4)
	v_mul_lo_u32 v204, v37, v239
	v_mul_i32_i24_e32 v37, v152, v240
	v_bfe_i32 v221, v205, 0, 8
	s_delay_alu instid0(VALU_DEP_2) | instskip(NEXT) | instid1(VALU_DEP_1)
	v_mad_i32_i24 v37, v153, v241, v37
	v_dot4_i32_iu8 v0, v38, v222, v37 neg_lo:[1,1,0]
	v_perm_b32 v37, v1, v1, 0xc030201
	v_perm_b32 v1, v168, v157, 0xc05000c
	;; [unrolled: 1-line block ×3, first 2 shown]
	s_delay_alu instid0(VALU_DEP_4) | instskip(NEXT) | instid1(VALU_DEP_2)
	v_mad_i32_i24 v0, v245, v223, v0
	v_or_b32_e32 v218, v1, v157
	v_perm_b32 v1, v171, v158, 0xc05000c
	s_delay_alu instid0(VALU_DEP_2) | instskip(NEXT) | instid1(VALU_DEP_2)
	v_dot4_i32_iu8 v0, v37, v218, v0 neg_lo:[1,1,0]
	v_or_b32_e32 v219, v1, v2
	v_perm_b32 v1, v163, v154, 0xc05000c
	v_perm_b32 v2, v169, v169, 0xc0c0c01
	v_add3_u32 v163, s23, v120, v81
	v_mad_i32_i24 v0, v246, v217, v0
	s_delay_alu instid0(VALU_DEP_3) | instskip(SKIP_2) | instid1(VALU_DEP_1)
	v_or_b32_e32 v220, v1, v2
	ds_load_2addr_b32 v[2:3], v163 offset1:1
	v_dot4_i32_iu8 v0, v248, v219, v0 neg_lo:[1,1,0]
	v_mad_i32_i24 v0, v247, v216, v0
	s_delay_alu instid0(VALU_DEP_1) | instskip(NEXT) | instid1(VALU_DEP_1)
	v_dot4_i32_iu8 v0, v249, v220, v0 neg_lo:[1,1,0]
	v_mad_co_u64_u32 v[0:1], null, v0, v221, v[204:205]
	v_mul_f32_e32 v1, v244, v155
	s_wait_dscnt 0x0
	v_ashrrev_i32_e32 v2, s19, v2
	v_ashrrev_i32_e32 v3, s19, v3
	s_delay_alu instid0(VALU_DEP_4) | instskip(NEXT) | instid1(VALU_DEP_3)
	v_cvt_f32_i32_e32 v0, v0
	v_lshlrev_b32_e32 v2, 2, v2
	s_delay_alu instid0(VALU_DEP_3) | instskip(NEXT) | instid1(VALU_DEP_3)
	v_lshlrev_b32_e32 v3, 2, v3
	v_dual_fmac_f32 v133, v1, v0 :: v_dual_add_nc_u32 v0, 0x2100, v146
	s_delay_alu instid0(VALU_DEP_3) | instskip(NEXT) | instid1(VALU_DEP_3)
	v_and_b32_e32 v2, 0x4040404, v2
	v_and_b32_e32 v3, 0x4040404, v3
	ds_load_2addr_b32 v[0:1], v0 offset1:1
	v_lshrrev_b32_e32 v169, 16, v2
	v_lshrrev_b32_e32 v170, 24, v2
	v_lshrrev_b16 v168, 8, v2
	v_lshrrev_b32_e32 v171, 16, v3
	v_lshrrev_b32_e32 v172, 24, v3
	s_wait_dscnt 0x0
	v_ashrrev_i32_e32 v0, s20, v0
	s_delay_alu instid0(VALU_DEP_1) | instskip(SKIP_1) | instid1(VALU_DEP_2)
	v_and_b32_e32 v154, 0x3030303, v0
	v_bfe_u32 v0, v0, 24, 2
	v_lshrrev_b32_e32 v158, 16, v154
	s_delay_alu instid0(VALU_DEP_2)
	v_sub_nc_u16 v0, v0, v170
	v_lshrrev_b16 v157, 8, v154
	v_sub_nc_u16 v154, v154, v2
	v_lshrrev_b16 v170, 8, v3
	v_sub_nc_u16 v158, v158, v169
	v_lshlrev_b16 v0, 8, v0
	s_delay_alu instid0(VALU_DEP_2) | instskip(NEXT) | instid1(VALU_DEP_1)
	v_and_b32_e32 v169, 0xff, v158
	v_or_b32_e32 v169, v169, v0
	v_sub_nc_u16 v0, v157, v168
	s_delay_alu instid0(VALU_DEP_1) | instskip(SKIP_1) | instid1(VALU_DEP_1)
	v_lshlrev_b16 v157, 8, v0
	v_ashrrev_i32_e32 v0, s20, v1
	v_and_b32_e32 v1, 0x3030303, v0
	v_bfe_u32 v0, v0, 24, 2
	s_delay_alu instid0(VALU_DEP_2) | instskip(NEXT) | instid1(VALU_DEP_2)
	v_lshrrev_b32_e32 v168, 16, v1
	v_sub_nc_u16 v0, v0, v172
	v_lshrrev_b16 v2, 8, v1
	v_sub_nc_u16 v172, v1, v3
	s_delay_alu instid0(VALU_DEP_4) | instskip(NEXT) | instid1(VALU_DEP_4)
	v_sub_nc_u16 v168, v168, v171
	v_lshlrev_b16 v0, 8, v0
	s_delay_alu instid0(VALU_DEP_3) | instskip(NEXT) | instid1(VALU_DEP_3)
	v_bfe_i32 v229, v172, 0, 8
	v_and_b32_e32 v171, 0xff, v168
	s_delay_alu instid0(VALU_DEP_1)
	v_or_b32_e32 v171, v171, v0
	v_sub_nc_u16 v0, v2, v170
	ds_load_2addr_b32 v[2:3], v163 offset0:2 offset1:3
	v_lshlrev_b16 v170, 8, v0
	v_add_nc_u32_e32 v0, 0x2108, v146
	ds_load_2addr_b32 v[0:1], v0 offset1:1
	s_wait_dscnt 0x1
	v_ashrrev_i32_e32 v2, s19, v2
	v_ashrrev_i32_e32 v3, s19, v3
	s_delay_alu instid0(VALU_DEP_2) | instskip(NEXT) | instid1(VALU_DEP_2)
	v_lshlrev_b32_e32 v2, 2, v2
	v_lshlrev_b32_e32 v3, 2, v3
	s_wait_dscnt 0x0
	v_ashrrev_i32_e32 v0, s20, v0
	s_delay_alu instid0(VALU_DEP_3) | instskip(NEXT) | instid1(VALU_DEP_3)
	v_and_b32_e32 v2, 0x4040404, v2
	v_and_b32_e32 v3, 0x4040404, v3
	s_delay_alu instid0(VALU_DEP_3) | instskip(SKIP_1) | instid1(VALU_DEP_4)
	v_and_b32_e32 v173, 0x3030303, v0
	v_bfe_u32 v0, v0, 24, 2
	v_lshrrev_b32_e32 v178, 16, v2
	v_lshrrev_b32_e32 v204, 24, v2
	v_lshrrev_b16 v177, 8, v2
	v_lshrrev_b32_e32 v175, 16, v173
	v_lshrrev_b16 v174, 8, v173
	v_lshrrev_b32_e32 v205, 16, v3
	v_sub_nc_u16 v0, v0, v204
	v_lshrrev_b32_e32 v206, 24, v3
	v_sub_nc_u16 v175, v175, v178
	v_sub_nc_u16 v173, v173, v2
	v_lshrrev_b16 v204, 8, v3
	v_lshlrev_b16 v0, 8, v0
	s_delay_alu instid0(VALU_DEP_4) | instskip(NEXT) | instid1(VALU_DEP_1)
	v_and_b32_e32 v178, 0xff, v175
	v_or_b32_e32 v178, v178, v0
	v_sub_nc_u16 v0, v174, v177
	s_delay_alu instid0(VALU_DEP_1) | instskip(SKIP_1) | instid1(VALU_DEP_1)
	v_lshlrev_b16 v174, 8, v0
	v_ashrrev_i32_e32 v0, s20, v1
	v_and_b32_e32 v1, 0x3030303, v0
	v_bfe_u32 v0, v0, 24, 2
	s_delay_alu instid0(VALU_DEP_2) | instskip(NEXT) | instid1(VALU_DEP_2)
	v_lshrrev_b32_e32 v177, 16, v1
	v_sub_nc_u16 v0, v0, v206
	v_lshrrev_b16 v2, 8, v1
	v_sub_nc_u16 v206, v1, v3
	s_delay_alu instid0(VALU_DEP_4) | instskip(NEXT) | instid1(VALU_DEP_4)
	v_sub_nc_u16 v177, v177, v205
	v_lshlrev_b16 v0, 8, v0
	s_delay_alu instid0(VALU_DEP_2) | instskip(NEXT) | instid1(VALU_DEP_1)
	v_and_b32_e32 v205, 0xff, v177
	v_or_b32_e32 v205, v205, v0
	v_sub_nc_u16 v0, v2, v204
	ds_load_2addr_b32 v[2:3], v163 offset0:4 offset1:5
	v_lshlrev_b16 v204, 8, v0
	v_add_nc_u32_e32 v0, 0x2110, v146
	ds_load_2addr_b32 v[0:1], v0 offset1:1
	s_wait_dscnt 0x1
	v_ashrrev_i32_e32 v2, s19, v2
	v_ashrrev_i32_e32 v3, s19, v3
	s_delay_alu instid0(VALU_DEP_2) | instskip(NEXT) | instid1(VALU_DEP_2)
	v_lshlrev_b32_e32 v2, 2, v2
	v_lshlrev_b32_e32 v3, 2, v3
	s_wait_dscnt 0x0
	v_ashrrev_i32_e32 v0, s20, v0
	s_delay_alu instid0(VALU_DEP_3) | instskip(NEXT) | instid1(VALU_DEP_3)
	v_and_b32_e32 v2, 0x4040404, v2
	v_and_b32_e32 v3, 0x4040404, v3
	s_delay_alu instid0(VALU_DEP_3) | instskip(SKIP_1) | instid1(VALU_DEP_4)
	v_and_b32_e32 v207, 0x3030303, v0
	v_bfe_u32 v0, v0, 24, 2
	v_lshrrev_b32_e32 v211, 16, v2
	v_lshrrev_b32_e32 v212, 24, v2
	v_lshrrev_b16 v210, 8, v2
	v_lshrrev_b32_e32 v209, 16, v207
	v_lshrrev_b16 v208, 8, v207
	v_lshrrev_b32_e32 v213, 16, v3
	v_sub_nc_u16 v0, v0, v212
	v_lshrrev_b32_e32 v224, 24, v3
	v_sub_nc_u16 v209, v209, v211
	v_sub_nc_u16 v207, v207, v2
	v_lshrrev_b16 v212, 8, v3
	v_lshlrev_b16 v0, 8, v0
	s_delay_alu instid0(VALU_DEP_4) | instskip(NEXT) | instid1(VALU_DEP_1)
	v_and_b32_e32 v211, 0xff, v209
	v_or_b32_e32 v211, v211, v0
	v_sub_nc_u16 v0, v208, v210
	s_delay_alu instid0(VALU_DEP_1) | instskip(SKIP_1) | instid1(VALU_DEP_1)
	v_lshlrev_b16 v208, 8, v0
	v_ashrrev_i32_e32 v0, s20, v1
	v_and_b32_e32 v1, 0x3030303, v0
	v_bfe_u32 v0, v0, 24, 2
	s_delay_alu instid0(VALU_DEP_2) | instskip(NEXT) | instid1(VALU_DEP_2)
	v_lshrrev_b32_e32 v210, 16, v1
	v_sub_nc_u16 v0, v0, v224
	v_lshrrev_b16 v2, 8, v1
	v_sub_nc_u16 v250, v1, v3
	s_delay_alu instid0(VALU_DEP_4) | instskip(NEXT) | instid1(VALU_DEP_4)
	v_sub_nc_u16 v210, v210, v213
	v_lshlrev_b16 v0, 8, v0
	s_delay_alu instid0(VALU_DEP_2) | instskip(NEXT) | instid1(VALU_DEP_1)
	v_and_b32_e32 v213, 0xff, v210
	v_or_b32_e32 v213, v213, v0
	v_sub_nc_u16 v0, v2, v212
	ds_load_2addr_b32 v[2:3], v163 offset0:6 offset1:7
	v_lshlrev_b16 v212, 8, v0
	v_add_nc_u32_e32 v0, 0x2118, v146
	ds_load_2addr_b32 v[0:1], v0 offset1:1
	s_wait_dscnt 0x1
	v_ashrrev_i32_e32 v2, s19, v2
	v_ashrrev_i32_e32 v3, s19, v3
	s_delay_alu instid0(VALU_DEP_2) | instskip(NEXT) | instid1(VALU_DEP_2)
	v_lshlrev_b32_e32 v2, 2, v2
	v_lshlrev_b32_e32 v3, 2, v3
	s_wait_dscnt 0x0
	v_ashrrev_i32_e32 v0, s20, v0
	s_delay_alu instid0(VALU_DEP_3) | instskip(NEXT) | instid1(VALU_DEP_3)
	v_and_b32_e32 v2, 0x4040404, v2
	v_and_b32_e32 v3, 0x4040404, v3
	s_delay_alu instid0(VALU_DEP_3) | instskip(SKIP_1) | instid1(VALU_DEP_4)
	v_and_b32_e32 v224, 0x3030303, v0
	v_bfe_u32 v0, v0, 24, 2
	v_lshrrev_b32_e32 v227, 16, v2
	v_lshrrev_b32_e32 v228, 24, v2
	v_lshrrev_b16 v163, 8, v2
	v_lshrrev_b32_e32 v226, 16, v224
	v_lshrrev_b16 v225, 8, v224
	v_sub_nc_u16 v2, v224, v2
	v_sub_nc_u16 v0, v0, v228
	v_bfe_i32 v228, v173, 0, 8
	v_sub_nc_u16 v251, v226, v227
	v_lshrrev_b32_e32 v227, 24, v3
	v_bfe_i32 v173, v250, 0, 8
	v_lshlrev_b16 v0, 8, v0
	v_bfe_i32 v172, v2, 0, 8
	v_and_b32_e32 v226, 0xff, v251
	v_perm_b32 v2, v213, v210, 0xc05000c
	s_delay_alu instid0(VALU_DEP_2) | instskip(SKIP_3) | instid1(VALU_DEP_3)
	v_or_b32_e32 v252, v226, v0
	v_sub_nc_u16 v0, v225, v163
	v_lshrrev_b32_e32 v226, 16, v3
	v_lshrrev_b16 v225, 8, v3
	v_lshlrev_b16 v253, 8, v0
	v_ashrrev_i32_e32 v0, s20, v1
	s_delay_alu instid0(VALU_DEP_1) | instskip(SKIP_1) | instid1(VALU_DEP_2)
	v_and_b32_e32 v1, 0x3030303, v0
	v_bfe_u32 v0, v0, 24, 2
	v_lshrrev_b32_e32 v224, 16, v1
	s_delay_alu instid0(VALU_DEP_2)
	v_sub_nc_u16 v0, v0, v227
	v_lshrrev_b16 v163, 8, v1
	v_sub_nc_u16 v1, v1, v3
	v_add3_u32 v3, s22, v122, v82
	v_sub_nc_u16 v254, v224, v226
	v_lshlrev_b16 v0, 8, v0
	v_perm_b32 v227, v169, v158, 0xc0c0500
	v_bfe_i32 v226, v206, 0, 8
	v_bfe_i32 v169, v208, 8, 8
	v_and_b32_e32 v224, 0xff, v254
	v_add3_u32 v158, s23, v124, v83
	s_delay_alu instid0(VALU_DEP_2)
	v_or_b32_e32 v255, v224, v0
	v_sub_nc_u16 v0, v163, v225
	v_bfe_i32 v224, v154, 0, 8
	ds_load_b32 v163, v3
	v_bfe_i32 v225, v157, 8, 8
	v_perm_b32 v154, v171, v168, 0xc05000c
	v_lshlrev_b16 v32, 8, v0
	v_add_nc_u32_e32 v0, s21, v68
	v_perm_b32 v157, v170, v170, 0xc0c0c01
	v_bfe_i32 v168, v207, 0, 8
	v_perm_b32 v171, v211, v209, 0xc0c0500
	v_bfe_i32 v170, v1, 0, 8
	ds_load_u16 v0, v0
	v_mul_i32_i24_e32 v3, v147, v224
	v_or_b32_e32 v230, v154, v157
	v_perm_b32 v154, v178, v175, 0xc05000c
	v_perm_b32 v157, v174, v174, 0xc0c0c01
	s_delay_alu instid0(VALU_DEP_4) | instskip(NEXT) | instid1(VALU_DEP_2)
	v_mad_i32_i24 v3, v148, v225, v3
	v_or_b32_e32 v231, v154, v157
	v_perm_b32 v154, v205, v177, 0xc05000c
	s_delay_alu instid0(VALU_DEP_3) | instskip(SKIP_1) | instid1(VALU_DEP_2)
	v_dot4_i32_iu8 v3, v4, v227, v3 neg_lo:[1,1,0]
	v_perm_b32 v157, v204, v204, 0xc0c0c01
	v_mad_i32_i24 v3, v149, v229, v3
	s_delay_alu instid0(VALU_DEP_2) | instskip(SKIP_2) | instid1(VALU_DEP_3)
	v_or_b32_e32 v232, v154, v157
	s_wait_dscnt 0x0
	v_bfe_i32 v233, v0, 0, 8
	v_dot4_i32_iu8 v3, v5, v230, v3 neg_lo:[1,1,0]
	v_lshrrev_b16 v154, 8, v0
	s_delay_alu instid0(VALU_DEP_2) | instskip(NEXT) | instid1(VALU_DEP_2)
	v_mad_i32_i24 v3, v150, v228, v3
	v_bfe_i32 v178, v154, 0, 8
	s_delay_alu instid0(VALU_DEP_2) | instskip(NEXT) | instid1(VALU_DEP_1)
	v_dot4_i32_iu8 v3, v6, v231, v3 neg_lo:[1,1,0]
	v_mad_i32_i24 v3, v151, v226, v3
	s_delay_alu instid0(VALU_DEP_1) | instskip(NEXT) | instid1(VALU_DEP_1)
	v_dot4_i32_iu8 v3, v7, v232, v3 neg_lo:[1,1,0]
	v_mul_lo_u32 v0, v3, v233
	v_mul_i32_i24_e32 v3, v152, v168
	s_delay_alu instid0(VALU_DEP_1) | instskip(NEXT) | instid1(VALU_DEP_1)
	v_mad_i32_i24 v3, v153, v169, v3
	v_dot4_i32_iu8 v3, v38, v171, v3 neg_lo:[1,1,0]
	s_delay_alu instid0(VALU_DEP_1) | instskip(SKIP_1) | instid1(VALU_DEP_1)
	v_mad_i32_i24 v1, v245, v173, v3
	v_perm_b32 v3, v212, v212, 0xc0c0c01
	v_or_b32_e32 v174, v2, v3
	v_perm_b32 v2, v252, v251, 0xc05000c
	v_perm_b32 v3, v253, v253, 0xc0c0c01
	s_delay_alu instid0(VALU_DEP_3) | instskip(NEXT) | instid1(VALU_DEP_2)
	v_dot4_i32_iu8 v1, v37, v174, v1 neg_lo:[1,1,0]
	v_or_b32_e32 v175, v2, v3
	v_perm_b32 v2, v255, v254, 0xc05000c
	v_perm_b32 v3, v32, v32, 0xc0c0c01
	s_delay_alu instid0(VALU_DEP_4) | instskip(NEXT) | instid1(VALU_DEP_2)
	v_mad_i32_i24 v1, v246, v172, v1
	v_or_b32_e32 v177, v2, v3
	s_delay_alu instid0(VALU_DEP_2) | instskip(SKIP_2) | instid1(VALU_DEP_1)
	v_dot4_i32_iu8 v1, v248, v175, v1 neg_lo:[1,1,0]
	ds_load_2addr_b32 v[2:3], v158 offset1:1
	v_mad_i32_i24 v1, v247, v170, v1
	v_dot4_i32_iu8 v1, v249, v177, v1 neg_lo:[1,1,0]
	s_delay_alu instid0(VALU_DEP_1) | instskip(SKIP_4) | instid1(VALU_DEP_4)
	v_mad_co_u64_u32 v[0:1], null, v1, v178, v[0:1]
	v_mul_f32_e32 v1, v244, v163
	s_wait_dscnt 0x0
	v_ashrrev_i32_e32 v2, s19, v2
	v_ashrrev_i32_e32 v3, s19, v3
	v_cvt_f32_i32_e32 v0, v0
	s_delay_alu instid0(VALU_DEP_3) | instskip(NEXT) | instid1(VALU_DEP_2)
	v_lshlrev_b32_e32 v2, 2, v2
	v_dual_fmac_f32 v138, v1, v0 :: v_dual_lshlrev_b32 v3, 2, v3
	v_add_nc_u32_e32 v0, 0x3180, v146
	s_delay_alu instid0(VALU_DEP_3) | instskip(NEXT) | instid1(VALU_DEP_3)
	v_and_b32_e32 v2, 0x4040404, v2
	v_and_b32_e32 v3, 0x4040404, v3
	ds_load_2addr_b32 v[0:1], v0 offset1:1
	v_lshrrev_b32_e32 v205, 16, v2
	v_lshrrev_b32_e32 v206, 24, v2
	v_lshrrev_b16 v204, 8, v2
	v_lshrrev_b32_e32 v207, 16, v3
	v_lshrrev_b32_e32 v208, 24, v3
	s_wait_dscnt 0x0
	v_ashrrev_i32_e32 v0, s20, v0
	s_delay_alu instid0(VALU_DEP_1) | instskip(SKIP_1) | instid1(VALU_DEP_2)
	v_and_b32_e32 v32, 0x3030303, v0
	v_bfe_u32 v0, v0, 24, 2
	v_lshrrev_b32_e32 v157, 16, v32
	s_delay_alu instid0(VALU_DEP_2) | instskip(SKIP_2) | instid1(VALU_DEP_4)
	v_sub_nc_u16 v0, v0, v206
	v_lshrrev_b16 v154, 8, v32
	v_sub_nc_u16 v32, v32, v2
	v_sub_nc_u16 v157, v157, v205
	s_delay_alu instid0(VALU_DEP_4) | instskip(NEXT) | instid1(VALU_DEP_2)
	v_lshlrev_b16 v0, 8, v0
	v_and_b32_e32 v205, 0xff, v157
	s_delay_alu instid0(VALU_DEP_1) | instskip(SKIP_2) | instid1(VALU_DEP_2)
	v_or_b32_e32 v206, v205, v0
	v_sub_nc_u16 v0, v154, v204
	v_lshrrev_b16 v205, 8, v3
	v_lshlrev_b16 v154, 8, v0
	v_ashrrev_i32_e32 v0, s20, v1
	s_delay_alu instid0(VALU_DEP_1) | instskip(SKIP_1) | instid1(VALU_DEP_2)
	v_and_b32_e32 v1, 0x3030303, v0
	v_bfe_u32 v0, v0, 24, 2
	v_lshrrev_b32_e32 v204, 16, v1
	s_delay_alu instid0(VALU_DEP_2) | instskip(SKIP_2) | instid1(VALU_DEP_4)
	v_sub_nc_u16 v0, v0, v208
	v_lshrrev_b16 v2, 8, v1
	v_sub_nc_u16 v208, v1, v3
	v_sub_nc_u16 v210, v204, v207
	s_delay_alu instid0(VALU_DEP_4) | instskip(NEXT) | instid1(VALU_DEP_2)
	v_lshlrev_b16 v0, 8, v0
	v_and_b32_e32 v204, 0xff, v210
	s_delay_alu instid0(VALU_DEP_1)
	v_or_b32_e32 v211, v204, v0
	v_sub_nc_u16 v0, v2, v205
	ds_load_2addr_b32 v[2:3], v158 offset0:2 offset1:3
	v_lshlrev_b16 v212, 8, v0
	v_add_nc_u32_e32 v0, 0x3188, v146
	ds_load_2addr_b32 v[0:1], v0 offset1:1
	s_wait_dscnt 0x1
	v_ashrrev_i32_e32 v2, s19, v2
	v_ashrrev_i32_e32 v3, s19, v3
	s_delay_alu instid0(VALU_DEP_2) | instskip(NEXT) | instid1(VALU_DEP_2)
	v_lshlrev_b32_e32 v2, 2, v2
	v_lshlrev_b32_e32 v3, 2, v3
	s_wait_dscnt 0x0
	v_ashrrev_i32_e32 v0, s20, v0
	s_delay_alu instid0(VALU_DEP_3) | instskip(NEXT) | instid1(VALU_DEP_3)
	v_and_b32_e32 v2, 0x4040404, v2
	v_and_b32_e32 v3, 0x4040404, v3
	s_delay_alu instid0(VALU_DEP_3) | instskip(SKIP_1) | instid1(VALU_DEP_4)
	v_and_b32_e32 v204, 0x3030303, v0
	v_bfe_u32 v0, v0, 24, 2
	v_lshrrev_b32_e32 v213, 16, v2
	v_lshrrev_b32_e32 v250, 24, v2
	v_lshrrev_b16 v209, 8, v2
	v_lshrrev_b32_e32 v207, 16, v204
	v_lshrrev_b16 v205, 8, v204
	v_sub_nc_u16 v252, v204, v2
	v_sub_nc_u16 v0, v0, v250
	s_delay_alu instid0(VALU_DEP_4) | instskip(NEXT) | instid1(VALU_DEP_2)
	v_sub_nc_u16 v213, v207, v213
	v_lshlrev_b16 v0, 8, v0
	s_delay_alu instid0(VALU_DEP_2) | instskip(NEXT) | instid1(VALU_DEP_1)
	v_and_b32_e32 v207, 0xff, v213
	v_or_b32_e32 v250, v207, v0
	v_sub_nc_u16 v0, v205, v209
	v_lshrrev_b32_e32 v207, 16, v3
	v_lshrrev_b32_e32 v209, 24, v3
	v_lshrrev_b16 v205, 8, v3
	s_delay_alu instid0(VALU_DEP_4) | instskip(SKIP_1) | instid1(VALU_DEP_1)
	v_lshlrev_b16 v251, 8, v0
	v_ashrrev_i32_e32 v0, s20, v1
	v_and_b32_e32 v1, 0x3030303, v0
	v_bfe_u32 v0, v0, 24, 2
	s_delay_alu instid0(VALU_DEP_2) | instskip(NEXT) | instid1(VALU_DEP_2)
	v_lshrrev_b32_e32 v204, 16, v1
	v_sub_nc_u16 v0, v0, v209
	v_lshrrev_b16 v2, 8, v1
	v_sub_nc_u16 v26, v1, v3
	s_delay_alu instid0(VALU_DEP_4) | instskip(NEXT) | instid1(VALU_DEP_4)
	v_sub_nc_u16 v253, v204, v207
	v_lshlrev_b16 v0, 8, v0
	s_delay_alu instid0(VALU_DEP_2) | instskip(NEXT) | instid1(VALU_DEP_1)
	v_and_b32_e32 v204, 0xff, v253
	v_or_b32_e32 v254, v204, v0
	v_sub_nc_u16 v0, v2, v205
	ds_load_2addr_b32 v[2:3], v158 offset0:4 offset1:5
	v_lshlrev_b16 v255, 8, v0
	v_add_nc_u32_e32 v0, 0x3190, v146
	ds_load_2addr_b32 v[0:1], v0 offset1:1
	s_wait_dscnt 0x1
	v_ashrrev_i32_e32 v2, s19, v2
	v_ashrrev_i32_e32 v3, s19, v3
	s_delay_alu instid0(VALU_DEP_2) | instskip(NEXT) | instid1(VALU_DEP_2)
	v_lshlrev_b32_e32 v2, 2, v2
	v_lshlrev_b32_e32 v3, 2, v3
	s_wait_dscnt 0x0
	v_ashrrev_i32_e32 v0, s20, v0
	s_delay_alu instid0(VALU_DEP_3) | instskip(NEXT) | instid1(VALU_DEP_3)
	v_and_b32_e32 v2, 0x4040404, v2
	v_and_b32_e32 v3, 0x4040404, v3
	s_delay_alu instid0(VALU_DEP_3) | instskip(SKIP_1) | instid1(VALU_DEP_4)
	v_and_b32_e32 v204, 0x3030303, v0
	v_bfe_u32 v0, v0, 24, 2
	v_lshrrev_b32_e32 v18, 16, v2
	v_lshrrev_b32_e32 v39, 24, v2
	v_lshrrev_b16 v209, 8, v2
	v_lshrrev_b32_e32 v207, 16, v204
	v_lshrrev_b16 v205, 8, v204
	v_sub_nc_u16 v48, v204, v2
	v_sub_nc_u16 v0, v0, v39
	s_delay_alu instid0(VALU_DEP_4) | instskip(SKIP_1) | instid1(VALU_DEP_3)
	v_sub_nc_u16 v18, v207, v18
	v_lshrrev_b32_e32 v207, 16, v3
	v_lshlrev_b16 v0, 8, v0
	s_delay_alu instid0(VALU_DEP_3) | instskip(NEXT) | instid1(VALU_DEP_1)
	v_and_b32_e32 v39, 0xff, v18
	v_or_b32_e32 v39, v39, v0
	v_sub_nc_u16 v0, v205, v209
	v_lshrrev_b32_e32 v209, 24, v3
	v_lshrrev_b16 v205, 8, v3
	s_delay_alu instid0(VALU_DEP_3) | instskip(SKIP_1) | instid1(VALU_DEP_1)
	v_lshlrev_b16 v46, 8, v0
	v_ashrrev_i32_e32 v0, s20, v1
	v_and_b32_e32 v1, 0x3030303, v0
	v_bfe_u32 v0, v0, 24, 2
	s_delay_alu instid0(VALU_DEP_2) | instskip(NEXT) | instid1(VALU_DEP_2)
	v_lshrrev_b32_e32 v204, 16, v1
	v_sub_nc_u16 v0, v0, v209
	v_lshrrev_b16 v2, 8, v1
	v_sub_nc_u16 v85, v1, v3
	s_delay_alu instid0(VALU_DEP_4) | instskip(NEXT) | instid1(VALU_DEP_4)
	v_sub_nc_u16 v52, v204, v207
	v_lshlrev_b16 v0, 8, v0
	s_delay_alu instid0(VALU_DEP_2) | instskip(NEXT) | instid1(VALU_DEP_1)
	v_and_b32_e32 v204, 0xff, v52
	v_or_b32_e32 v55, v204, v0
	v_sub_nc_u16 v0, v2, v205
	ds_load_2addr_b32 v[2:3], v158 offset0:6 offset1:7
	v_lshlrev_b16 v8, 8, v0
	v_add_nc_u32_e32 v0, 0x3198, v146
	ds_load_2addr_b32 v[0:1], v0 offset1:1
	s_wait_dscnt 0x1
	v_ashrrev_i32_e32 v2, s19, v2
	v_ashrrev_i32_e32 v3, s19, v3
	s_delay_alu instid0(VALU_DEP_2) | instskip(NEXT) | instid1(VALU_DEP_2)
	v_lshlrev_b32_e32 v2, 2, v2
	v_lshlrev_b32_e32 v3, 2, v3
	s_wait_dscnt 0x0
	v_ashrrev_i32_e32 v0, s20, v0
	s_delay_alu instid0(VALU_DEP_3) | instskip(NEXT) | instid1(VALU_DEP_3)
	v_and_b32_e32 v2, 0x4040404, v2
	v_and_b32_e32 v3, 0x4040404, v3
	s_delay_alu instid0(VALU_DEP_3) | instskip(SKIP_1) | instid1(VALU_DEP_4)
	v_and_b32_e32 v146, 0x3030303, v0
	v_bfe_u32 v0, v0, 24, 2
	v_lshrrev_b32_e32 v207, 16, v2
	v_lshrrev_b32_e32 v209, 24, v2
	v_lshrrev_b16 v158, 8, v2
	v_lshrrev_b32_e32 v205, 16, v146
	v_lshrrev_b16 v204, 8, v146
	v_sub_nc_u16 v2, v146, v2
	v_sub_nc_u16 v0, v0, v209
	v_bfe_i32 v209, v208, 0, 8
	v_sub_nc_u16 v86, v205, v207
	v_lshrrev_b32_e32 v207, 24, v3
	v_bfe_i32 v208, v252, 0, 8
	v_lshlrev_b16 v0, 8, v0
	s_delay_alu instid0(VALU_DEP_4) | instskip(NEXT) | instid1(VALU_DEP_1)
	v_and_b32_e32 v205, 0xff, v86
	v_or_b32_e32 v87, v205, v0
	v_sub_nc_u16 v0, v204, v158
	v_lshrrev_b32_e32 v205, 16, v3
	v_lshrrev_b16 v204, 8, v3
	s_delay_alu instid0(VALU_DEP_3) | instskip(SKIP_1) | instid1(VALU_DEP_1)
	v_lshlrev_b16 v88, 8, v0
	v_ashrrev_i32_e32 v0, s20, v1
	v_and_b32_e32 v1, 0x3030303, v0
	v_bfe_u32 v0, v0, 24, 2
	s_delay_alu instid0(VALU_DEP_2) | instskip(NEXT) | instid1(VALU_DEP_2)
	v_lshrrev_b32_e32 v158, 16, v1
	v_sub_nc_u16 v0, v0, v207
	v_lshrrev_b16 v146, 8, v1
	v_sub_nc_u16 v1, v1, v3
	v_add3_u32 v3, s22, v126, v84
	v_sub_nc_u16 v90, v158, v205
	v_lshlrev_b16 v0, 8, v0
	v_bfe_i32 v205, v154, 8, 8
	v_perm_b32 v207, v206, v157, 0xc0c0500
	v_bfe_i32 v206, v26, 0, 8
	v_and_b32_e32 v158, 0xff, v90
	v_perm_b32 v26, v212, v212, 0xc0c0c01
	v_bfe_i32 v157, v46, 8, 8
	v_perm_b32 v154, v39, v18, 0xc0c0500
	s_delay_alu instid0(VALU_DEP_4)
	v_or_b32_e32 v91, v158, v0
	v_sub_nc_u16 v0, v146, v204
	v_bfe_i32 v204, v32, 0, 8
	ds_load_b32 v146, v3
	v_bfe_i32 v158, v48, 0, 8
	v_lshlrev_b16 v92, 8, v0
	v_add_nc_u32_e32 v0, s21, v69
	ds_load_u16 v0, v0
	v_mul_i32_i24_e32 v3, v147, v204
	s_delay_alu instid0(VALU_DEP_1) | instskip(NEXT) | instid1(VALU_DEP_1)
	v_mad_i32_i24 v3, v148, v205, v3
	v_dot4_i32_iu8 v3, v4, v207, v3 neg_lo:[1,1,0]
	v_perm_b32 v4, v211, v210, 0xc05000c
	s_delay_alu instid0(VALU_DEP_2) | instskip(NEXT) | instid1(VALU_DEP_2)
	v_mad_i32_i24 v3, v149, v209, v3
	v_or_b32_e32 v210, v4, v26
	v_perm_b32 v4, v250, v213, 0xc05000c
	v_bfe_i32 v149, v1, 0, 8
	s_wait_dscnt 0x0
	v_bfe_i32 v213, v0, 0, 8
	v_dot4_i32_iu8 v3, v5, v210, v3 neg_lo:[1,1,0]
	v_perm_b32 v5, v251, v251, 0xc0c0c01
	s_delay_alu instid0(VALU_DEP_2) | instskip(NEXT) | instid1(VALU_DEP_2)
	v_mad_i32_i24 v3, v150, v208, v3
	v_or_b32_e32 v211, v4, v5
	v_perm_b32 v4, v254, v253, 0xc05000c
	v_perm_b32 v5, v255, v255, 0xc0c0c01
	s_delay_alu instid0(VALU_DEP_3) | instskip(NEXT) | instid1(VALU_DEP_2)
	v_dot4_i32_iu8 v3, v6, v211, v3 neg_lo:[1,1,0]
	v_or_b32_e32 v212, v4, v5
	v_lshrrev_b16 v4, 8, v0
	s_delay_alu instid0(VALU_DEP_3) | instskip(SKIP_2) | instid1(VALU_DEP_4)
	v_mad_i32_i24 v3, v151, v206, v3
	v_bfe_i32 v151, v2, 0, 8
	v_perm_b32 v2, v55, v52, 0xc05000c
	v_bfe_i32 v147, v4, 0, 8
	s_delay_alu instid0(VALU_DEP_4) | instskip(NEXT) | instid1(VALU_DEP_1)
	v_dot4_i32_iu8 v3, v7, v212, v3 neg_lo:[1,1,0]
	v_mul_lo_u32 v0, v3, v213
	v_mul_i32_i24_e32 v3, v152, v158
	s_delay_alu instid0(VALU_DEP_1) | instskip(SKIP_1) | instid1(VALU_DEP_2)
	v_mad_i32_i24 v3, v153, v157, v3
	v_bfe_i32 v153, v85, 0, 8
	v_dot4_i32_iu8 v3, v38, v154, v3 neg_lo:[1,1,0]
	s_delay_alu instid0(VALU_DEP_1) | instskip(SKIP_1) | instid1(VALU_DEP_1)
	v_mad_i32_i24 v1, v245, v153, v3
	v_perm_b32 v3, v8, v8, 0xc0c0c01
	v_or_b32_e32 v152, v2, v3
	v_perm_b32 v2, v87, v86, 0xc05000c
	v_perm_b32 v3, v88, v88, 0xc0c0c01
	s_delay_alu instid0(VALU_DEP_3) | instskip(NEXT) | instid1(VALU_DEP_2)
	v_dot4_i32_iu8 v1, v37, v152, v1 neg_lo:[1,1,0]
	v_or_b32_e32 v150, v2, v3
	v_perm_b32 v2, v91, v90, 0xc05000c
	v_perm_b32 v3, v92, v92, 0xc0c0c01
	s_delay_alu instid0(VALU_DEP_4) | instskip(NEXT) | instid1(VALU_DEP_2)
	v_mad_i32_i24 v1, v246, v151, v1
	v_or_b32_e32 v148, v2, v3
	s_delay_alu instid0(VALU_DEP_2) | instskip(NEXT) | instid1(VALU_DEP_1)
	v_dot4_i32_iu8 v1, v248, v150, v1 neg_lo:[1,1,0]
	v_mad_i32_i24 v1, v247, v149, v1
	s_delay_alu instid0(VALU_DEP_1) | instskip(NEXT) | instid1(VALU_DEP_1)
	v_dot4_i32_iu8 v1, v249, v148, v1 neg_lo:[1,1,0]
	v_mad_co_u64_u32 v[0:1], null, v1, v147, v[0:1]
	v_mul_f32_e32 v1, v244, v146
	s_delay_alu instid0(VALU_DEP_2) | instskip(NEXT) | instid1(VALU_DEP_1)
	v_cvt_f32_i32_e32 v0, v0
	v_fmac_f32_e32 v141, v1, v0
	v_or_b32_e32 v0, s18, v70
	s_delay_alu instid0(VALU_DEP_1)
	v_lshlrev_b32_e32 v4, 2, v0
	v_lshrrev_b32_e32 v0, 1, v0
	ds_load_b32 v8, v0 offset:38816
	ds_load_b128 v[0:3], v4 offset:25344
	ds_load_b128 v[4:7], v4 offset:25360
	s_wait_dscnt 0x1
	v_bfe_i32 v18, v0, 0, 8
	v_bfe_i32 v26, v0, 8, 8
	;; [unrolled: 1-line block ×3, first 2 shown]
	v_ashrrev_i32_e32 v37, 24, v0
	v_bfe_i32 v38, v1, 0, 8
	v_mul_i32_i24_e32 v244, v159, v18
	v_bfe_i32 v39, v1, 8, 8
	v_mul_i32_i24_e32 v32, v160, v32
	v_mul_i32_i24_e32 v37, v161, v37
	v_bfe_i32 v46, v1, 16, 8
	v_mad_i32_i24 v244, v162, v26, v244
	v_ashrrev_i32_e32 v48, 24, v1
	v_mul_i32_i24_e32 v39, v166, v39
	v_bfe_i32 v52, v2, 0, 8
	v_bfe_i32 v55, v2, 8, 8
	v_add3_u32 v32, v244, v32, v37
	v_mul_i32_i24_e32 v37, v167, v38
	v_mul_i32_i24_e32 v46, v165, v46
	;; [unrolled: 1-line block ×3, first 2 shown]
	v_bfe_i32 v85, v2, 16, 8
	v_ashrrev_i32_e32 v86, 24, v2
	v_add3_u32 v32, v32, v37, v39
	v_mul_i32_i24_e32 v244, v181, v52
	v_mul_i32_i24_e32 v55, v180, v55
	v_bfe_i32 v87, v3, 0, 8
	v_bfe_i32 v88, v3, 8, 8
	v_add3_u32 v32, v32, v46, v48
	v_mul_i32_i24_e32 v85, v179, v85
	v_mul_i32_i24_e32 v86, v176, v86
	v_bfe_i32 v90, v3, 16, 8
	v_ashrrev_i32_e32 v91, 24, v3
	v_add3_u32 v32, v32, v244, v55
	v_mul_i32_i24_e32 v100, v185, v87
	v_mul_i32_i24_e32 v88, v184, v88
	;; [unrolled: 1-line block ×4, first 2 shown]
	v_add3_u32 v32, v32, v85, v86
	s_wait_dscnt 0x0
	v_bfe_i32 v92, v4, 0, 8
	v_bfe_i32 v246, v4, 8, 8
	;; [unrolled: 1-line block ×3, first 2 shown]
	v_ashrrev_i32_e32 v247, 24, v4
	v_add3_u32 v32, v32, v100, v88
	v_bfe_i32 v248, v5, 0, 8
	v_bfe_i32 v249, v5, 8, 8
	v_mul_i32_i24_e32 v37, v187, v245
	v_mul_i32_i24_e32 v39, v188, v247
	v_add3_u32 v32, v32, v90, v91
	v_bfe_i32 v250, v5, 16, 8
	v_ashrrev_i32_e32 v251, 24, v5
	v_bfe_i32 v252, v6, 0, 8
	v_bfe_i32 v253, v6, 8, 8
	v_mul_lo_u32 v244, v32, v203
	v_mul_i32_i24_e32 v32, v186, v92
	v_mul_i32_i24_e32 v46, v191, v250
	;; [unrolled: 1-line block ×3, first 2 shown]
	v_bfe_i32 v254, v6, 16, 8
	v_ashrrev_i32_e32 v255, 24, v6
	v_mad_i32_i24 v32, v189, v246, v32
	v_mul_i32_i24_e32 v55, v197, v252
	v_mul_i32_i24_e32 v85, v196, v253
	v_bfe_i32 v94, v7, 0, 8
	v_bfe_i32 v95, v7, 8, 8
	v_add3_u32 v32, v32, v37, v39
	v_mul_i32_i24_e32 v37, v193, v248
	v_mul_i32_i24_e32 v39, v192, v249
	;; [unrolled: 1-line block ×4, first 2 shown]
	v_bfe_i32 v96, v7, 16, 8
	v_ashrrev_i32_e32 v98, 24, v7
	v_add3_u32 v32, v32, v37, v39
	v_mul_i32_i24_e32 v90, v201, v94
	v_mul_i32_i24_e32 v91, v200, v95
	;; [unrolled: 1-line block ×4, first 2 shown]
	v_add3_u32 v32, v32, v46, v48
	v_perm_b32 v4, v4, v4, 0xc0c0302
	v_perm_b32 v5, v5, v5, 0xc030201
	;; [unrolled: 1-line block ×4, first 2 shown]
	v_add3_u32 v32, v32, v55, v85
	v_perm_b32 v3, v3, v3, 0xc030201
	v_perm_b32 v7, v7, v7, 0xc030201
	s_delay_alu instid0(VALU_DEP_3) | instskip(NEXT) | instid1(VALU_DEP_1)
	v_add3_u32 v32, v32, v86, v88
	v_add3_u32 v32, v32, v90, v91
	s_delay_alu instid0(VALU_DEP_1) | instskip(NEXT) | instid1(VALU_DEP_1)
	v_add3_u32 v32, v32, v95, v96
	v_mad_co_u64_u32 v[244:245], null, v32, v202, v[244:245]
	v_mul_f32_e32 v32, v156, v8
	s_delay_alu instid0(VALU_DEP_2) | instskip(NEXT) | instid1(VALU_DEP_1)
	v_cvt_f32_i32_e32 v37, v244
	v_fmac_f32_e32 v119, v32, v37
	v_mul_i32_i24_e32 v32, v18, v214
	v_perm_b32 v37, v0, v0, 0xc0c0302
	s_delay_alu instid0(VALU_DEP_2) | instskip(NEXT) | instid1(VALU_DEP_1)
	v_mad_i32_i24 v32, v26, v215, v32
	v_dot4_i32_iu8 v0, v37, v242, v32 neg_lo:[1,1,0]
	v_perm_b32 v32, v1, v1, 0xc030201
	v_mul_i32_i24_e32 v1, v92, v240
	s_delay_alu instid0(VALU_DEP_3) | instskip(NEXT) | instid1(VALU_DEP_2)
	v_mad_i32_i24 v0, v38, v243, v0
	v_mad_i32_i24 v1, v246, v241, v1
	s_delay_alu instid0(VALU_DEP_2) | instskip(NEXT) | instid1(VALU_DEP_2)
	v_dot4_i32_iu8 v0, v32, v236, v0 neg_lo:[1,1,0]
	v_dot4_i32_iu8 v1, v4, v222, v1 neg_lo:[1,1,0]
	s_delay_alu instid0(VALU_DEP_2) | instskip(NEXT) | instid1(VALU_DEP_2)
	v_mad_i32_i24 v0, v52, v235, v0
	v_mad_i32_i24 v1, v248, v223, v1
	s_delay_alu instid0(VALU_DEP_2) | instskip(NEXT) | instid1(VALU_DEP_2)
	v_dot4_i32_iu8 v0, v2, v237, v0 neg_lo:[1,1,0]
	v_dot4_i32_iu8 v1, v5, v218, v1 neg_lo:[1,1,0]
	s_delay_alu instid0(VALU_DEP_2) | instskip(NEXT) | instid1(VALU_DEP_2)
	;; [unrolled: 6-line block ×3, first 2 shown]
	v_mul_lo_u32 v0, v0, v239
	v_mad_i32_i24 v1, v94, v216, v1
	s_delay_alu instid0(VALU_DEP_1) | instskip(NEXT) | instid1(VALU_DEP_1)
	v_dot4_i32_iu8 v1, v7, v220, v1 neg_lo:[1,1,0]
	v_mad_co_u64_u32 v[0:1], null, v1, v221, v[0:1]
	v_mul_f32_e32 v1, v155, v8
	s_delay_alu instid0(VALU_DEP_2) | instskip(NEXT) | instid1(VALU_DEP_1)
	v_cvt_f32_i32_e32 v0, v0
	v_fmac_f32_e32 v130, v1, v0
	v_mul_i32_i24_e32 v0, v18, v224
	v_mul_i32_i24_e32 v1, v92, v168
	s_delay_alu instid0(VALU_DEP_2) | instskip(NEXT) | instid1(VALU_DEP_2)
	v_mad_i32_i24 v0, v26, v225, v0
	v_mad_i32_i24 v1, v246, v169, v1
	s_delay_alu instid0(VALU_DEP_2) | instskip(NEXT) | instid1(VALU_DEP_2)
	v_dot4_i32_iu8 v0, v37, v227, v0 neg_lo:[1,1,0]
	v_dot4_i32_iu8 v1, v4, v171, v1 neg_lo:[1,1,0]
	s_delay_alu instid0(VALU_DEP_2) | instskip(NEXT) | instid1(VALU_DEP_2)
	v_mad_i32_i24 v0, v38, v229, v0
	v_mad_i32_i24 v1, v248, v173, v1
	s_delay_alu instid0(VALU_DEP_2) | instskip(NEXT) | instid1(VALU_DEP_2)
	v_dot4_i32_iu8 v0, v32, v230, v0 neg_lo:[1,1,0]
	v_dot4_i32_iu8 v1, v5, v174, v1 neg_lo:[1,1,0]
	;; [unrolled: 6-line block ×4, first 2 shown]
	s_delay_alu instid0(VALU_DEP_2) | instskip(NEXT) | instid1(VALU_DEP_1)
	v_mul_lo_u32 v0, v0, v233
	v_mad_co_u64_u32 v[0:1], null, v1, v178, v[0:1]
	v_mul_f32_e32 v1, v163, v8
	s_delay_alu instid0(VALU_DEP_2) | instskip(NEXT) | instid1(VALU_DEP_1)
	v_cvt_f32_i32_e32 v0, v0
	v_fmac_f32_e32 v136, v1, v0
	v_mul_i32_i24_e32 v0, v18, v204
	v_mul_i32_i24_e32 v1, v92, v158
	s_delay_alu instid0(VALU_DEP_2) | instskip(NEXT) | instid1(VALU_DEP_2)
	v_mad_i32_i24 v0, v26, v205, v0
	v_mad_i32_i24 v1, v246, v157, v1
	s_delay_alu instid0(VALU_DEP_2) | instskip(NEXT) | instid1(VALU_DEP_2)
	v_dot4_i32_iu8 v0, v37, v207, v0 neg_lo:[1,1,0]
	v_dot4_i32_iu8 v1, v4, v154, v1 neg_lo:[1,1,0]
	s_delay_alu instid0(VALU_DEP_2) | instskip(NEXT) | instid1(VALU_DEP_2)
	v_mad_i32_i24 v0, v38, v209, v0
	v_mad_i32_i24 v1, v248, v153, v1
	s_delay_alu instid0(VALU_DEP_2) | instskip(NEXT) | instid1(VALU_DEP_2)
	v_dot4_i32_iu8 v0, v32, v210, v0 neg_lo:[1,1,0]
	v_dot4_i32_iu8 v1, v5, v152, v1 neg_lo:[1,1,0]
	;; [unrolled: 6-line block ×4, first 2 shown]
	s_delay_alu instid0(VALU_DEP_2) | instskip(NEXT) | instid1(VALU_DEP_1)
	v_mul_lo_u32 v0, v0, v213
	v_mad_co_u64_u32 v[0:1], null, v1, v147, v[0:1]
	v_mul_f32_e32 v1, v146, v8
	s_delay_alu instid0(VALU_DEP_2) | instskip(NEXT) | instid1(VALU_DEP_1)
	v_cvt_f32_i32_e32 v0, v0
	v_fmac_f32_e32 v140, v1, v0
	v_or_b32_e32 v0, s18, v71
	s_delay_alu instid0(VALU_DEP_1)
	v_lshlrev_b32_e32 v4, 2, v0
	v_lshrrev_b32_e32 v0, 1, v0
	ds_load_b32 v8, v0 offset:38816
	ds_load_b128 v[0:3], v4 offset:25344
	ds_load_b128 v[4:7], v4 offset:25360
	s_wait_dscnt 0x1
	v_bfe_i32 v18, v0, 0, 8
	v_bfe_i32 v26, v0, 8, 8
	v_bfe_i32 v32, v0, 16, 8
	v_ashrrev_i32_e32 v37, 24, v0
	v_bfe_i32 v38, v1, 0, 8
	v_mul_i32_i24_e32 v244, v159, v18
	v_bfe_i32 v39, v1, 8, 8
	v_mul_i32_i24_e32 v32, v160, v32
	v_mul_i32_i24_e32 v37, v161, v37
	v_bfe_i32 v46, v1, 16, 8
	v_mad_i32_i24 v244, v162, v26, v244
	v_ashrrev_i32_e32 v48, 24, v1
	v_mul_i32_i24_e32 v39, v166, v39
	v_bfe_i32 v52, v2, 0, 8
	v_bfe_i32 v55, v2, 8, 8
	v_add3_u32 v32, v244, v32, v37
	v_mul_i32_i24_e32 v37, v167, v38
	v_mul_i32_i24_e32 v46, v165, v46
	;; [unrolled: 1-line block ×3, first 2 shown]
	v_bfe_i32 v85, v2, 16, 8
	v_ashrrev_i32_e32 v86, 24, v2
	v_add3_u32 v32, v32, v37, v39
	v_mul_i32_i24_e32 v244, v181, v52
	v_mul_i32_i24_e32 v55, v180, v55
	v_bfe_i32 v87, v3, 0, 8
	v_bfe_i32 v88, v3, 8, 8
	v_add3_u32 v32, v32, v46, v48
	v_mul_i32_i24_e32 v85, v179, v85
	v_mul_i32_i24_e32 v86, v176, v86
	v_bfe_i32 v90, v3, 16, 8
	v_ashrrev_i32_e32 v91, 24, v3
	v_add3_u32 v32, v32, v244, v55
	v_mul_i32_i24_e32 v255, v185, v87
	v_mul_i32_i24_e32 v88, v184, v88
	;; [unrolled: 1-line block ×4, first 2 shown]
	v_add3_u32 v32, v32, v85, v86
	s_wait_dscnt 0x0
	v_bfe_i32 v92, v4, 0, 8
	v_bfe_i32 v94, v4, 8, 8
	;; [unrolled: 1-line block ×3, first 2 shown]
	v_ashrrev_i32_e32 v96, 24, v4
	v_add3_u32 v32, v32, v255, v88
	v_bfe_i32 v98, v5, 0, 8
	v_bfe_i32 v100, v5, 8, 8
	v_mul_i32_i24_e32 v37, v187, v95
	v_mul_i32_i24_e32 v39, v188, v96
	v_add3_u32 v32, v32, v90, v91
	v_bfe_i32 v245, v5, 16, 8
	v_ashrrev_i32_e32 v246, 24, v5
	v_bfe_i32 v247, v6, 0, 8
	v_bfe_i32 v248, v6, 8, 8
	v_mul_lo_u32 v244, v32, v203
	v_mul_i32_i24_e32 v32, v186, v92
	v_mul_i32_i24_e32 v46, v191, v245
	;; [unrolled: 1-line block ×3, first 2 shown]
	v_bfe_i32 v249, v6, 16, 8
	v_ashrrev_i32_e32 v250, 24, v6
	v_mad_i32_i24 v32, v189, v94, v32
	v_mul_i32_i24_e32 v55, v197, v247
	v_mul_i32_i24_e32 v85, v196, v248
	v_bfe_i32 v251, v7, 0, 8
	v_bfe_i32 v252, v7, 8, 8
	v_add3_u32 v32, v32, v37, v39
	v_mul_i32_i24_e32 v37, v193, v98
	v_mul_i32_i24_e32 v39, v192, v100
	;; [unrolled: 1-line block ×4, first 2 shown]
	v_bfe_i32 v253, v7, 16, 8
	v_ashrrev_i32_e32 v254, 24, v7
	v_add3_u32 v32, v32, v37, v39
	v_mul_i32_i24_e32 v90, v201, v251
	v_mul_i32_i24_e32 v91, v200, v252
	;; [unrolled: 1-line block ×4, first 2 shown]
	v_add3_u32 v32, v32, v46, v48
	v_perm_b32 v4, v4, v4, 0xc0c0302
	v_perm_b32 v5, v5, v5, 0xc030201
	;; [unrolled: 1-line block ×4, first 2 shown]
	v_add3_u32 v32, v32, v55, v85
	v_perm_b32 v3, v3, v3, 0xc030201
	v_perm_b32 v7, v7, v7, 0xc030201
	s_delay_alu instid0(VALU_DEP_3) | instskip(NEXT) | instid1(VALU_DEP_1)
	v_add3_u32 v32, v32, v86, v88
	v_add3_u32 v32, v32, v90, v91
	s_delay_alu instid0(VALU_DEP_1) | instskip(NEXT) | instid1(VALU_DEP_1)
	v_add3_u32 v32, v32, v95, v96
	v_mad_co_u64_u32 v[244:245], null, v32, v202, v[244:245]
	v_mul_f32_e32 v32, v156, v8
	s_delay_alu instid0(VALU_DEP_2) | instskip(NEXT) | instid1(VALU_DEP_1)
	v_cvt_f32_i32_e32 v37, v244
	v_fmac_f32_e32 v113, v32, v37
	v_mul_i32_i24_e32 v32, v18, v214
	v_perm_b32 v37, v0, v0, 0xc0c0302
	s_delay_alu instid0(VALU_DEP_2) | instskip(NEXT) | instid1(VALU_DEP_1)
	v_mad_i32_i24 v32, v26, v215, v32
	v_dot4_i32_iu8 v0, v37, v242, v32 neg_lo:[1,1,0]
	v_perm_b32 v32, v1, v1, 0xc030201
	v_mul_i32_i24_e32 v1, v92, v240
	s_delay_alu instid0(VALU_DEP_3) | instskip(NEXT) | instid1(VALU_DEP_2)
	v_mad_i32_i24 v0, v38, v243, v0
	v_mad_i32_i24 v1, v94, v241, v1
	s_delay_alu instid0(VALU_DEP_2) | instskip(NEXT) | instid1(VALU_DEP_2)
	v_dot4_i32_iu8 v0, v32, v236, v0 neg_lo:[1,1,0]
	v_dot4_i32_iu8 v1, v4, v222, v1 neg_lo:[1,1,0]
	s_delay_alu instid0(VALU_DEP_2) | instskip(NEXT) | instid1(VALU_DEP_2)
	v_mad_i32_i24 v0, v52, v235, v0
	v_mad_i32_i24 v1, v98, v223, v1
	s_delay_alu instid0(VALU_DEP_2) | instskip(NEXT) | instid1(VALU_DEP_2)
	v_dot4_i32_iu8 v0, v2, v237, v0 neg_lo:[1,1,0]
	v_dot4_i32_iu8 v1, v5, v218, v1 neg_lo:[1,1,0]
	s_delay_alu instid0(VALU_DEP_2) | instskip(NEXT) | instid1(VALU_DEP_2)
	;; [unrolled: 6-line block ×3, first 2 shown]
	v_mul_lo_u32 v0, v0, v239
	v_mad_i32_i24 v1, v251, v216, v1
	s_delay_alu instid0(VALU_DEP_1) | instskip(NEXT) | instid1(VALU_DEP_1)
	v_dot4_i32_iu8 v1, v7, v220, v1 neg_lo:[1,1,0]
	v_mad_co_u64_u32 v[0:1], null, v1, v221, v[0:1]
	v_mul_f32_e32 v1, v155, v8
	s_delay_alu instid0(VALU_DEP_2) | instskip(NEXT) | instid1(VALU_DEP_1)
	v_cvt_f32_i32_e32 v0, v0
	v_fmac_f32_e32 v127, v1, v0
	v_mul_i32_i24_e32 v0, v18, v224
	v_mul_i32_i24_e32 v1, v92, v168
	s_delay_alu instid0(VALU_DEP_2) | instskip(NEXT) | instid1(VALU_DEP_2)
	v_mad_i32_i24 v0, v26, v225, v0
	v_mad_i32_i24 v1, v94, v169, v1
	s_delay_alu instid0(VALU_DEP_2) | instskip(NEXT) | instid1(VALU_DEP_2)
	v_dot4_i32_iu8 v0, v37, v227, v0 neg_lo:[1,1,0]
	v_dot4_i32_iu8 v1, v4, v171, v1 neg_lo:[1,1,0]
	s_delay_alu instid0(VALU_DEP_2) | instskip(NEXT) | instid1(VALU_DEP_2)
	v_mad_i32_i24 v0, v38, v229, v0
	v_mad_i32_i24 v1, v98, v173, v1
	s_delay_alu instid0(VALU_DEP_2) | instskip(NEXT) | instid1(VALU_DEP_2)
	v_dot4_i32_iu8 v0, v32, v230, v0 neg_lo:[1,1,0]
	v_dot4_i32_iu8 v1, v5, v174, v1 neg_lo:[1,1,0]
	;; [unrolled: 6-line block ×4, first 2 shown]
	s_delay_alu instid0(VALU_DEP_2) | instskip(NEXT) | instid1(VALU_DEP_1)
	v_mul_lo_u32 v0, v0, v233
	v_mad_co_u64_u32 v[0:1], null, v1, v178, v[0:1]
	v_mul_f32_e32 v1, v163, v8
	s_delay_alu instid0(VALU_DEP_2) | instskip(NEXT) | instid1(VALU_DEP_1)
	v_cvt_f32_i32_e32 v0, v0
	v_fmac_f32_e32 v134, v1, v0
	v_mul_i32_i24_e32 v0, v18, v204
	v_mul_i32_i24_e32 v1, v92, v158
	s_delay_alu instid0(VALU_DEP_2) | instskip(NEXT) | instid1(VALU_DEP_2)
	v_mad_i32_i24 v0, v26, v205, v0
	v_mad_i32_i24 v1, v94, v157, v1
	s_delay_alu instid0(VALU_DEP_2) | instskip(NEXT) | instid1(VALU_DEP_2)
	v_dot4_i32_iu8 v0, v37, v207, v0 neg_lo:[1,1,0]
	v_dot4_i32_iu8 v1, v4, v154, v1 neg_lo:[1,1,0]
	s_delay_alu instid0(VALU_DEP_2) | instskip(NEXT) | instid1(VALU_DEP_2)
	v_mad_i32_i24 v0, v38, v209, v0
	v_mad_i32_i24 v1, v98, v153, v1
	s_delay_alu instid0(VALU_DEP_2) | instskip(NEXT) | instid1(VALU_DEP_2)
	v_dot4_i32_iu8 v0, v32, v210, v0 neg_lo:[1,1,0]
	v_dot4_i32_iu8 v1, v5, v152, v1 neg_lo:[1,1,0]
	;; [unrolled: 6-line block ×4, first 2 shown]
	s_delay_alu instid0(VALU_DEP_2) | instskip(NEXT) | instid1(VALU_DEP_1)
	v_mul_lo_u32 v0, v0, v213
	v_mad_co_u64_u32 v[0:1], null, v1, v147, v[0:1]
	v_mul_f32_e32 v1, v146, v8
	s_delay_alu instid0(VALU_DEP_2) | instskip(NEXT) | instid1(VALU_DEP_1)
	v_cvt_f32_i32_e32 v0, v0
	v_fmac_f32_e32 v139, v1, v0
	v_or_b32_e32 v0, s18, v72
	s_delay_alu instid0(VALU_DEP_1)
	v_lshlrev_b32_e32 v4, 2, v0
	v_lshrrev_b32_e32 v0, 1, v0
	ds_load_b32 v8, v0 offset:38816
	ds_load_b128 v[0:3], v4 offset:25344
	ds_load_b128 v[4:7], v4 offset:25360
	s_wait_dscnt 0x1
	v_bfe_i32 v18, v0, 0, 8
	v_bfe_i32 v26, v0, 8, 8
	;; [unrolled: 1-line block ×3, first 2 shown]
	v_ashrrev_i32_e32 v37, 24, v0
	v_bfe_i32 v38, v1, 0, 8
	v_mul_i32_i24_e32 v244, v159, v18
	v_bfe_i32 v39, v1, 8, 8
	v_mul_i32_i24_e32 v32, v160, v32
	v_mul_i32_i24_e32 v37, v161, v37
	v_bfe_i32 v46, v1, 16, 8
	v_mad_i32_i24 v244, v162, v26, v244
	v_ashrrev_i32_e32 v48, 24, v1
	v_mul_i32_i24_e32 v39, v166, v39
	v_bfe_i32 v52, v2, 0, 8
	v_bfe_i32 v55, v2, 8, 8
	v_add3_u32 v32, v244, v32, v37
	v_mul_i32_i24_e32 v37, v167, v38
	v_mul_i32_i24_e32 v46, v165, v46
	;; [unrolled: 1-line block ×3, first 2 shown]
	v_bfe_i32 v85, v2, 16, 8
	v_ashrrev_i32_e32 v86, 24, v2
	v_add3_u32 v32, v32, v37, v39
	v_mul_i32_i24_e32 v244, v181, v52
	v_mul_i32_i24_e32 v55, v180, v55
	v_bfe_i32 v87, v3, 0, 8
	v_bfe_i32 v88, v3, 8, 8
	v_add3_u32 v32, v32, v46, v48
	v_mul_i32_i24_e32 v85, v179, v85
	v_mul_i32_i24_e32 v86, v176, v86
	v_bfe_i32 v90, v3, 16, 8
	v_ashrrev_i32_e32 v91, 24, v3
	v_add3_u32 v32, v32, v244, v55
	v_mul_i32_i24_e32 v255, v185, v87
	v_mul_i32_i24_e32 v88, v184, v88
	;; [unrolled: 1-line block ×4, first 2 shown]
	v_add3_u32 v32, v32, v85, v86
	s_wait_dscnt 0x0
	v_bfe_i32 v92, v4, 0, 8
	v_bfe_i32 v94, v4, 8, 8
	;; [unrolled: 1-line block ×3, first 2 shown]
	v_ashrrev_i32_e32 v96, 24, v4
	v_add3_u32 v32, v32, v255, v88
	v_bfe_i32 v98, v5, 0, 8
	v_bfe_i32 v100, v5, 8, 8
	v_mul_i32_i24_e32 v37, v187, v95
	v_mul_i32_i24_e32 v39, v188, v96
	v_add3_u32 v32, v32, v90, v91
	v_bfe_i32 v245, v5, 16, 8
	v_ashrrev_i32_e32 v246, 24, v5
	v_bfe_i32 v247, v6, 0, 8
	v_bfe_i32 v248, v6, 8, 8
	v_mul_lo_u32 v244, v32, v203
	v_mul_i32_i24_e32 v32, v186, v92
	v_mul_i32_i24_e32 v46, v191, v245
	;; [unrolled: 1-line block ×3, first 2 shown]
	v_bfe_i32 v249, v6, 16, 8
	v_ashrrev_i32_e32 v250, 24, v6
	v_mad_i32_i24 v32, v189, v94, v32
	v_mul_i32_i24_e32 v55, v197, v247
	v_mul_i32_i24_e32 v85, v196, v248
	v_bfe_i32 v251, v7, 0, 8
	v_bfe_i32 v252, v7, 8, 8
	v_add3_u32 v32, v32, v37, v39
	v_mul_i32_i24_e32 v37, v193, v98
	v_mul_i32_i24_e32 v39, v192, v100
	;; [unrolled: 1-line block ×4, first 2 shown]
	v_bfe_i32 v253, v7, 16, 8
	v_ashrrev_i32_e32 v254, 24, v7
	v_add3_u32 v32, v32, v37, v39
	v_mul_i32_i24_e32 v90, v201, v251
	v_mul_i32_i24_e32 v91, v200, v252
	;; [unrolled: 1-line block ×4, first 2 shown]
	v_add3_u32 v32, v32, v46, v48
	v_perm_b32 v4, v4, v4, 0xc0c0302
	v_perm_b32 v5, v5, v5, 0xc030201
	;; [unrolled: 1-line block ×4, first 2 shown]
	v_add3_u32 v32, v32, v55, v85
	v_perm_b32 v3, v3, v3, 0xc030201
	v_perm_b32 v7, v7, v7, 0xc030201
	s_delay_alu instid0(VALU_DEP_3) | instskip(NEXT) | instid1(VALU_DEP_1)
	v_add3_u32 v32, v32, v86, v88
	v_add3_u32 v32, v32, v90, v91
	s_delay_alu instid0(VALU_DEP_1) | instskip(NEXT) | instid1(VALU_DEP_1)
	v_add3_u32 v32, v32, v95, v96
	v_mad_co_u64_u32 v[244:245], null, v32, v202, v[244:245]
	v_mul_f32_e32 v32, v156, v8
	s_delay_alu instid0(VALU_DEP_2) | instskip(NEXT) | instid1(VALU_DEP_1)
	v_cvt_f32_i32_e32 v37, v244
	v_fmac_f32_e32 v107, v32, v37
	v_mul_i32_i24_e32 v32, v18, v214
	v_perm_b32 v37, v0, v0, 0xc0c0302
	s_delay_alu instid0(VALU_DEP_2) | instskip(NEXT) | instid1(VALU_DEP_1)
	v_mad_i32_i24 v32, v26, v215, v32
	v_dot4_i32_iu8 v0, v37, v242, v32 neg_lo:[1,1,0]
	v_perm_b32 v32, v1, v1, 0xc030201
	v_mul_i32_i24_e32 v1, v92, v240
	s_delay_alu instid0(VALU_DEP_3) | instskip(NEXT) | instid1(VALU_DEP_2)
	v_mad_i32_i24 v0, v38, v243, v0
	v_mad_i32_i24 v1, v94, v241, v1
	s_delay_alu instid0(VALU_DEP_2) | instskip(NEXT) | instid1(VALU_DEP_2)
	v_dot4_i32_iu8 v0, v32, v236, v0 neg_lo:[1,1,0]
	v_dot4_i32_iu8 v1, v4, v222, v1 neg_lo:[1,1,0]
	s_delay_alu instid0(VALU_DEP_2) | instskip(NEXT) | instid1(VALU_DEP_2)
	v_mad_i32_i24 v0, v52, v235, v0
	v_mad_i32_i24 v1, v98, v223, v1
	s_delay_alu instid0(VALU_DEP_2) | instskip(NEXT) | instid1(VALU_DEP_2)
	v_dot4_i32_iu8 v0, v2, v237, v0 neg_lo:[1,1,0]
	v_dot4_i32_iu8 v1, v5, v218, v1 neg_lo:[1,1,0]
	s_delay_alu instid0(VALU_DEP_2) | instskip(NEXT) | instid1(VALU_DEP_2)
	;; [unrolled: 6-line block ×3, first 2 shown]
	v_mul_lo_u32 v0, v0, v239
	v_mad_i32_i24 v1, v251, v216, v1
	s_delay_alu instid0(VALU_DEP_1) | instskip(NEXT) | instid1(VALU_DEP_1)
	v_dot4_i32_iu8 v1, v7, v220, v1 neg_lo:[1,1,0]
	v_mad_co_u64_u32 v[0:1], null, v1, v221, v[0:1]
	v_mul_f32_e32 v1, v155, v8
	s_delay_alu instid0(VALU_DEP_2) | instskip(NEXT) | instid1(VALU_DEP_1)
	v_cvt_f32_i32_e32 v0, v0
	v_fmac_f32_e32 v121, v1, v0
	v_mul_i32_i24_e32 v0, v18, v224
	v_mul_i32_i24_e32 v1, v92, v168
	s_delay_alu instid0(VALU_DEP_2) | instskip(NEXT) | instid1(VALU_DEP_2)
	v_mad_i32_i24 v0, v26, v225, v0
	v_mad_i32_i24 v1, v94, v169, v1
	s_delay_alu instid0(VALU_DEP_2) | instskip(NEXT) | instid1(VALU_DEP_2)
	v_dot4_i32_iu8 v0, v37, v227, v0 neg_lo:[1,1,0]
	v_dot4_i32_iu8 v1, v4, v171, v1 neg_lo:[1,1,0]
	s_delay_alu instid0(VALU_DEP_2) | instskip(NEXT) | instid1(VALU_DEP_2)
	v_mad_i32_i24 v0, v38, v229, v0
	v_mad_i32_i24 v1, v98, v173, v1
	s_delay_alu instid0(VALU_DEP_2) | instskip(NEXT) | instid1(VALU_DEP_2)
	v_dot4_i32_iu8 v0, v32, v230, v0 neg_lo:[1,1,0]
	v_dot4_i32_iu8 v1, v5, v174, v1 neg_lo:[1,1,0]
	s_delay_alu instid0(VALU_DEP_2) | instskip(NEXT) | instid1(VALU_DEP_2)
	v_mad_i32_i24 v0, v52, v228, v0
	v_mad_i32_i24 v1, v247, v172, v1
	s_delay_alu instid0(VALU_DEP_2) | instskip(NEXT) | instid1(VALU_DEP_2)
	v_dot4_i32_iu8 v0, v2, v231, v0 neg_lo:[1,1,0]
	v_dot4_i32_iu8 v1, v6, v175, v1 neg_lo:[1,1,0]
	s_delay_alu instid0(VALU_DEP_2) | instskip(NEXT) | instid1(VALU_DEP_2)
	v_mad_i32_i24 v0, v87, v226, v0
	v_mad_i32_i24 v1, v251, v170, v1
	s_delay_alu instid0(VALU_DEP_2) | instskip(NEXT) | instid1(VALU_DEP_2)
	v_dot4_i32_iu8 v0, v3, v232, v0 neg_lo:[1,1,0]
	v_dot4_i32_iu8 v1, v7, v177, v1 neg_lo:[1,1,0]
	s_delay_alu instid0(VALU_DEP_2) | instskip(NEXT) | instid1(VALU_DEP_1)
	v_mul_lo_u32 v0, v0, v233
	v_mad_co_u64_u32 v[0:1], null, v1, v178, v[0:1]
	v_mul_f32_e32 v1, v163, v8
	s_delay_alu instid0(VALU_DEP_2) | instskip(NEXT) | instid1(VALU_DEP_1)
	v_cvt_f32_i32_e32 v0, v0
	v_fmac_f32_e32 v131, v1, v0
	v_mul_i32_i24_e32 v0, v18, v204
	v_mul_i32_i24_e32 v1, v92, v158
	s_delay_alu instid0(VALU_DEP_2) | instskip(NEXT) | instid1(VALU_DEP_2)
	v_mad_i32_i24 v0, v26, v205, v0
	v_mad_i32_i24 v1, v94, v157, v1
	s_delay_alu instid0(VALU_DEP_2) | instskip(NEXT) | instid1(VALU_DEP_2)
	v_dot4_i32_iu8 v0, v37, v207, v0 neg_lo:[1,1,0]
	v_dot4_i32_iu8 v1, v4, v154, v1 neg_lo:[1,1,0]
	s_delay_alu instid0(VALU_DEP_2) | instskip(NEXT) | instid1(VALU_DEP_2)
	v_mad_i32_i24 v0, v38, v209, v0
	v_mad_i32_i24 v1, v98, v153, v1
	s_delay_alu instid0(VALU_DEP_2) | instskip(NEXT) | instid1(VALU_DEP_2)
	v_dot4_i32_iu8 v0, v32, v210, v0 neg_lo:[1,1,0]
	v_dot4_i32_iu8 v1, v5, v152, v1 neg_lo:[1,1,0]
	;; [unrolled: 6-line block ×4, first 2 shown]
	s_delay_alu instid0(VALU_DEP_2) | instskip(NEXT) | instid1(VALU_DEP_1)
	v_mul_lo_u32 v0, v0, v213
	v_mad_co_u64_u32 v[0:1], null, v1, v147, v[0:1]
	v_mul_f32_e32 v1, v146, v8
	s_delay_alu instid0(VALU_DEP_2) | instskip(NEXT) | instid1(VALU_DEP_1)
	v_cvt_f32_i32_e32 v0, v0
	v_fmac_f32_e32 v137, v1, v0
	v_or_b32_e32 v0, s18, v73
	s_delay_alu instid0(VALU_DEP_1)
	v_lshlrev_b32_e32 v1, 2, v0
	v_lshrrev_b32_e32 v0, 1, v0
	ds_load_b32 v244, v0 offset:38816
	ds_load_b128 v[4:7], v1 offset:25344
	ds_load_b128 v[0:3], v1 offset:25360
	s_wait_dscnt 0x1
	v_bfe_i32 v245, v4, 0, 8
	v_bfe_i32 v246, v4, 8, 8
	;; [unrolled: 1-line block ×3, first 2 shown]
	v_ashrrev_i32_e32 v18, 24, v4
	v_bfe_i32 v247, v5, 0, 8
	v_mul_i32_i24_e32 v100, v159, v245
	v_bfe_i32 v26, v5, 8, 8
	v_mul_i32_i24_e32 v8, v160, v8
	v_mul_i32_i24_e32 v18, v161, v18
	v_bfe_i32 v32, v5, 16, 8
	v_mad_i32_i24 v100, v162, v246, v100
	v_ashrrev_i32_e32 v37, 24, v5
	v_mul_i32_i24_e32 v26, v166, v26
	v_bfe_i32 v248, v6, 0, 8
	v_bfe_i32 v38, v6, 8, 8
	v_add3_u32 v8, v100, v8, v18
	v_mul_i32_i24_e32 v18, v167, v247
	v_mul_i32_i24_e32 v32, v165, v32
	;; [unrolled: 1-line block ×3, first 2 shown]
	v_bfe_i32 v39, v6, 16, 8
	v_ashrrev_i32_e32 v46, 24, v6
	v_add3_u32 v8, v8, v18, v26
	v_mul_i32_i24_e32 v100, v181, v248
	v_mul_i32_i24_e32 v38, v180, v38
	v_bfe_i32 v249, v7, 0, 8
	v_bfe_i32 v48, v7, 8, 8
	v_add3_u32 v8, v8, v32, v37
	v_mul_i32_i24_e32 v39, v179, v39
	v_mul_i32_i24_e32 v46, v176, v46
	v_bfe_i32 v52, v7, 16, 8
	v_ashrrev_i32_e32 v55, 24, v7
	v_add3_u32 v8, v8, v100, v38
	v_mul_i32_i24_e32 v255, v185, v249
	v_mul_i32_i24_e32 v48, v184, v48
	;; [unrolled: 1-line block ×4, first 2 shown]
	v_add3_u32 v8, v8, v39, v46
	s_wait_dscnt 0x0
	v_bfe_i32 v250, v0, 0, 8
	v_bfe_i32 v251, v0, 8, 8
	;; [unrolled: 1-line block ×3, first 2 shown]
	v_ashrrev_i32_e32 v86, 24, v0
	v_add3_u32 v8, v8, v255, v48
	v_bfe_i32 v252, v1, 0, 8
	v_bfe_i32 v87, v1, 8, 8
	v_mul_i32_i24_e32 v18, v187, v85
	v_mul_i32_i24_e32 v26, v188, v86
	v_add3_u32 v8, v8, v52, v55
	v_bfe_i32 v88, v1, 16, 8
	v_ashrrev_i32_e32 v90, 24, v1
	v_bfe_i32 v253, v2, 0, 8
	v_bfe_i32 v91, v2, 8, 8
	v_mul_lo_u32 v37, v8, v203
	v_mul_i32_i24_e32 v8, v186, v250
	v_mul_i32_i24_e32 v32, v191, v88
	;; [unrolled: 1-line block ×3, first 2 shown]
	v_bfe_i32 v92, v2, 16, 8
	v_ashrrev_i32_e32 v94, 24, v2
	v_mad_i32_i24 v8, v189, v251, v8
	v_mul_i32_i24_e32 v39, v197, v253
	v_mul_i32_i24_e32 v46, v196, v91
	v_bfe_i32 v254, v3, 0, 8
	v_bfe_i32 v95, v3, 8, 8
	v_add3_u32 v8, v8, v18, v26
	v_mul_i32_i24_e32 v18, v193, v252
	v_mul_i32_i24_e32 v26, v192, v87
	;; [unrolled: 1-line block ×4, first 2 shown]
	v_bfe_i32 v96, v3, 16, 8
	v_ashrrev_i32_e32 v98, 24, v3
	v_add3_u32 v8, v8, v18, v26
	v_mul_i32_i24_e32 v55, v201, v254
	v_mul_i32_i24_e32 v85, v200, v95
	;; [unrolled: 1-line block ×4, first 2 shown]
	v_add3_u32 v8, v8, v32, v38
	v_perm_b32 v26, v0, v0, 0xc0c0302
	v_perm_b32 v5, v5, v5, 0xc030201
	v_perm_b32 v6, v6, v6, 0xc030201
	v_perm_b32 v2, v2, v2, 0xc030201
	v_add3_u32 v8, v8, v39, v46
	v_perm_b32 v7, v7, v7, 0xc030201
	v_perm_b32 v3, v3, v3, 0xc030201
	s_delay_alu instid0(VALU_DEP_3) | instskip(NEXT) | instid1(VALU_DEP_1)
	v_add3_u32 v8, v8, v48, v52
	v_add3_u32 v8, v8, v55, v85
	s_delay_alu instid0(VALU_DEP_1) | instskip(NEXT) | instid1(VALU_DEP_1)
	v_add3_u32 v8, v8, v86, v87
	v_mad_co_u64_u32 v[37:38], null, v8, v202, v[37:38]
	v_mul_f32_e32 v8, v156, v244
	s_delay_alu instid0(VALU_DEP_2) | instskip(NEXT) | instid1(VALU_DEP_1)
	v_cvt_f32_i32_e32 v18, v37
	v_fmac_f32_e32 v102, v8, v18
	v_mul_i32_i24_e32 v8, v245, v214
	v_perm_b32 v18, v4, v4, 0xc0c0302
	s_delay_alu instid0(VALU_DEP_2) | instskip(NEXT) | instid1(VALU_DEP_1)
	v_mad_i32_i24 v8, v246, v215, v8
	v_dot4_i32_iu8 v4, v18, v242, v8 neg_lo:[1,1,0]
	v_mul_i32_i24_e32 v8, v250, v240
	s_delay_alu instid0(VALU_DEP_2) | instskip(NEXT) | instid1(VALU_DEP_2)
	v_mad_i32_i24 v4, v247, v243, v4
	v_mad_i32_i24 v8, v251, v241, v8
	s_delay_alu instid0(VALU_DEP_2) | instskip(NEXT) | instid1(VALU_DEP_2)
	v_dot4_i32_iu8 v4, v5, v236, v4 neg_lo:[1,1,0]
	v_dot4_i32_iu8 v0, v26, v222, v8 neg_lo:[1,1,0]
	v_perm_b32 v8, v1, v1, 0xc030201
	s_delay_alu instid0(VALU_DEP_3) | instskip(NEXT) | instid1(VALU_DEP_3)
	v_mad_i32_i24 v4, v248, v235, v4
	v_mad_i32_i24 v0, v252, v223, v0
	s_delay_alu instid0(VALU_DEP_2) | instskip(NEXT) | instid1(VALU_DEP_2)
	v_dot4_i32_iu8 v4, v6, v237, v4 neg_lo:[1,1,0]
	v_dot4_i32_iu8 v0, v8, v218, v0 neg_lo:[1,1,0]
	s_delay_alu instid0(VALU_DEP_2) | instskip(NEXT) | instid1(VALU_DEP_2)
	v_mad_i32_i24 v4, v249, v234, v4
	v_mad_i32_i24 v0, v253, v217, v0
	s_delay_alu instid0(VALU_DEP_2) | instskip(NEXT) | instid1(VALU_DEP_2)
	v_dot4_i32_iu8 v4, v7, v238, v4 neg_lo:[1,1,0]
	v_dot4_i32_iu8 v0, v2, v219, v0 neg_lo:[1,1,0]
	s_delay_alu instid0(VALU_DEP_2) | instskip(NEXT) | instid1(VALU_DEP_2)
	v_mul_lo_u32 v4, v4, v239
	v_mad_i32_i24 v0, v254, v216, v0
	s_delay_alu instid0(VALU_DEP_1) | instskip(NEXT) | instid1(VALU_DEP_1)
	v_dot4_i32_iu8 v0, v3, v220, v0 neg_lo:[1,1,0]
	v_mad_co_u64_u32 v[0:1], null, v0, v221, v[4:5]
	v_mul_f32_e32 v1, v155, v244
	s_delay_alu instid0(VALU_DEP_2) | instskip(NEXT) | instid1(VALU_DEP_1)
	v_cvt_f32_i32_e32 v0, v0
	v_fmac_f32_e32 v115, v1, v0
	v_mul_i32_i24_e32 v0, v245, v224
	v_mul_i32_i24_e32 v1, v250, v168
	s_delay_alu instid0(VALU_DEP_2) | instskip(NEXT) | instid1(VALU_DEP_2)
	v_mad_i32_i24 v0, v246, v225, v0
	v_mad_i32_i24 v1, v251, v169, v1
	s_delay_alu instid0(VALU_DEP_2) | instskip(NEXT) | instid1(VALU_DEP_2)
	v_dot4_i32_iu8 v0, v18, v227, v0 neg_lo:[1,1,0]
	v_dot4_i32_iu8 v1, v26, v171, v1 neg_lo:[1,1,0]
	s_delay_alu instid0(VALU_DEP_2) | instskip(NEXT) | instid1(VALU_DEP_2)
	v_mad_i32_i24 v0, v247, v229, v0
	v_mad_i32_i24 v1, v252, v173, v1
	s_delay_alu instid0(VALU_DEP_2) | instskip(NEXT) | instid1(VALU_DEP_2)
	v_dot4_i32_iu8 v0, v5, v230, v0 neg_lo:[1,1,0]
	v_dot4_i32_iu8 v1, v8, v174, v1 neg_lo:[1,1,0]
	;; [unrolled: 6-line block ×4, first 2 shown]
	s_delay_alu instid0(VALU_DEP_2) | instskip(NEXT) | instid1(VALU_DEP_1)
	v_mul_lo_u32 v0, v0, v233
	v_mad_co_u64_u32 v[0:1], null, v1, v178, v[0:1]
	v_mul_f32_e32 v1, v163, v244
	s_delay_alu instid0(VALU_DEP_2) | instskip(NEXT) | instid1(VALU_DEP_1)
	v_cvt_f32_i32_e32 v0, v0
	v_fmac_f32_e32 v128, v1, v0
	v_mul_i32_i24_e32 v0, v245, v204
	v_mul_i32_i24_e32 v1, v250, v158
	s_delay_alu instid0(VALU_DEP_2) | instskip(NEXT) | instid1(VALU_DEP_2)
	v_mad_i32_i24 v0, v246, v205, v0
	v_mad_i32_i24 v1, v251, v157, v1
	s_delay_alu instid0(VALU_DEP_2) | instskip(NEXT) | instid1(VALU_DEP_2)
	v_dot4_i32_iu8 v0, v18, v207, v0 neg_lo:[1,1,0]
	v_dot4_i32_iu8 v1, v26, v154, v1 neg_lo:[1,1,0]
	s_delay_alu instid0(VALU_DEP_2) | instskip(NEXT) | instid1(VALU_DEP_2)
	v_mad_i32_i24 v0, v247, v209, v0
	v_mad_i32_i24 v1, v252, v153, v1
	s_delay_alu instid0(VALU_DEP_2) | instskip(NEXT) | instid1(VALU_DEP_2)
	v_dot4_i32_iu8 v0, v5, v210, v0 neg_lo:[1,1,0]
	v_dot4_i32_iu8 v1, v8, v152, v1 neg_lo:[1,1,0]
	;; [unrolled: 6-line block ×4, first 2 shown]
	s_delay_alu instid0(VALU_DEP_2) | instskip(NEXT) | instid1(VALU_DEP_1)
	v_mul_lo_u32 v0, v0, v213
	v_mad_co_u64_u32 v[0:1], null, v1, v147, v[0:1]
	v_mul_f32_e32 v1, v146, v244
	s_delay_alu instid0(VALU_DEP_2) | instskip(NEXT) | instid1(VALU_DEP_1)
	v_cvt_f32_i32_e32 v0, v0
	v_fmac_f32_e32 v135, v1, v0
	v_or_b32_e32 v0, s18, v74
	s_delay_alu instid0(VALU_DEP_1)
	v_lshlrev_b32_e32 v1, 2, v0
	v_lshrrev_b32_e32 v0, 1, v0
	ds_load_b32 v4, v0 offset:38816
	ds_load_b128 v[251:254], v1 offset:25344
	ds_load_b128 v[0:3], v1 offset:25360
	s_wait_dscnt 0x1
	v_bfe_i32 v5, v251, 0, 8
	v_bfe_i32 v6, v251, 8, 8
	;; [unrolled: 1-line block ×3, first 2 shown]
	v_ashrrev_i32_e32 v18, 24, v251
	v_bfe_i32 v7, v252, 0, 8
	v_mul_i32_i24_e32 v100, v159, v5
	v_bfe_i32 v26, v252, 8, 8
	v_mul_i32_i24_e32 v8, v160, v8
	v_mul_i32_i24_e32 v18, v161, v18
	v_bfe_i32 v32, v252, 16, 8
	v_mad_i32_i24 v100, v162, v6, v100
	v_ashrrev_i32_e32 v37, 24, v252
	v_mul_i32_i24_e32 v26, v166, v26
	v_bfe_i32 v244, v253, 0, 8
	v_bfe_i32 v38, v253, 8, 8
	v_add3_u32 v8, v100, v8, v18
	v_mul_i32_i24_e32 v18, v167, v7
	v_mul_i32_i24_e32 v32, v165, v32
	v_mul_i32_i24_e32 v37, v164, v37
	v_bfe_i32 v39, v253, 16, 8
	v_ashrrev_i32_e32 v46, 24, v253
	v_add3_u32 v8, v8, v18, v26
	v_mul_i32_i24_e32 v100, v181, v244
	v_mul_i32_i24_e32 v38, v180, v38
	v_bfe_i32 v245, v254, 0, 8
	v_bfe_i32 v48, v254, 8, 8
	v_add3_u32 v8, v8, v32, v37
	v_mul_i32_i24_e32 v39, v179, v39
	v_mul_i32_i24_e32 v46, v176, v46
	v_bfe_i32 v52, v254, 16, 8
	v_ashrrev_i32_e32 v55, 24, v254
	v_add3_u32 v8, v8, v100, v38
	v_mul_i32_i24_e32 v255, v185, v245
	v_mul_i32_i24_e32 v48, v184, v48
	;; [unrolled: 1-line block ×4, first 2 shown]
	v_add3_u32 v8, v8, v39, v46
	s_wait_dscnt 0x0
	v_bfe_i32 v246, v0, 0, 8
	v_bfe_i32 v247, v0, 8, 8
	;; [unrolled: 1-line block ×3, first 2 shown]
	v_ashrrev_i32_e32 v86, 24, v0
	v_add3_u32 v8, v8, v255, v48
	v_bfe_i32 v248, v1, 0, 8
	v_bfe_i32 v87, v1, 8, 8
	v_mul_i32_i24_e32 v18, v187, v85
	v_mul_i32_i24_e32 v26, v188, v86
	v_add3_u32 v8, v8, v52, v55
	v_bfe_i32 v88, v1, 16, 8
	v_ashrrev_i32_e32 v90, 24, v1
	v_bfe_i32 v249, v2, 0, 8
	v_bfe_i32 v91, v2, 8, 8
	v_mul_lo_u32 v37, v8, v203
	v_mul_i32_i24_e32 v8, v186, v246
	v_mul_i32_i24_e32 v32, v191, v88
	;; [unrolled: 1-line block ×3, first 2 shown]
	v_bfe_i32 v92, v2, 16, 8
	v_ashrrev_i32_e32 v94, 24, v2
	v_mad_i32_i24 v8, v189, v247, v8
	v_mul_i32_i24_e32 v39, v197, v249
	v_mul_i32_i24_e32 v46, v196, v91
	v_bfe_i32 v250, v3, 0, 8
	v_bfe_i32 v95, v3, 8, 8
	v_add3_u32 v8, v8, v18, v26
	v_mul_i32_i24_e32 v18, v193, v248
	v_mul_i32_i24_e32 v26, v192, v87
	;; [unrolled: 1-line block ×4, first 2 shown]
	v_bfe_i32 v96, v3, 16, 8
	v_ashrrev_i32_e32 v98, 24, v3
	v_add3_u32 v8, v8, v18, v26
	v_mul_i32_i24_e32 v55, v201, v250
	v_mul_i32_i24_e32 v85, v200, v95
	;; [unrolled: 1-line block ×4, first 2 shown]
	v_add3_u32 v8, v8, v32, v38
	v_perm_b32 v26, v252, v252, 0xc030201
	v_perm_b32 v32, v253, v253, 0xc030201
	v_perm_b32 v2, v2, v2, 0xc030201
	v_perm_b32 v3, v3, v3, 0xc030201
	v_add3_u32 v8, v8, v39, v46
	v_perm_b32 v39, v0, v0, 0xc0c0302
	s_delay_alu instid0(VALU_DEP_2) | instskip(NEXT) | instid1(VALU_DEP_1)
	v_add3_u32 v8, v8, v48, v52
	v_add3_u32 v8, v8, v55, v85
	s_delay_alu instid0(VALU_DEP_1) | instskip(NEXT) | instid1(VALU_DEP_1)
	v_add3_u32 v8, v8, v86, v87
	v_mad_co_u64_u32 v[37:38], null, v8, v202, v[37:38]
	v_mul_f32_e32 v8, v156, v4
	v_perm_b32 v38, v254, v254, 0xc030201
	s_delay_alu instid0(VALU_DEP_3) | instskip(NEXT) | instid1(VALU_DEP_1)
	v_cvt_f32_i32_e32 v18, v37
	v_fmac_f32_e32 v97, v8, v18
	v_mul_i32_i24_e32 v8, v5, v214
	v_perm_b32 v18, v251, v251, 0xc0c0302
	s_delay_alu instid0(VALU_DEP_2) | instskip(NEXT) | instid1(VALU_DEP_1)
	v_mad_i32_i24 v8, v6, v215, v8
	v_dot4_i32_iu8 v8, v18, v242, v8 neg_lo:[1,1,0]
	s_delay_alu instid0(VALU_DEP_1) | instskip(NEXT) | instid1(VALU_DEP_1)
	v_mad_i32_i24 v8, v7, v243, v8
	v_dot4_i32_iu8 v8, v26, v236, v8 neg_lo:[1,1,0]
	s_delay_alu instid0(VALU_DEP_1) | instskip(NEXT) | instid1(VALU_DEP_1)
	;; [unrolled: 3-line block ×3, first 2 shown]
	v_mad_i32_i24 v8, v245, v234, v8
	v_dot4_i32_iu8 v8, v38, v238, v8 neg_lo:[1,1,0]
	s_delay_alu instid0(VALU_DEP_1) | instskip(SKIP_1) | instid1(VALU_DEP_1)
	v_mul_lo_u32 v37, v8, v239
	v_mul_i32_i24_e32 v8, v246, v240
	v_mad_i32_i24 v8, v247, v241, v8
	s_delay_alu instid0(VALU_DEP_1) | instskip(SKIP_1) | instid1(VALU_DEP_2)
	v_dot4_i32_iu8 v0, v39, v222, v8 neg_lo:[1,1,0]
	v_perm_b32 v8, v1, v1, 0xc030201
	v_mad_i32_i24 v0, v248, v223, v0
	s_delay_alu instid0(VALU_DEP_1) | instskip(NEXT) | instid1(VALU_DEP_1)
	v_dot4_i32_iu8 v0, v8, v218, v0 neg_lo:[1,1,0]
	v_mad_i32_i24 v0, v249, v217, v0
	s_delay_alu instid0(VALU_DEP_1) | instskip(NEXT) | instid1(VALU_DEP_1)
	v_dot4_i32_iu8 v0, v2, v219, v0 neg_lo:[1,1,0]
	;; [unrolled: 3-line block ×3, first 2 shown]
	v_mad_co_u64_u32 v[0:1], null, v0, v221, v[37:38]
	v_mul_f32_e32 v1, v155, v4
	s_delay_alu instid0(VALU_DEP_2) | instskip(NEXT) | instid1(VALU_DEP_1)
	v_cvt_f32_i32_e32 v0, v0
	v_fmac_f32_e32 v109, v1, v0
	v_mul_i32_i24_e32 v0, v5, v224
	v_mul_i32_i24_e32 v1, v246, v168
	s_delay_alu instid0(VALU_DEP_2) | instskip(NEXT) | instid1(VALU_DEP_2)
	v_mad_i32_i24 v0, v6, v225, v0
	v_mad_i32_i24 v1, v247, v169, v1
	s_delay_alu instid0(VALU_DEP_2) | instskip(NEXT) | instid1(VALU_DEP_2)
	v_dot4_i32_iu8 v0, v18, v227, v0 neg_lo:[1,1,0]
	v_dot4_i32_iu8 v1, v39, v171, v1 neg_lo:[1,1,0]
	s_delay_alu instid0(VALU_DEP_2) | instskip(NEXT) | instid1(VALU_DEP_2)
	v_mad_i32_i24 v0, v7, v229, v0
	v_mad_i32_i24 v1, v248, v173, v1
	s_delay_alu instid0(VALU_DEP_2) | instskip(NEXT) | instid1(VALU_DEP_2)
	v_dot4_i32_iu8 v0, v26, v230, v0 neg_lo:[1,1,0]
	v_dot4_i32_iu8 v1, v8, v174, v1 neg_lo:[1,1,0]
	;; [unrolled: 6-line block ×4, first 2 shown]
	s_delay_alu instid0(VALU_DEP_2) | instskip(NEXT) | instid1(VALU_DEP_1)
	v_mul_lo_u32 v0, v0, v233
	v_mad_co_u64_u32 v[0:1], null, v1, v178, v[0:1]
	v_mul_f32_e32 v1, v163, v4
	s_delay_alu instid0(VALU_DEP_2) | instskip(NEXT) | instid1(VALU_DEP_1)
	v_cvt_f32_i32_e32 v0, v0
	v_fmac_f32_e32 v123, v1, v0
	v_mul_i32_i24_e32 v0, v5, v204
	v_mul_i32_i24_e32 v1, v246, v158
	s_delay_alu instid0(VALU_DEP_2) | instskip(NEXT) | instid1(VALU_DEP_2)
	v_mad_i32_i24 v0, v6, v205, v0
	v_mad_i32_i24 v1, v247, v157, v1
	s_delay_alu instid0(VALU_DEP_2) | instskip(NEXT) | instid1(VALU_DEP_2)
	v_dot4_i32_iu8 v0, v18, v207, v0 neg_lo:[1,1,0]
	v_dot4_i32_iu8 v1, v39, v154, v1 neg_lo:[1,1,0]
	s_delay_alu instid0(VALU_DEP_2) | instskip(NEXT) | instid1(VALU_DEP_2)
	v_mad_i32_i24 v0, v7, v209, v0
	v_mad_i32_i24 v1, v248, v153, v1
	s_delay_alu instid0(VALU_DEP_2) | instskip(NEXT) | instid1(VALU_DEP_2)
	v_dot4_i32_iu8 v0, v26, v210, v0 neg_lo:[1,1,0]
	v_dot4_i32_iu8 v1, v8, v152, v1 neg_lo:[1,1,0]
	;; [unrolled: 6-line block ×4, first 2 shown]
	s_delay_alu instid0(VALU_DEP_2) | instskip(NEXT) | instid1(VALU_DEP_1)
	v_mul_lo_u32 v0, v0, v213
	v_mad_co_u64_u32 v[0:1], null, v1, v147, v[0:1]
	v_mul_f32_e32 v1, v146, v4
	s_delay_alu instid0(VALU_DEP_2) | instskip(NEXT) | instid1(VALU_DEP_1)
	v_cvt_f32_i32_e32 v0, v0
	v_fmac_f32_e32 v132, v1, v0
	v_or_b32_e32 v0, s18, v75
	s_delay_alu instid0(VALU_DEP_1)
	v_lshlrev_b32_e32 v4, 2, v0
	v_lshrrev_b32_e32 v0, 1, v0
	ds_load_b32 v8, v0 offset:38816
	ds_load_b128 v[0:3], v4 offset:25344
	ds_load_b128 v[4:7], v4 offset:25360
	s_wait_dscnt 0x1
	v_bfe_i32 v18, v0, 0, 8
	v_bfe_i32 v26, v0, 8, 8
	;; [unrolled: 1-line block ×3, first 2 shown]
	v_ashrrev_i32_e32 v37, 24, v0
	v_bfe_i32 v39, v1, 0, 8
	v_mul_i32_i24_e32 v254, v159, v18
	v_bfe_i32 v38, v1, 8, 8
	v_mul_i32_i24_e32 v32, v160, v32
	v_mul_i32_i24_e32 v37, v161, v37
	v_bfe_i32 v46, v1, 16, 8
	v_mad_i32_i24 v254, v162, v26, v254
	v_ashrrev_i32_e32 v48, 24, v1
	v_mul_i32_i24_e32 v38, v166, v38
	v_bfe_i32 v52, v2, 0, 8
	v_bfe_i32 v55, v2, 8, 8
	v_add3_u32 v32, v254, v32, v37
	v_mul_i32_i24_e32 v37, v167, v39
	v_mul_i32_i24_e32 v46, v165, v46
	;; [unrolled: 1-line block ×3, first 2 shown]
	v_bfe_i32 v85, v2, 16, 8
	v_ashrrev_i32_e32 v86, 24, v2
	v_add3_u32 v32, v32, v37, v38
	v_mul_i32_i24_e32 v254, v181, v52
	v_mul_i32_i24_e32 v55, v180, v55
	v_bfe_i32 v87, v3, 0, 8
	v_bfe_i32 v88, v3, 8, 8
	v_add3_u32 v32, v32, v46, v48
	v_mul_i32_i24_e32 v85, v179, v85
	v_mul_i32_i24_e32 v86, v176, v86
	v_bfe_i32 v90, v3, 16, 8
	v_ashrrev_i32_e32 v91, 24, v3
	v_add3_u32 v32, v32, v254, v55
	v_mul_i32_i24_e32 v255, v185, v87
	v_mul_i32_i24_e32 v88, v184, v88
	;; [unrolled: 1-line block ×4, first 2 shown]
	v_add3_u32 v32, v32, v85, v86
	s_wait_dscnt 0x0
	v_bfe_i32 v92, v4, 0, 8
	v_bfe_i32 v94, v4, 8, 8
	;; [unrolled: 1-line block ×3, first 2 shown]
	v_ashrrev_i32_e32 v96, 24, v4
	v_add3_u32 v32, v32, v255, v88
	v_bfe_i32 v98, v5, 0, 8
	v_bfe_i32 v100, v5, 8, 8
	v_mul_i32_i24_e32 v38, v187, v95
	v_mul_i32_i24_e32 v46, v188, v96
	v_add3_u32 v32, v32, v90, v91
	v_bfe_i32 v244, v5, 16, 8
	v_ashrrev_i32_e32 v245, 24, v5
	v_bfe_i32 v246, v6, 0, 8
	v_bfe_i32 v247, v6, 8, 8
	v_mul_lo_u32 v37, v32, v203
	v_mul_i32_i24_e32 v32, v186, v92
	v_mul_i32_i24_e32 v48, v191, v244
	;; [unrolled: 1-line block ×3, first 2 shown]
	v_bfe_i32 v248, v6, 16, 8
	v_ashrrev_i32_e32 v249, 24, v6
	v_mad_i32_i24 v32, v189, v94, v32
	v_mul_i32_i24_e32 v85, v197, v246
	v_mul_i32_i24_e32 v86, v196, v247
	v_bfe_i32 v250, v7, 0, 8
	v_bfe_i32 v251, v7, 8, 8
	v_add3_u32 v32, v32, v38, v46
	v_mul_i32_i24_e32 v38, v193, v98
	v_mul_i32_i24_e32 v46, v192, v100
	;; [unrolled: 1-line block ×4, first 2 shown]
	v_bfe_i32 v252, v7, 16, 8
	v_ashrrev_i32_e32 v253, 24, v7
	v_add3_u32 v32, v32, v38, v46
	v_mul_i32_i24_e32 v91, v201, v250
	v_mul_i32_i24_e32 v95, v200, v251
	v_mul_i32_i24_e32 v96, v199, v252
	v_mul_i32_i24_e32 v100, v198, v253
	v_add3_u32 v32, v32, v48, v55
                                        ; kill: def $vgpr38 killed $sgpr0 killed $exec
	v_perm_b32 v4, v4, v4, 0xc0c0302
	v_perm_b32 v5, v5, v5, 0xc030201
	;; [unrolled: 1-line block ×4, first 2 shown]
	v_add3_u32 v32, v32, v85, v86
	v_perm_b32 v3, v3, v3, 0xc030201
	v_perm_b32 v7, v7, v7, 0xc030201
	s_delay_alu instid0(VALU_DEP_3) | instskip(NEXT) | instid1(VALU_DEP_1)
	v_add3_u32 v32, v32, v88, v90
	v_add3_u32 v32, v32, v91, v95
	s_delay_alu instid0(VALU_DEP_1) | instskip(NEXT) | instid1(VALU_DEP_1)
	v_add3_u32 v32, v32, v96, v100
	v_mad_co_u64_u32 v[37:38], null, v32, v202, v[37:38]
	v_mul_f32_e32 v32, v156, v8
	s_delay_alu instid0(VALU_DEP_2) | instskip(NEXT) | instid1(VALU_DEP_1)
	v_cvt_f32_i32_e32 v37, v37
	v_fmac_f32_e32 v93, v32, v37
	v_mul_i32_i24_e32 v32, v18, v214
	v_perm_b32 v37, v0, v0, 0xc0c0302
	s_delay_alu instid0(VALU_DEP_2) | instskip(NEXT) | instid1(VALU_DEP_1)
	v_mad_i32_i24 v32, v26, v215, v32
	v_dot4_i32_iu8 v0, v37, v242, v32 neg_lo:[1,1,0]
	v_perm_b32 v32, v1, v1, 0xc030201
	v_mul_i32_i24_e32 v1, v92, v240
	s_delay_alu instid0(VALU_DEP_3) | instskip(NEXT) | instid1(VALU_DEP_2)
	v_mad_i32_i24 v0, v39, v243, v0
	v_mad_i32_i24 v1, v94, v241, v1
	s_delay_alu instid0(VALU_DEP_2) | instskip(NEXT) | instid1(VALU_DEP_2)
	v_dot4_i32_iu8 v0, v32, v236, v0 neg_lo:[1,1,0]
	v_dot4_i32_iu8 v1, v4, v222, v1 neg_lo:[1,1,0]
	s_delay_alu instid0(VALU_DEP_2) | instskip(NEXT) | instid1(VALU_DEP_2)
	v_mad_i32_i24 v0, v52, v235, v0
	v_mad_i32_i24 v1, v98, v223, v1
	s_delay_alu instid0(VALU_DEP_2) | instskip(NEXT) | instid1(VALU_DEP_2)
	v_dot4_i32_iu8 v0, v2, v237, v0 neg_lo:[1,1,0]
	v_dot4_i32_iu8 v1, v5, v218, v1 neg_lo:[1,1,0]
	s_delay_alu instid0(VALU_DEP_2) | instskip(NEXT) | instid1(VALU_DEP_2)
	;; [unrolled: 6-line block ×3, first 2 shown]
	v_mul_lo_u32 v0, v0, v239
	v_mad_i32_i24 v1, v250, v216, v1
	s_delay_alu instid0(VALU_DEP_1) | instskip(NEXT) | instid1(VALU_DEP_1)
	v_dot4_i32_iu8 v1, v7, v220, v1 neg_lo:[1,1,0]
	v_mad_co_u64_u32 v[0:1], null, v1, v221, v[0:1]
	v_mul_f32_e32 v1, v155, v8
	s_delay_alu instid0(VALU_DEP_2) | instskip(NEXT) | instid1(VALU_DEP_1)
	v_cvt_f32_i32_e32 v0, v0
	v_fmac_f32_e32 v104, v1, v0
	v_mul_i32_i24_e32 v0, v18, v224
	v_mul_i32_i24_e32 v1, v92, v168
	s_delay_alu instid0(VALU_DEP_2) | instskip(NEXT) | instid1(VALU_DEP_2)
	v_mad_i32_i24 v0, v26, v225, v0
	v_mad_i32_i24 v1, v94, v169, v1
	s_delay_alu instid0(VALU_DEP_2) | instskip(NEXT) | instid1(VALU_DEP_2)
	v_dot4_i32_iu8 v0, v37, v227, v0 neg_lo:[1,1,0]
	v_dot4_i32_iu8 v1, v4, v171, v1 neg_lo:[1,1,0]
	s_delay_alu instid0(VALU_DEP_2) | instskip(NEXT) | instid1(VALU_DEP_2)
	v_mad_i32_i24 v0, v39, v229, v0
	v_mad_i32_i24 v1, v98, v173, v1
	s_delay_alu instid0(VALU_DEP_2) | instskip(NEXT) | instid1(VALU_DEP_2)
	v_dot4_i32_iu8 v0, v32, v230, v0 neg_lo:[1,1,0]
	v_dot4_i32_iu8 v1, v5, v174, v1 neg_lo:[1,1,0]
	;; [unrolled: 6-line block ×4, first 2 shown]
	s_delay_alu instid0(VALU_DEP_2) | instskip(NEXT) | instid1(VALU_DEP_1)
	v_mul_lo_u32 v0, v0, v233
	v_mad_co_u64_u32 v[0:1], null, v1, v178, v[0:1]
	v_mul_f32_e32 v1, v163, v8
	s_delay_alu instid0(VALU_DEP_2) | instskip(NEXT) | instid1(VALU_DEP_1)
	v_cvt_f32_i32_e32 v0, v0
	v_fmac_f32_e32 v117, v1, v0
	v_mul_i32_i24_e32 v0, v18, v204
	v_mul_i32_i24_e32 v1, v92, v158
	s_delay_alu instid0(VALU_DEP_2) | instskip(NEXT) | instid1(VALU_DEP_2)
	v_mad_i32_i24 v0, v26, v205, v0
	v_mad_i32_i24 v1, v94, v157, v1
	s_delay_alu instid0(VALU_DEP_2) | instskip(NEXT) | instid1(VALU_DEP_2)
	v_dot4_i32_iu8 v0, v37, v207, v0 neg_lo:[1,1,0]
	v_dot4_i32_iu8 v1, v4, v154, v1 neg_lo:[1,1,0]
	s_delay_alu instid0(VALU_DEP_2) | instskip(NEXT) | instid1(VALU_DEP_2)
	v_mad_i32_i24 v0, v39, v209, v0
	v_mad_i32_i24 v1, v98, v153, v1
	s_delay_alu instid0(VALU_DEP_2) | instskip(NEXT) | instid1(VALU_DEP_2)
	v_dot4_i32_iu8 v0, v32, v210, v0 neg_lo:[1,1,0]
	v_dot4_i32_iu8 v1, v5, v152, v1 neg_lo:[1,1,0]
	;; [unrolled: 6-line block ×4, first 2 shown]
	s_delay_alu instid0(VALU_DEP_2) | instskip(NEXT) | instid1(VALU_DEP_1)
	v_mul_lo_u32 v0, v0, v213
	v_mad_co_u64_u32 v[0:1], null, v1, v147, v[0:1]
	v_mul_f32_e32 v1, v146, v8
	s_delay_alu instid0(VALU_DEP_2) | instskip(NEXT) | instid1(VALU_DEP_1)
	v_cvt_f32_i32_e32 v0, v0
	v_fmac_f32_e32 v129, v1, v0
	v_or_b32_e32 v0, s18, v76
	s_delay_alu instid0(VALU_DEP_1)
	v_lshlrev_b32_e32 v1, 2, v0
	v_lshrrev_b32_e32 v0, 1, v0
	ds_load_b32 v5, v0 offset:38816
	ds_load_b128 v[252:255], v1 offset:25344
	ds_load_b128 v[0:3], v1 offset:25360
	s_wait_dscnt 0x1
	v_bfe_i32 v247, v252, 0, 8
	v_bfe_i32 v248, v252, 8, 8
	;; [unrolled: 1-line block ×3, first 2 shown]
	v_ashrrev_i32_e32 v8, 24, v252
	v_bfe_i32 v249, v253, 0, 8
	v_mul_i32_i24_e32 v98, v159, v247
	v_bfe_i32 v18, v253, 8, 8
	v_mul_i32_i24_e32 v4, v160, v4
	v_mul_i32_i24_e32 v8, v161, v8
	v_bfe_i32 v26, v253, 16, 8
	v_mad_i32_i24 v98, v162, v248, v98
	v_ashrrev_i32_e32 v32, 24, v253
	s_wait_dscnt 0x0
	v_bfe_i32 v246, v0, 0, 8
	v_mul_i32_i24_e32 v18, v166, v18
	v_bfe_i32 v250, v254, 0, 8
	v_add3_u32 v4, v98, v4, v8
	v_mul_i32_i24_e32 v8, v167, v249
	v_bfe_i32 v37, v254, 8, 8
	v_bfe_i32 v245, v0, 8, 8
	;; [unrolled: 1-line block ×3, first 2 shown]
	v_ashrrev_i32_e32 v85, 24, v0
	v_mul_i32_i24_e32 v26, v165, v26
	v_mul_i32_i24_e32 v32, v164, v32
	v_add3_u32 v4, v4, v8, v18
	v_mul_i32_i24_e32 v8, v186, v246
	v_bfe_i32 v38, v254, 16, 8
	v_ashrrev_i32_e32 v39, 24, v254
	v_bfe_i32 v244, v1, 0, 8
	v_bfe_i32 v86, v1, 8, 8
	v_mul_i32_i24_e32 v98, v181, v250
	v_mul_i32_i24_e32 v37, v180, v37
	v_add3_u32 v4, v4, v26, v32
	v_mul_i32_i24_e32 v18, v187, v55
	v_mul_i32_i24_e32 v26, v188, v85
	v_mad_i32_i24 v8, v189, v245, v8
	v_bfe_i32 v251, v255, 0, 8
	v_bfe_i32 v46, v255, 8, 8
	;; [unrolled: 1-line block ×3, first 2 shown]
	v_ashrrev_i32_e32 v88, 24, v1
	v_mul_i32_i24_e32 v38, v179, v38
	v_mul_i32_i24_e32 v39, v176, v39
	v_add3_u32 v4, v4, v98, v37
	v_add3_u32 v8, v8, v18, v26
	v_mul_i32_i24_e32 v18, v193, v244
	v_mul_i32_i24_e32 v26, v192, v86
	v_bfe_i32 v48, v255, 16, 8
	v_ashrrev_i32_e32 v52, 24, v255
	v_bfe_i32 v7, v2, 0, 8
	v_bfe_i32 v90, v2, 8, 8
	v_mul_i32_i24_e32 v100, v185, v251
	v_mul_i32_i24_e32 v46, v184, v46
	v_add3_u32 v4, v4, v38, v39
	v_mul_i32_i24_e32 v32, v191, v87
	v_mul_i32_i24_e32 v37, v190, v88
	v_add3_u32 v8, v8, v18, v26
	v_bfe_i32 v91, v2, 16, 8
	v_ashrrev_i32_e32 v92, 24, v2
	v_mul_i32_i24_e32 v48, v183, v48
	v_mul_i32_i24_e32 v52, v182, v52
	v_add3_u32 v4, v4, v100, v46
	v_mul_i32_i24_e32 v38, v197, v7
	v_mul_i32_i24_e32 v39, v196, v90
	v_add3_u32 v8, v8, v32, v37
	v_bfe_i32 v6, v3, 0, 8
	v_bfe_i32 v94, v3, 8, 8
	v_add3_u32 v4, v4, v48, v52
	v_mul_i32_i24_e32 v46, v195, v91
	v_mul_i32_i24_e32 v48, v194, v92
	v_add3_u32 v8, v8, v38, v39
	v_bfe_i32 v95, v3, 16, 8
	v_ashrrev_i32_e32 v96, 24, v3
	v_mul_i32_i24_e32 v52, v201, v6
	v_mul_i32_i24_e32 v55, v200, v94
	v_add3_u32 v8, v8, v46, v48
	v_mul_i32_i24_e32 v85, v199, v95
	v_mul_i32_i24_e32 v86, v198, v96
	v_mul_lo_u32 v4, v4, v203
	v_perm_b32 v160, v252, v252, 0xc0c0302
	v_add3_u32 v8, v8, v52, v55
	v_perm_b32 v159, v0, v0, 0xc0c0302
	v_perm_b32 v161, v253, v253, 0xc030201
	;; [unrolled: 1-line block ×4, first 2 shown]
	v_add3_u32 v8, v8, v85, v86
	v_perm_b32 v164, v255, v255, 0xc030201
	s_delay_alu instid0(VALU_DEP_2) | instskip(SKIP_3) | instid1(VALU_DEP_4)
	v_mad_co_u64_u32 v[37:38], null, v8, v202, v[4:5]
	v_mul_f32_e32 v4, v156, v5
	v_perm_b32 v156, v1, v1, 0xc030201
	v_perm_b32 v1, v3, v3, 0xc030201
	v_cvt_f32_i32_e32 v8, v37
	s_delay_alu instid0(VALU_DEP_1) | instskip(SKIP_2) | instid1(VALU_DEP_2)
	v_fmac_f32_e32 v89, v4, v8
	v_mul_i32_i24_e32 v4, v247, v214
	v_mul_i32_i24_e32 v8, v246, v240
	v_mad_i32_i24 v4, v248, v215, v4
	s_delay_alu instid0(VALU_DEP_2) | instskip(NEXT) | instid1(VALU_DEP_2)
	v_mad_i32_i24 v8, v245, v241, v8
	v_dot4_i32_iu8 v4, v160, v242, v4 neg_lo:[1,1,0]
	s_delay_alu instid0(VALU_DEP_2) | instskip(NEXT) | instid1(VALU_DEP_2)
	v_dot4_i32_iu8 v0, v159, v222, v8 neg_lo:[1,1,0]
	v_mad_i32_i24 v4, v249, v243, v4
	s_delay_alu instid0(VALU_DEP_2) | instskip(NEXT) | instid1(VALU_DEP_2)
	v_mad_i32_i24 v0, v244, v223, v0
	v_dot4_i32_iu8 v4, v161, v236, v4 neg_lo:[1,1,0]
	s_delay_alu instid0(VALU_DEP_2) | instskip(NEXT) | instid1(VALU_DEP_2)
	v_dot4_i32_iu8 v0, v156, v218, v0 neg_lo:[1,1,0]
	v_mad_i32_i24 v4, v250, v235, v4
	s_delay_alu instid0(VALU_DEP_2) | instskip(NEXT) | instid1(VALU_DEP_2)
	v_mad_i32_i24 v0, v7, v217, v0
	v_dot4_i32_iu8 v4, v162, v237, v4 neg_lo:[1,1,0]
	s_delay_alu instid0(VALU_DEP_2) | instskip(NEXT) | instid1(VALU_DEP_2)
	v_dot4_i32_iu8 v0, v2, v219, v0 neg_lo:[1,1,0]
	v_mad_i32_i24 v4, v251, v234, v4
	s_delay_alu instid0(VALU_DEP_2) | instskip(NEXT) | instid1(VALU_DEP_2)
	v_mad_i32_i24 v0, v6, v216, v0
	v_dot4_i32_iu8 v4, v164, v238, v4 neg_lo:[1,1,0]
	s_delay_alu instid0(VALU_DEP_2) | instskip(NEXT) | instid1(VALU_DEP_2)
	v_dot4_i32_iu8 v0, v1, v220, v0 neg_lo:[1,1,0]
	v_mul_lo_u32 v4, v4, v239
	s_delay_alu instid0(VALU_DEP_1) | instskip(SKIP_1) | instid1(VALU_DEP_2)
	v_mad_co_u64_u32 v[3:4], null, v0, v221, v[4:5]
	v_mul_f32_e32 v0, v155, v5
	v_cvt_f32_i32_e32 v3, v3
	s_delay_alu instid0(VALU_DEP_1) | instskip(SKIP_2) | instid1(VALU_DEP_2)
	v_fmac_f32_e32 v99, v0, v3
	v_mul_i32_i24_e32 v0, v247, v224
	v_mul_i32_i24_e32 v3, v246, v168
	v_mad_i32_i24 v0, v248, v225, v0
	s_delay_alu instid0(VALU_DEP_2) | instskip(NEXT) | instid1(VALU_DEP_2)
	v_mad_i32_i24 v3, v245, v169, v3
	v_dot4_i32_iu8 v0, v160, v227, v0 neg_lo:[1,1,0]
	s_delay_alu instid0(VALU_DEP_2) | instskip(NEXT) | instid1(VALU_DEP_2)
	v_dot4_i32_iu8 v3, v159, v171, v3 neg_lo:[1,1,0]
	v_mad_i32_i24 v0, v249, v229, v0
	s_delay_alu instid0(VALU_DEP_2) | instskip(NEXT) | instid1(VALU_DEP_2)
	v_mad_i32_i24 v3, v244, v173, v3
	v_dot4_i32_iu8 v0, v161, v230, v0 neg_lo:[1,1,0]
	s_delay_alu instid0(VALU_DEP_2) | instskip(NEXT) | instid1(VALU_DEP_2)
	v_dot4_i32_iu8 v3, v156, v174, v3 neg_lo:[1,1,0]
	v_mad_i32_i24 v0, v250, v228, v0
	s_delay_alu instid0(VALU_DEP_2) | instskip(NEXT) | instid1(VALU_DEP_2)
	v_mad_i32_i24 v3, v7, v172, v3
	v_dot4_i32_iu8 v0, v162, v231, v0 neg_lo:[1,1,0]
	s_delay_alu instid0(VALU_DEP_2) | instskip(NEXT) | instid1(VALU_DEP_2)
	v_dot4_i32_iu8 v3, v2, v175, v3 neg_lo:[1,1,0]
	v_mad_i32_i24 v0, v251, v226, v0
	s_delay_alu instid0(VALU_DEP_2) | instskip(NEXT) | instid1(VALU_DEP_2)
	v_mad_i32_i24 v3, v6, v170, v3
	v_dot4_i32_iu8 v0, v164, v232, v0 neg_lo:[1,1,0]
	s_delay_alu instid0(VALU_DEP_2) | instskip(NEXT) | instid1(VALU_DEP_2)
	v_dot4_i32_iu8 v3, v1, v177, v3 neg_lo:[1,1,0]
	v_mul_lo_u32 v0, v0, v233
	s_delay_alu instid0(VALU_DEP_1) | instskip(SKIP_1) | instid1(VALU_DEP_2)
	v_mad_co_u64_u32 v[3:4], null, v3, v178, v[0:1]
	v_mul_f32_e32 v0, v163, v5
	;; [unrolled: 33-line block ×3, first 2 shown]
	v_cvt_f32_i32_e32 v0, v0
	s_delay_alu instid0(VALU_DEP_1)
	v_fmac_f32_e32 v125, v1, v0
	s_cbranch_scc1 .LBB149_10
; %bb.11:                               ;   in Loop: Header=BB149_8 Depth=2
	v_lshl_add_u32 v0, s16, 5, v12
	v_lshl_add_u32 v18, s16, 2, v142
	s_wait_loadcnt 0x0
	s_barrier_signal -1
	s_barrier_wait -1
	v_lshrrev_b32_e32 v0, 3, v0
	v_mad_co_u64_u32 v[37:38], null, v18, 36, s[2:3]
	global_inv scope:SCOPE_SE
	s_add_co_i32 s12, s12, 2
	v_add_nc_u32_e32 v8, s5, v0
	s_wait_alu 0xfffe
	s_lshl_b32 s16, s12, 3
	s_delay_alu instid0(VALU_DEP_1)
	v_add_nc_u32_e32 v39, v8, v64
	v_add_nc_u32_e32 v0, v8, v57
	;; [unrolled: 1-line block ×6, first 2 shown]
	v_mad_co_i64_i32 v[146:147], null, v39, 36, v[9:10]
	v_mad_co_i64_i32 v[0:1], null, v0, 36, v[9:10]
	v_add_nc_u32_e32 v32, v8, v62
	v_mad_co_i64_i32 v[2:3], null, v2, 36, v[9:10]
	v_add_nc_u32_e32 v8, v8, v63
	v_mad_co_i64_i32 v[4:5], null, v4, 36, v[9:10]
	v_mad_co_i64_i32 v[6:7], null, v6, 36, v[9:10]
	;; [unrolled: 1-line block ×5, first 2 shown]
	s_clause 0x8
	global_load_b32 v8, v[37:38], off
	global_load_b32 v18, v[146:147], off offset:4
	global_load_b32 v0, v[0:1], off offset:4
	;; [unrolled: 1-line block ×8, first 2 shown]
	s_wait_loadcnt 0x8
	v_cvt_f32_f16_e32 v7, v8
	s_wait_loadcnt 0x7
	ds_store_b32 v114, v18
	s_wait_loadcnt 0x6
	ds_store_b32 v101, v0
	;; [unrolled: 2-line block ×8, first 2 shown]
	ds_store_b32 v56, v7
	s_wait_dscnt 0x0
	s_barrier_signal -1
	s_barrier_wait -1
	global_inv scope:SCOPE_SE
.LBB149_12:                             ;   Parent Loop BB149_6 Depth=1
                                        ;     Parent Loop BB149_8 Depth=2
                                        ; =>    This Inner Loop Header: Depth=3
	s_lshl_b32 s17, s13, 2
	s_lshr_b32 s20, s13, 4
	s_wait_alu 0xfffe
	s_and_b32 s17, s17, 24
	s_lshl_b32 s22, s20, 5
	s_wait_alu 0xfffe
	v_or_b32_e32 v1, s17, v65
	s_addk_co_i32 s22, 0x4200
	s_and_b32 s21, s13, 0x3ffffff8
	s_wait_alu 0xfffe
	v_add3_u32 v8, s22, v143, v78
	v_lshl_add_u32 v146, s21, 2, v77
	v_lshlrev_b32_e32 v0, 2, v1
	v_lshrrev_b32_e32 v1, 1, v1
	s_bfe_u32 s18, s13, 0x30001
	s_and_b32 s19, s13, 6
	s_lshl_b32 s23, s20, 2
	ds_load_2addr_b32 v[3:4], v8 offset1:1
	ds_load_b32 v244, v1 offset:38816
	ds_load_2addr_b32 v[1:2], v146 offset1:1
	s_wait_alu 0xfffe
	s_add_co_i32 s21, s23, 0x9380
	s_and_b32 s20, s13, -2
	s_add_co_i32 s13, s13, 2
	s_wait_alu 0xfffe
	v_add_nc_u32_e32 v158, s20, v66
	v_add_nc_u32_e32 v222, s20, v67
	s_cmp_lt_u32 s13, s16
	s_wait_dscnt 0x2
	v_ashrrev_i32_e32 v3, s18, v3
	v_ashrrev_i32_e32 v4, s18, v4
	s_wait_dscnt 0x0
	v_ashrrev_i32_e32 v1, s19, v1
	s_delay_alu instid0(VALU_DEP_3) | instskip(NEXT) | instid1(VALU_DEP_3)
	v_lshlrev_b32_e32 v3, 2, v3
	v_lshlrev_b32_e32 v4, 2, v4
	s_delay_alu instid0(VALU_DEP_3) | instskip(SKIP_1) | instid1(VALU_DEP_4)
	v_and_b32_e32 v5, 0x3030303, v1
	v_bfe_u32 v1, v1, 24, 2
	v_and_b32_e32 v3, 0x4040404, v3
	s_delay_alu instid0(VALU_DEP_4) | instskip(NEXT) | instid1(VALU_DEP_4)
	v_and_b32_e32 v4, 0x4040404, v4
	v_lshrrev_b32_e32 v6, 16, v5
	v_lshrrev_b16 v7, 8, v5
	s_delay_alu instid0(VALU_DEP_4) | instskip(SKIP_3) | instid1(VALU_DEP_4)
	v_lshrrev_b32_e32 v26, 24, v3
	v_lshrrev_b32_e32 v18, 16, v3
	v_lshrrev_b16 v32, 8, v3
	v_sub_nc_u16 v159, v5, v3
	v_sub_nc_u16 v161, v1, v26
	v_ashrrev_i32_e32 v1, s19, v2
	s_delay_alu instid0(VALU_DEP_4)
	v_sub_nc_u16 v149, v7, v32
	v_sub_nc_u16 v160, v6, v18
	v_lshrrev_b32_e32 v6, 24, v4
	v_lshrrev_b32_e32 v7, 16, v4
	v_bfe_u32 v2, v1, 24, 2
	v_and_b32_e32 v1, 0x3030303, v1
	v_lshrrev_b16 v18, 8, v4
	v_bfe_i32 v160, v160, 0, 8
	v_bfe_i32 v161, v161, 0, 16
	v_sub_nc_u16 v164, v2, v6
	v_lshrrev_b32_e32 v3, 16, v1
	v_lshrrev_b16 v5, 8, v1
	v_sub_nc_u16 v150, v1, v4
	ds_load_2addr_b32 v[1:2], v146 offset0:2 offset1:3
	v_bfe_i32 v164, v164, 0, 16
	v_sub_nc_u16 v165, v3, v7
	ds_load_2addr_b32 v[3:4], v8 offset0:2 offset1:3
	v_sub_nc_u16 v166, v5, v18
	v_bfe_i32 v162, v149, 0, 16
	v_bfe_i32 v167, v150, 0, 8
	;; [unrolled: 1-line block ×5, first 2 shown]
	s_wait_dscnt 0x1
	v_ashrrev_i32_e32 v1, s19, v1
	s_wait_dscnt 0x0
	v_ashrrev_i32_e32 v3, s18, v3
	v_ashrrev_i32_e32 v4, s18, v4
	s_delay_alu instid0(VALU_DEP_3) | instskip(SKIP_1) | instid1(VALU_DEP_4)
	v_bfe_u32 v5, v1, 24, 2
	v_and_b32_e32 v1, 0x3030303, v1
	v_lshlrev_b32_e32 v3, 2, v3
	s_delay_alu instid0(VALU_DEP_4) | instskip(NEXT) | instid1(VALU_DEP_3)
	v_lshlrev_b32_e32 v4, 2, v4
	v_lshrrev_b32_e32 v6, 16, v1
	v_lshrrev_b16 v7, 8, v1
	s_delay_alu instid0(VALU_DEP_4) | instskip(NEXT) | instid1(VALU_DEP_4)
	v_and_b32_e32 v3, 0x4040404, v3
	v_and_b32_e32 v4, 0x4040404, v4
	s_delay_alu instid0(VALU_DEP_2)
	v_sub_nc_u16 v151, v1, v3
	v_ashrrev_i32_e32 v1, s19, v2
	v_lshrrev_b32_e32 v26, 16, v3
	v_lshrrev_b16 v32, 8, v3
	v_lshrrev_b32_e32 v18, 24, v3
	v_bfe_i32 v181, v151, 0, 8
	v_bfe_u32 v2, v1, 24, 2
	v_and_b32_e32 v1, 0x3030303, v1
	v_sub_nc_u16 v180, v7, v32
	v_sub_nc_u16 v179, v6, v26
	v_lshrrev_b32_e32 v6, 24, v4
	v_lshrrev_b32_e32 v7, 16, v4
	v_lshrrev_b32_e32 v3, 16, v1
	v_sub_nc_u16 v176, v5, v18
	v_lshrrev_b16 v5, 8, v1
	v_lshrrev_b16 v18, 8, v4
	v_sub_nc_u16 v152, v1, v4
	v_sub_nc_u16 v172, v3, v7
	;; [unrolled: 1-line block ×3, first 2 shown]
	ds_load_2addr_b32 v[1:2], v146 offset0:4 offset1:5
	ds_load_2addr_b32 v[3:4], v8 offset0:4 offset1:5
	v_sub_nc_u16 v153, v5, v18
	v_bfe_i32 v176, v176, 0, 16
	v_bfe_i32 v179, v179, 0, 8
	v_bfe_i32 v180, v180, 0, 16
	v_bfe_i32 v182, v175, 0, 16
	v_bfe_i32 v183, v172, 0, 8
	v_bfe_i32 v184, v153, 0, 16
	v_bfe_i32 v185, v152, 0, 8
	s_wait_dscnt 0x1
	v_ashrrev_i32_e32 v1, s19, v1
	s_wait_dscnt 0x0
	v_ashrrev_i32_e32 v3, s18, v3
	v_ashrrev_i32_e32 v4, s18, v4
	s_delay_alu instid0(VALU_DEP_3) | instskip(NEXT) | instid1(VALU_DEP_3)
	v_and_b32_e32 v5, 0x3030303, v1
	v_lshlrev_b32_e32 v3, 2, v3
	v_bfe_u32 v1, v1, 24, 2
	s_delay_alu instid0(VALU_DEP_4) | instskip(NEXT) | instid1(VALU_DEP_4)
	v_lshlrev_b32_e32 v4, 2, v4
	v_lshrrev_b32_e32 v6, 16, v5
	s_delay_alu instid0(VALU_DEP_4) | instskip(SKIP_1) | instid1(VALU_DEP_4)
	v_and_b32_e32 v3, 0x4040404, v3
	v_lshrrev_b16 v7, 8, v5
	v_and_b32_e32 v4, 0x4040404, v4
	s_delay_alu instid0(VALU_DEP_3) | instskip(SKIP_3) | instid1(VALU_DEP_4)
	v_lshrrev_b32_e32 v26, 24, v3
	v_lshrrev_b32_e32 v18, 16, v3
	v_lshrrev_b16 v32, 8, v3
	v_sub_nc_u16 v163, v5, v3
	v_sub_nc_u16 v155, v1, v26
	v_ashrrev_i32_e32 v1, s19, v2
	s_delay_alu instid0(VALU_DEP_4)
	v_sub_nc_u16 v154, v7, v32
	v_sub_nc_u16 v157, v6, v18
	v_lshrrev_b32_e32 v6, 24, v4
	v_lshrrev_b32_e32 v7, 16, v4
	v_bfe_u32 v2, v1, 24, 2
	v_and_b32_e32 v1, 0x3030303, v1
	v_lshrrev_b16 v18, 8, v4
	v_bfe_i32 v187, v157, 0, 8
	v_bfe_i32 v188, v155, 0, 16
	v_sub_nc_u16 v173, v2, v6
	v_lshrrev_b32_e32 v3, 16, v1
	v_lshrrev_b16 v5, 8, v1
	v_sub_nc_u16 v168, v1, v4
	ds_load_2addr_b32 v[1:2], v146 offset0:6 offset1:7
	v_bfe_i32 v190, v173, 0, 16
	v_sub_nc_u16 v170, v3, v7
	ds_load_2addr_b32 v[3:4], v8 offset0:6 offset1:7
	v_sub_nc_u16 v169, v5, v18
	v_bfe_i32 v189, v154, 0, 16
	v_bfe_i32 v193, v168, 0, 8
	;; [unrolled: 1-line block ×5, first 2 shown]
	s_wait_dscnt 0x1
	v_ashrrev_i32_e32 v1, s19, v1
	s_wait_dscnt 0x0
	v_ashrrev_i32_e32 v3, s18, v3
	v_ashrrev_i32_e32 v4, s18, v4
	s_delay_alu instid0(VALU_DEP_3) | instskip(SKIP_1) | instid1(VALU_DEP_4)
	v_bfe_u32 v5, v1, 24, 2
	v_and_b32_e32 v1, 0x3030303, v1
	v_lshlrev_b32_e32 v3, 2, v3
	s_delay_alu instid0(VALU_DEP_4) | instskip(NEXT) | instid1(VALU_DEP_3)
	v_lshlrev_b32_e32 v4, 2, v4
	v_lshrrev_b32_e32 v6, 16, v1
	v_lshrrev_b16 v7, 8, v1
	s_delay_alu instid0(VALU_DEP_4) | instskip(NEXT) | instid1(VALU_DEP_4)
	v_and_b32_e32 v3, 0x4040404, v3
	v_and_b32_e32 v4, 0x4040404, v4
	s_delay_alu instid0(VALU_DEP_2)
	v_sub_nc_u16 v171, v1, v3
	v_ashrrev_i32_e32 v1, s19, v2
	v_lshrrev_b32_e32 v8, 24, v3
	v_lshrrev_b32_e32 v18, 16, v3
	v_lshrrev_b16 v26, 8, v3
	v_bfe_i32 v197, v171, 0, 8
	v_bfe_u32 v2, v1, 24, 2
	v_and_b32_e32 v1, 0x3030303, v1
	v_sub_nc_u16 v178, v6, v18
	v_sub_nc_u16 v174, v7, v26
	;; [unrolled: 1-line block ×3, first 2 shown]
	v_lshrrev_b32_e32 v6, 24, v4
	v_lshrrev_b32_e32 v3, 16, v1
	v_lshrrev_b16 v5, 8, v1
	v_lshrrev_b32_e32 v7, 16, v4
	v_lshrrev_b16 v8, 8, v4
	v_sub_nc_u16 v177, v1, v4
	v_add3_u32 v1, s21, v144, v145
	v_sub_nc_u16 v198, v2, v6
	v_sub_nc_u16 v199, v3, v7
	;; [unrolled: 1-line block ×3, first 2 shown]
	ds_load_b32 v156, v1
	ds_load_b128 v[4:7], v0 offset:25344
	ds_load_b128 v[0:3], v0 offset:25360
	v_bfe_i32 v194, v194, 0, 16
	v_bfe_i32 v195, v178, 0, 8
	;; [unrolled: 1-line block ×7, first 2 shown]
	s_wait_dscnt 0x1
	v_lshrrev_b16 v8, 8, v4
	v_lshrrev_b16 v18, 8, v5
	;; [unrolled: 1-line block ×3, first 2 shown]
	v_ashrrev_i32_e32 v39, 24, v5
	v_bfe_i32 v46, v5, 16, 8
	v_lshrrev_b16 v32, 8, v7
	v_bfe_i32 v37, v4, 16, 8
	v_ashrrev_i32_e32 v38, 24, v4
	v_bfe_i32 v148, v8, 0, 8
	v_bfe_i32 v18, v18, 0, 8
	;; [unrolled: 1-line block ×3, first 2 shown]
	v_mul_i32_i24_e32 v46, v165, v46
	v_mul_i32_i24_e32 v39, v164, v39
	v_ashrrev_i32_e32 v52, 24, v6
	v_bfe_i32 v55, v6, 16, 8
	v_bfe_i32 v26, v26, 0, 8
	v_ashrrev_i32_e32 v86, 24, v7
	v_bfe_i32 v87, v7, 16, 8
	v_bfe_i32 v147, v4, 0, 8
	v_mul_i32_i24_e32 v8, v162, v148
	v_mul_i32_i24_e32 v48, v167, v149
	;; [unrolled: 1-line block ×3, first 2 shown]
	v_bfe_i32 v150, v6, 0, 8
	v_mul_i32_i24_e32 v26, v180, v26
	v_mul_i32_i24_e32 v55, v179, v55
	;; [unrolled: 1-line block ×3, first 2 shown]
	v_bfe_i32 v32, v32, 0, 8
	v_bfe_i32 v151, v7, 0, 8
	v_mul_i32_i24_e32 v87, v183, v87
	v_mul_i32_i24_e32 v86, v182, v86
	v_mad_i32_i24 v38, v161, v38, v39
	v_mad_i32_i24 v37, v160, v37, v46
	v_mul_i32_i24_e32 v85, v181, v150
	v_mul_i32_i24_e32 v88, v185, v151
	;; [unrolled: 1-line block ×3, first 2 shown]
	v_mad_i32_i24 v39, v159, v147, v48
	v_add3_u32 v8, v8, v18, v26
	v_add3_u32 v26, v37, v55, v87
	;; [unrolled: 1-line block ×3, first 2 shown]
	s_wait_dscnt 0x0
	v_ashrrev_i32_e32 v46, 24, v1
	v_add3_u32 v18, v39, v85, v88
	v_bfe_i32 v48, v1, 16, 8
	v_bfe_i32 v38, v0, 16, 8
	v_add3_u32 v8, v8, v32, v37
	v_lshrrev_b16 v32, 8, v2
	v_lshrrev_b16 v37, 8, v3
	v_ashrrev_i32_e32 v39, 24, v0
	v_bfe_i32 v245, v1, 0, 8
	v_add3_u32 v8, v18, v26, v8
	v_lshrrev_b16 v18, 8, v0
	v_lshrrev_b16 v26, 8, v1
	v_mul_i32_i24_e32 v48, v191, v48
	v_mul_i32_i24_e32 v46, v190, v46
	v_ashrrev_i32_e32 v55, 24, v2
	v_bfe_i32 v153, v18, 0, 8
	v_bfe_i32 v26, v26, 0, 8
	;; [unrolled: 1-line block ×4, first 2 shown]
	v_ashrrev_i32_e32 v87, 24, v3
	v_bfe_i32 v88, v3, 16, 8
	v_bfe_i32 v152, v0, 0, 8
	v_mul_i32_i24_e32 v18, v189, v153
	v_mul_i32_i24_e32 v52, v193, v245
	;; [unrolled: 1-line block ×3, first 2 shown]
	v_bfe_i32 v246, v2, 0, 8
	v_mul_i32_i24_e32 v32, v196, v32
	v_mul_i32_i24_e32 v85, v195, v85
	;; [unrolled: 1-line block ×3, first 2 shown]
	v_bfe_i32 v37, v37, 0, 8
	v_bfe_i32 v247, v3, 0, 8
	v_mul_i32_i24_e32 v88, v199, v88
	v_mul_i32_i24_e32 v87, v198, v87
	v_mad_i32_i24 v39, v188, v39, v46
	v_mad_i32_i24 v38, v187, v38, v48
	v_mul_i32_i24_e32 v86, v197, v246
	v_mul_i32_i24_e32 v90, v201, v247
	;; [unrolled: 1-line block ×3, first 2 shown]
	v_mad_i32_i24 v46, v186, v152, v52
	v_add3_u32 v18, v18, v26, v32
	v_add3_u32 v32, v38, v85, v88
	v_add3_u32 v38, v39, v55, v87
	v_add3_u32 v39, s22, v116, v79
	v_add3_u32 v26, v46, v86, v90
	v_perm_b32 v4, v4, v4, 0xc0c0302
	v_perm_b32 v5, v5, v5, 0xc030201
	v_add3_u32 v18, v18, v37, v38
	ds_load_2addr_b32 v[154:155], v39 offset1:1
	v_perm_b32 v6, v6, v6, 0xc030201
	v_perm_b32 v7, v7, v7, 0xc030201
	v_add3_u32 v18, v26, v32, v18
	ds_load_u16 v26, v158
	s_wait_dscnt 0x0
	v_bfe_i32 v203, v26, 0, 8
	v_lshrrev_b16 v32, 8, v26
	s_delay_alu instid0(VALU_DEP_2) | instskip(NEXT) | instid1(VALU_DEP_2)
	v_mul_lo_u32 v37, v8, v203
	v_bfe_i32 v202, v32, 0, 8
	v_mul_f32_e32 v8, v244, v156
	s_delay_alu instid0(VALU_DEP_2) | instskip(NEXT) | instid1(VALU_DEP_1)
	v_mad_co_u64_u32 v[37:38], null, v18, v202, v[37:38]
	v_cvt_f32_i32_e32 v18, v37
	s_delay_alu instid0(VALU_DEP_1)
	v_fmac_f32_e32 v14, v8, v18
	v_add_nc_u32_e32 v8, 0x1080, v146
	ds_load_2addr_b32 v[37:38], v8 offset1:1
	s_wait_dscnt 0x0
	v_ashrrev_i32_e32 v8, s19, v37
	v_ashrrev_i32_e32 v37, s18, v154
	s_delay_alu instid0(VALU_DEP_2) | instskip(NEXT) | instid1(VALU_DEP_2)
	v_and_b32_e32 v18, 0x3030303, v8
	v_lshlrev_b32_e32 v37, 2, v37
	v_bfe_u32 v8, v8, 24, 2
	s_delay_alu instid0(VALU_DEP_3) | instskip(NEXT) | instid1(VALU_DEP_3)
	v_lshrrev_b32_e32 v32, 16, v18
	v_and_b32_e32 v37, 0x4040404, v37
	v_lshrrev_b16 v26, 8, v18
	s_delay_alu instid0(VALU_DEP_2) | instskip(SKIP_3) | instid1(VALU_DEP_4)
	v_lshrrev_b32_e32 v48, 16, v37
	v_lshrrev_b32_e32 v52, 24, v37
	v_lshrrev_b16 v46, 8, v37
	v_sub_nc_u16 v18, v18, v37
	v_sub_nc_u16 v213, v32, v48
	s_delay_alu instid0(VALU_DEP_4) | instskip(NEXT) | instid1(VALU_DEP_3)
	v_sub_nc_u16 v8, v8, v52
	v_bfe_i32 v214, v18, 0, 8
	s_delay_alu instid0(VALU_DEP_3) | instskip(NEXT) | instid1(VALU_DEP_3)
	v_and_b32_e32 v32, 0xff, v213
	v_lshlrev_b16 v8, 8, v8
	s_delay_alu instid0(VALU_DEP_3) | instskip(NEXT) | instid1(VALU_DEP_2)
	v_mul_i32_i24_e32 v18, v147, v214
	v_or_b32_e32 v216, v32, v8
	v_sub_nc_u16 v8, v26, v46
	v_ashrrev_i32_e32 v46, s18, v155
	v_ashrrev_i32_e32 v26, s19, v38
	ds_load_2addr_b32 v[154:155], v39 offset0:2 offset1:3
	v_perm_b32 v242, v216, v213, 0xc0c0500
	v_lshlrev_b16 v8, 8, v8
	v_lshlrev_b32_e32 v46, 2, v46
	v_and_b32_e32 v32, 0x3030303, v26
	v_bfe_u32 v26, v26, 24, 2
	s_delay_alu instid0(VALU_DEP_4) | instskip(NEXT) | instid1(VALU_DEP_4)
	v_bfe_i32 v215, v8, 8, 8
	v_and_b32_e32 v46, 0x4040404, v46
	s_delay_alu instid0(VALU_DEP_4) | instskip(SKIP_1) | instid1(VALU_DEP_4)
	v_lshrrev_b32_e32 v38, 16, v32
	v_lshrrev_b16 v37, 8, v32
	v_mad_i32_i24 v223, v148, v215, v18
	s_delay_alu instid0(VALU_DEP_4)
	v_lshrrev_b32_e32 v52, 16, v46
	v_lshrrev_b32_e32 v55, 24, v46
	v_lshrrev_b16 v48, 8, v46
	v_sub_nc_u16 v219, v32, v46
	v_dot4_i32_iu8 v8, v4, v242, v223 neg_lo:[1,1,0]
	v_sub_nc_u16 v205, v38, v52
	v_sub_nc_u16 v26, v26, v55
	s_delay_alu instid0(VALU_DEP_4) | instskip(NEXT) | instid1(VALU_DEP_3)
	v_bfe_i32 v243, v219, 0, 8
	v_and_b32_e32 v38, 0xff, v205
	s_delay_alu instid0(VALU_DEP_3) | instskip(NEXT) | instid1(VALU_DEP_3)
	v_lshlrev_b16 v26, 8, v26
	v_mad_i32_i24 v8, v149, v243, v8
	s_delay_alu instid0(VALU_DEP_2) | instskip(SKIP_3) | instid1(VALU_DEP_3)
	v_or_b32_e32 v208, v38, v26
	v_sub_nc_u16 v26, v37, v48
	s_wait_dscnt 0x0
	v_ashrrev_i32_e32 v48, s18, v154
	v_perm_b32 v18, v208, v205, 0xc05000c
	s_delay_alu instid0(VALU_DEP_3) | instskip(SKIP_1) | instid1(VALU_DEP_4)
	v_lshlrev_b16 v210, 8, v26
	v_add_nc_u32_e32 v26, 0x1088, v146
	v_lshlrev_b32_e32 v48, 2, v48
	ds_load_2addr_b32 v[37:38], v26 offset1:1
	v_and_b32_e32 v48, 0x4040404, v48
	s_delay_alu instid0(VALU_DEP_1) | instskip(SKIP_4) | instid1(VALU_DEP_1)
	v_lshrrev_b32_e32 v55, 16, v48
	v_lshrrev_b32_e32 v85, 24, v48
	v_lshrrev_b16 v52, 8, v48
	s_wait_dscnt 0x0
	v_ashrrev_i32_e32 v26, s19, v37
	v_and_b32_e32 v32, 0x3030303, v26
	v_bfe_u32 v26, v26, 24, 2
	s_delay_alu instid0(VALU_DEP_2) | instskip(NEXT) | instid1(VALU_DEP_2)
	v_lshrrev_b32_e32 v46, 16, v32
	v_sub_nc_u16 v26, v26, v85
	v_lshrrev_b16 v37, 8, v32
	v_sub_nc_u16 v220, v32, v48
	s_delay_alu instid0(VALU_DEP_4) | instskip(NEXT) | instid1(VALU_DEP_4)
	v_sub_nc_u16 v206, v46, v55
	v_lshlrev_b16 v26, 8, v26
	s_delay_alu instid0(VALU_DEP_3) | instskip(NEXT) | instid1(VALU_DEP_3)
	v_bfe_i32 v235, v220, 0, 8
	v_and_b32_e32 v46, 0xff, v206
	s_delay_alu instid0(VALU_DEP_1)
	v_or_b32_e32 v211, v46, v26
	v_sub_nc_u16 v26, v37, v52
	v_ashrrev_i32_e32 v46, s18, v155
	ds_load_2addr_b32 v[154:155], v39 offset0:4 offset1:5
	v_lshlrev_b16 v212, 8, v26
	v_ashrrev_i32_e32 v26, s19, v38
	v_lshlrev_b32_e32 v46, 2, v46
	s_delay_alu instid0(VALU_DEP_2) | instskip(NEXT) | instid1(VALU_DEP_2)
	v_and_b32_e32 v32, 0x3030303, v26
	v_and_b32_e32 v46, 0x4040404, v46
	v_bfe_u32 v26, v26, 24, 2
	s_delay_alu instid0(VALU_DEP_3) | instskip(NEXT) | instid1(VALU_DEP_3)
	v_lshrrev_b32_e32 v38, 16, v32
	v_lshrrev_b32_e32 v52, 16, v46
	v_lshrrev_b32_e32 v55, 24, v46
	v_lshrrev_b16 v37, 8, v32
	v_lshrrev_b16 v48, 8, v46
	v_sub_nc_u16 v221, v32, v46
	v_sub_nc_u16 v204, v38, v52
	;; [unrolled: 1-line block ×3, first 2 shown]
	s_delay_alu instid0(VALU_DEP_3) | instskip(NEXT) | instid1(VALU_DEP_3)
	v_bfe_i32 v234, v221, 0, 8
	v_and_b32_e32 v38, 0xff, v204
	s_delay_alu instid0(VALU_DEP_3) | instskip(NEXT) | instid1(VALU_DEP_1)
	v_lshlrev_b16 v26, 8, v26
	v_or_b32_e32 v207, v38, v26
	v_sub_nc_u16 v26, v37, v48
	s_wait_dscnt 0x0
	v_ashrrev_i32_e32 v48, s18, v154
	s_delay_alu instid0(VALU_DEP_2) | instskip(SKIP_1) | instid1(VALU_DEP_3)
	v_lshlrev_b16 v209, 8, v26
	v_add_nc_u32_e32 v26, 0x1090, v146
	v_lshlrev_b32_e32 v48, 2, v48
	ds_load_2addr_b32 v[37:38], v26 offset1:1
	v_and_b32_e32 v48, 0x4040404, v48
	s_delay_alu instid0(VALU_DEP_1) | instskip(SKIP_4) | instid1(VALU_DEP_1)
	v_lshrrev_b32_e32 v55, 16, v48
	v_lshrrev_b32_e32 v85, 24, v48
	v_lshrrev_b16 v52, 8, v48
	s_wait_dscnt 0x0
	v_ashrrev_i32_e32 v26, s19, v37
	v_and_b32_e32 v32, 0x3030303, v26
	v_bfe_u32 v26, v26, 24, 2
	s_delay_alu instid0(VALU_DEP_2) | instskip(NEXT) | instid1(VALU_DEP_2)
	v_lshrrev_b32_e32 v46, 16, v32
	v_sub_nc_u16 v26, v26, v85
	v_lshrrev_b16 v37, 8, v32
	v_sub_nc_u16 v218, v32, v48
	s_delay_alu instid0(VALU_DEP_4) | instskip(NEXT) | instid1(VALU_DEP_4)
	v_sub_nc_u16 v173, v46, v55
	v_lshlrev_b16 v26, 8, v26
	s_delay_alu instid0(VALU_DEP_3) | instskip(NEXT) | instid1(VALU_DEP_3)
	v_bfe_i32 v240, v218, 0, 8
	v_and_b32_e32 v46, 0xff, v173
	s_delay_alu instid0(VALU_DEP_1)
	v_or_b32_e32 v174, v46, v26
	v_sub_nc_u16 v26, v37, v52
	v_ashrrev_i32_e32 v46, s18, v155
	ds_load_2addr_b32 v[154:155], v39 offset0:6 offset1:7
	v_lshlrev_b16 v217, 8, v26
	v_ashrrev_i32_e32 v26, s19, v38
	v_lshlrev_b32_e32 v46, 2, v46
	s_delay_alu instid0(VALU_DEP_3) | instskip(NEXT) | instid1(VALU_DEP_3)
	v_bfe_i32 v241, v217, 8, 8
	v_and_b32_e32 v32, 0x3030303, v26
	s_delay_alu instid0(VALU_DEP_3) | instskip(SKIP_1) | instid1(VALU_DEP_3)
	v_and_b32_e32 v46, 0x4040404, v46
	v_bfe_u32 v26, v26, 24, 2
	v_lshrrev_b32_e32 v38, 16, v32
	s_delay_alu instid0(VALU_DEP_3)
	v_lshrrev_b32_e32 v52, 16, v46
	v_lshrrev_b32_e32 v55, 24, v46
	v_lshrrev_b16 v37, 8, v32
	v_lshrrev_b16 v48, 8, v46
	v_sub_nc_u16 v175, v32, v46
	v_sub_nc_u16 v157, v38, v52
	;; [unrolled: 1-line block ×3, first 2 shown]
	s_wait_dscnt 0x0
	v_ashrrev_i32_e32 v39, s18, v154
	v_bfe_i32 v223, v175, 0, 8
	v_and_b32_e32 v38, 0xff, v157
	v_lshlrev_b16 v26, 8, v26
	s_delay_alu instid0(VALU_DEP_4) | instskip(NEXT) | instid1(VALU_DEP_2)
	v_lshlrev_b32_e32 v39, 2, v39
	v_or_b32_e32 v168, v38, v26
	v_sub_nc_u16 v26, v37, v48
	s_delay_alu instid0(VALU_DEP_3) | instskip(NEXT) | instid1(VALU_DEP_2)
	v_and_b32_e32 v39, 0x4040404, v39
	v_lshlrev_b16 v170, 8, v26
	v_add_nc_u32_e32 v26, 0x1098, v146
	s_delay_alu instid0(VALU_DEP_3)
	v_lshrrev_b32_e32 v52, 16, v39
	v_lshrrev_b32_e32 v55, 24, v39
	v_lshrrev_b16 v48, 8, v39
	ds_load_2addr_b32 v[37:38], v26 offset1:1
	s_wait_dscnt 0x0
	v_ashrrev_i32_e32 v26, s19, v37
	s_delay_alu instid0(VALU_DEP_1) | instskip(SKIP_1) | instid1(VALU_DEP_2)
	v_and_b32_e32 v32, 0x3030303, v26
	v_bfe_u32 v26, v26, 24, 2
	v_lshrrev_b32_e32 v46, 16, v32
	s_delay_alu instid0(VALU_DEP_2)
	v_sub_nc_u16 v26, v26, v55
	v_lshrrev_b16 v37, 8, v32
	v_sub_nc_u16 v177, v32, v39
	v_ashrrev_i32_e32 v39, s18, v155
	v_sub_nc_u16 v158, v46, v52
	v_lshlrev_b16 v26, 8, v26
	s_delay_alu instid0(VALU_DEP_4) | instskip(NEXT) | instid1(VALU_DEP_4)
	v_bfe_i32 v217, v177, 0, 8
	v_lshlrev_b32_e32 v39, 2, v39
	s_delay_alu instid0(VALU_DEP_4) | instskip(NEXT) | instid1(VALU_DEP_2)
	v_and_b32_e32 v46, 0xff, v158
	v_and_b32_e32 v39, 0x4040404, v39
	s_delay_alu instid0(VALU_DEP_2) | instskip(SKIP_1) | instid1(VALU_DEP_3)
	v_or_b32_e32 v171, v46, v26
	v_sub_nc_u16 v26, v37, v48
	v_lshrrev_b32_e32 v48, 16, v39
	v_lshrrev_b32_e32 v52, 24, v39
	s_delay_alu instid0(VALU_DEP_3) | instskip(SKIP_2) | instid1(VALU_DEP_2)
	v_lshlrev_b16 v172, 8, v26
	v_ashrrev_i32_e32 v26, s19, v38
	v_lshrrev_b16 v46, 8, v39
	v_and_b32_e32 v32, 0x3030303, v26
	v_bfe_u32 v26, v26, 24, 2
	s_delay_alu instid0(VALU_DEP_2) | instskip(NEXT) | instid1(VALU_DEP_2)
	v_lshrrev_b32_e32 v38, 16, v32
	v_sub_nc_u16 v26, v26, v52
	v_lshrrev_b16 v37, 8, v32
	v_sub_nc_u16 v178, v32, v39
	v_perm_b32 v32, v170, v170, 0xc0c0c01
	v_sub_nc_u16 v154, v38, v48
	v_lshlrev_b16 v26, 8, v26
	s_delay_alu instid0(VALU_DEP_4) | instskip(NEXT) | instid1(VALU_DEP_3)
	v_bfe_i32 v216, v178, 0, 8
	v_and_b32_e32 v38, 0xff, v154
	s_delay_alu instid0(VALU_DEP_1) | instskip(SKIP_3) | instid1(VALU_DEP_3)
	v_or_b32_e32 v163, v38, v26
	v_sub_nc_u16 v26, v37, v46
	v_perm_b32 v38, v3, v3, 0xc030201
	v_add3_u32 v46, s22, v120, v81
	v_lshlrev_b16 v169, 8, v26
	v_add3_u32 v26, s21, v118, v80
	ds_load_b32 v155, v26
	v_perm_b32 v26, v210, v210, 0xc0c0c01
	s_delay_alu instid0(VALU_DEP_1) | instskip(SKIP_2) | instid1(VALU_DEP_3)
	v_or_b32_e32 v236, v18, v26
	v_perm_b32 v18, v211, v206, 0xc05000c
	v_perm_b32 v26, v212, v212, 0xc0c0c01
	v_dot4_i32_iu8 v8, v5, v236, v8 neg_lo:[1,1,0]
	s_delay_alu instid0(VALU_DEP_2) | instskip(SKIP_2) | instid1(VALU_DEP_4)
	v_or_b32_e32 v237, v18, v26
	v_perm_b32 v18, v207, v204, 0xc05000c
	v_perm_b32 v26, v209, v209, 0xc0c0c01
	v_mad_i32_i24 v8, v150, v235, v8
	s_delay_alu instid0(VALU_DEP_2) | instskip(SKIP_3) | instid1(VALU_DEP_2)
	v_or_b32_e32 v238, v18, v26
	ds_load_u16 v18, v222
	v_dot4_i32_iu8 v8, v6, v237, v8 neg_lo:[1,1,0]
	v_perm_b32 v222, v174, v173, 0xc0c0500
	v_mad_i32_i24 v8, v151, v234, v8
	s_delay_alu instid0(VALU_DEP_1) | instskip(SKIP_4) | instid1(VALU_DEP_3)
	v_dot4_i32_iu8 v8, v7, v238, v8 neg_lo:[1,1,0]
	s_wait_dscnt 0x0
	v_bfe_i32 v239, v18, 0, 8
	v_lshrrev_b16 v26, 8, v18
	v_perm_b32 v18, v0, v0, 0xc0c0302
	v_mul_lo_u32 v37, v8, v239
	v_mul_i32_i24_e32 v8, v152, v240
	s_delay_alu instid0(VALU_DEP_4) | instskip(NEXT) | instid1(VALU_DEP_2)
	v_bfe_i32 v221, v26, 0, 8
	v_mad_i32_i24 v8, v153, v241, v8
	s_delay_alu instid0(VALU_DEP_1) | instskip(SKIP_2) | instid1(VALU_DEP_3)
	v_dot4_i32_iu8 v0, v18, v222, v8 neg_lo:[1,1,0]
	v_perm_b32 v8, v1, v1, 0xc030201
	v_perm_b32 v1, v168, v157, 0xc05000c
	v_mad_i32_i24 v0, v245, v223, v0
	s_delay_alu instid0(VALU_DEP_2) | instskip(SKIP_3) | instid1(VALU_DEP_4)
	v_or_b32_e32 v218, v1, v32
	v_perm_b32 v32, v2, v2, 0xc030201
	v_perm_b32 v1, v171, v158, 0xc05000c
	;; [unrolled: 1-line block ×3, first 2 shown]
	v_dot4_i32_iu8 v0, v8, v218, v0 neg_lo:[1,1,0]
	s_delay_alu instid0(VALU_DEP_2) | instskip(SKIP_1) | instid1(VALU_DEP_3)
	v_or_b32_e32 v219, v1, v2
	v_perm_b32 v1, v163, v154, 0xc05000c
	v_mad_i32_i24 v0, v246, v217, v0
	v_perm_b32 v2, v169, v169, 0xc0c0c01
	s_delay_alu instid0(VALU_DEP_2) | instskip(NEXT) | instid1(VALU_DEP_2)
	v_dot4_i32_iu8 v0, v32, v219, v0 neg_lo:[1,1,0]
	v_or_b32_e32 v220, v1, v2
	ds_load_2addr_b32 v[2:3], v46 offset1:1
	v_mad_i32_i24 v0, v247, v216, v0
	s_delay_alu instid0(VALU_DEP_1) | instskip(NEXT) | instid1(VALU_DEP_1)
	v_dot4_i32_iu8 v0, v38, v220, v0 neg_lo:[1,1,0]
	v_mad_co_u64_u32 v[0:1], null, v0, v221, v[37:38]
	v_mul_f32_e32 v1, v244, v155
	s_wait_dscnt 0x0
	v_ashrrev_i32_e32 v2, s18, v2
	s_delay_alu instid0(VALU_DEP_3) | instskip(SKIP_1) | instid1(VALU_DEP_2)
	v_cvt_f32_i32_e32 v0, v0
	v_ashrrev_i32_e32 v3, s18, v3
	v_dual_fmac_f32 v133, v1, v0 :: v_dual_lshlrev_b32 v2, 2, v2
	v_add_nc_u32_e32 v0, 0x2100, v146
	s_delay_alu instid0(VALU_DEP_3) | instskip(NEXT) | instid1(VALU_DEP_3)
	v_lshlrev_b32_e32 v3, 2, v3
	v_and_b32_e32 v2, 0x4040404, v2
	ds_load_2addr_b32 v[0:1], v0 offset1:1
	v_and_b32_e32 v3, 0x4040404, v3
	v_lshrrev_b32_e32 v52, 16, v2
	v_lshrrev_b32_e32 v55, 24, v2
	v_lshrrev_b16 v48, 8, v2
	s_delay_alu instid0(VALU_DEP_4) | instskip(SKIP_3) | instid1(VALU_DEP_1)
	v_lshrrev_b32_e32 v85, 16, v3
	v_lshrrev_b32_e32 v86, 24, v3
	s_wait_dscnt 0x0
	v_ashrrev_i32_e32 v0, s19, v0
	v_and_b32_e32 v26, 0x3030303, v0
	v_bfe_u32 v0, v0, 24, 2
	s_delay_alu instid0(VALU_DEP_2) | instskip(NEXT) | instid1(VALU_DEP_2)
	v_lshrrev_b32_e32 v39, 16, v26
	v_sub_nc_u16 v0, v0, v55
	v_lshrrev_b16 v37, 8, v26
	v_sub_nc_u16 v26, v26, v2
	v_lshrrev_b16 v55, 8, v3
	v_sub_nc_u16 v39, v39, v52
	v_lshlrev_b16 v0, 8, v0
	s_delay_alu instid0(VALU_DEP_4) | instskip(NEXT) | instid1(VALU_DEP_3)
	v_bfe_i32 v224, v26, 0, 8
	v_and_b32_e32 v52, 0xff, v39
	s_delay_alu instid0(VALU_DEP_1) | instskip(SKIP_1) | instid1(VALU_DEP_2)
	v_or_b32_e32 v52, v52, v0
	v_sub_nc_u16 v0, v37, v48
	v_perm_b32 v227, v52, v39, 0xc0c0500
	s_delay_alu instid0(VALU_DEP_2) | instskip(SKIP_1) | instid1(VALU_DEP_2)
	v_lshlrev_b16 v37, 8, v0
	v_ashrrev_i32_e32 v0, s19, v1
	v_bfe_i32 v225, v37, 8, 8
	s_delay_alu instid0(VALU_DEP_2) | instskip(SKIP_1) | instid1(VALU_DEP_2)
	v_and_b32_e32 v1, 0x3030303, v0
	v_bfe_u32 v0, v0, 24, 2
	v_lshrrev_b32_e32 v48, 16, v1
	s_delay_alu instid0(VALU_DEP_2) | instskip(SKIP_2) | instid1(VALU_DEP_4)
	v_sub_nc_u16 v0, v0, v86
	v_lshrrev_b16 v2, 8, v1
	v_sub_nc_u16 v86, v1, v3
	v_sub_nc_u16 v48, v48, v85
	s_delay_alu instid0(VALU_DEP_4) | instskip(NEXT) | instid1(VALU_DEP_3)
	v_lshlrev_b16 v0, 8, v0
	v_bfe_i32 v229, v86, 0, 8
	s_delay_alu instid0(VALU_DEP_3) | instskip(NEXT) | instid1(VALU_DEP_1)
	v_and_b32_e32 v85, 0xff, v48
	v_or_b32_e32 v85, v85, v0
	v_sub_nc_u16 v0, v2, v55
	ds_load_2addr_b32 v[2:3], v46 offset0:2 offset1:3
	v_perm_b32 v26, v85, v48, 0xc05000c
	v_lshlrev_b16 v55, 8, v0
	v_add_nc_u32_e32 v0, 0x2108, v146
	s_delay_alu instid0(VALU_DEP_2)
	v_perm_b32 v37, v55, v55, 0xc0c0c01
	ds_load_2addr_b32 v[0:1], v0 offset1:1
	v_or_b32_e32 v230, v26, v37
	s_wait_dscnt 0x1
	v_ashrrev_i32_e32 v2, s18, v2
	v_ashrrev_i32_e32 v3, s18, v3
	s_delay_alu instid0(VALU_DEP_2) | instskip(NEXT) | instid1(VALU_DEP_2)
	v_lshlrev_b32_e32 v2, 2, v2
	v_lshlrev_b32_e32 v3, 2, v3
	s_wait_dscnt 0x0
	v_ashrrev_i32_e32 v0, s19, v0
	s_delay_alu instid0(VALU_DEP_3) | instskip(NEXT) | instid1(VALU_DEP_3)
	v_and_b32_e32 v2, 0x4040404, v2
	v_and_b32_e32 v3, 0x4040404, v3
	s_delay_alu instid0(VALU_DEP_3) | instskip(SKIP_1) | instid1(VALU_DEP_4)
	v_and_b32_e32 v87, 0x3030303, v0
	v_bfe_u32 v0, v0, 24, 2
	v_lshrrev_b32_e32 v92, 16, v2
	v_lshrrev_b32_e32 v94, 24, v2
	v_lshrrev_b16 v91, 8, v2
	v_lshrrev_b32_e32 v90, 16, v87
	v_lshrrev_b16 v88, 8, v87
	v_lshrrev_b32_e32 v95, 16, v3
	v_sub_nc_u16 v0, v0, v94
	v_lshrrev_b32_e32 v96, 24, v3
	v_sub_nc_u16 v90, v90, v92
	v_sub_nc_u16 v87, v87, v2
	v_lshrrev_b16 v94, 8, v3
	v_lshlrev_b16 v0, 8, v0
	s_delay_alu instid0(VALU_DEP_4) | instskip(NEXT) | instid1(VALU_DEP_4)
	v_and_b32_e32 v92, 0xff, v90
	v_bfe_i32 v228, v87, 0, 8
	s_delay_alu instid0(VALU_DEP_2) | instskip(SKIP_1) | instid1(VALU_DEP_2)
	v_or_b32_e32 v92, v92, v0
	v_sub_nc_u16 v0, v88, v91
	v_perm_b32 v26, v92, v90, 0xc05000c
	s_delay_alu instid0(VALU_DEP_2) | instskip(SKIP_1) | instid1(VALU_DEP_2)
	v_lshlrev_b16 v88, 8, v0
	v_ashrrev_i32_e32 v0, s19, v1
	v_perm_b32 v37, v88, v88, 0xc0c0c01
	s_delay_alu instid0(VALU_DEP_2) | instskip(SKIP_1) | instid1(VALU_DEP_3)
	v_and_b32_e32 v1, 0x3030303, v0
	v_bfe_u32 v0, v0, 24, 2
	v_or_b32_e32 v231, v26, v37
	s_delay_alu instid0(VALU_DEP_3) | instskip(NEXT) | instid1(VALU_DEP_3)
	v_lshrrev_b32_e32 v91, 16, v1
	v_sub_nc_u16 v0, v0, v96
	v_lshrrev_b16 v2, 8, v1
	v_sub_nc_u16 v96, v1, v3
	s_delay_alu instid0(VALU_DEP_4) | instskip(NEXT) | instid1(VALU_DEP_4)
	v_sub_nc_u16 v91, v91, v95
	v_lshlrev_b16 v0, 8, v0
	s_delay_alu instid0(VALU_DEP_3) | instskip(NEXT) | instid1(VALU_DEP_3)
	v_bfe_i32 v226, v96, 0, 8
	v_and_b32_e32 v95, 0xff, v91
	s_delay_alu instid0(VALU_DEP_1)
	v_or_b32_e32 v95, v95, v0
	v_sub_nc_u16 v0, v2, v94
	ds_load_2addr_b32 v[2:3], v46 offset0:4 offset1:5
	v_perm_b32 v26, v95, v91, 0xc05000c
	v_lshlrev_b16 v94, 8, v0
	v_add_nc_u32_e32 v0, 0x2110, v146
	s_delay_alu instid0(VALU_DEP_2)
	v_perm_b32 v37, v94, v94, 0xc0c0c01
	ds_load_2addr_b32 v[0:1], v0 offset1:1
	v_or_b32_e32 v232, v26, v37
	s_wait_dscnt 0x1
	v_ashrrev_i32_e32 v2, s18, v2
	v_ashrrev_i32_e32 v3, s18, v3
	s_delay_alu instid0(VALU_DEP_2) | instskip(NEXT) | instid1(VALU_DEP_2)
	v_lshlrev_b32_e32 v2, 2, v2
	v_lshlrev_b32_e32 v3, 2, v3
	s_wait_dscnt 0x0
	v_ashrrev_i32_e32 v0, s19, v0
	s_delay_alu instid0(VALU_DEP_3) | instskip(NEXT) | instid1(VALU_DEP_3)
	v_and_b32_e32 v2, 0x4040404, v2
	v_and_b32_e32 v3, 0x4040404, v3
	s_delay_alu instid0(VALU_DEP_3) | instskip(SKIP_1) | instid1(VALU_DEP_4)
	v_and_b32_e32 v98, 0x3030303, v0
	v_bfe_u32 v0, v0, 24, 2
	v_lshrrev_b32_e32 v158, 16, v2
	v_lshrrev_b32_e32 v163, 24, v2
	v_lshrrev_b16 v157, 8, v2
	v_lshrrev_b32_e32 v154, 16, v98
	v_lshrrev_b16 v100, 8, v98
	v_lshrrev_b32_e32 v168, 16, v3
	v_sub_nc_u16 v0, v0, v163
	v_lshrrev_b32_e32 v169, 24, v3
	v_sub_nc_u16 v154, v154, v158
	v_sub_nc_u16 v98, v98, v2
	v_lshrrev_b16 v163, 8, v3
	v_lshlrev_b16 v0, 8, v0
	s_delay_alu instid0(VALU_DEP_4) | instskip(NEXT) | instid1(VALU_DEP_1)
	v_and_b32_e32 v158, 0xff, v154
	v_or_b32_e32 v158, v158, v0
	v_sub_nc_u16 v0, v100, v157
	s_delay_alu instid0(VALU_DEP_1) | instskip(SKIP_1) | instid1(VALU_DEP_1)
	v_lshlrev_b16 v100, 8, v0
	v_ashrrev_i32_e32 v0, s19, v1
	v_and_b32_e32 v1, 0x3030303, v0
	v_bfe_u32 v0, v0, 24, 2
	s_delay_alu instid0(VALU_DEP_2) | instskip(NEXT) | instid1(VALU_DEP_2)
	v_lshrrev_b32_e32 v157, 16, v1
	v_sub_nc_u16 v0, v0, v169
	v_lshrrev_b16 v2, 8, v1
	v_sub_nc_u16 v170, v1, v3
	s_delay_alu instid0(VALU_DEP_4) | instskip(NEXT) | instid1(VALU_DEP_4)
	v_sub_nc_u16 v157, v157, v168
	v_lshlrev_b16 v0, 8, v0
	s_delay_alu instid0(VALU_DEP_3) | instskip(NEXT) | instid1(VALU_DEP_3)
	v_bfe_i32 v173, v170, 0, 8
	v_and_b32_e32 v168, 0xff, v157
	s_delay_alu instid0(VALU_DEP_1)
	v_or_b32_e32 v174, v168, v0
	v_sub_nc_u16 v0, v2, v163
	ds_load_2addr_b32 v[2:3], v46 offset0:6 offset1:7
	v_lshlrev_b16 v175, 8, v0
	v_add_nc_u32_e32 v0, 0x2118, v146
	ds_load_2addr_b32 v[0:1], v0 offset1:1
	s_wait_dscnt 0x1
	v_ashrrev_i32_e32 v2, s18, v2
	v_ashrrev_i32_e32 v3, s18, v3
	s_delay_alu instid0(VALU_DEP_2) | instskip(NEXT) | instid1(VALU_DEP_2)
	v_lshlrev_b32_e32 v2, 2, v2
	v_lshlrev_b32_e32 v3, 2, v3
	s_wait_dscnt 0x0
	v_ashrrev_i32_e32 v0, s19, v0
	s_delay_alu instid0(VALU_DEP_3) | instskip(NEXT) | instid1(VALU_DEP_3)
	v_and_b32_e32 v2, 0x4040404, v2
	v_and_b32_e32 v3, 0x4040404, v3
	s_delay_alu instid0(VALU_DEP_3) | instskip(SKIP_1) | instid1(VALU_DEP_4)
	v_and_b32_e32 v163, 0x3030303, v0
	v_bfe_u32 v0, v0, 24, 2
	v_lshrrev_b32_e32 v171, 16, v2
	v_lshrrev_b32_e32 v172, 24, v2
	v_lshrrev_b16 v46, 8, v2
	v_lshrrev_b32_e32 v169, 16, v163
	v_lshrrev_b16 v168, 8, v163
	v_sub_nc_u16 v2, v163, v2
	v_sub_nc_u16 v0, v0, v172
	v_lshrrev_b32_e32 v172, 24, v3
	v_sub_nc_u16 v177, v169, v171
	v_lshrrev_b32_e32 v171, 16, v3
	s_delay_alu instid0(VALU_DEP_4) | instskip(NEXT) | instid1(VALU_DEP_3)
	v_lshlrev_b16 v0, 8, v0
	v_and_b32_e32 v169, 0xff, v177
	s_delay_alu instid0(VALU_DEP_1) | instskip(SKIP_2) | instid1(VALU_DEP_2)
	v_or_b32_e32 v178, v169, v0
	v_sub_nc_u16 v0, v168, v46
	v_lshrrev_b16 v169, 8, v3
	v_lshlrev_b16 v46, 8, v0
	v_ashrrev_i32_e32 v0, s19, v1
	s_delay_alu instid0(VALU_DEP_1) | instskip(SKIP_1) | instid1(VALU_DEP_2)
	v_and_b32_e32 v1, 0x3030303, v0
	v_bfe_u32 v0, v0, 24, 2
	v_lshrrev_b32_e32 v168, 16, v1
	s_delay_alu instid0(VALU_DEP_2)
	v_sub_nc_u16 v0, v0, v172
	v_lshrrev_b16 v163, 8, v1
	v_sub_nc_u16 v1, v1, v3
	v_add3_u32 v3, s21, v122, v82
	v_sub_nc_u16 v204, v168, v171
	v_lshlrev_b16 v0, 8, v0
	v_perm_b32 v171, v158, v154, 0xc0c0500
	v_bfe_i32 v172, v2, 0, 8
	v_bfe_i32 v170, v1, 0, 8
	v_and_b32_e32 v168, 0xff, v204
	v_perm_b32 v2, v174, v157, 0xc05000c
	s_delay_alu instid0(VALU_DEP_2)
	v_or_b32_e32 v205, v168, v0
	v_sub_nc_u16 v0, v163, v169
	ds_load_b32 v163, v3
	v_bfe_i32 v168, v98, 0, 8
	v_bfe_i32 v169, v100, 8, 8
	v_lshlrev_b16 v206, 8, v0
	v_add_nc_u32_e32 v0, s20, v68
	ds_load_u16 v0, v0
	v_mul_i32_i24_e32 v3, v147, v224
	s_delay_alu instid0(VALU_DEP_1) | instskip(NEXT) | instid1(VALU_DEP_1)
	v_mad_i32_i24 v3, v148, v225, v3
	v_dot4_i32_iu8 v3, v4, v227, v3 neg_lo:[1,1,0]
	s_delay_alu instid0(VALU_DEP_1) | instskip(SKIP_2) | instid1(VALU_DEP_2)
	v_mad_i32_i24 v3, v149, v229, v3
	s_wait_dscnt 0x0
	v_bfe_i32 v233, v0, 0, 8
	v_dot4_i32_iu8 v3, v5, v230, v3 neg_lo:[1,1,0]
	v_lshrrev_b16 v26, 8, v0
	s_delay_alu instid0(VALU_DEP_2) | instskip(NEXT) | instid1(VALU_DEP_1)
	v_mad_i32_i24 v3, v150, v228, v3
	v_dot4_i32_iu8 v3, v6, v231, v3 neg_lo:[1,1,0]
	s_delay_alu instid0(VALU_DEP_1) | instskip(NEXT) | instid1(VALU_DEP_1)
	v_mad_i32_i24 v3, v151, v226, v3
	v_dot4_i32_iu8 v3, v7, v232, v3 neg_lo:[1,1,0]
	s_delay_alu instid0(VALU_DEP_1) | instskip(SKIP_1) | instid1(VALU_DEP_1)
	v_mul_lo_u32 v0, v3, v233
	v_mul_i32_i24_e32 v3, v152, v168
	v_mad_i32_i24 v3, v153, v169, v3
	s_delay_alu instid0(VALU_DEP_1) | instskip(NEXT) | instid1(VALU_DEP_1)
	v_dot4_i32_iu8 v3, v18, v171, v3 neg_lo:[1,1,0]
	v_mad_i32_i24 v1, v245, v173, v3
	v_perm_b32 v3, v175, v175, 0xc0c0c01
	s_delay_alu instid0(VALU_DEP_1)
	v_or_b32_e32 v174, v2, v3
	v_perm_b32 v2, v178, v177, 0xc05000c
	v_perm_b32 v3, v46, v46, 0xc0c0c01
	v_bfe_i32 v178, v26, 0, 8
	v_add3_u32 v46, s22, v124, v83
	v_dot4_i32_iu8 v1, v8, v174, v1 neg_lo:[1,1,0]
	s_delay_alu instid0(VALU_DEP_4) | instskip(SKIP_2) | instid1(VALU_DEP_4)
	v_or_b32_e32 v175, v2, v3
	v_perm_b32 v2, v205, v204, 0xc05000c
	v_perm_b32 v3, v206, v206, 0xc0c0c01
	v_mad_i32_i24 v1, v246, v172, v1
	s_delay_alu instid0(VALU_DEP_2) | instskip(NEXT) | instid1(VALU_DEP_2)
	v_or_b32_e32 v177, v2, v3
	v_dot4_i32_iu8 v1, v32, v175, v1 neg_lo:[1,1,0]
	ds_load_2addr_b32 v[2:3], v46 offset1:1
	v_mad_i32_i24 v1, v247, v170, v1
	s_delay_alu instid0(VALU_DEP_1) | instskip(NEXT) | instid1(VALU_DEP_1)
	v_dot4_i32_iu8 v1, v38, v177, v1 neg_lo:[1,1,0]
	v_mad_co_u64_u32 v[0:1], null, v1, v178, v[0:1]
	v_mul_f32_e32 v1, v244, v163
	s_wait_dscnt 0x0
	v_ashrrev_i32_e32 v2, s18, v2
	v_ashrrev_i32_e32 v3, s18, v3
	s_delay_alu instid0(VALU_DEP_4) | instskip(NEXT) | instid1(VALU_DEP_3)
	v_cvt_f32_i32_e32 v0, v0
	v_lshlrev_b32_e32 v2, 2, v2
	s_delay_alu instid0(VALU_DEP_2) | instskip(SKIP_1) | instid1(VALU_DEP_3)
	v_dual_fmac_f32 v138, v1, v0 :: v_dual_lshlrev_b32 v3, 2, v3
	v_add_nc_u32_e32 v0, 0x3180, v146
	v_and_b32_e32 v2, 0x4040404, v2
	s_delay_alu instid0(VALU_DEP_3)
	v_and_b32_e32 v3, 0x4040404, v3
	ds_load_2addr_b32 v[0:1], v0 offset1:1
	v_lshrrev_b32_e32 v52, 16, v2
	v_lshrrev_b32_e32 v55, 24, v2
	v_lshrrev_b16 v48, 8, v2
	v_lshrrev_b32_e32 v85, 16, v3
	v_lshrrev_b32_e32 v86, 24, v3
	s_wait_dscnt 0x0
	v_ashrrev_i32_e32 v0, s19, v0
	s_delay_alu instid0(VALU_DEP_1) | instskip(SKIP_1) | instid1(VALU_DEP_2)
	v_and_b32_e32 v26, 0x3030303, v0
	v_bfe_u32 v0, v0, 24, 2
	v_lshrrev_b32_e32 v39, 16, v26
	s_delay_alu instid0(VALU_DEP_2)
	v_sub_nc_u16 v0, v0, v55
	v_lshrrev_b16 v37, 8, v26
	v_sub_nc_u16 v26, v26, v2
	v_lshrrev_b16 v55, 8, v3
	v_sub_nc_u16 v39, v39, v52
	v_lshlrev_b16 v0, 8, v0
	s_delay_alu instid0(VALU_DEP_2) | instskip(NEXT) | instid1(VALU_DEP_1)
	v_and_b32_e32 v52, 0xff, v39
	v_or_b32_e32 v52, v52, v0
	v_sub_nc_u16 v0, v37, v48
	s_delay_alu instid0(VALU_DEP_2) | instskip(NEXT) | instid1(VALU_DEP_2)
	v_perm_b32 v207, v52, v39, 0xc0c0500
	v_lshlrev_b16 v37, 8, v0
	v_ashrrev_i32_e32 v0, s19, v1
	s_delay_alu instid0(VALU_DEP_1) | instskip(SKIP_1) | instid1(VALU_DEP_2)
	v_and_b32_e32 v1, 0x3030303, v0
	v_bfe_u32 v0, v0, 24, 2
	v_lshrrev_b32_e32 v48, 16, v1
	s_delay_alu instid0(VALU_DEP_2) | instskip(SKIP_2) | instid1(VALU_DEP_4)
	v_sub_nc_u16 v0, v0, v86
	v_lshrrev_b16 v2, 8, v1
	v_sub_nc_u16 v86, v1, v3
	v_sub_nc_u16 v48, v48, v85
	s_delay_alu instid0(VALU_DEP_4) | instskip(NEXT) | instid1(VALU_DEP_3)
	v_lshlrev_b16 v0, 8, v0
	v_bfe_i32 v209, v86, 0, 8
	s_delay_alu instid0(VALU_DEP_3) | instskip(NEXT) | instid1(VALU_DEP_1)
	v_and_b32_e32 v85, 0xff, v48
	v_or_b32_e32 v85, v85, v0
	v_sub_nc_u16 v0, v2, v55
	ds_load_2addr_b32 v[2:3], v46 offset0:2 offset1:3
	v_lshlrev_b16 v55, 8, v0
	v_add_nc_u32_e32 v0, 0x3188, v146
	ds_load_2addr_b32 v[0:1], v0 offset1:1
	s_wait_dscnt 0x1
	v_ashrrev_i32_e32 v2, s18, v2
	v_ashrrev_i32_e32 v3, s18, v3
	s_delay_alu instid0(VALU_DEP_2) | instskip(NEXT) | instid1(VALU_DEP_2)
	v_lshlrev_b32_e32 v2, 2, v2
	v_lshlrev_b32_e32 v3, 2, v3
	s_wait_dscnt 0x0
	v_ashrrev_i32_e32 v0, s19, v0
	s_delay_alu instid0(VALU_DEP_3) | instskip(NEXT) | instid1(VALU_DEP_3)
	v_and_b32_e32 v2, 0x4040404, v2
	v_and_b32_e32 v3, 0x4040404, v3
	s_delay_alu instid0(VALU_DEP_3) | instskip(SKIP_1) | instid1(VALU_DEP_4)
	v_and_b32_e32 v87, 0x3030303, v0
	v_bfe_u32 v0, v0, 24, 2
	v_lshrrev_b32_e32 v92, 16, v2
	v_lshrrev_b32_e32 v94, 24, v2
	v_lshrrev_b16 v91, 8, v2
	v_lshrrev_b32_e32 v90, 16, v87
	v_lshrrev_b16 v88, 8, v87
	v_lshrrev_b32_e32 v95, 16, v3
	v_sub_nc_u16 v0, v0, v94
	v_lshrrev_b32_e32 v96, 24, v3
	v_sub_nc_u16 v90, v90, v92
	v_sub_nc_u16 v87, v87, v2
	v_lshrrev_b16 v94, 8, v3
	v_lshlrev_b16 v0, 8, v0
	s_delay_alu instid0(VALU_DEP_4) | instskip(NEXT) | instid1(VALU_DEP_4)
	v_and_b32_e32 v92, 0xff, v90
	v_bfe_i32 v208, v87, 0, 8
	s_delay_alu instid0(VALU_DEP_2) | instskip(SKIP_1) | instid1(VALU_DEP_1)
	v_or_b32_e32 v92, v92, v0
	v_sub_nc_u16 v0, v88, v91
	v_lshlrev_b16 v88, 8, v0
	v_ashrrev_i32_e32 v0, s19, v1
	s_delay_alu instid0(VALU_DEP_1) | instskip(SKIP_1) | instid1(VALU_DEP_2)
	v_and_b32_e32 v1, 0x3030303, v0
	v_bfe_u32 v0, v0, 24, 2
	v_lshrrev_b32_e32 v91, 16, v1
	s_delay_alu instid0(VALU_DEP_2) | instskip(SKIP_2) | instid1(VALU_DEP_4)
	v_sub_nc_u16 v0, v0, v96
	v_lshrrev_b16 v2, 8, v1
	v_sub_nc_u16 v96, v1, v3
	v_sub_nc_u16 v91, v91, v95
	s_delay_alu instid0(VALU_DEP_4) | instskip(NEXT) | instid1(VALU_DEP_3)
	v_lshlrev_b16 v0, 8, v0
	v_bfe_i32 v206, v96, 0, 8
	s_delay_alu instid0(VALU_DEP_3) | instskip(NEXT) | instid1(VALU_DEP_1)
	v_and_b32_e32 v95, 0xff, v91
	v_or_b32_e32 v95, v95, v0
	v_sub_nc_u16 v0, v2, v94
	ds_load_2addr_b32 v[2:3], v46 offset0:4 offset1:5
	v_lshlrev_b16 v94, 8, v0
	v_add_nc_u32_e32 v0, 0x3190, v146
	ds_load_2addr_b32 v[0:1], v0 offset1:1
	s_wait_dscnt 0x1
	v_ashrrev_i32_e32 v2, s18, v2
	v_ashrrev_i32_e32 v3, s18, v3
	s_delay_alu instid0(VALU_DEP_2) | instskip(NEXT) | instid1(VALU_DEP_2)
	v_lshlrev_b32_e32 v2, 2, v2
	v_lshlrev_b32_e32 v3, 2, v3
	s_wait_dscnt 0x0
	v_ashrrev_i32_e32 v0, s19, v0
	s_delay_alu instid0(VALU_DEP_3) | instskip(NEXT) | instid1(VALU_DEP_3)
	v_and_b32_e32 v2, 0x4040404, v2
	v_and_b32_e32 v3, 0x4040404, v3
	s_delay_alu instid0(VALU_DEP_3) | instskip(SKIP_1) | instid1(VALU_DEP_4)
	v_and_b32_e32 v98, 0x3030303, v0
	v_bfe_u32 v0, v0, 24, 2
	v_lshrrev_b32_e32 v158, 16, v2
	v_lshrrev_b32_e32 v204, 24, v2
	v_lshrrev_b16 v157, 8, v2
	v_lshrrev_b32_e32 v154, 16, v98
	v_lshrrev_b16 v100, 8, v98
	v_lshrrev_b32_e32 v205, 24, v3
	v_sub_nc_u16 v0, v0, v204
	v_lshrrev_b32_e32 v204, 16, v3
	v_sub_nc_u16 v154, v154, v158
	v_sub_nc_u16 v98, v98, v2
	s_delay_alu instid0(VALU_DEP_4) | instskip(NEXT) | instid1(VALU_DEP_3)
	v_lshlrev_b16 v0, 8, v0
	v_and_b32_e32 v158, 0xff, v154
	s_delay_alu instid0(VALU_DEP_1) | instskip(SKIP_2) | instid1(VALU_DEP_3)
	v_or_b32_e32 v248, v158, v0
	v_sub_nc_u16 v0, v100, v157
	v_lshrrev_b16 v158, 8, v3
	v_perm_b32 v154, v248, v154, 0xc0c0500
	s_delay_alu instid0(VALU_DEP_3) | instskip(SKIP_1) | instid1(VALU_DEP_1)
	v_lshlrev_b16 v100, 8, v0
	v_ashrrev_i32_e32 v0, s19, v1
	v_and_b32_e32 v1, 0x3030303, v0
	v_bfe_u32 v0, v0, 24, 2
	s_delay_alu instid0(VALU_DEP_2) | instskip(NEXT) | instid1(VALU_DEP_2)
	v_lshrrev_b32_e32 v157, 16, v1
	v_sub_nc_u16 v0, v0, v205
	v_lshrrev_b16 v2, 8, v1
	v_sub_nc_u16 v252, v1, v3
	s_delay_alu instid0(VALU_DEP_4) | instskip(NEXT) | instid1(VALU_DEP_4)
	v_sub_nc_u16 v249, v157, v204
	v_lshlrev_b16 v0, 8, v0
	s_delay_alu instid0(VALU_DEP_2) | instskip(NEXT) | instid1(VALU_DEP_1)
	v_and_b32_e32 v157, 0xff, v249
	v_or_b32_e32 v250, v157, v0
	v_sub_nc_u16 v0, v2, v158
	ds_load_2addr_b32 v[2:3], v46 offset0:6 offset1:7
	v_lshlrev_b16 v251, 8, v0
	v_add_nc_u32_e32 v0, 0x3198, v146
	ds_load_2addr_b32 v[0:1], v0 offset1:1
	s_wait_dscnt 0x1
	v_ashrrev_i32_e32 v2, s18, v2
	v_ashrrev_i32_e32 v3, s18, v3
	s_delay_alu instid0(VALU_DEP_2) | instskip(NEXT) | instid1(VALU_DEP_2)
	v_lshlrev_b32_e32 v2, 2, v2
	v_lshlrev_b32_e32 v3, 2, v3
	s_wait_dscnt 0x0
	v_ashrrev_i32_e32 v0, s19, v0
	s_delay_alu instid0(VALU_DEP_3) | instskip(NEXT) | instid1(VALU_DEP_3)
	v_and_b32_e32 v2, 0x4040404, v2
	v_and_b32_e32 v3, 0x4040404, v3
	s_delay_alu instid0(VALU_DEP_3) | instskip(SKIP_1) | instid1(VALU_DEP_4)
	v_and_b32_e32 v146, 0x3030303, v0
	v_bfe_u32 v0, v0, 24, 2
	v_lshrrev_b32_e32 v204, 16, v2
	v_lshrrev_b32_e32 v205, 24, v2
	v_lshrrev_b16 v46, 8, v2
	v_lshrrev_b32_e32 v158, 16, v146
	v_lshrrev_b16 v157, 8, v146
	v_sub_nc_u16 v2, v146, v2
	v_sub_nc_u16 v0, v0, v205
	v_lshrrev_b32_e32 v205, 24, v3
	v_sub_nc_u16 v253, v158, v204
	v_lshrrev_b32_e32 v204, 16, v3
	s_delay_alu instid0(VALU_DEP_4) | instskip(NEXT) | instid1(VALU_DEP_3)
	v_lshlrev_b16 v0, 8, v0
	v_and_b32_e32 v158, 0xff, v253
	s_delay_alu instid0(VALU_DEP_1) | instskip(SKIP_2) | instid1(VALU_DEP_2)
	v_or_b32_e32 v254, v158, v0
	v_sub_nc_u16 v0, v157, v46
	v_lshrrev_b16 v158, 8, v3
	v_lshlrev_b16 v46, 8, v0
	v_ashrrev_i32_e32 v0, s19, v1
	s_delay_alu instid0(VALU_DEP_1) | instskip(SKIP_1) | instid1(VALU_DEP_2)
	v_and_b32_e32 v1, 0x3030303, v0
	v_bfe_u32 v0, v0, 24, 2
	v_lshrrev_b32_e32 v157, 16, v1
	s_delay_alu instid0(VALU_DEP_2)
	v_sub_nc_u16 v0, v0, v205
	v_lshrrev_b16 v146, 8, v1
	v_sub_nc_u16 v1, v1, v3
	v_add3_u32 v3, s21, v126, v84
	v_sub_nc_u16 v255, v157, v204
	v_lshlrev_b16 v0, 8, v0
	v_bfe_i32 v204, v26, 0, 8
	v_bfe_i32 v205, v37, 8, 8
	v_perm_b32 v26, v55, v55, 0xc0c0c01
	v_and_b32_e32 v157, 0xff, v255
	s_delay_alu instid0(VALU_DEP_1)
	v_or_b32_e32 v15, v157, v0
	v_sub_nc_u16 v0, v146, v158
	ds_load_b32 v146, v3
	v_bfe_i32 v158, v98, 0, 8
	v_bfe_i32 v157, v100, 8, 8
	v_lshlrev_b16 v16, 8, v0
	v_add_nc_u32_e32 v0, s20, v69
	ds_load_u16 v0, v0
	v_mul_i32_i24_e32 v3, v147, v204
	s_delay_alu instid0(VALU_DEP_1) | instskip(NEXT) | instid1(VALU_DEP_1)
	v_mad_i32_i24 v3, v148, v205, v3
	v_dot4_i32_iu8 v3, v4, v207, v3 neg_lo:[1,1,0]
	v_perm_b32 v4, v85, v48, 0xc05000c
	s_delay_alu instid0(VALU_DEP_2) | instskip(NEXT) | instid1(VALU_DEP_2)
	v_mad_i32_i24 v3, v149, v209, v3
	v_or_b32_e32 v210, v4, v26
	v_perm_b32 v4, v92, v90, 0xc05000c
	v_bfe_i32 v149, v1, 0, 8
	s_wait_dscnt 0x0
	v_bfe_i32 v213, v0, 0, 8
	v_dot4_i32_iu8 v3, v5, v210, v3 neg_lo:[1,1,0]
	v_perm_b32 v5, v88, v88, 0xc0c0c01
	s_delay_alu instid0(VALU_DEP_2) | instskip(NEXT) | instid1(VALU_DEP_2)
	v_mad_i32_i24 v3, v150, v208, v3
	v_or_b32_e32 v211, v4, v5
	v_perm_b32 v4, v95, v91, 0xc05000c
	v_perm_b32 v5, v94, v94, 0xc0c0c01
	s_delay_alu instid0(VALU_DEP_3) | instskip(NEXT) | instid1(VALU_DEP_2)
	v_dot4_i32_iu8 v3, v6, v211, v3 neg_lo:[1,1,0]
	v_or_b32_e32 v212, v4, v5
	v_lshrrev_b16 v4, 8, v0
	s_delay_alu instid0(VALU_DEP_3) | instskip(SKIP_2) | instid1(VALU_DEP_4)
	v_mad_i32_i24 v3, v151, v206, v3
	v_bfe_i32 v151, v2, 0, 8
	v_perm_b32 v2, v250, v249, 0xc05000c
	v_bfe_i32 v147, v4, 0, 8
	s_delay_alu instid0(VALU_DEP_4) | instskip(NEXT) | instid1(VALU_DEP_1)
	v_dot4_i32_iu8 v3, v7, v212, v3 neg_lo:[1,1,0]
	v_mul_lo_u32 v0, v3, v213
	v_mul_i32_i24_e32 v3, v152, v158
	s_delay_alu instid0(VALU_DEP_1) | instskip(SKIP_1) | instid1(VALU_DEP_2)
	v_mad_i32_i24 v3, v153, v157, v3
	v_bfe_i32 v153, v252, 0, 8
	v_dot4_i32_iu8 v3, v18, v154, v3 neg_lo:[1,1,0]
	s_delay_alu instid0(VALU_DEP_1) | instskip(SKIP_1) | instid1(VALU_DEP_1)
	v_mad_i32_i24 v1, v245, v153, v3
	v_perm_b32 v3, v251, v251, 0xc0c0c01
	v_or_b32_e32 v152, v2, v3
	v_perm_b32 v2, v254, v253, 0xc05000c
	v_perm_b32 v3, v46, v46, 0xc0c0c01
	s_delay_alu instid0(VALU_DEP_3) | instskip(NEXT) | instid1(VALU_DEP_2)
	v_dot4_i32_iu8 v1, v8, v152, v1 neg_lo:[1,1,0]
	v_or_b32_e32 v150, v2, v3
	v_perm_b32 v2, v15, v255, 0xc05000c
	v_perm_b32 v3, v16, v16, 0xc0c0c01
	s_delay_alu instid0(VALU_DEP_4) | instskip(NEXT) | instid1(VALU_DEP_2)
	v_mad_i32_i24 v1, v246, v151, v1
	v_or_b32_e32 v148, v2, v3
	s_delay_alu instid0(VALU_DEP_2) | instskip(NEXT) | instid1(VALU_DEP_1)
	v_dot4_i32_iu8 v1, v32, v150, v1 neg_lo:[1,1,0]
	v_mad_i32_i24 v1, v247, v149, v1
	s_delay_alu instid0(VALU_DEP_1) | instskip(NEXT) | instid1(VALU_DEP_1)
	v_dot4_i32_iu8 v1, v38, v148, v1 neg_lo:[1,1,0]
	v_mad_co_u64_u32 v[0:1], null, v1, v147, v[0:1]
	v_mul_f32_e32 v1, v244, v146
	s_delay_alu instid0(VALU_DEP_2) | instskip(NEXT) | instid1(VALU_DEP_1)
	v_cvt_f32_i32_e32 v0, v0
	v_fmac_f32_e32 v141, v1, v0
	v_or_b32_e32 v0, s17, v70
	s_delay_alu instid0(VALU_DEP_1)
	v_lshlrev_b32_e32 v4, 2, v0
	v_lshrrev_b32_e32 v0, 1, v0
	ds_load_b32 v8, v0 offset:38816
	ds_load_b128 v[0:3], v4 offset:25344
	ds_load_b128 v[4:7], v4 offset:25360
	s_wait_dscnt 0x1
	v_bfe_i32 v15, v0, 0, 8
	v_bfe_i32 v16, v0, 8, 8
	;; [unrolled: 1-line block ×3, first 2 shown]
	v_ashrrev_i32_e32 v26, 24, v0
	v_bfe_i32 v32, v1, 0, 8
	v_mul_i32_i24_e32 v252, v159, v15
	v_bfe_i32 v37, v1, 8, 8
	v_mul_i32_i24_e32 v18, v160, v18
	v_mul_i32_i24_e32 v26, v161, v26
	v_bfe_i32 v38, v1, 16, 8
	v_mad_i32_i24 v252, v162, v16, v252
	v_ashrrev_i32_e32 v39, 24, v1
	v_mul_i32_i24_e32 v37, v166, v37
	v_bfe_i32 v46, v2, 0, 8
	v_bfe_i32 v48, v2, 8, 8
	v_add3_u32 v18, v252, v18, v26
	v_mul_i32_i24_e32 v26, v167, v32
	v_mul_i32_i24_e32 v38, v165, v38
	;; [unrolled: 1-line block ×3, first 2 shown]
	v_bfe_i32 v52, v2, 16, 8
	v_ashrrev_i32_e32 v55, 24, v2
	v_add3_u32 v18, v18, v26, v37
	v_mul_i32_i24_e32 v252, v181, v46
	v_mul_i32_i24_e32 v48, v180, v48
	v_bfe_i32 v85, v3, 0, 8
	v_bfe_i32 v86, v3, 8, 8
	v_add3_u32 v18, v18, v38, v39
	v_mul_i32_i24_e32 v52, v179, v52
	v_mul_i32_i24_e32 v55, v176, v55
	v_bfe_i32 v87, v3, 16, 8
	v_ashrrev_i32_e32 v88, 24, v3
	v_add3_u32 v18, v18, v252, v48
	v_mul_i32_i24_e32 v253, v185, v85
	v_mul_i32_i24_e32 v86, v184, v86
	;; [unrolled: 1-line block ×4, first 2 shown]
	v_add3_u32 v18, v18, v52, v55
	s_wait_dscnt 0x0
	v_bfe_i32 v90, v4, 0, 8
	v_bfe_i32 v91, v4, 8, 8
	;; [unrolled: 1-line block ×3, first 2 shown]
	v_ashrrev_i32_e32 v94, 24, v4
	v_add3_u32 v18, v18, v253, v86
	v_bfe_i32 v95, v5, 0, 8
	v_bfe_i32 v96, v5, 8, 8
	v_mul_i32_i24_e32 v26, v187, v92
	v_mul_i32_i24_e32 v38, v188, v94
	v_add3_u32 v18, v18, v87, v88
	v_bfe_i32 v98, v5, 16, 8
	v_ashrrev_i32_e32 v100, 24, v5
	v_bfe_i32 v244, v6, 0, 8
	v_bfe_i32 v245, v6, 8, 8
	v_mul_lo_u32 v37, v18, v203
	v_mul_i32_i24_e32 v18, v186, v90
	v_mul_i32_i24_e32 v39, v191, v98
	;; [unrolled: 1-line block ×3, first 2 shown]
	v_bfe_i32 v246, v6, 16, 8
	v_ashrrev_i32_e32 v247, 24, v6
	v_mad_i32_i24 v18, v189, v91, v18
	v_mul_i32_i24_e32 v52, v197, v244
	v_mul_i32_i24_e32 v55, v196, v245
	v_bfe_i32 v248, v7, 0, 8
	v_bfe_i32 v249, v7, 8, 8
	v_add3_u32 v18, v18, v26, v38
	v_mul_i32_i24_e32 v26, v193, v95
	v_mul_i32_i24_e32 v38, v192, v96
	;; [unrolled: 1-line block ×4, first 2 shown]
	v_bfe_i32 v250, v7, 16, 8
	v_ashrrev_i32_e32 v251, 24, v7
	v_add3_u32 v18, v18, v26, v38
	v_mul_i32_i24_e32 v88, v201, v248
	v_mul_i32_i24_e32 v92, v200, v249
	;; [unrolled: 1-line block ×4, first 2 shown]
	v_add3_u32 v18, v18, v39, v48
	v_perm_b32 v4, v4, v4, 0xc0c0302
	v_perm_b32 v5, v5, v5, 0xc030201
	;; [unrolled: 1-line block ×4, first 2 shown]
	v_add3_u32 v18, v18, v52, v55
	v_perm_b32 v3, v3, v3, 0xc030201
	v_perm_b32 v7, v7, v7, 0xc030201
	s_delay_alu instid0(VALU_DEP_3) | instskip(NEXT) | instid1(VALU_DEP_1)
	v_add3_u32 v18, v18, v86, v87
	v_add3_u32 v18, v18, v88, v92
	s_delay_alu instid0(VALU_DEP_1) | instskip(NEXT) | instid1(VALU_DEP_1)
	v_add3_u32 v18, v18, v94, v96
	v_mad_co_u64_u32 v[37:38], null, v18, v202, v[37:38]
	v_mul_f32_e32 v18, v156, v8
	s_delay_alu instid0(VALU_DEP_2) | instskip(NEXT) | instid1(VALU_DEP_1)
	v_cvt_f32_i32_e32 v26, v37
	v_fmac_f32_e32 v119, v18, v26
	v_mul_i32_i24_e32 v18, v15, v214
	v_perm_b32 v26, v0, v0, 0xc0c0302
	s_delay_alu instid0(VALU_DEP_2) | instskip(NEXT) | instid1(VALU_DEP_1)
	v_mad_i32_i24 v18, v16, v215, v18
	v_dot4_i32_iu8 v0, v26, v242, v18 neg_lo:[1,1,0]
	v_perm_b32 v18, v1, v1, 0xc030201
	v_mul_i32_i24_e32 v1, v90, v240
	s_delay_alu instid0(VALU_DEP_3) | instskip(NEXT) | instid1(VALU_DEP_2)
	v_mad_i32_i24 v0, v32, v243, v0
	v_mad_i32_i24 v1, v91, v241, v1
	s_delay_alu instid0(VALU_DEP_2) | instskip(NEXT) | instid1(VALU_DEP_2)
	v_dot4_i32_iu8 v0, v18, v236, v0 neg_lo:[1,1,0]
	v_dot4_i32_iu8 v1, v4, v222, v1 neg_lo:[1,1,0]
	s_delay_alu instid0(VALU_DEP_2) | instskip(NEXT) | instid1(VALU_DEP_2)
	v_mad_i32_i24 v0, v46, v235, v0
	v_mad_i32_i24 v1, v95, v223, v1
	s_delay_alu instid0(VALU_DEP_2) | instskip(NEXT) | instid1(VALU_DEP_2)
	v_dot4_i32_iu8 v0, v2, v237, v0 neg_lo:[1,1,0]
	v_dot4_i32_iu8 v1, v5, v218, v1 neg_lo:[1,1,0]
	s_delay_alu instid0(VALU_DEP_2) | instskip(NEXT) | instid1(VALU_DEP_2)
	;; [unrolled: 6-line block ×3, first 2 shown]
	v_mul_lo_u32 v0, v0, v239
	v_mad_i32_i24 v1, v248, v216, v1
	s_delay_alu instid0(VALU_DEP_1) | instskip(NEXT) | instid1(VALU_DEP_1)
	v_dot4_i32_iu8 v1, v7, v220, v1 neg_lo:[1,1,0]
	v_mad_co_u64_u32 v[0:1], null, v1, v221, v[0:1]
	v_mul_f32_e32 v1, v155, v8
	s_delay_alu instid0(VALU_DEP_2) | instskip(NEXT) | instid1(VALU_DEP_1)
	v_cvt_f32_i32_e32 v0, v0
	v_fmac_f32_e32 v130, v1, v0
	v_mul_i32_i24_e32 v0, v15, v224
	v_mul_i32_i24_e32 v1, v90, v168
	s_delay_alu instid0(VALU_DEP_2) | instskip(NEXT) | instid1(VALU_DEP_2)
	v_mad_i32_i24 v0, v16, v225, v0
	v_mad_i32_i24 v1, v91, v169, v1
	s_delay_alu instid0(VALU_DEP_2) | instskip(NEXT) | instid1(VALU_DEP_2)
	v_dot4_i32_iu8 v0, v26, v227, v0 neg_lo:[1,1,0]
	v_dot4_i32_iu8 v1, v4, v171, v1 neg_lo:[1,1,0]
	s_delay_alu instid0(VALU_DEP_2) | instskip(NEXT) | instid1(VALU_DEP_2)
	v_mad_i32_i24 v0, v32, v229, v0
	v_mad_i32_i24 v1, v95, v173, v1
	s_delay_alu instid0(VALU_DEP_2) | instskip(NEXT) | instid1(VALU_DEP_2)
	v_dot4_i32_iu8 v0, v18, v230, v0 neg_lo:[1,1,0]
	v_dot4_i32_iu8 v1, v5, v174, v1 neg_lo:[1,1,0]
	;; [unrolled: 6-line block ×4, first 2 shown]
	s_delay_alu instid0(VALU_DEP_2) | instskip(NEXT) | instid1(VALU_DEP_1)
	v_mul_lo_u32 v0, v0, v233
	v_mad_co_u64_u32 v[0:1], null, v1, v178, v[0:1]
	v_mul_f32_e32 v1, v163, v8
	s_delay_alu instid0(VALU_DEP_2) | instskip(NEXT) | instid1(VALU_DEP_1)
	v_cvt_f32_i32_e32 v0, v0
	v_fmac_f32_e32 v136, v1, v0
	v_mul_i32_i24_e32 v0, v15, v204
	v_mul_i32_i24_e32 v1, v90, v158
	s_delay_alu instid0(VALU_DEP_2) | instskip(NEXT) | instid1(VALU_DEP_2)
	v_mad_i32_i24 v0, v16, v205, v0
	v_mad_i32_i24 v1, v91, v157, v1
	s_delay_alu instid0(VALU_DEP_2) | instskip(NEXT) | instid1(VALU_DEP_2)
	v_dot4_i32_iu8 v0, v26, v207, v0 neg_lo:[1,1,0]
	v_dot4_i32_iu8 v1, v4, v154, v1 neg_lo:[1,1,0]
	s_delay_alu instid0(VALU_DEP_2) | instskip(NEXT) | instid1(VALU_DEP_2)
	v_mad_i32_i24 v0, v32, v209, v0
	v_mad_i32_i24 v1, v95, v153, v1
	s_delay_alu instid0(VALU_DEP_2) | instskip(NEXT) | instid1(VALU_DEP_2)
	v_dot4_i32_iu8 v0, v18, v210, v0 neg_lo:[1,1,0]
	v_dot4_i32_iu8 v1, v5, v152, v1 neg_lo:[1,1,0]
	;; [unrolled: 6-line block ×4, first 2 shown]
	s_delay_alu instid0(VALU_DEP_2) | instskip(NEXT) | instid1(VALU_DEP_1)
	v_mul_lo_u32 v0, v0, v213
	v_mad_co_u64_u32 v[0:1], null, v1, v147, v[0:1]
	v_mul_f32_e32 v1, v146, v8
	s_delay_alu instid0(VALU_DEP_2) | instskip(NEXT) | instid1(VALU_DEP_1)
	v_cvt_f32_i32_e32 v0, v0
	v_fmac_f32_e32 v140, v1, v0
	v_or_b32_e32 v0, s17, v71
	s_delay_alu instid0(VALU_DEP_1)
	v_lshlrev_b32_e32 v4, 2, v0
	v_lshrrev_b32_e32 v0, 1, v0
	ds_load_b32 v8, v0 offset:38816
	ds_load_b128 v[0:3], v4 offset:25344
	ds_load_b128 v[4:7], v4 offset:25360
	s_wait_dscnt 0x1
	v_bfe_i32 v15, v0, 0, 8
	v_bfe_i32 v16, v0, 8, 8
	;; [unrolled: 1-line block ×3, first 2 shown]
	v_ashrrev_i32_e32 v26, 24, v0
	v_bfe_i32 v32, v1, 0, 8
	v_mul_i32_i24_e32 v252, v159, v15
	v_bfe_i32 v37, v1, 8, 8
	v_mul_i32_i24_e32 v18, v160, v18
	v_mul_i32_i24_e32 v26, v161, v26
	v_bfe_i32 v38, v1, 16, 8
	v_mad_i32_i24 v252, v162, v16, v252
	v_ashrrev_i32_e32 v39, 24, v1
	v_mul_i32_i24_e32 v37, v166, v37
	v_bfe_i32 v46, v2, 0, 8
	v_bfe_i32 v48, v2, 8, 8
	v_add3_u32 v18, v252, v18, v26
	v_mul_i32_i24_e32 v26, v167, v32
	v_mul_i32_i24_e32 v38, v165, v38
	;; [unrolled: 1-line block ×3, first 2 shown]
	v_bfe_i32 v52, v2, 16, 8
	v_ashrrev_i32_e32 v55, 24, v2
	v_add3_u32 v18, v18, v26, v37
	v_mul_i32_i24_e32 v252, v181, v46
	v_mul_i32_i24_e32 v48, v180, v48
	v_bfe_i32 v85, v3, 0, 8
	v_bfe_i32 v86, v3, 8, 8
	v_add3_u32 v18, v18, v38, v39
	v_mul_i32_i24_e32 v52, v179, v52
	v_mul_i32_i24_e32 v55, v176, v55
	v_bfe_i32 v87, v3, 16, 8
	v_ashrrev_i32_e32 v88, 24, v3
	v_add3_u32 v18, v18, v252, v48
	v_mul_i32_i24_e32 v253, v185, v85
	v_mul_i32_i24_e32 v86, v184, v86
	;; [unrolled: 1-line block ×4, first 2 shown]
	v_add3_u32 v18, v18, v52, v55
	s_wait_dscnt 0x0
	v_bfe_i32 v90, v4, 0, 8
	v_bfe_i32 v91, v4, 8, 8
	;; [unrolled: 1-line block ×3, first 2 shown]
	v_ashrrev_i32_e32 v94, 24, v4
	v_add3_u32 v18, v18, v253, v86
	v_bfe_i32 v95, v5, 0, 8
	v_bfe_i32 v96, v5, 8, 8
	v_mul_i32_i24_e32 v26, v187, v92
	v_mul_i32_i24_e32 v38, v188, v94
	v_add3_u32 v18, v18, v87, v88
	v_bfe_i32 v98, v5, 16, 8
	v_ashrrev_i32_e32 v100, 24, v5
	v_bfe_i32 v244, v6, 0, 8
	v_bfe_i32 v245, v6, 8, 8
	v_mul_lo_u32 v37, v18, v203
	v_mul_i32_i24_e32 v18, v186, v90
	v_mul_i32_i24_e32 v39, v191, v98
	;; [unrolled: 1-line block ×3, first 2 shown]
	v_bfe_i32 v246, v6, 16, 8
	v_ashrrev_i32_e32 v247, 24, v6
	v_mad_i32_i24 v18, v189, v91, v18
	v_mul_i32_i24_e32 v52, v197, v244
	v_mul_i32_i24_e32 v55, v196, v245
	v_bfe_i32 v248, v7, 0, 8
	v_bfe_i32 v249, v7, 8, 8
	v_add3_u32 v18, v18, v26, v38
	v_mul_i32_i24_e32 v26, v193, v95
	v_mul_i32_i24_e32 v38, v192, v96
	v_mul_i32_i24_e32 v86, v195, v246
	v_mul_i32_i24_e32 v87, v194, v247
	v_bfe_i32 v250, v7, 16, 8
	v_ashrrev_i32_e32 v251, 24, v7
	v_add3_u32 v18, v18, v26, v38
	v_mul_i32_i24_e32 v88, v201, v248
	v_mul_i32_i24_e32 v92, v200, v249
	;; [unrolled: 1-line block ×4, first 2 shown]
	v_add3_u32 v18, v18, v39, v48
	v_perm_b32 v4, v4, v4, 0xc0c0302
	v_perm_b32 v5, v5, v5, 0xc030201
	;; [unrolled: 1-line block ×4, first 2 shown]
	v_add3_u32 v18, v18, v52, v55
	v_perm_b32 v3, v3, v3, 0xc030201
	v_perm_b32 v7, v7, v7, 0xc030201
	s_delay_alu instid0(VALU_DEP_3) | instskip(NEXT) | instid1(VALU_DEP_1)
	v_add3_u32 v18, v18, v86, v87
	v_add3_u32 v18, v18, v88, v92
	s_delay_alu instid0(VALU_DEP_1) | instskip(NEXT) | instid1(VALU_DEP_1)
	v_add3_u32 v18, v18, v94, v96
	v_mad_co_u64_u32 v[37:38], null, v18, v202, v[37:38]
	v_mul_f32_e32 v18, v156, v8
	s_delay_alu instid0(VALU_DEP_2) | instskip(NEXT) | instid1(VALU_DEP_1)
	v_cvt_f32_i32_e32 v26, v37
	v_fmac_f32_e32 v113, v18, v26
	v_mul_i32_i24_e32 v18, v15, v214
	v_perm_b32 v26, v0, v0, 0xc0c0302
	s_delay_alu instid0(VALU_DEP_2) | instskip(NEXT) | instid1(VALU_DEP_1)
	v_mad_i32_i24 v18, v16, v215, v18
	v_dot4_i32_iu8 v0, v26, v242, v18 neg_lo:[1,1,0]
	v_perm_b32 v18, v1, v1, 0xc030201
	v_mul_i32_i24_e32 v1, v90, v240
	s_delay_alu instid0(VALU_DEP_3) | instskip(NEXT) | instid1(VALU_DEP_2)
	v_mad_i32_i24 v0, v32, v243, v0
	v_mad_i32_i24 v1, v91, v241, v1
	s_delay_alu instid0(VALU_DEP_2) | instskip(NEXT) | instid1(VALU_DEP_2)
	v_dot4_i32_iu8 v0, v18, v236, v0 neg_lo:[1,1,0]
	v_dot4_i32_iu8 v1, v4, v222, v1 neg_lo:[1,1,0]
	s_delay_alu instid0(VALU_DEP_2) | instskip(NEXT) | instid1(VALU_DEP_2)
	v_mad_i32_i24 v0, v46, v235, v0
	v_mad_i32_i24 v1, v95, v223, v1
	s_delay_alu instid0(VALU_DEP_2) | instskip(NEXT) | instid1(VALU_DEP_2)
	v_dot4_i32_iu8 v0, v2, v237, v0 neg_lo:[1,1,0]
	v_dot4_i32_iu8 v1, v5, v218, v1 neg_lo:[1,1,0]
	s_delay_alu instid0(VALU_DEP_2) | instskip(NEXT) | instid1(VALU_DEP_2)
	;; [unrolled: 6-line block ×3, first 2 shown]
	v_mul_lo_u32 v0, v0, v239
	v_mad_i32_i24 v1, v248, v216, v1
	s_delay_alu instid0(VALU_DEP_1) | instskip(NEXT) | instid1(VALU_DEP_1)
	v_dot4_i32_iu8 v1, v7, v220, v1 neg_lo:[1,1,0]
	v_mad_co_u64_u32 v[0:1], null, v1, v221, v[0:1]
	v_mul_f32_e32 v1, v155, v8
	s_delay_alu instid0(VALU_DEP_2) | instskip(NEXT) | instid1(VALU_DEP_1)
	v_cvt_f32_i32_e32 v0, v0
	v_fmac_f32_e32 v127, v1, v0
	v_mul_i32_i24_e32 v0, v15, v224
	v_mul_i32_i24_e32 v1, v90, v168
	s_delay_alu instid0(VALU_DEP_2) | instskip(NEXT) | instid1(VALU_DEP_2)
	v_mad_i32_i24 v0, v16, v225, v0
	v_mad_i32_i24 v1, v91, v169, v1
	s_delay_alu instid0(VALU_DEP_2) | instskip(NEXT) | instid1(VALU_DEP_2)
	v_dot4_i32_iu8 v0, v26, v227, v0 neg_lo:[1,1,0]
	v_dot4_i32_iu8 v1, v4, v171, v1 neg_lo:[1,1,0]
	s_delay_alu instid0(VALU_DEP_2) | instskip(NEXT) | instid1(VALU_DEP_2)
	v_mad_i32_i24 v0, v32, v229, v0
	v_mad_i32_i24 v1, v95, v173, v1
	s_delay_alu instid0(VALU_DEP_2) | instskip(NEXT) | instid1(VALU_DEP_2)
	v_dot4_i32_iu8 v0, v18, v230, v0 neg_lo:[1,1,0]
	v_dot4_i32_iu8 v1, v5, v174, v1 neg_lo:[1,1,0]
	;; [unrolled: 6-line block ×4, first 2 shown]
	s_delay_alu instid0(VALU_DEP_2) | instskip(NEXT) | instid1(VALU_DEP_1)
	v_mul_lo_u32 v0, v0, v233
	v_mad_co_u64_u32 v[0:1], null, v1, v178, v[0:1]
	v_mul_f32_e32 v1, v163, v8
	s_delay_alu instid0(VALU_DEP_2) | instskip(NEXT) | instid1(VALU_DEP_1)
	v_cvt_f32_i32_e32 v0, v0
	v_fmac_f32_e32 v134, v1, v0
	v_mul_i32_i24_e32 v0, v15, v204
	v_mul_i32_i24_e32 v1, v90, v158
	s_delay_alu instid0(VALU_DEP_2) | instskip(NEXT) | instid1(VALU_DEP_2)
	v_mad_i32_i24 v0, v16, v205, v0
	v_mad_i32_i24 v1, v91, v157, v1
	s_delay_alu instid0(VALU_DEP_2) | instskip(NEXT) | instid1(VALU_DEP_2)
	v_dot4_i32_iu8 v0, v26, v207, v0 neg_lo:[1,1,0]
	v_dot4_i32_iu8 v1, v4, v154, v1 neg_lo:[1,1,0]
	s_delay_alu instid0(VALU_DEP_2) | instskip(NEXT) | instid1(VALU_DEP_2)
	v_mad_i32_i24 v0, v32, v209, v0
	v_mad_i32_i24 v1, v95, v153, v1
	s_delay_alu instid0(VALU_DEP_2) | instskip(NEXT) | instid1(VALU_DEP_2)
	v_dot4_i32_iu8 v0, v18, v210, v0 neg_lo:[1,1,0]
	v_dot4_i32_iu8 v1, v5, v152, v1 neg_lo:[1,1,0]
	;; [unrolled: 6-line block ×4, first 2 shown]
	s_delay_alu instid0(VALU_DEP_2) | instskip(NEXT) | instid1(VALU_DEP_1)
	v_mul_lo_u32 v0, v0, v213
	v_mad_co_u64_u32 v[0:1], null, v1, v147, v[0:1]
	v_mul_f32_e32 v1, v146, v8
	s_delay_alu instid0(VALU_DEP_2) | instskip(NEXT) | instid1(VALU_DEP_1)
	v_cvt_f32_i32_e32 v0, v0
	v_fmac_f32_e32 v139, v1, v0
	v_or_b32_e32 v0, s17, v72
	s_delay_alu instid0(VALU_DEP_1)
	v_lshlrev_b32_e32 v4, 2, v0
	v_lshrrev_b32_e32 v0, 1, v0
	ds_load_b32 v8, v0 offset:38816
	ds_load_b128 v[0:3], v4 offset:25344
	ds_load_b128 v[4:7], v4 offset:25360
	s_wait_dscnt 0x1
	v_bfe_i32 v15, v0, 0, 8
	v_bfe_i32 v16, v0, 8, 8
	;; [unrolled: 1-line block ×3, first 2 shown]
	v_ashrrev_i32_e32 v26, 24, v0
	v_bfe_i32 v32, v1, 0, 8
	v_mul_i32_i24_e32 v252, v159, v15
	v_bfe_i32 v37, v1, 8, 8
	v_mul_i32_i24_e32 v18, v160, v18
	v_mul_i32_i24_e32 v26, v161, v26
	v_bfe_i32 v38, v1, 16, 8
	v_mad_i32_i24 v252, v162, v16, v252
	v_ashrrev_i32_e32 v39, 24, v1
	v_mul_i32_i24_e32 v37, v166, v37
	v_bfe_i32 v46, v2, 0, 8
	v_bfe_i32 v48, v2, 8, 8
	v_add3_u32 v18, v252, v18, v26
	v_mul_i32_i24_e32 v26, v167, v32
	v_mul_i32_i24_e32 v38, v165, v38
	;; [unrolled: 1-line block ×3, first 2 shown]
	v_bfe_i32 v52, v2, 16, 8
	v_ashrrev_i32_e32 v55, 24, v2
	v_add3_u32 v18, v18, v26, v37
	v_mul_i32_i24_e32 v252, v181, v46
	v_mul_i32_i24_e32 v48, v180, v48
	v_bfe_i32 v85, v3, 0, 8
	v_bfe_i32 v86, v3, 8, 8
	v_add3_u32 v18, v18, v38, v39
	v_mul_i32_i24_e32 v52, v179, v52
	v_mul_i32_i24_e32 v55, v176, v55
	v_bfe_i32 v87, v3, 16, 8
	v_ashrrev_i32_e32 v88, 24, v3
	v_add3_u32 v18, v18, v252, v48
	v_mul_i32_i24_e32 v253, v185, v85
	v_mul_i32_i24_e32 v86, v184, v86
	;; [unrolled: 1-line block ×4, first 2 shown]
	v_add3_u32 v18, v18, v52, v55
	s_wait_dscnt 0x0
	v_bfe_i32 v90, v4, 0, 8
	v_bfe_i32 v91, v4, 8, 8
	;; [unrolled: 1-line block ×3, first 2 shown]
	v_ashrrev_i32_e32 v94, 24, v4
	v_add3_u32 v18, v18, v253, v86
	v_bfe_i32 v95, v5, 0, 8
	v_bfe_i32 v96, v5, 8, 8
	v_mul_i32_i24_e32 v26, v187, v92
	v_mul_i32_i24_e32 v38, v188, v94
	v_add3_u32 v18, v18, v87, v88
	v_bfe_i32 v98, v5, 16, 8
	v_ashrrev_i32_e32 v100, 24, v5
	v_bfe_i32 v244, v6, 0, 8
	v_bfe_i32 v245, v6, 8, 8
	v_mul_lo_u32 v37, v18, v203
	v_mul_i32_i24_e32 v18, v186, v90
	v_mul_i32_i24_e32 v39, v191, v98
	;; [unrolled: 1-line block ×3, first 2 shown]
	v_bfe_i32 v246, v6, 16, 8
	v_ashrrev_i32_e32 v247, 24, v6
	v_mad_i32_i24 v18, v189, v91, v18
	v_mul_i32_i24_e32 v52, v197, v244
	v_mul_i32_i24_e32 v55, v196, v245
	v_bfe_i32 v248, v7, 0, 8
	v_bfe_i32 v249, v7, 8, 8
	v_add3_u32 v18, v18, v26, v38
	v_mul_i32_i24_e32 v26, v193, v95
	v_mul_i32_i24_e32 v38, v192, v96
	;; [unrolled: 1-line block ×4, first 2 shown]
	v_bfe_i32 v250, v7, 16, 8
	v_ashrrev_i32_e32 v251, 24, v7
	v_add3_u32 v18, v18, v26, v38
	v_mul_i32_i24_e32 v88, v201, v248
	v_mul_i32_i24_e32 v92, v200, v249
	;; [unrolled: 1-line block ×4, first 2 shown]
	v_add3_u32 v18, v18, v39, v48
	v_perm_b32 v4, v4, v4, 0xc0c0302
	v_perm_b32 v5, v5, v5, 0xc030201
	;; [unrolled: 1-line block ×4, first 2 shown]
	v_add3_u32 v18, v18, v52, v55
	v_perm_b32 v3, v3, v3, 0xc030201
	v_perm_b32 v7, v7, v7, 0xc030201
	s_delay_alu instid0(VALU_DEP_3) | instskip(NEXT) | instid1(VALU_DEP_1)
	v_add3_u32 v18, v18, v86, v87
	v_add3_u32 v18, v18, v88, v92
	s_delay_alu instid0(VALU_DEP_1) | instskip(NEXT) | instid1(VALU_DEP_1)
	v_add3_u32 v18, v18, v94, v96
	v_mad_co_u64_u32 v[37:38], null, v18, v202, v[37:38]
	v_mul_f32_e32 v18, v156, v8
	s_delay_alu instid0(VALU_DEP_2) | instskip(NEXT) | instid1(VALU_DEP_1)
	v_cvt_f32_i32_e32 v26, v37
	v_fmac_f32_e32 v107, v18, v26
	v_mul_i32_i24_e32 v18, v15, v214
	v_perm_b32 v26, v0, v0, 0xc0c0302
	s_delay_alu instid0(VALU_DEP_2) | instskip(NEXT) | instid1(VALU_DEP_1)
	v_mad_i32_i24 v18, v16, v215, v18
	v_dot4_i32_iu8 v0, v26, v242, v18 neg_lo:[1,1,0]
	v_perm_b32 v18, v1, v1, 0xc030201
	v_mul_i32_i24_e32 v1, v90, v240
	s_delay_alu instid0(VALU_DEP_3) | instskip(NEXT) | instid1(VALU_DEP_2)
	v_mad_i32_i24 v0, v32, v243, v0
	v_mad_i32_i24 v1, v91, v241, v1
	s_delay_alu instid0(VALU_DEP_2) | instskip(NEXT) | instid1(VALU_DEP_2)
	v_dot4_i32_iu8 v0, v18, v236, v0 neg_lo:[1,1,0]
	v_dot4_i32_iu8 v1, v4, v222, v1 neg_lo:[1,1,0]
	s_delay_alu instid0(VALU_DEP_2) | instskip(NEXT) | instid1(VALU_DEP_2)
	v_mad_i32_i24 v0, v46, v235, v0
	v_mad_i32_i24 v1, v95, v223, v1
	s_delay_alu instid0(VALU_DEP_2) | instskip(NEXT) | instid1(VALU_DEP_2)
	v_dot4_i32_iu8 v0, v2, v237, v0 neg_lo:[1,1,0]
	v_dot4_i32_iu8 v1, v5, v218, v1 neg_lo:[1,1,0]
	s_delay_alu instid0(VALU_DEP_2) | instskip(NEXT) | instid1(VALU_DEP_2)
	;; [unrolled: 6-line block ×3, first 2 shown]
	v_mul_lo_u32 v0, v0, v239
	v_mad_i32_i24 v1, v248, v216, v1
	s_delay_alu instid0(VALU_DEP_1) | instskip(NEXT) | instid1(VALU_DEP_1)
	v_dot4_i32_iu8 v1, v7, v220, v1 neg_lo:[1,1,0]
	v_mad_co_u64_u32 v[0:1], null, v1, v221, v[0:1]
	v_mul_f32_e32 v1, v155, v8
	s_delay_alu instid0(VALU_DEP_2) | instskip(NEXT) | instid1(VALU_DEP_1)
	v_cvt_f32_i32_e32 v0, v0
	v_fmac_f32_e32 v121, v1, v0
	v_mul_i32_i24_e32 v0, v15, v224
	v_mul_i32_i24_e32 v1, v90, v168
	s_delay_alu instid0(VALU_DEP_2) | instskip(NEXT) | instid1(VALU_DEP_2)
	v_mad_i32_i24 v0, v16, v225, v0
	v_mad_i32_i24 v1, v91, v169, v1
	s_delay_alu instid0(VALU_DEP_2) | instskip(NEXT) | instid1(VALU_DEP_2)
	v_dot4_i32_iu8 v0, v26, v227, v0 neg_lo:[1,1,0]
	v_dot4_i32_iu8 v1, v4, v171, v1 neg_lo:[1,1,0]
	s_delay_alu instid0(VALU_DEP_2) | instskip(NEXT) | instid1(VALU_DEP_2)
	v_mad_i32_i24 v0, v32, v229, v0
	v_mad_i32_i24 v1, v95, v173, v1
	s_delay_alu instid0(VALU_DEP_2) | instskip(NEXT) | instid1(VALU_DEP_2)
	v_dot4_i32_iu8 v0, v18, v230, v0 neg_lo:[1,1,0]
	v_dot4_i32_iu8 v1, v5, v174, v1 neg_lo:[1,1,0]
	;; [unrolled: 6-line block ×4, first 2 shown]
	s_delay_alu instid0(VALU_DEP_2) | instskip(NEXT) | instid1(VALU_DEP_1)
	v_mul_lo_u32 v0, v0, v233
	v_mad_co_u64_u32 v[0:1], null, v1, v178, v[0:1]
	v_mul_f32_e32 v1, v163, v8
	s_delay_alu instid0(VALU_DEP_2) | instskip(NEXT) | instid1(VALU_DEP_1)
	v_cvt_f32_i32_e32 v0, v0
	v_fmac_f32_e32 v131, v1, v0
	v_mul_i32_i24_e32 v0, v15, v204
	v_mul_i32_i24_e32 v1, v90, v158
	s_delay_alu instid0(VALU_DEP_2) | instskip(NEXT) | instid1(VALU_DEP_2)
	v_mad_i32_i24 v0, v16, v205, v0
	v_mad_i32_i24 v1, v91, v157, v1
	s_delay_alu instid0(VALU_DEP_2) | instskip(NEXT) | instid1(VALU_DEP_2)
	v_dot4_i32_iu8 v0, v26, v207, v0 neg_lo:[1,1,0]
	v_dot4_i32_iu8 v1, v4, v154, v1 neg_lo:[1,1,0]
	s_delay_alu instid0(VALU_DEP_2) | instskip(NEXT) | instid1(VALU_DEP_2)
	v_mad_i32_i24 v0, v32, v209, v0
	v_mad_i32_i24 v1, v95, v153, v1
	s_delay_alu instid0(VALU_DEP_2) | instskip(NEXT) | instid1(VALU_DEP_2)
	v_dot4_i32_iu8 v0, v18, v210, v0 neg_lo:[1,1,0]
	v_dot4_i32_iu8 v1, v5, v152, v1 neg_lo:[1,1,0]
	;; [unrolled: 6-line block ×4, first 2 shown]
	s_delay_alu instid0(VALU_DEP_2) | instskip(NEXT) | instid1(VALU_DEP_1)
	v_mul_lo_u32 v0, v0, v213
	v_mad_co_u64_u32 v[0:1], null, v1, v147, v[0:1]
	v_mul_f32_e32 v1, v146, v8
	s_delay_alu instid0(VALU_DEP_2) | instskip(NEXT) | instid1(VALU_DEP_1)
	v_cvt_f32_i32_e32 v0, v0
	v_fmac_f32_e32 v137, v1, v0
	v_or_b32_e32 v0, s17, v73
	s_delay_alu instid0(VALU_DEP_1)
	v_lshlrev_b32_e32 v1, 2, v0
	v_lshrrev_b32_e32 v0, 1, v0
	ds_load_b32 v244, v0 offset:38816
	ds_load_b128 v[4:7], v1 offset:25344
	ds_load_b128 v[0:3], v1 offset:25360
	s_wait_dscnt 0x1
	v_bfe_i32 v245, v4, 0, 8
	v_bfe_i32 v246, v4, 8, 8
	;; [unrolled: 1-line block ×3, first 2 shown]
	v_ashrrev_i32_e32 v15, 24, v4
	v_bfe_i32 v247, v5, 0, 8
	v_mul_i32_i24_e32 v96, v159, v245
	v_bfe_i32 v16, v5, 8, 8
	v_mul_i32_i24_e32 v8, v160, v8
	v_mul_i32_i24_e32 v15, v161, v15
	v_bfe_i32 v18, v5, 16, 8
	v_mad_i32_i24 v96, v162, v246, v96
	v_ashrrev_i32_e32 v26, 24, v5
	v_mul_i32_i24_e32 v16, v166, v16
	v_bfe_i32 v248, v6, 0, 8
	v_bfe_i32 v32, v6, 8, 8
	v_add3_u32 v8, v96, v8, v15
	v_mul_i32_i24_e32 v15, v167, v247
	v_mul_i32_i24_e32 v18, v165, v18
	;; [unrolled: 1-line block ×3, first 2 shown]
	v_bfe_i32 v37, v6, 16, 8
	v_ashrrev_i32_e32 v38, 24, v6
	v_add3_u32 v8, v8, v15, v16
	v_mul_i32_i24_e32 v96, v181, v248
	v_mul_i32_i24_e32 v32, v180, v32
	v_bfe_i32 v249, v7, 0, 8
	v_bfe_i32 v39, v7, 8, 8
	v_add3_u32 v8, v8, v18, v26
	v_mul_i32_i24_e32 v37, v179, v37
	v_mul_i32_i24_e32 v38, v176, v38
	v_bfe_i32 v46, v7, 16, 8
	v_ashrrev_i32_e32 v48, 24, v7
	v_add3_u32 v8, v8, v96, v32
	v_mul_i32_i24_e32 v98, v185, v249
	v_mul_i32_i24_e32 v39, v184, v39
	;; [unrolled: 1-line block ×4, first 2 shown]
	v_add3_u32 v8, v8, v37, v38
	s_wait_dscnt 0x0
	v_bfe_i32 v250, v0, 0, 8
	v_bfe_i32 v251, v0, 8, 8
	;; [unrolled: 1-line block ×3, first 2 shown]
	v_ashrrev_i32_e32 v55, 24, v0
	v_add3_u32 v8, v8, v98, v39
	v_bfe_i32 v252, v1, 0, 8
	v_bfe_i32 v85, v1, 8, 8
	v_mul_i32_i24_e32 v15, v187, v52
	v_mul_i32_i24_e32 v16, v188, v55
	v_add3_u32 v8, v8, v46, v48
	v_bfe_i32 v86, v1, 16, 8
	v_ashrrev_i32_e32 v87, 24, v1
	v_bfe_i32 v253, v2, 0, 8
	v_bfe_i32 v88, v2, 8, 8
	v_mul_lo_u32 v37, v8, v203
	v_mul_i32_i24_e32 v8, v186, v250
	v_mul_i32_i24_e32 v18, v191, v86
	;; [unrolled: 1-line block ×3, first 2 shown]
	v_bfe_i32 v90, v2, 16, 8
	v_ashrrev_i32_e32 v91, 24, v2
	v_mad_i32_i24 v8, v189, v251, v8
	v_mul_i32_i24_e32 v32, v197, v253
	v_mul_i32_i24_e32 v38, v196, v88
	v_bfe_i32 v254, v3, 0, 8
	v_bfe_i32 v92, v3, 8, 8
	v_add3_u32 v8, v8, v15, v16
	v_mul_i32_i24_e32 v15, v193, v252
	v_mul_i32_i24_e32 v16, v192, v85
	v_mul_i32_i24_e32 v39, v195, v90
	v_mul_i32_i24_e32 v46, v194, v91
	v_bfe_i32 v94, v3, 16, 8
	v_ashrrev_i32_e32 v95, 24, v3
	v_add3_u32 v8, v8, v15, v16
	v_mul_i32_i24_e32 v48, v201, v254
	v_mul_i32_i24_e32 v52, v200, v92
	;; [unrolled: 1-line block ×4, first 2 shown]
	v_add3_u32 v8, v8, v18, v26
	v_perm_b32 v16, v0, v0, 0xc0c0302
	v_perm_b32 v5, v5, v5, 0xc030201
	;; [unrolled: 1-line block ×4, first 2 shown]
	v_add3_u32 v8, v8, v32, v38
	v_perm_b32 v7, v7, v7, 0xc030201
	v_perm_b32 v3, v3, v3, 0xc030201
	s_delay_alu instid0(VALU_DEP_3) | instskip(NEXT) | instid1(VALU_DEP_1)
	v_add3_u32 v8, v8, v39, v46
	v_add3_u32 v8, v8, v48, v52
	s_delay_alu instid0(VALU_DEP_1) | instskip(NEXT) | instid1(VALU_DEP_1)
	v_add3_u32 v8, v8, v55, v85
	v_mad_co_u64_u32 v[37:38], null, v8, v202, v[37:38]
	v_mul_f32_e32 v8, v156, v244
	s_delay_alu instid0(VALU_DEP_2) | instskip(NEXT) | instid1(VALU_DEP_1)
	v_cvt_f32_i32_e32 v15, v37
	v_fmac_f32_e32 v102, v8, v15
	v_mul_i32_i24_e32 v8, v245, v214
	v_perm_b32 v15, v4, v4, 0xc0c0302
	s_delay_alu instid0(VALU_DEP_2) | instskip(NEXT) | instid1(VALU_DEP_1)
	v_mad_i32_i24 v8, v246, v215, v8
	v_dot4_i32_iu8 v4, v15, v242, v8 neg_lo:[1,1,0]
	v_mul_i32_i24_e32 v8, v250, v240
	s_delay_alu instid0(VALU_DEP_2) | instskip(NEXT) | instid1(VALU_DEP_2)
	v_mad_i32_i24 v4, v247, v243, v4
	v_mad_i32_i24 v8, v251, v241, v8
	s_delay_alu instid0(VALU_DEP_2) | instskip(NEXT) | instid1(VALU_DEP_2)
	v_dot4_i32_iu8 v4, v5, v236, v4 neg_lo:[1,1,0]
	v_dot4_i32_iu8 v0, v16, v222, v8 neg_lo:[1,1,0]
	v_perm_b32 v8, v1, v1, 0xc030201
	s_delay_alu instid0(VALU_DEP_3) | instskip(NEXT) | instid1(VALU_DEP_3)
	v_mad_i32_i24 v4, v248, v235, v4
	v_mad_i32_i24 v0, v252, v223, v0
	s_delay_alu instid0(VALU_DEP_2) | instskip(NEXT) | instid1(VALU_DEP_2)
	v_dot4_i32_iu8 v4, v6, v237, v4 neg_lo:[1,1,0]
	v_dot4_i32_iu8 v0, v8, v218, v0 neg_lo:[1,1,0]
	s_delay_alu instid0(VALU_DEP_2) | instskip(NEXT) | instid1(VALU_DEP_2)
	v_mad_i32_i24 v4, v249, v234, v4
	v_mad_i32_i24 v0, v253, v217, v0
	s_delay_alu instid0(VALU_DEP_2) | instskip(NEXT) | instid1(VALU_DEP_2)
	v_dot4_i32_iu8 v4, v7, v238, v4 neg_lo:[1,1,0]
	v_dot4_i32_iu8 v0, v2, v219, v0 neg_lo:[1,1,0]
	s_delay_alu instid0(VALU_DEP_2) | instskip(NEXT) | instid1(VALU_DEP_2)
	v_mul_lo_u32 v4, v4, v239
	v_mad_i32_i24 v0, v254, v216, v0
	s_delay_alu instid0(VALU_DEP_1) | instskip(NEXT) | instid1(VALU_DEP_1)
	v_dot4_i32_iu8 v0, v3, v220, v0 neg_lo:[1,1,0]
	v_mad_co_u64_u32 v[0:1], null, v0, v221, v[4:5]
	v_mul_f32_e32 v1, v155, v244
	s_delay_alu instid0(VALU_DEP_2) | instskip(NEXT) | instid1(VALU_DEP_1)
	v_cvt_f32_i32_e32 v0, v0
	v_fmac_f32_e32 v115, v1, v0
	v_mul_i32_i24_e32 v0, v245, v224
	v_mul_i32_i24_e32 v1, v250, v168
	s_delay_alu instid0(VALU_DEP_2) | instskip(NEXT) | instid1(VALU_DEP_2)
	v_mad_i32_i24 v0, v246, v225, v0
	v_mad_i32_i24 v1, v251, v169, v1
	s_delay_alu instid0(VALU_DEP_2) | instskip(NEXT) | instid1(VALU_DEP_2)
	v_dot4_i32_iu8 v0, v15, v227, v0 neg_lo:[1,1,0]
	v_dot4_i32_iu8 v1, v16, v171, v1 neg_lo:[1,1,0]
	s_delay_alu instid0(VALU_DEP_2) | instskip(NEXT) | instid1(VALU_DEP_2)
	v_mad_i32_i24 v0, v247, v229, v0
	v_mad_i32_i24 v1, v252, v173, v1
	s_delay_alu instid0(VALU_DEP_2) | instskip(NEXT) | instid1(VALU_DEP_2)
	v_dot4_i32_iu8 v0, v5, v230, v0 neg_lo:[1,1,0]
	v_dot4_i32_iu8 v1, v8, v174, v1 neg_lo:[1,1,0]
	;; [unrolled: 6-line block ×4, first 2 shown]
	s_delay_alu instid0(VALU_DEP_2) | instskip(NEXT) | instid1(VALU_DEP_1)
	v_mul_lo_u32 v0, v0, v233
	v_mad_co_u64_u32 v[0:1], null, v1, v178, v[0:1]
	v_mul_f32_e32 v1, v163, v244
	s_delay_alu instid0(VALU_DEP_2) | instskip(NEXT) | instid1(VALU_DEP_1)
	v_cvt_f32_i32_e32 v0, v0
	v_fmac_f32_e32 v128, v1, v0
	v_mul_i32_i24_e32 v0, v245, v204
	v_mul_i32_i24_e32 v1, v250, v158
	s_delay_alu instid0(VALU_DEP_2) | instskip(NEXT) | instid1(VALU_DEP_2)
	v_mad_i32_i24 v0, v246, v205, v0
	v_mad_i32_i24 v1, v251, v157, v1
	s_delay_alu instid0(VALU_DEP_2) | instskip(NEXT) | instid1(VALU_DEP_2)
	v_dot4_i32_iu8 v0, v15, v207, v0 neg_lo:[1,1,0]
	v_dot4_i32_iu8 v1, v16, v154, v1 neg_lo:[1,1,0]
	s_delay_alu instid0(VALU_DEP_2) | instskip(NEXT) | instid1(VALU_DEP_2)
	v_mad_i32_i24 v0, v247, v209, v0
	v_mad_i32_i24 v1, v252, v153, v1
	s_delay_alu instid0(VALU_DEP_2) | instskip(NEXT) | instid1(VALU_DEP_2)
	v_dot4_i32_iu8 v0, v5, v210, v0 neg_lo:[1,1,0]
	v_dot4_i32_iu8 v1, v8, v152, v1 neg_lo:[1,1,0]
	;; [unrolled: 6-line block ×4, first 2 shown]
	s_delay_alu instid0(VALU_DEP_2) | instskip(NEXT) | instid1(VALU_DEP_1)
	v_mul_lo_u32 v0, v0, v213
	v_mad_co_u64_u32 v[0:1], null, v1, v147, v[0:1]
	v_mul_f32_e32 v1, v146, v244
	s_delay_alu instid0(VALU_DEP_2) | instskip(NEXT) | instid1(VALU_DEP_1)
	v_cvt_f32_i32_e32 v0, v0
	v_fmac_f32_e32 v135, v1, v0
	v_or_b32_e32 v0, s17, v74
	s_delay_alu instid0(VALU_DEP_1)
	v_lshlrev_b32_e32 v1, 2, v0
	v_lshrrev_b32_e32 v0, 1, v0
	ds_load_b32 v4, v0 offset:38816
	ds_load_b128 v[251:254], v1 offset:25344
	ds_load_b128 v[0:3], v1 offset:25360
	s_wait_dscnt 0x1
	v_bfe_i32 v5, v251, 0, 8
	v_bfe_i32 v6, v251, 8, 8
	;; [unrolled: 1-line block ×3, first 2 shown]
	v_ashrrev_i32_e32 v15, 24, v251
	v_bfe_i32 v7, v252, 0, 8
	v_mul_i32_i24_e32 v96, v159, v5
	v_bfe_i32 v16, v252, 8, 8
	v_mul_i32_i24_e32 v8, v160, v8
	v_mul_i32_i24_e32 v15, v161, v15
	v_bfe_i32 v18, v252, 16, 8
	v_mad_i32_i24 v96, v162, v6, v96
	v_ashrrev_i32_e32 v26, 24, v252
	v_mul_i32_i24_e32 v16, v166, v16
	v_bfe_i32 v244, v253, 0, 8
	v_bfe_i32 v32, v253, 8, 8
	v_add3_u32 v8, v96, v8, v15
	v_mul_i32_i24_e32 v15, v167, v7
	v_mul_i32_i24_e32 v18, v165, v18
	;; [unrolled: 1-line block ×3, first 2 shown]
	v_bfe_i32 v37, v253, 16, 8
	v_ashrrev_i32_e32 v38, 24, v253
	v_add3_u32 v8, v8, v15, v16
	v_mul_i32_i24_e32 v96, v181, v244
	v_mul_i32_i24_e32 v32, v180, v32
	v_bfe_i32 v245, v254, 0, 8
	v_bfe_i32 v39, v254, 8, 8
	v_add3_u32 v8, v8, v18, v26
	v_mul_i32_i24_e32 v37, v179, v37
	v_mul_i32_i24_e32 v38, v176, v38
	v_bfe_i32 v46, v254, 16, 8
	v_ashrrev_i32_e32 v48, 24, v254
	v_add3_u32 v8, v8, v96, v32
	v_mul_i32_i24_e32 v98, v185, v245
	v_mul_i32_i24_e32 v39, v184, v39
	;; [unrolled: 1-line block ×4, first 2 shown]
	v_add3_u32 v8, v8, v37, v38
	s_wait_dscnt 0x0
	v_bfe_i32 v246, v0, 0, 8
	v_bfe_i32 v247, v0, 8, 8
	;; [unrolled: 1-line block ×3, first 2 shown]
	v_ashrrev_i32_e32 v55, 24, v0
	v_add3_u32 v8, v8, v98, v39
	v_bfe_i32 v248, v1, 0, 8
	v_bfe_i32 v85, v1, 8, 8
	v_mul_i32_i24_e32 v15, v187, v52
	v_mul_i32_i24_e32 v16, v188, v55
	v_add3_u32 v8, v8, v46, v48
	v_bfe_i32 v86, v1, 16, 8
	v_ashrrev_i32_e32 v87, 24, v1
	v_bfe_i32 v249, v2, 0, 8
	v_bfe_i32 v88, v2, 8, 8
	v_mul_lo_u32 v37, v8, v203
	v_mul_i32_i24_e32 v8, v186, v246
	v_mul_i32_i24_e32 v18, v191, v86
	;; [unrolled: 1-line block ×3, first 2 shown]
	v_bfe_i32 v90, v2, 16, 8
	v_ashrrev_i32_e32 v91, 24, v2
	v_mad_i32_i24 v8, v189, v247, v8
	v_mul_i32_i24_e32 v32, v197, v249
	v_mul_i32_i24_e32 v38, v196, v88
	v_bfe_i32 v250, v3, 0, 8
	v_bfe_i32 v92, v3, 8, 8
	v_add3_u32 v8, v8, v15, v16
	v_mul_i32_i24_e32 v15, v193, v248
	v_mul_i32_i24_e32 v16, v192, v85
	;; [unrolled: 1-line block ×4, first 2 shown]
	v_bfe_i32 v94, v3, 16, 8
	v_ashrrev_i32_e32 v95, 24, v3
	v_add3_u32 v8, v8, v15, v16
	v_mul_i32_i24_e32 v48, v201, v250
	v_mul_i32_i24_e32 v52, v200, v92
	;; [unrolled: 1-line block ×4, first 2 shown]
	v_add3_u32 v8, v8, v18, v26
	v_perm_b32 v16, v252, v252, 0xc030201
	v_perm_b32 v18, v253, v253, 0xc030201
	;; [unrolled: 1-line block ×4, first 2 shown]
	v_add3_u32 v8, v8, v32, v38
	v_perm_b32 v32, v0, v0, 0xc0c0302
	v_perm_b32 v3, v3, v3, 0xc030201
	s_delay_alu instid0(VALU_DEP_3) | instskip(NEXT) | instid1(VALU_DEP_1)
	v_add3_u32 v8, v8, v39, v46
	v_add3_u32 v8, v8, v48, v52
	s_delay_alu instid0(VALU_DEP_1) | instskip(NEXT) | instid1(VALU_DEP_1)
	v_add3_u32 v8, v8, v55, v85
	v_mad_co_u64_u32 v[37:38], null, v8, v202, v[37:38]
	v_mul_f32_e32 v8, v156, v4
	s_delay_alu instid0(VALU_DEP_2) | instskip(NEXT) | instid1(VALU_DEP_1)
	v_cvt_f32_i32_e32 v15, v37
	v_fmac_f32_e32 v97, v8, v15
	v_mul_i32_i24_e32 v8, v5, v214
	v_perm_b32 v15, v251, v251, 0xc0c0302
	s_delay_alu instid0(VALU_DEP_2) | instskip(NEXT) | instid1(VALU_DEP_1)
	v_mad_i32_i24 v8, v6, v215, v8
	v_dot4_i32_iu8 v8, v15, v242, v8 neg_lo:[1,1,0]
	s_delay_alu instid0(VALU_DEP_1) | instskip(NEXT) | instid1(VALU_DEP_1)
	v_mad_i32_i24 v8, v7, v243, v8
	v_dot4_i32_iu8 v8, v16, v236, v8 neg_lo:[1,1,0]
	s_delay_alu instid0(VALU_DEP_1) | instskip(NEXT) | instid1(VALU_DEP_1)
	v_mad_i32_i24 v8, v244, v235, v8
	v_dot4_i32_iu8 v8, v18, v237, v8 neg_lo:[1,1,0]
	s_delay_alu instid0(VALU_DEP_1) | instskip(NEXT) | instid1(VALU_DEP_1)
	v_mad_i32_i24 v8, v245, v234, v8
	v_dot4_i32_iu8 v8, v26, v238, v8 neg_lo:[1,1,0]
	s_delay_alu instid0(VALU_DEP_1) | instskip(SKIP_1) | instid1(VALU_DEP_1)
	v_mul_lo_u32 v37, v8, v239
	v_mul_i32_i24_e32 v8, v246, v240
	v_mad_i32_i24 v8, v247, v241, v8
	s_delay_alu instid0(VALU_DEP_1) | instskip(SKIP_1) | instid1(VALU_DEP_2)
	v_dot4_i32_iu8 v0, v32, v222, v8 neg_lo:[1,1,0]
	v_perm_b32 v8, v1, v1, 0xc030201
	v_mad_i32_i24 v0, v248, v223, v0
	s_delay_alu instid0(VALU_DEP_1) | instskip(NEXT) | instid1(VALU_DEP_1)
	v_dot4_i32_iu8 v0, v8, v218, v0 neg_lo:[1,1,0]
	v_mad_i32_i24 v0, v249, v217, v0
	s_delay_alu instid0(VALU_DEP_1) | instskip(NEXT) | instid1(VALU_DEP_1)
	v_dot4_i32_iu8 v0, v2, v219, v0 neg_lo:[1,1,0]
	;; [unrolled: 3-line block ×3, first 2 shown]
	v_mad_co_u64_u32 v[0:1], null, v0, v221, v[37:38]
	v_mul_f32_e32 v1, v155, v4
	s_delay_alu instid0(VALU_DEP_2) | instskip(NEXT) | instid1(VALU_DEP_1)
	v_cvt_f32_i32_e32 v0, v0
	v_fmac_f32_e32 v109, v1, v0
	v_mul_i32_i24_e32 v0, v5, v224
	v_mul_i32_i24_e32 v1, v246, v168
	s_delay_alu instid0(VALU_DEP_2) | instskip(NEXT) | instid1(VALU_DEP_2)
	v_mad_i32_i24 v0, v6, v225, v0
	v_mad_i32_i24 v1, v247, v169, v1
	s_delay_alu instid0(VALU_DEP_2) | instskip(NEXT) | instid1(VALU_DEP_2)
	v_dot4_i32_iu8 v0, v15, v227, v0 neg_lo:[1,1,0]
	v_dot4_i32_iu8 v1, v32, v171, v1 neg_lo:[1,1,0]
	s_delay_alu instid0(VALU_DEP_2) | instskip(NEXT) | instid1(VALU_DEP_2)
	v_mad_i32_i24 v0, v7, v229, v0
	v_mad_i32_i24 v1, v248, v173, v1
	s_delay_alu instid0(VALU_DEP_2) | instskip(NEXT) | instid1(VALU_DEP_2)
	v_dot4_i32_iu8 v0, v16, v230, v0 neg_lo:[1,1,0]
	v_dot4_i32_iu8 v1, v8, v174, v1 neg_lo:[1,1,0]
	;; [unrolled: 6-line block ×4, first 2 shown]
	s_delay_alu instid0(VALU_DEP_2) | instskip(NEXT) | instid1(VALU_DEP_1)
	v_mul_lo_u32 v0, v0, v233
	v_mad_co_u64_u32 v[0:1], null, v1, v178, v[0:1]
	v_mul_f32_e32 v1, v163, v4
	s_delay_alu instid0(VALU_DEP_2) | instskip(NEXT) | instid1(VALU_DEP_1)
	v_cvt_f32_i32_e32 v0, v0
	v_fmac_f32_e32 v123, v1, v0
	v_mul_i32_i24_e32 v0, v5, v204
	v_mul_i32_i24_e32 v1, v246, v158
	s_delay_alu instid0(VALU_DEP_2) | instskip(NEXT) | instid1(VALU_DEP_2)
	v_mad_i32_i24 v0, v6, v205, v0
	v_mad_i32_i24 v1, v247, v157, v1
	s_delay_alu instid0(VALU_DEP_2) | instskip(NEXT) | instid1(VALU_DEP_2)
	v_dot4_i32_iu8 v0, v15, v207, v0 neg_lo:[1,1,0]
	v_dot4_i32_iu8 v1, v32, v154, v1 neg_lo:[1,1,0]
	s_delay_alu instid0(VALU_DEP_2) | instskip(NEXT) | instid1(VALU_DEP_2)
	v_mad_i32_i24 v0, v7, v209, v0
	v_mad_i32_i24 v1, v248, v153, v1
	s_delay_alu instid0(VALU_DEP_2) | instskip(NEXT) | instid1(VALU_DEP_2)
	v_dot4_i32_iu8 v0, v16, v210, v0 neg_lo:[1,1,0]
	v_dot4_i32_iu8 v1, v8, v152, v1 neg_lo:[1,1,0]
	;; [unrolled: 6-line block ×4, first 2 shown]
	s_delay_alu instid0(VALU_DEP_2) | instskip(NEXT) | instid1(VALU_DEP_1)
	v_mul_lo_u32 v0, v0, v213
	v_mad_co_u64_u32 v[0:1], null, v1, v147, v[0:1]
	v_mul_f32_e32 v1, v146, v4
	s_delay_alu instid0(VALU_DEP_2) | instskip(NEXT) | instid1(VALU_DEP_1)
	v_cvt_f32_i32_e32 v0, v0
	v_fmac_f32_e32 v132, v1, v0
	v_or_b32_e32 v0, s17, v75
	s_delay_alu instid0(VALU_DEP_1)
	v_lshlrev_b32_e32 v4, 2, v0
	v_lshrrev_b32_e32 v0, 1, v0
	ds_load_b32 v8, v0 offset:38816
	ds_load_b128 v[0:3], v4 offset:25344
	ds_load_b128 v[4:7], v4 offset:25360
	s_wait_dscnt 0x1
	v_bfe_i32 v15, v0, 0, 8
	v_bfe_i32 v16, v0, 8, 8
	;; [unrolled: 1-line block ×3, first 2 shown]
	v_ashrrev_i32_e32 v26, 24, v0
	v_bfe_i32 v32, v1, 0, 8
	v_mul_i32_i24_e32 v252, v159, v15
	v_bfe_i32 v37, v1, 8, 8
	v_mul_i32_i24_e32 v18, v160, v18
	v_mul_i32_i24_e32 v26, v161, v26
	v_bfe_i32 v38, v1, 16, 8
	v_mad_i32_i24 v252, v162, v16, v252
	v_ashrrev_i32_e32 v39, 24, v1
	v_mul_i32_i24_e32 v37, v166, v37
	v_bfe_i32 v46, v2, 0, 8
	v_bfe_i32 v48, v2, 8, 8
	v_add3_u32 v18, v252, v18, v26
	v_mul_i32_i24_e32 v26, v167, v32
	v_mul_i32_i24_e32 v38, v165, v38
	;; [unrolled: 1-line block ×3, first 2 shown]
	v_bfe_i32 v52, v2, 16, 8
	v_ashrrev_i32_e32 v55, 24, v2
	v_add3_u32 v18, v18, v26, v37
	v_mul_i32_i24_e32 v252, v181, v46
	v_mul_i32_i24_e32 v48, v180, v48
	v_bfe_i32 v85, v3, 0, 8
	v_bfe_i32 v86, v3, 8, 8
	v_add3_u32 v18, v18, v38, v39
	v_mul_i32_i24_e32 v52, v179, v52
	v_mul_i32_i24_e32 v55, v176, v55
	v_bfe_i32 v87, v3, 16, 8
	v_ashrrev_i32_e32 v88, 24, v3
	v_add3_u32 v18, v18, v252, v48
	v_mul_i32_i24_e32 v253, v185, v85
	v_mul_i32_i24_e32 v86, v184, v86
	;; [unrolled: 1-line block ×4, first 2 shown]
	v_add3_u32 v18, v18, v52, v55
	s_wait_dscnt 0x0
	v_bfe_i32 v90, v4, 0, 8
	v_bfe_i32 v91, v4, 8, 8
	;; [unrolled: 1-line block ×3, first 2 shown]
	v_ashrrev_i32_e32 v94, 24, v4
	v_add3_u32 v18, v18, v253, v86
	v_bfe_i32 v95, v5, 0, 8
	v_bfe_i32 v96, v5, 8, 8
	v_mul_i32_i24_e32 v26, v187, v92
	v_mul_i32_i24_e32 v38, v188, v94
	v_add3_u32 v18, v18, v87, v88
	v_bfe_i32 v98, v5, 16, 8
	v_ashrrev_i32_e32 v100, 24, v5
	v_bfe_i32 v244, v6, 0, 8
	v_bfe_i32 v245, v6, 8, 8
	v_mul_lo_u32 v37, v18, v203
	v_mul_i32_i24_e32 v18, v186, v90
	v_mul_i32_i24_e32 v39, v191, v98
	;; [unrolled: 1-line block ×3, first 2 shown]
	v_bfe_i32 v246, v6, 16, 8
	v_ashrrev_i32_e32 v247, 24, v6
	v_mad_i32_i24 v18, v189, v91, v18
	v_mul_i32_i24_e32 v52, v197, v244
	v_mul_i32_i24_e32 v55, v196, v245
	v_bfe_i32 v248, v7, 0, 8
	v_bfe_i32 v249, v7, 8, 8
	v_add3_u32 v18, v18, v26, v38
	v_mul_i32_i24_e32 v26, v193, v95
	v_mul_i32_i24_e32 v38, v192, v96
	;; [unrolled: 1-line block ×4, first 2 shown]
	v_bfe_i32 v250, v7, 16, 8
	v_ashrrev_i32_e32 v251, 24, v7
	v_add3_u32 v18, v18, v26, v38
	v_mul_i32_i24_e32 v88, v201, v248
	v_mul_i32_i24_e32 v92, v200, v249
	;; [unrolled: 1-line block ×4, first 2 shown]
	v_add3_u32 v18, v18, v39, v48
	v_perm_b32 v4, v4, v4, 0xc0c0302
	v_perm_b32 v5, v5, v5, 0xc030201
	;; [unrolled: 1-line block ×4, first 2 shown]
	v_add3_u32 v18, v18, v52, v55
	v_perm_b32 v3, v3, v3, 0xc030201
	v_perm_b32 v7, v7, v7, 0xc030201
	s_delay_alu instid0(VALU_DEP_3) | instskip(NEXT) | instid1(VALU_DEP_1)
	v_add3_u32 v18, v18, v86, v87
	v_add3_u32 v18, v18, v88, v92
	s_delay_alu instid0(VALU_DEP_1) | instskip(NEXT) | instid1(VALU_DEP_1)
	v_add3_u32 v18, v18, v94, v96
	v_mad_co_u64_u32 v[37:38], null, v18, v202, v[37:38]
	v_mul_f32_e32 v18, v156, v8
	s_delay_alu instid0(VALU_DEP_2) | instskip(NEXT) | instid1(VALU_DEP_1)
	v_cvt_f32_i32_e32 v26, v37
	v_fmac_f32_e32 v93, v18, v26
	v_mul_i32_i24_e32 v18, v15, v214
	v_perm_b32 v26, v0, v0, 0xc0c0302
	s_delay_alu instid0(VALU_DEP_2) | instskip(NEXT) | instid1(VALU_DEP_1)
	v_mad_i32_i24 v18, v16, v215, v18
	v_dot4_i32_iu8 v0, v26, v242, v18 neg_lo:[1,1,0]
	v_perm_b32 v18, v1, v1, 0xc030201
	v_mul_i32_i24_e32 v1, v90, v240
	s_delay_alu instid0(VALU_DEP_3) | instskip(NEXT) | instid1(VALU_DEP_2)
	v_mad_i32_i24 v0, v32, v243, v0
	v_mad_i32_i24 v1, v91, v241, v1
	s_delay_alu instid0(VALU_DEP_2) | instskip(NEXT) | instid1(VALU_DEP_2)
	v_dot4_i32_iu8 v0, v18, v236, v0 neg_lo:[1,1,0]
	v_dot4_i32_iu8 v1, v4, v222, v1 neg_lo:[1,1,0]
	s_delay_alu instid0(VALU_DEP_2) | instskip(NEXT) | instid1(VALU_DEP_2)
	v_mad_i32_i24 v0, v46, v235, v0
	v_mad_i32_i24 v1, v95, v223, v1
	s_delay_alu instid0(VALU_DEP_2) | instskip(NEXT) | instid1(VALU_DEP_2)
	v_dot4_i32_iu8 v0, v2, v237, v0 neg_lo:[1,1,0]
	v_dot4_i32_iu8 v1, v5, v218, v1 neg_lo:[1,1,0]
	s_delay_alu instid0(VALU_DEP_2) | instskip(NEXT) | instid1(VALU_DEP_2)
	;; [unrolled: 6-line block ×3, first 2 shown]
	v_mul_lo_u32 v0, v0, v239
	v_mad_i32_i24 v1, v248, v216, v1
	s_delay_alu instid0(VALU_DEP_1) | instskip(NEXT) | instid1(VALU_DEP_1)
	v_dot4_i32_iu8 v1, v7, v220, v1 neg_lo:[1,1,0]
	v_mad_co_u64_u32 v[0:1], null, v1, v221, v[0:1]
	v_mul_f32_e32 v1, v155, v8
	s_delay_alu instid0(VALU_DEP_2) | instskip(NEXT) | instid1(VALU_DEP_1)
	v_cvt_f32_i32_e32 v0, v0
	v_fmac_f32_e32 v104, v1, v0
	v_mul_i32_i24_e32 v0, v15, v224
	v_mul_i32_i24_e32 v1, v90, v168
	s_delay_alu instid0(VALU_DEP_2) | instskip(NEXT) | instid1(VALU_DEP_2)
	v_mad_i32_i24 v0, v16, v225, v0
	v_mad_i32_i24 v1, v91, v169, v1
	s_delay_alu instid0(VALU_DEP_2) | instskip(NEXT) | instid1(VALU_DEP_2)
	v_dot4_i32_iu8 v0, v26, v227, v0 neg_lo:[1,1,0]
	v_dot4_i32_iu8 v1, v4, v171, v1 neg_lo:[1,1,0]
	s_delay_alu instid0(VALU_DEP_2) | instskip(NEXT) | instid1(VALU_DEP_2)
	v_mad_i32_i24 v0, v32, v229, v0
	v_mad_i32_i24 v1, v95, v173, v1
	s_delay_alu instid0(VALU_DEP_2) | instskip(NEXT) | instid1(VALU_DEP_2)
	v_dot4_i32_iu8 v0, v18, v230, v0 neg_lo:[1,1,0]
	v_dot4_i32_iu8 v1, v5, v174, v1 neg_lo:[1,1,0]
	;; [unrolled: 6-line block ×4, first 2 shown]
	s_delay_alu instid0(VALU_DEP_2) | instskip(NEXT) | instid1(VALU_DEP_1)
	v_mul_lo_u32 v0, v0, v233
	v_mad_co_u64_u32 v[0:1], null, v1, v178, v[0:1]
	v_mul_f32_e32 v1, v163, v8
	s_delay_alu instid0(VALU_DEP_2) | instskip(NEXT) | instid1(VALU_DEP_1)
	v_cvt_f32_i32_e32 v0, v0
	v_fmac_f32_e32 v117, v1, v0
	v_mul_i32_i24_e32 v0, v15, v204
	v_mul_i32_i24_e32 v1, v90, v158
	s_delay_alu instid0(VALU_DEP_2) | instskip(NEXT) | instid1(VALU_DEP_2)
	v_mad_i32_i24 v0, v16, v205, v0
	v_mad_i32_i24 v1, v91, v157, v1
	s_delay_alu instid0(VALU_DEP_2) | instskip(NEXT) | instid1(VALU_DEP_2)
	v_dot4_i32_iu8 v0, v26, v207, v0 neg_lo:[1,1,0]
	v_dot4_i32_iu8 v1, v4, v154, v1 neg_lo:[1,1,0]
	s_delay_alu instid0(VALU_DEP_2) | instskip(NEXT) | instid1(VALU_DEP_2)
	v_mad_i32_i24 v0, v32, v209, v0
	v_mad_i32_i24 v1, v95, v153, v1
	s_delay_alu instid0(VALU_DEP_2) | instskip(NEXT) | instid1(VALU_DEP_2)
	v_dot4_i32_iu8 v0, v18, v210, v0 neg_lo:[1,1,0]
	v_dot4_i32_iu8 v1, v5, v152, v1 neg_lo:[1,1,0]
	;; [unrolled: 6-line block ×4, first 2 shown]
	s_delay_alu instid0(VALU_DEP_2) | instskip(NEXT) | instid1(VALU_DEP_1)
	v_mul_lo_u32 v0, v0, v213
	v_mad_co_u64_u32 v[0:1], null, v1, v147, v[0:1]
	v_mul_f32_e32 v1, v146, v8
	s_delay_alu instid0(VALU_DEP_2) | instskip(NEXT) | instid1(VALU_DEP_1)
	v_cvt_f32_i32_e32 v0, v0
	v_fmac_f32_e32 v129, v1, v0
	v_or_b32_e32 v0, s17, v76
	s_delay_alu instid0(VALU_DEP_1)
	v_lshlrev_b32_e32 v1, 2, v0
	v_lshrrev_b32_e32 v0, 1, v0
	ds_load_b32 v5, v0 offset:38816
	ds_load_b128 v[252:255], v1 offset:25344
	ds_load_b128 v[0:3], v1 offset:25360
	s_wait_dscnt 0x1
	v_bfe_i32 v247, v252, 0, 8
	v_bfe_i32 v248, v252, 8, 8
	;; [unrolled: 1-line block ×3, first 2 shown]
	v_ashrrev_i32_e32 v8, 24, v252
	v_bfe_i32 v249, v253, 0, 8
	v_mul_i32_i24_e32 v95, v159, v247
	v_bfe_i32 v15, v253, 8, 8
	v_mul_i32_i24_e32 v4, v160, v4
	v_mul_i32_i24_e32 v8, v161, v8
	v_bfe_i32 v16, v253, 16, 8
	v_mad_i32_i24 v95, v162, v248, v95
	v_ashrrev_i32_e32 v18, 24, v253
	s_wait_dscnt 0x0
	v_bfe_i32 v246, v0, 0, 8
	v_mul_i32_i24_e32 v15, v166, v15
	v_bfe_i32 v250, v254, 0, 8
	v_add3_u32 v4, v95, v4, v8
	v_mul_i32_i24_e32 v8, v167, v249
	v_bfe_i32 v26, v254, 8, 8
	v_bfe_i32 v245, v0, 8, 8
	;; [unrolled: 1-line block ×3, first 2 shown]
	v_ashrrev_i32_e32 v52, 24, v0
	v_mul_i32_i24_e32 v16, v165, v16
	v_mul_i32_i24_e32 v18, v164, v18
	v_add3_u32 v4, v4, v8, v15
	v_mul_i32_i24_e32 v8, v186, v246
	v_bfe_i32 v32, v254, 16, 8
	v_ashrrev_i32_e32 v37, 24, v254
	v_bfe_i32 v244, v1, 0, 8
	v_bfe_i32 v55, v1, 8, 8
	v_mul_i32_i24_e32 v95, v181, v250
	v_mul_i32_i24_e32 v26, v180, v26
	v_add3_u32 v4, v4, v16, v18
	v_mul_i32_i24_e32 v15, v187, v48
	v_mul_i32_i24_e32 v16, v188, v52
	v_mad_i32_i24 v8, v189, v245, v8
	v_bfe_i32 v251, v255, 0, 8
	v_bfe_i32 v38, v255, 8, 8
	;; [unrolled: 1-line block ×3, first 2 shown]
	v_ashrrev_i32_e32 v86, 24, v1
	v_mul_i32_i24_e32 v32, v179, v32
	v_mul_i32_i24_e32 v37, v176, v37
	v_add3_u32 v4, v4, v95, v26
	v_add3_u32 v8, v8, v15, v16
	v_mul_i32_i24_e32 v15, v193, v244
	v_mul_i32_i24_e32 v16, v192, v55
	v_bfe_i32 v39, v255, 16, 8
	v_ashrrev_i32_e32 v46, 24, v255
	v_bfe_i32 v7, v2, 0, 8
	v_bfe_i32 v87, v2, 8, 8
	v_mul_i32_i24_e32 v96, v185, v251
	v_mul_i32_i24_e32 v38, v184, v38
	v_add3_u32 v4, v4, v32, v37
	v_mul_i32_i24_e32 v18, v191, v85
	v_mul_i32_i24_e32 v26, v190, v86
	v_add3_u32 v8, v8, v15, v16
	v_bfe_i32 v88, v2, 16, 8
	v_ashrrev_i32_e32 v90, 24, v2
	v_mul_i32_i24_e32 v39, v183, v39
	v_mul_i32_i24_e32 v46, v182, v46
	v_add3_u32 v4, v4, v96, v38
	v_mul_i32_i24_e32 v32, v197, v7
	v_mul_i32_i24_e32 v37, v196, v87
	v_add3_u32 v8, v8, v18, v26
	v_bfe_i32 v6, v3, 0, 8
	v_bfe_i32 v91, v3, 8, 8
	v_add3_u32 v4, v4, v39, v46
	v_mul_i32_i24_e32 v38, v195, v88
	v_mul_i32_i24_e32 v39, v194, v90
	v_add3_u32 v8, v8, v32, v37
	v_bfe_i32 v92, v3, 16, 8
	v_ashrrev_i32_e32 v94, 24, v3
	v_mul_i32_i24_e32 v46, v201, v6
	v_mul_i32_i24_e32 v48, v200, v91
	v_add3_u32 v8, v8, v38, v39
	v_mul_i32_i24_e32 v52, v199, v92
	v_mul_i32_i24_e32 v55, v198, v94
	v_mul_lo_u32 v4, v4, v203
	v_perm_b32 v160, v252, v252, 0xc0c0302
	v_add3_u32 v8, v8, v46, v48
	v_perm_b32 v159, v0, v0, 0xc0c0302
	v_perm_b32 v161, v253, v253, 0xc030201
	;; [unrolled: 1-line block ×4, first 2 shown]
	v_add3_u32 v8, v8, v52, v55
	v_perm_b32 v164, v255, v255, 0xc030201
	s_delay_alu instid0(VALU_DEP_2) | instskip(SKIP_3) | instid1(VALU_DEP_4)
	v_mad_co_u64_u32 v[37:38], null, v8, v202, v[4:5]
	v_mul_f32_e32 v4, v156, v5
	v_perm_b32 v156, v1, v1, 0xc030201
	v_perm_b32 v1, v3, v3, 0xc030201
	v_cvt_f32_i32_e32 v8, v37
	s_delay_alu instid0(VALU_DEP_1) | instskip(SKIP_2) | instid1(VALU_DEP_2)
	v_fmac_f32_e32 v89, v4, v8
	v_mul_i32_i24_e32 v4, v247, v214
	v_mul_i32_i24_e32 v8, v246, v240
	v_mad_i32_i24 v4, v248, v215, v4
	s_delay_alu instid0(VALU_DEP_2) | instskip(NEXT) | instid1(VALU_DEP_2)
	v_mad_i32_i24 v8, v245, v241, v8
	v_dot4_i32_iu8 v4, v160, v242, v4 neg_lo:[1,1,0]
	s_delay_alu instid0(VALU_DEP_2) | instskip(NEXT) | instid1(VALU_DEP_2)
	v_dot4_i32_iu8 v0, v159, v222, v8 neg_lo:[1,1,0]
	v_mad_i32_i24 v4, v249, v243, v4
	s_delay_alu instid0(VALU_DEP_2) | instskip(NEXT) | instid1(VALU_DEP_2)
	v_mad_i32_i24 v0, v244, v223, v0
	v_dot4_i32_iu8 v4, v161, v236, v4 neg_lo:[1,1,0]
	s_delay_alu instid0(VALU_DEP_2) | instskip(NEXT) | instid1(VALU_DEP_2)
	v_dot4_i32_iu8 v0, v156, v218, v0 neg_lo:[1,1,0]
	v_mad_i32_i24 v4, v250, v235, v4
	s_delay_alu instid0(VALU_DEP_2) | instskip(NEXT) | instid1(VALU_DEP_2)
	v_mad_i32_i24 v0, v7, v217, v0
	v_dot4_i32_iu8 v4, v162, v237, v4 neg_lo:[1,1,0]
	s_delay_alu instid0(VALU_DEP_2) | instskip(NEXT) | instid1(VALU_DEP_2)
	v_dot4_i32_iu8 v0, v2, v219, v0 neg_lo:[1,1,0]
	v_mad_i32_i24 v4, v251, v234, v4
	s_delay_alu instid0(VALU_DEP_2) | instskip(NEXT) | instid1(VALU_DEP_2)
	v_mad_i32_i24 v0, v6, v216, v0
	v_dot4_i32_iu8 v4, v164, v238, v4 neg_lo:[1,1,0]
	s_delay_alu instid0(VALU_DEP_2) | instskip(NEXT) | instid1(VALU_DEP_2)
	v_dot4_i32_iu8 v0, v1, v220, v0 neg_lo:[1,1,0]
	v_mul_lo_u32 v4, v4, v239
	s_delay_alu instid0(VALU_DEP_1) | instskip(SKIP_1) | instid1(VALU_DEP_2)
	v_mad_co_u64_u32 v[3:4], null, v0, v221, v[4:5]
	v_mul_f32_e32 v0, v155, v5
	v_cvt_f32_i32_e32 v3, v3
	s_delay_alu instid0(VALU_DEP_1) | instskip(SKIP_2) | instid1(VALU_DEP_2)
	v_fmac_f32_e32 v99, v0, v3
	v_mul_i32_i24_e32 v0, v247, v224
	v_mul_i32_i24_e32 v3, v246, v168
	v_mad_i32_i24 v0, v248, v225, v0
	s_delay_alu instid0(VALU_DEP_2) | instskip(NEXT) | instid1(VALU_DEP_2)
	v_mad_i32_i24 v3, v245, v169, v3
	v_dot4_i32_iu8 v0, v160, v227, v0 neg_lo:[1,1,0]
	s_delay_alu instid0(VALU_DEP_2) | instskip(NEXT) | instid1(VALU_DEP_2)
	v_dot4_i32_iu8 v3, v159, v171, v3 neg_lo:[1,1,0]
	v_mad_i32_i24 v0, v249, v229, v0
	s_delay_alu instid0(VALU_DEP_2) | instskip(NEXT) | instid1(VALU_DEP_2)
	v_mad_i32_i24 v3, v244, v173, v3
	v_dot4_i32_iu8 v0, v161, v230, v0 neg_lo:[1,1,0]
	s_delay_alu instid0(VALU_DEP_2) | instskip(NEXT) | instid1(VALU_DEP_2)
	v_dot4_i32_iu8 v3, v156, v174, v3 neg_lo:[1,1,0]
	v_mad_i32_i24 v0, v250, v228, v0
	s_delay_alu instid0(VALU_DEP_2) | instskip(NEXT) | instid1(VALU_DEP_2)
	v_mad_i32_i24 v3, v7, v172, v3
	v_dot4_i32_iu8 v0, v162, v231, v0 neg_lo:[1,1,0]
	s_delay_alu instid0(VALU_DEP_2) | instskip(NEXT) | instid1(VALU_DEP_2)
	v_dot4_i32_iu8 v3, v2, v175, v3 neg_lo:[1,1,0]
	v_mad_i32_i24 v0, v251, v226, v0
	s_delay_alu instid0(VALU_DEP_2) | instskip(NEXT) | instid1(VALU_DEP_2)
	v_mad_i32_i24 v3, v6, v170, v3
	v_dot4_i32_iu8 v0, v164, v232, v0 neg_lo:[1,1,0]
	s_delay_alu instid0(VALU_DEP_2) | instskip(NEXT) | instid1(VALU_DEP_2)
	v_dot4_i32_iu8 v3, v1, v177, v3 neg_lo:[1,1,0]
	v_mul_lo_u32 v0, v0, v233
	s_delay_alu instid0(VALU_DEP_1) | instskip(SKIP_1) | instid1(VALU_DEP_2)
	v_mad_co_u64_u32 v[3:4], null, v3, v178, v[0:1]
	v_mul_f32_e32 v0, v163, v5
	;; [unrolled: 33-line block ×3, first 2 shown]
	v_cvt_f32_i32_e32 v0, v0
	s_delay_alu instid0(VALU_DEP_1)
	v_fmac_f32_e32 v125, v1, v0
	s_cbranch_scc1 .LBB149_12
; %bb.13:                               ;   in Loop: Header=BB149_8 Depth=2
	s_cmp_eq_u32 s12, 4
	s_wait_loadcnt 0x0
	s_barrier_signal -1
	s_barrier_wait -1
	s_cselect_b32 s13, -1, 0
	global_inv scope:SCOPE_SE
	s_wait_alu 0xfffe
	s_and_b32 vcc_lo, exec_lo, s13
	s_wait_alu 0xfffe
	s_cbranch_vccz .LBB149_8
	s_branch .LBB149_5
.LBB149_14:
	scratch_load_b32 v18, off, off offset:100 ; 4-byte Folded Reload
	v_cvt_f16_f32_e32 v36, v14
	v_cvt_f16_f32_e64 v35, v133
	v_cvt_f16_f32_e64 v14, v138
	;; [unrolled: 1-line block ×3, first 2 shown]
	v_cvt_f16_f32_e32 v33, v119
	v_cvt_f16_f32_e64 v32, v130
	v_cvt_f16_f32_e64 v31, v136
	;; [unrolled: 1-line block ×3, first 2 shown]
	v_cvt_f16_f32_e32 v29, v113
	v_cvt_f16_f32_e32 v28, v127
	v_cvt_f16_f32_e64 v27, v134
	v_cvt_f16_f32_e64 v26, v139
	v_cvt_f16_f32_e32 v25, v107
	v_cvt_f16_f32_e32 v24, v121
	v_cvt_f16_f32_e64 v23, v131
	v_cvt_f16_f32_e64 v22, v137
	;; [unrolled: 4-line block ×3, first 2 shown]
	v_cvt_f16_f32_e32 v16, v97
	v_cvt_f16_f32_e32 v15, v109
	;; [unrolled: 1-line block ×3, first 2 shown]
	v_cvt_f16_f32_e64 v10, v132
	v_cvt_f16_f32_e32 v9, v93
	v_cvt_f16_f32_e32 v8, v104
	;; [unrolled: 1-line block ×3, first 2 shown]
	v_cvt_f16_f32_e64 v5, v129
	v_cvt_f16_f32_e32 v4, v89
	v_cvt_f16_f32_e32 v3, v99
	;; [unrolled: 1-line block ×4, first 2 shown]
	v_dual_mov_b32 v6, v11 :: v_dual_mov_b32 v37, v12
.LBB149_15:
	s_mov_b32 s0, exec_lo
	s_wait_loadcnt 0x0
	v_cmpx_gt_u32_e64 s4, v18
	s_cbranch_execz .LBB149_66
; %bb.16:
	v_add_nc_u32_e32 v0, s14, v37
	v_mul_lo_u32 v18, v18, s6
	s_delay_alu instid0(VALU_DEP_2)
	v_cmp_gt_u32_e32 vcc_lo, s6, v0
	s_and_saveexec_b32 s1, vcc_lo
	s_cbranch_execz .LBB149_18
; %bb.17:
	s_delay_alu instid0(VALU_DEP_2) | instskip(NEXT) | instid1(VALU_DEP_1)
	v_dual_mov_b32 v12, 0 :: v_dual_add_nc_u32 v11, v0, v18
	v_lshlrev_b64_e32 v[11:12], 1, v[11:12]
	s_wait_kmcnt 0x0
	s_delay_alu instid0(VALU_DEP_1) | instskip(NEXT) | instid1(VALU_DEP_1)
	v_add_co_u32 v11, s0, s8, v11
	v_add_co_ci_u32_e64 v12, null, s9, v12, s0
	global_store_b16 v[11:12], v36, off
.LBB149_18:
	s_or_b32 exec_lo, exec_lo, s1
	v_add_nc_u32_e32 v11, 32, v0
	s_delay_alu instid0(VALU_DEP_1)
	v_cmp_gt_u32_e64 s0, s6, v11
	s_and_saveexec_b32 s2, s0
	s_cbranch_execz .LBB149_20
; %bb.19:
	v_dual_mov_b32 v37, 0 :: v_dual_add_nc_u32 v36, v11, v18
	s_delay_alu instid0(VALU_DEP_1) | instskip(SKIP_1) | instid1(VALU_DEP_1)
	v_lshlrev_b64_e32 v[36:37], 1, v[36:37]
	s_wait_kmcnt 0x0
	v_add_co_u32 v36, s1, s8, v36
	s_wait_alu 0xf1ff
	s_delay_alu instid0(VALU_DEP_2)
	v_add_co_ci_u32_e64 v37, null, s9, v37, s1
	global_store_b16 v[36:37], v35, off
.LBB149_20:
	s_wait_alu 0xfffe
	s_or_b32 exec_lo, exec_lo, s2
	v_add_nc_u32_e32 v12, 64, v0
	s_delay_alu instid0(VALU_DEP_1)
	v_cmp_gt_u32_e64 s1, s6, v12
	s_and_saveexec_b32 s3, s1
	s_cbranch_execz .LBB149_22
; %bb.21:
	v_dual_mov_b32 v36, 0 :: v_dual_add_nc_u32 v35, v12, v18
	s_delay_alu instid0(VALU_DEP_1) | instskip(SKIP_1) | instid1(VALU_DEP_1)
	v_lshlrev_b64_e32 v[35:36], 1, v[35:36]
	s_wait_kmcnt 0x0
	v_add_co_u32 v35, s2, s8, v35
	s_wait_alu 0xf1ff
	s_delay_alu instid0(VALU_DEP_2)
	v_add_co_ci_u32_e64 v36, null, s9, v36, s2
	global_store_b16 v[35:36], v14, off
.LBB149_22:
	s_wait_alu 0xfffe
	;; [unrolled: 18-line block ×3, first 2 shown]
	s_or_b32 exec_lo, exec_lo, s5
	v_add3_u32 v18, v6, s7, 8
	s_delay_alu instid0(VALU_DEP_1)
	v_cmp_gt_u32_e64 s3, s4, v18
	s_and_b32 exec_lo, exec_lo, s3
	s_cbranch_execz .LBB149_66
; %bb.25:
	v_mul_lo_u32 v18, v18, s6
	s_and_saveexec_b32 s5, vcc_lo
	s_cbranch_execnz .LBB149_67
; %bb.26:
	s_wait_alu 0xfffe
	s_or_b32 exec_lo, exec_lo, s5
	s_and_saveexec_b32 s5, s0
	s_cbranch_execnz .LBB149_68
.LBB149_27:
	s_wait_alu 0xfffe
	s_or_b32 exec_lo, exec_lo, s5
	s_and_saveexec_b32 s5, s1
	s_cbranch_execnz .LBB149_69
.LBB149_28:
	s_wait_alu 0xfffe
	s_or_b32 exec_lo, exec_lo, s5
	s_and_saveexec_b32 s5, s2
	s_cbranch_execz .LBB149_30
.LBB149_29:
	v_dual_mov_b32 v32, 0 :: v_dual_add_nc_u32 v31, v18, v14
	s_delay_alu instid0(VALU_DEP_1) | instskip(SKIP_1) | instid1(VALU_DEP_1)
	v_lshlrev_b64_e32 v[31:32], 1, v[31:32]
	s_wait_kmcnt 0x0
	v_add_co_u32 v31, s3, s8, v31
	s_wait_alu 0xf1ff
	s_delay_alu instid0(VALU_DEP_2)
	v_add_co_ci_u32_e64 v32, null, s9, v32, s3
	global_store_b16 v[31:32], v30, off
.LBB149_30:
	s_wait_alu 0xfffe
	s_or_b32 exec_lo, exec_lo, s5
	v_add3_u32 v18, v6, s7, 16
	s_delay_alu instid0(VALU_DEP_1)
	v_cmp_gt_u32_e64 s3, s4, v18
	s_and_b32 exec_lo, exec_lo, s3
	s_cbranch_execz .LBB149_66
; %bb.31:
	v_mul_lo_u32 v18, v18, s6
	s_and_saveexec_b32 s5, vcc_lo
	s_cbranch_execnz .LBB149_70
; %bb.32:
	s_wait_alu 0xfffe
	s_or_b32 exec_lo, exec_lo, s5
	s_and_saveexec_b32 s5, s0
	s_cbranch_execnz .LBB149_71
.LBB149_33:
	s_wait_alu 0xfffe
	s_or_b32 exec_lo, exec_lo, s5
	s_and_saveexec_b32 s5, s1
	s_cbranch_execnz .LBB149_72
.LBB149_34:
	s_wait_alu 0xfffe
	s_or_b32 exec_lo, exec_lo, s5
	s_and_saveexec_b32 s5, s2
	s_cbranch_execz .LBB149_36
.LBB149_35:
	v_dual_mov_b32 v28, 0 :: v_dual_add_nc_u32 v27, v18, v14
	s_delay_alu instid0(VALU_DEP_1) | instskip(SKIP_1) | instid1(VALU_DEP_1)
	v_lshlrev_b64_e32 v[27:28], 1, v[27:28]
	s_wait_kmcnt 0x0
	v_add_co_u32 v27, s3, s8, v27
	s_wait_alu 0xf1ff
	s_delay_alu instid0(VALU_DEP_2)
	v_add_co_ci_u32_e64 v28, null, s9, v28, s3
	global_store_b16 v[27:28], v26, off
.LBB149_36:
	s_wait_alu 0xfffe
	s_or_b32 exec_lo, exec_lo, s5
	v_add3_u32 v18, v6, s7, 24
	s_delay_alu instid0(VALU_DEP_1)
	v_cmp_gt_u32_e64 s3, s4, v18
	s_and_b32 exec_lo, exec_lo, s3
	s_cbranch_execz .LBB149_66
; %bb.37:
	v_mul_lo_u32 v18, v18, s6
	s_and_saveexec_b32 s5, vcc_lo
	s_cbranch_execnz .LBB149_73
; %bb.38:
	s_wait_alu 0xfffe
	s_or_b32 exec_lo, exec_lo, s5
	s_and_saveexec_b32 s5, s0
	s_cbranch_execnz .LBB149_74
.LBB149_39:
	s_wait_alu 0xfffe
	s_or_b32 exec_lo, exec_lo, s5
	s_and_saveexec_b32 s5, s1
	s_cbranch_execnz .LBB149_75
.LBB149_40:
	s_wait_alu 0xfffe
	s_or_b32 exec_lo, exec_lo, s5
	s_and_saveexec_b32 s5, s2
	s_cbranch_execz .LBB149_42
.LBB149_41:
	v_dual_mov_b32 v24, 0 :: v_dual_add_nc_u32 v23, v18, v14
	s_delay_alu instid0(VALU_DEP_1) | instskip(SKIP_1) | instid1(VALU_DEP_1)
	v_lshlrev_b64_e32 v[23:24], 1, v[23:24]
	s_wait_kmcnt 0x0
	v_add_co_u32 v23, s3, s8, v23
	s_wait_alu 0xf1ff
	s_delay_alu instid0(VALU_DEP_2)
	v_add_co_ci_u32_e64 v24, null, s9, v24, s3
	global_store_b16 v[23:24], v22, off
.LBB149_42:
	s_wait_alu 0xfffe
	s_or_b32 exec_lo, exec_lo, s5
	v_add3_u32 v18, v6, s7, 32
	s_delay_alu instid0(VALU_DEP_1)
	v_cmp_gt_u32_e64 s3, s4, v18
	s_and_b32 exec_lo, exec_lo, s3
	s_cbranch_execz .LBB149_66
; %bb.43:
	v_mul_lo_u32 v18, v18, s6
	s_and_saveexec_b32 s5, vcc_lo
	s_cbranch_execnz .LBB149_76
; %bb.44:
	s_wait_alu 0xfffe
	s_or_b32 exec_lo, exec_lo, s5
	s_and_saveexec_b32 s5, s0
	s_cbranch_execnz .LBB149_77
.LBB149_45:
	s_wait_alu 0xfffe
	s_or_b32 exec_lo, exec_lo, s5
	s_and_saveexec_b32 s5, s1
	s_cbranch_execnz .LBB149_78
.LBB149_46:
	s_wait_alu 0xfffe
	s_or_b32 exec_lo, exec_lo, s5
	s_and_saveexec_b32 s5, s2
	s_cbranch_execz .LBB149_48
.LBB149_47:
	v_dual_mov_b32 v19, 0 :: v_dual_add_nc_u32 v18, v18, v14
	s_delay_alu instid0(VALU_DEP_1) | instskip(SKIP_1) | instid1(VALU_DEP_1)
	v_lshlrev_b64_e32 v[18:19], 1, v[18:19]
	s_wait_kmcnt 0x0
	v_add_co_u32 v18, s3, s8, v18
	s_wait_alu 0xf1ff
	s_delay_alu instid0(VALU_DEP_2)
	v_add_co_ci_u32_e64 v19, null, s9, v19, s3
	global_store_b16 v[18:19], v17, off
.LBB149_48:
	s_wait_alu 0xfffe
	s_or_b32 exec_lo, exec_lo, s5
	v_add3_u32 v17, v6, s7, 40
	s_delay_alu instid0(VALU_DEP_1)
	v_cmp_gt_u32_e64 s3, s4, v17
	s_and_b32 exec_lo, exec_lo, s3
	s_cbranch_execz .LBB149_66
; %bb.49:
	v_mul_lo_u32 v17, v17, s6
	s_and_saveexec_b32 s5, vcc_lo
	s_cbranch_execnz .LBB149_79
; %bb.50:
	s_wait_alu 0xfffe
	s_or_b32 exec_lo, exec_lo, s5
	s_and_saveexec_b32 s5, s0
	s_cbranch_execnz .LBB149_80
.LBB149_51:
	s_wait_alu 0xfffe
	s_or_b32 exec_lo, exec_lo, s5
	s_and_saveexec_b32 s5, s1
	s_cbranch_execnz .LBB149_81
.LBB149_52:
	s_wait_alu 0xfffe
	s_or_b32 exec_lo, exec_lo, s5
	s_and_saveexec_b32 s5, s2
	s_cbranch_execz .LBB149_54
.LBB149_53:
	v_dual_mov_b32 v16, 0 :: v_dual_add_nc_u32 v15, v17, v14
	s_delay_alu instid0(VALU_DEP_1) | instskip(SKIP_1) | instid1(VALU_DEP_1)
	v_lshlrev_b64_e32 v[15:16], 1, v[15:16]
	s_wait_kmcnt 0x0
	v_add_co_u32 v15, s3, s8, v15
	s_wait_alu 0xf1ff
	s_delay_alu instid0(VALU_DEP_2)
	v_add_co_ci_u32_e64 v16, null, s9, v16, s3
	global_store_b16 v[15:16], v10, off
.LBB149_54:
	s_wait_alu 0xfffe
	s_or_b32 exec_lo, exec_lo, s5
	v_add3_u32 v10, v6, s7, 48
	s_delay_alu instid0(VALU_DEP_1)
	v_cmp_gt_u32_e64 s3, s4, v10
	s_and_b32 exec_lo, exec_lo, s3
	s_cbranch_execz .LBB149_66
; %bb.55:
	v_mul_lo_u32 v10, v10, s6
	s_and_saveexec_b32 s5, vcc_lo
	s_cbranch_execnz .LBB149_82
; %bb.56:
	s_wait_alu 0xfffe
	s_or_b32 exec_lo, exec_lo, s5
	s_and_saveexec_b32 s5, s0
	s_cbranch_execnz .LBB149_83
.LBB149_57:
	s_wait_alu 0xfffe
	s_or_b32 exec_lo, exec_lo, s5
	s_and_saveexec_b32 s5, s1
	s_cbranch_execnz .LBB149_84
.LBB149_58:
	s_wait_alu 0xfffe
	s_or_b32 exec_lo, exec_lo, s5
	s_and_saveexec_b32 s5, s2
	s_cbranch_execz .LBB149_60
.LBB149_59:
	v_dual_mov_b32 v8, 0 :: v_dual_add_nc_u32 v7, v10, v14
	s_delay_alu instid0(VALU_DEP_1) | instskip(SKIP_1) | instid1(VALU_DEP_1)
	v_lshlrev_b64_e32 v[7:8], 1, v[7:8]
	s_wait_kmcnt 0x0
	v_add_co_u32 v7, s3, s8, v7
	s_wait_alu 0xf1ff
	s_delay_alu instid0(VALU_DEP_2)
	v_add_co_ci_u32_e64 v8, null, s9, v8, s3
	global_store_b16 v[7:8], v5, off
.LBB149_60:
	s_wait_alu 0xfffe
	s_or_b32 exec_lo, exec_lo, s5
	v_add3_u32 v5, v6, s7, 56
	s_delay_alu instid0(VALU_DEP_1)
	v_cmp_gt_u32_e64 s3, s4, v5
	s_and_b32 exec_lo, exec_lo, s3
	s_cbranch_execz .LBB149_66
; %bb.61:
	v_mul_lo_u32 v5, v5, s6
	s_and_saveexec_b32 s3, vcc_lo
	s_cbranch_execnz .LBB149_85
; %bb.62:
	s_wait_alu 0xfffe
	s_or_b32 exec_lo, exec_lo, s3
	s_and_saveexec_b32 s3, s0
	s_cbranch_execnz .LBB149_86
.LBB149_63:
	s_wait_alu 0xfffe
	s_or_b32 exec_lo, exec_lo, s3
	s_and_saveexec_b32 s0, s1
	s_cbranch_execnz .LBB149_87
.LBB149_64:
	s_wait_alu 0xfffe
	s_or_b32 exec_lo, exec_lo, s0
	s_delay_alu instid0(SALU_CYCLE_1)
	s_and_b32 exec_lo, exec_lo, s2
	s_cbranch_execz .LBB149_66
.LBB149_65:
	v_dual_mov_b32 v3, 0 :: v_dual_add_nc_u32 v2, v5, v14
	s_delay_alu instid0(VALU_DEP_1) | instskip(SKIP_1) | instid1(VALU_DEP_1)
	v_lshlrev_b64_e32 v[2:3], 1, v[2:3]
	s_wait_kmcnt 0x0
	v_add_co_u32 v2, vcc_lo, s8, v2
	s_wait_alu 0xfffd
	s_delay_alu instid0(VALU_DEP_2)
	v_add_co_ci_u32_e64 v3, null, s9, v3, vcc_lo
	global_store_b16 v[2:3], v1, off
.LBB149_66:
	s_nop 0
	s_sendmsg sendmsg(MSG_DEALLOC_VGPRS)
	s_endpgm
.LBB149_67:
	s_delay_alu instid0(VALU_DEP_1) | instskip(NEXT) | instid1(VALU_DEP_1)
	v_dual_mov_b32 v35, 0 :: v_dual_add_nc_u32 v34, v18, v0
	v_lshlrev_b64_e32 v[34:35], 1, v[34:35]
	s_wait_kmcnt 0x0
	s_delay_alu instid0(VALU_DEP_1) | instskip(SKIP_1) | instid1(VALU_DEP_2)
	v_add_co_u32 v34, s3, s8, v34
	s_wait_alu 0xf1ff
	v_add_co_ci_u32_e64 v35, null, s9, v35, s3
	global_store_b16 v[34:35], v33, off
	s_wait_alu 0xfffe
	s_or_b32 exec_lo, exec_lo, s5
	s_and_saveexec_b32 s5, s0
	s_cbranch_execz .LBB149_27
.LBB149_68:
	s_delay_alu instid0(VALU_DEP_1) | instskip(NEXT) | instid1(VALU_DEP_1)
	v_dual_mov_b32 v34, 0 :: v_dual_add_nc_u32 v33, v18, v11
	v_lshlrev_b64_e32 v[33:34], 1, v[33:34]
	s_wait_kmcnt 0x0
	s_delay_alu instid0(VALU_DEP_1) | instskip(SKIP_1) | instid1(VALU_DEP_2)
	v_add_co_u32 v33, s3, s8, v33
	s_wait_alu 0xf1ff
	v_add_co_ci_u32_e64 v34, null, s9, v34, s3
	global_store_b16 v[33:34], v32, off
	s_wait_alu 0xfffe
	s_or_b32 exec_lo, exec_lo, s5
	s_and_saveexec_b32 s5, s1
	s_cbranch_execz .LBB149_28
.LBB149_69:
	v_dual_mov_b32 v33, 0 :: v_dual_add_nc_u32 v32, v18, v12
	s_delay_alu instid0(VALU_DEP_1) | instskip(SKIP_1) | instid1(VALU_DEP_1)
	v_lshlrev_b64_e32 v[32:33], 1, v[32:33]
	s_wait_kmcnt 0x0
	v_add_co_u32 v32, s3, s8, v32
	s_wait_alu 0xf1ff
	s_delay_alu instid0(VALU_DEP_2)
	v_add_co_ci_u32_e64 v33, null, s9, v33, s3
	global_store_b16 v[32:33], v31, off
	s_wait_alu 0xfffe
	s_or_b32 exec_lo, exec_lo, s5
	s_and_saveexec_b32 s5, s2
	s_cbranch_execnz .LBB149_29
	s_branch .LBB149_30
.LBB149_70:
	s_delay_alu instid0(VALU_DEP_1) | instskip(NEXT) | instid1(VALU_DEP_1)
	v_dual_mov_b32 v31, 0 :: v_dual_add_nc_u32 v30, v18, v0
	v_lshlrev_b64_e32 v[30:31], 1, v[30:31]
	s_wait_kmcnt 0x0
	s_delay_alu instid0(VALU_DEP_1) | instskip(SKIP_1) | instid1(VALU_DEP_2)
	v_add_co_u32 v30, s3, s8, v30
	s_wait_alu 0xf1ff
	v_add_co_ci_u32_e64 v31, null, s9, v31, s3
	global_store_b16 v[30:31], v29, off
	s_wait_alu 0xfffe
	s_or_b32 exec_lo, exec_lo, s5
	s_and_saveexec_b32 s5, s0
	s_cbranch_execz .LBB149_33
.LBB149_71:
	s_delay_alu instid0(VALU_DEP_1) | instskip(NEXT) | instid1(VALU_DEP_1)
	v_dual_mov_b32 v30, 0 :: v_dual_add_nc_u32 v29, v18, v11
	v_lshlrev_b64_e32 v[29:30], 1, v[29:30]
	s_wait_kmcnt 0x0
	s_delay_alu instid0(VALU_DEP_1) | instskip(SKIP_1) | instid1(VALU_DEP_2)
	v_add_co_u32 v29, s3, s8, v29
	s_wait_alu 0xf1ff
	v_add_co_ci_u32_e64 v30, null, s9, v30, s3
	global_store_b16 v[29:30], v28, off
	s_wait_alu 0xfffe
	s_or_b32 exec_lo, exec_lo, s5
	s_and_saveexec_b32 s5, s1
	s_cbranch_execz .LBB149_34
.LBB149_72:
	v_dual_mov_b32 v29, 0 :: v_dual_add_nc_u32 v28, v18, v12
	s_delay_alu instid0(VALU_DEP_1) | instskip(SKIP_1) | instid1(VALU_DEP_1)
	v_lshlrev_b64_e32 v[28:29], 1, v[28:29]
	s_wait_kmcnt 0x0
	v_add_co_u32 v28, s3, s8, v28
	s_wait_alu 0xf1ff
	s_delay_alu instid0(VALU_DEP_2)
	v_add_co_ci_u32_e64 v29, null, s9, v29, s3
	global_store_b16 v[28:29], v27, off
	s_wait_alu 0xfffe
	s_or_b32 exec_lo, exec_lo, s5
	s_and_saveexec_b32 s5, s2
	s_cbranch_execnz .LBB149_35
	s_branch .LBB149_36
.LBB149_73:
	s_delay_alu instid0(VALU_DEP_1) | instskip(NEXT) | instid1(VALU_DEP_1)
	v_dual_mov_b32 v27, 0 :: v_dual_add_nc_u32 v26, v18, v0
	v_lshlrev_b64_e32 v[26:27], 1, v[26:27]
	s_wait_kmcnt 0x0
	s_delay_alu instid0(VALU_DEP_1) | instskip(SKIP_1) | instid1(VALU_DEP_2)
	v_add_co_u32 v26, s3, s8, v26
	s_wait_alu 0xf1ff
	v_add_co_ci_u32_e64 v27, null, s9, v27, s3
	global_store_b16 v[26:27], v25, off
	s_wait_alu 0xfffe
	s_or_b32 exec_lo, exec_lo, s5
	s_and_saveexec_b32 s5, s0
	s_cbranch_execz .LBB149_39
.LBB149_74:
	s_delay_alu instid0(VALU_DEP_1) | instskip(NEXT) | instid1(VALU_DEP_1)
	v_dual_mov_b32 v26, 0 :: v_dual_add_nc_u32 v25, v18, v11
	v_lshlrev_b64_e32 v[25:26], 1, v[25:26]
	s_wait_kmcnt 0x0
	s_delay_alu instid0(VALU_DEP_1) | instskip(SKIP_1) | instid1(VALU_DEP_2)
	v_add_co_u32 v25, s3, s8, v25
	s_wait_alu 0xf1ff
	v_add_co_ci_u32_e64 v26, null, s9, v26, s3
	global_store_b16 v[25:26], v24, off
	s_wait_alu 0xfffe
	s_or_b32 exec_lo, exec_lo, s5
	s_and_saveexec_b32 s5, s1
	s_cbranch_execz .LBB149_40
.LBB149_75:
	v_dual_mov_b32 v25, 0 :: v_dual_add_nc_u32 v24, v18, v12
	s_delay_alu instid0(VALU_DEP_1) | instskip(SKIP_1) | instid1(VALU_DEP_1)
	v_lshlrev_b64_e32 v[24:25], 1, v[24:25]
	s_wait_kmcnt 0x0
	v_add_co_u32 v24, s3, s8, v24
	s_wait_alu 0xf1ff
	s_delay_alu instid0(VALU_DEP_2)
	v_add_co_ci_u32_e64 v25, null, s9, v25, s3
	global_store_b16 v[24:25], v23, off
	s_wait_alu 0xfffe
	s_or_b32 exec_lo, exec_lo, s5
	s_and_saveexec_b32 s5, s2
	s_cbranch_execnz .LBB149_41
	s_branch .LBB149_42
.LBB149_76:
	s_delay_alu instid0(VALU_DEP_1) | instskip(NEXT) | instid1(VALU_DEP_1)
	v_dual_mov_b32 v23, 0 :: v_dual_add_nc_u32 v22, v18, v0
	v_lshlrev_b64_e32 v[22:23], 1, v[22:23]
	s_wait_kmcnt 0x0
	s_delay_alu instid0(VALU_DEP_1) | instskip(SKIP_1) | instid1(VALU_DEP_2)
	v_add_co_u32 v22, s3, s8, v22
	s_wait_alu 0xf1ff
	v_add_co_ci_u32_e64 v23, null, s9, v23, s3
	global_store_b16 v[22:23], v21, off
	s_wait_alu 0xfffe
	s_or_b32 exec_lo, exec_lo, s5
	s_and_saveexec_b32 s5, s0
	s_cbranch_execz .LBB149_45
.LBB149_77:
	s_delay_alu instid0(VALU_DEP_1) | instskip(NEXT) | instid1(VALU_DEP_1)
	v_dual_mov_b32 v22, 0 :: v_dual_add_nc_u32 v21, v18, v11
	v_lshlrev_b64_e32 v[21:22], 1, v[21:22]
	s_wait_kmcnt 0x0
	s_delay_alu instid0(VALU_DEP_1) | instskip(SKIP_1) | instid1(VALU_DEP_2)
	v_add_co_u32 v21, s3, s8, v21
	s_wait_alu 0xf1ff
	v_add_co_ci_u32_e64 v22, null, s9, v22, s3
	global_store_b16 v[21:22], v20, off
	s_wait_alu 0xfffe
	s_or_b32 exec_lo, exec_lo, s5
	s_and_saveexec_b32 s5, s1
	s_cbranch_execz .LBB149_46
.LBB149_78:
	v_dual_mov_b32 v21, 0 :: v_dual_add_nc_u32 v20, v18, v12
	s_delay_alu instid0(VALU_DEP_1) | instskip(SKIP_1) | instid1(VALU_DEP_1)
	v_lshlrev_b64_e32 v[20:21], 1, v[20:21]
	s_wait_kmcnt 0x0
	v_add_co_u32 v20, s3, s8, v20
	s_wait_alu 0xf1ff
	s_delay_alu instid0(VALU_DEP_2)
	v_add_co_ci_u32_e64 v21, null, s9, v21, s3
	global_store_b16 v[20:21], v19, off
	s_wait_alu 0xfffe
	s_or_b32 exec_lo, exec_lo, s5
	s_and_saveexec_b32 s5, s2
	s_cbranch_execnz .LBB149_47
	s_branch .LBB149_48
.LBB149_79:
	s_delay_alu instid0(VALU_DEP_1) | instskip(NEXT) | instid1(VALU_DEP_1)
	v_dual_mov_b32 v19, 0 :: v_dual_add_nc_u32 v18, v17, v0
	v_lshlrev_b64_e32 v[18:19], 1, v[18:19]
	s_wait_kmcnt 0x0
	s_delay_alu instid0(VALU_DEP_1) | instskip(SKIP_1) | instid1(VALU_DEP_2)
	v_add_co_u32 v18, s3, s8, v18
	s_wait_alu 0xf1ff
	v_add_co_ci_u32_e64 v19, null, s9, v19, s3
	global_store_b16 v[18:19], v16, off
	s_wait_alu 0xfffe
	s_or_b32 exec_lo, exec_lo, s5
	s_and_saveexec_b32 s5, s0
	s_cbranch_execz .LBB149_51
.LBB149_80:
	s_delay_alu instid0(VALU_DEP_1) | instskip(NEXT) | instid1(VALU_DEP_1)
	v_dual_mov_b32 v19, 0 :: v_dual_add_nc_u32 v18, v17, v11
	v_lshlrev_b64_e32 v[18:19], 1, v[18:19]
	s_wait_kmcnt 0x0
	s_delay_alu instid0(VALU_DEP_1) | instskip(SKIP_1) | instid1(VALU_DEP_2)
	v_add_co_u32 v18, s3, s8, v18
	s_wait_alu 0xf1ff
	v_add_co_ci_u32_e64 v19, null, s9, v19, s3
	global_store_b16 v[18:19], v15, off
	s_wait_alu 0xfffe
	s_or_b32 exec_lo, exec_lo, s5
	s_and_saveexec_b32 s5, s1
	s_cbranch_execz .LBB149_52
.LBB149_81:
	v_dual_mov_b32 v16, 0 :: v_dual_add_nc_u32 v15, v17, v12
	s_delay_alu instid0(VALU_DEP_1) | instskip(SKIP_1) | instid1(VALU_DEP_1)
	v_lshlrev_b64_e32 v[15:16], 1, v[15:16]
	s_wait_kmcnt 0x0
	v_add_co_u32 v15, s3, s8, v15
	s_wait_alu 0xf1ff
	s_delay_alu instid0(VALU_DEP_2)
	v_add_co_ci_u32_e64 v16, null, s9, v16, s3
	global_store_b16 v[15:16], v13, off
	s_wait_alu 0xfffe
	s_or_b32 exec_lo, exec_lo, s5
	s_and_saveexec_b32 s5, s2
	s_cbranch_execnz .LBB149_53
	s_branch .LBB149_54
.LBB149_82:
	s_delay_alu instid0(VALU_DEP_1) | instskip(NEXT) | instid1(VALU_DEP_1)
	v_dual_mov_b32 v16, 0 :: v_dual_add_nc_u32 v15, v10, v0
	v_lshlrev_b64_e32 v[15:16], 1, v[15:16]
	s_wait_kmcnt 0x0
	s_delay_alu instid0(VALU_DEP_1) | instskip(SKIP_1) | instid1(VALU_DEP_2)
	v_add_co_u32 v15, s3, s8, v15
	s_wait_alu 0xf1ff
	v_add_co_ci_u32_e64 v16, null, s9, v16, s3
	global_store_b16 v[15:16], v9, off
	s_wait_alu 0xfffe
	s_or_b32 exec_lo, exec_lo, s5
	s_and_saveexec_b32 s5, s0
	s_cbranch_execz .LBB149_57
.LBB149_83:
	s_delay_alu instid0(VALU_DEP_1) | instskip(NEXT) | instid1(VALU_DEP_1)
	v_dual_mov_b32 v16, 0 :: v_dual_add_nc_u32 v15, v10, v11
	v_lshlrev_b64_e32 v[15:16], 1, v[15:16]
	s_wait_kmcnt 0x0
	s_delay_alu instid0(VALU_DEP_1) | instskip(SKIP_1) | instid1(VALU_DEP_2)
	v_add_co_u32 v15, s3, s8, v15
	s_wait_alu 0xf1ff
	v_add_co_ci_u32_e64 v16, null, s9, v16, s3
	global_store_b16 v[15:16], v8, off
	s_wait_alu 0xfffe
	s_or_b32 exec_lo, exec_lo, s5
	s_and_saveexec_b32 s5, s1
	s_cbranch_execz .LBB149_58
.LBB149_84:
	v_dual_mov_b32 v9, 0 :: v_dual_add_nc_u32 v8, v10, v12
	s_delay_alu instid0(VALU_DEP_1) | instskip(SKIP_1) | instid1(VALU_DEP_1)
	v_lshlrev_b64_e32 v[8:9], 1, v[8:9]
	s_wait_kmcnt 0x0
	v_add_co_u32 v8, s3, s8, v8
	s_wait_alu 0xf1ff
	s_delay_alu instid0(VALU_DEP_2)
	v_add_co_ci_u32_e64 v9, null, s9, v9, s3
	global_store_b16 v[8:9], v7, off
	s_wait_alu 0xfffe
	s_or_b32 exec_lo, exec_lo, s5
	s_and_saveexec_b32 s5, s2
	s_cbranch_execnz .LBB149_59
	s_branch .LBB149_60
.LBB149_85:
	s_delay_alu instid0(VALU_DEP_1) | instskip(NEXT) | instid1(VALU_DEP_1)
	v_dual_mov_b32 v7, 0 :: v_dual_add_nc_u32 v6, v5, v0
	v_lshlrev_b64_e32 v[6:7], 1, v[6:7]
	s_wait_kmcnt 0x0
	s_delay_alu instid0(VALU_DEP_1) | instskip(SKIP_1) | instid1(VALU_DEP_2)
	v_add_co_u32 v6, vcc_lo, s8, v6
	s_wait_alu 0xfffd
	v_add_co_ci_u32_e64 v7, null, s9, v7, vcc_lo
	global_store_b16 v[6:7], v4, off
	s_wait_alu 0xfffe
	s_or_b32 exec_lo, exec_lo, s3
	s_and_saveexec_b32 s3, s0
	s_cbranch_execz .LBB149_63
.LBB149_86:
	s_delay_alu instid0(VALU_DEP_1) | instskip(NEXT) | instid1(VALU_DEP_1)
	v_dual_mov_b32 v7, 0 :: v_dual_add_nc_u32 v6, v5, v11
	v_lshlrev_b64_e32 v[6:7], 1, v[6:7]
	s_wait_kmcnt 0x0
	s_delay_alu instid0(VALU_DEP_1) | instskip(SKIP_1) | instid1(VALU_DEP_2)
	v_add_co_u32 v6, vcc_lo, s8, v6
	s_wait_alu 0xfffd
	v_add_co_ci_u32_e64 v7, null, s9, v7, vcc_lo
	global_store_b16 v[6:7], v3, off
	s_wait_alu 0xfffe
	s_or_b32 exec_lo, exec_lo, s3
	s_and_saveexec_b32 s0, s1
	s_cbranch_execz .LBB149_64
.LBB149_87:
	v_dual_mov_b32 v4, 0 :: v_dual_add_nc_u32 v3, v5, v12
	s_delay_alu instid0(VALU_DEP_1) | instskip(SKIP_1) | instid1(VALU_DEP_1)
	v_lshlrev_b64_e32 v[3:4], 1, v[3:4]
	s_wait_kmcnt 0x0
	v_add_co_u32 v3, vcc_lo, s8, v3
	s_wait_alu 0xfffd
	s_delay_alu instid0(VALU_DEP_2) | instskip(SKIP_3) | instid1(SALU_CYCLE_1)
	v_add_co_ci_u32_e64 v4, null, s9, v4, vcc_lo
	global_store_b16 v[3:4], v2, off
	s_wait_alu 0xfffe
	s_or_b32 exec_lo, exec_lo, s0
	s_and_b32 exec_lo, exec_lo, s2
	s_cbranch_execnz .LBB149_65
	s_branch .LBB149_66
	.section	.rodata,"a",@progbits
	.p2align	6, 0x0
	.amdhsa_kernel _ZL12mul_mat_q3_KIN3c104HalfELb0EEvPKvS3_PT_iiiii
		.amdhsa_group_segment_fixed_size 39840
		.amdhsa_private_segment_fixed_size 108
		.amdhsa_kernarg_size 44
		.amdhsa_user_sgpr_count 2
		.amdhsa_user_sgpr_dispatch_ptr 0
		.amdhsa_user_sgpr_queue_ptr 0
		.amdhsa_user_sgpr_kernarg_segment_ptr 1
		.amdhsa_user_sgpr_dispatch_id 0
		.amdhsa_user_sgpr_private_segment_size 0
		.amdhsa_wavefront_size32 1
		.amdhsa_uses_dynamic_stack 0
		.amdhsa_enable_private_segment 1
		.amdhsa_system_sgpr_workgroup_id_x 1
		.amdhsa_system_sgpr_workgroup_id_y 1
		.amdhsa_system_sgpr_workgroup_id_z 0
		.amdhsa_system_sgpr_workgroup_info 0
		.amdhsa_system_vgpr_workitem_id 1
		.amdhsa_next_free_vgpr 256
		.amdhsa_next_free_sgpr 25
		.amdhsa_reserve_vcc 1
		.amdhsa_float_round_mode_32 0
		.amdhsa_float_round_mode_16_64 0
		.amdhsa_float_denorm_mode_32 3
		.amdhsa_float_denorm_mode_16_64 3
		.amdhsa_fp16_overflow 0
		.amdhsa_workgroup_processor_mode 1
		.amdhsa_memory_ordered 1
		.amdhsa_forward_progress 1
		.amdhsa_inst_pref_size 255
		.amdhsa_round_robin_scheduling 0
		.amdhsa_exception_fp_ieee_invalid_op 0
		.amdhsa_exception_fp_denorm_src 0
		.amdhsa_exception_fp_ieee_div_zero 0
		.amdhsa_exception_fp_ieee_overflow 0
		.amdhsa_exception_fp_ieee_underflow 0
		.amdhsa_exception_fp_ieee_inexact 0
		.amdhsa_exception_int_div_zero 0
	.end_amdhsa_kernel
	.section	.text._ZL12mul_mat_q3_KIN3c104HalfELb0EEvPKvS3_PT_iiiii,"axG",@progbits,_ZL12mul_mat_q3_KIN3c104HalfELb0EEvPKvS3_PT_iiiii,comdat
.Lfunc_end149:
	.size	_ZL12mul_mat_q3_KIN3c104HalfELb0EEvPKvS3_PT_iiiii, .Lfunc_end149-_ZL12mul_mat_q3_KIN3c104HalfELb0EEvPKvS3_PT_iiiii
                                        ; -- End function
	.set _ZL12mul_mat_q3_KIN3c104HalfELb0EEvPKvS3_PT_iiiii.num_vgpr, 256
	.set _ZL12mul_mat_q3_KIN3c104HalfELb0EEvPKvS3_PT_iiiii.num_agpr, 0
	.set _ZL12mul_mat_q3_KIN3c104HalfELb0EEvPKvS3_PT_iiiii.numbered_sgpr, 25
	.set _ZL12mul_mat_q3_KIN3c104HalfELb0EEvPKvS3_PT_iiiii.num_named_barrier, 0
	.set _ZL12mul_mat_q3_KIN3c104HalfELb0EEvPKvS3_PT_iiiii.private_seg_size, 108
	.set _ZL12mul_mat_q3_KIN3c104HalfELb0EEvPKvS3_PT_iiiii.uses_vcc, 1
	.set _ZL12mul_mat_q3_KIN3c104HalfELb0EEvPKvS3_PT_iiiii.uses_flat_scratch, 1
	.set _ZL12mul_mat_q3_KIN3c104HalfELb0EEvPKvS3_PT_iiiii.has_dyn_sized_stack, 0
	.set _ZL12mul_mat_q3_KIN3c104HalfELb0EEvPKvS3_PT_iiiii.has_recursion, 0
	.set _ZL12mul_mat_q3_KIN3c104HalfELb0EEvPKvS3_PT_iiiii.has_indirect_call, 0
	.section	.AMDGPU.csdata,"",@progbits
; Kernel info:
; codeLenInByte = 41876
; TotalNumSgprs: 27
; NumVgprs: 256
; ScratchSize: 108
; MemoryBound: 0
; FloatMode: 240
; IeeeMode: 1
; LDSByteSize: 39840 bytes/workgroup (compile time only)
; SGPRBlocks: 0
; VGPRBlocks: 31
; NumSGPRsForWavesPerEU: 27
; NumVGPRsForWavesPerEU: 256
; Occupancy: 5
; WaveLimiterHint : 0
; COMPUTE_PGM_RSRC2:SCRATCH_EN: 1
; COMPUTE_PGM_RSRC2:USER_SGPR: 2
; COMPUTE_PGM_RSRC2:TRAP_HANDLER: 0
; COMPUTE_PGM_RSRC2:TGID_X_EN: 1
; COMPUTE_PGM_RSRC2:TGID_Y_EN: 1
; COMPUTE_PGM_RSRC2:TGID_Z_EN: 0
; COMPUTE_PGM_RSRC2:TIDIG_COMP_CNT: 1
	.section	.text._ZL12mul_mat_q3_KIN3c104HalfELb1EEvPKvS3_PT_iiiii,"axG",@progbits,_ZL12mul_mat_q3_KIN3c104HalfELb1EEvPKvS3_PT_iiiii,comdat
	.globl	_ZL12mul_mat_q3_KIN3c104HalfELb1EEvPKvS3_PT_iiiii ; -- Begin function _ZL12mul_mat_q3_KIN3c104HalfELb1EEvPKvS3_PT_iiiii
	.p2align	8
	.type	_ZL12mul_mat_q3_KIN3c104HalfELb1EEvPKvS3_PT_iiiii,@function
_ZL12mul_mat_q3_KIN3c104HalfELb1EEvPKvS3_PT_iiiii: ; @_ZL12mul_mat_q3_KIN3c104HalfELb1EEvPKvS3_PT_iiiii
; %bb.0:
	s_clause 0x1
	s_load_b128 s[4:7], s[0:1], 0x18
	s_load_b32 s12, s[0:1], 0x28
	v_bfe_u32 v37, v0, 10, 10
	v_and_b32_e32 v28, 0x3ff, v0
	s_lshl_b32 s13, ttmp7, 6
	s_wait_kmcnt 0x0
	s_cmp_gt_i32 s4, 0xff
	s_cbranch_scc1 .LBB150_2
; %bb.1:
	v_bfe_u32 v6, v0, 10, 10
	v_and_b32_e32 v35, 0x3ff, v0
	s_mov_b32 s2, 0
	s_delay_alu instid0(VALU_DEP_2)
	v_add_nc_u32_e32 v36, s13, v6
	s_branch .LBB150_3
.LBB150_2:
	s_mov_b32 s2, -1
                                        ; implicit-def: $vgpr6
                                        ; implicit-def: $vgpr35
                                        ; implicit-def: $vgpr36
.LBB150_3:
	s_load_b64 s[8:9], s[0:1], 0x10
	v_dual_mov_b32 v1, 0 :: v_dual_mov_b32 v10, 0
	v_dual_mov_b32 v5, 0 :: v_dual_mov_b32 v30, 0
	;; [unrolled: 1-line block ×15, first 2 shown]
	v_mov_b32_e32 v29, 0
	v_mov_b32_e32 v33, 0
	s_and_not1_b32 vcc_lo, exec_lo, s2
	s_lshl_b32 s14, ttmp9, 7
	s_cbranch_vccnz .LBB150_15
; %bb.4:
	s_not_b32 s16, s14
	s_ashr_i32 s10, s4, 31
	s_add_co_i32 s5, s5, s16
	s_lshr_b32 s10, s10, 24
	v_min_i32_e32 v3, s5, v37
	s_add_co_i32 s4, s4, s10
	v_dual_mov_b32 v30, 0 :: v_dual_and_b32 v5, 15, v0
	s_wait_alu 0xfffe
	s_ashr_i32 s15, s4, 8
	v_lshlrev_b32_e32 v4, 2, v28
	v_mul_lo_u32 v2, v3, s15
	v_add_nc_u32_e32 v1, 8, v37
	v_add_nc_u32_e32 v36, 32, v37
	;; [unrolled: 1-line block ×3, first 2 shown]
	v_mad_co_u64_u32 v[7:8], null, 0x84, v3, v[4:5]
	s_delay_alu instid0(VALU_DEP_4)
	v_min_i32_e32 v6, s5, v1
	v_mov_b32_e32 v135, 0
	scratch_store_b32 off, v2, off          ; 4-byte Folded Spill
	v_add_nc_u32_e32 v2, 16, v37
	v_add_nc_u32_e32 v97, 64, v28
	v_mul_lo_u32 v3, v6, s15
	scratch_store_b64 off, v[7:8], off offset:4 ; 8-byte Folded Spill
	v_mad_co_u64_u32 v[8:9], null, 0x84, v6, v[4:5]
	v_min_i32_e32 v7, s5, v2
	v_add_nc_u32_e32 v48, 40, v37
	v_lshrrev_b32_e32 v123, 1, v97
	v_add_nc_u32_e32 v90, 48, v37
	scratch_store_b32 off, v3, off offset:12 ; 4-byte Folded Spill
	v_mul_lo_u32 v6, v7, s15
	v_add_nc_u32_e32 v3, 24, v37
	scratch_store_b64 off, v[8:9], off offset:16 ; 8-byte Folded Spill
	v_mad_co_u64_u32 v[7:8], null, 0x84, v7, v[4:5]
	v_dual_mov_b32 v123, 0 :: v_dual_lshlrev_b32 v136, 2, v123
	v_dual_mov_b32 v154, 0 :: v_dual_add_nc_u32 v91, 56, v37
	s_clause 0x2
	scratch_store_b32 off, v6, off offset:24
	scratch_store_b32 off, v37, off offset:220
	scratch_store_b64 off, v[7:8], off offset:28
	v_min_i32_e32 v6, s5, v3
	v_min_i32_e32 v7, s5, v36
	v_bfe_u32 v40, v0, 1, 9
	v_lshrrev_b32_e32 v125, 4, v97
	v_bfe_u32 v29, v0, 4, 6
	v_mul_lo_u32 v8, v6, s15
	v_dual_mov_b32 v150, 0 :: v_dual_and_b32 v49, 1, v0
	s_delay_alu instid0(VALU_DEP_4) | instskip(NEXT) | instid1(VALU_DEP_4)
	v_lshlrev_b32_e32 v138, 2, v125
	v_lshl_add_u32 v15, v37, 1, v29
	v_cmp_lt_u32_e32 vcc_lo, 7, v5
	v_dual_mov_b32 v146, 0 :: v_dual_lshlrev_b32 v31, 2, v5
	s_clause 0x1
	scratch_store_b32 off, v8, off offset:36
	scratch_store_b32 off, v16, off offset:224
	v_mad_co_u64_u32 v[8:9], null, 0x84, v6, v[4:5]
	v_mul_lo_u32 v6, v7, s15
	s_ashr_i32 s11, s7, 31
	v_add_nc_u32_e32 v32, 0x60, v15
	v_add_nc_u32_e32 v13, 24, v16
	;; [unrolled: 1-line block ×4, first 2 shown]
	scratch_store_b64 off, v[8:9], off offset:40 ; 8-byte Folded Spill
	v_mad_co_u64_u32 v[7:8], null, 0x84, v7, v[4:5]
	scratch_store_b32 off, v6, off offset:48 ; 4-byte Folded Spill
	v_min_i32_e32 v6, s5, v48
	v_add_nc_u32_e32 v33, 48, v16
	v_add_nc_u32_e32 v35, 56, v16
	s_lshr_b32 s4, s11, 27
	v_cvt_f64_u32_e32 v[13:14], v13
	scratch_store_b64 off, v[7:8], off offset:52 ; 8-byte Folded Spill
	v_mul_lo_u32 v7, v6, s15
	v_mad_co_u64_u32 v[8:9], null, 0x84, v6, v[4:5]
	v_min_i32_e32 v6, s5, v91
	s_wait_alu 0xfffe
	s_add_co_i32 s4, s7, s4
	s_add_co_i32 s7, s6, -1
	v_cvt_f64_u32_e32 v[24:25], v24
	v_cvt_f64_u32_e32 v[26:27], v26
	s_clause 0x1
	scratch_store_b32 off, v7, off offset:60
	scratch_store_b64 off, v[8:9], off offset:64
	v_min_i32_e32 v7, s5, v90
	v_add_nc_u32_e32 v8, 64, v37
	v_min_i32_e32 v61, s5, v32
	v_cvt_f64_u32_e32 v[32:33], v33
	s_wait_alu 0xfffe
	s_ashr_i32 s4, s4, 5
	v_mul_lo_u32 v9, v7, s15
	s_load_b128 s[0:3], s[0:1], 0x0
	v_lshlrev_b32_e32 v114, 6, v61
	v_dual_mov_b32 v156, 0 :: v_dual_and_b32 v63, 7, v0
	v_dual_mov_b32 v148, 0 :: v_dual_and_b32 v83, 0x1fc, v97
	s_mul_i32 s10, s15, s14
	scratch_store_b32 off, v9, off offset:72 ; 4-byte Folded Spill
	v_mad_co_u64_u32 v[9:10], null, 0x84, v7, v[4:5]
	v_mul_lo_u32 v7, v6, s15
	v_lshlrev_b32_e32 v53, 2, v63
	s_ashr_i32 s11, s10, 31
	v_lshlrev_b32_e32 v80, 5, v37
	v_dual_mov_b32 v149, 0 :: v_dual_lshlrev_b32 v86, 5, v2
	scratch_store_b64 off, v[9:10], off offset:76 ; 8-byte Folded Spill
	v_mad_co_u64_u32 v[9:10], null, 0x84, v6, v[4:5]
	scratch_store_b32 off, v7, off offset:84 ; 4-byte Folded Spill
	v_min_i32_e32 v7, s5, v8
	v_add_nc_u32_e32 v8, 0x48, v37
	v_dual_mov_b32 v152, 0 :: v_dual_lshlrev_b32 v89, 5, v48
	v_mul_u32_u24_e32 v92, 0x84, v28
	s_delay_alu instid0(VALU_DEP_4)
	v_mul_lo_u32 v6, v7, s15
	scratch_store_b64 off, v[9:10], off offset:88 ; 8-byte Folded Spill
	v_mad_co_u64_u32 v[10:11], null, 0x84, v7, v[4:5]
	v_mov_b32_e32 v143, 0
	v_lshl_add_u32 v9, v37, 4, v40
	v_lshlrev_b32_e32 v93, 6, v28
	v_lshlrev_b32_e32 v96, 6, v97
	scratch_store_b32 off, v6, off offset:96 ; 4-byte Folded Spill
	v_min_i32_e32 v6, s5, v8
	v_add_nc_u32_e32 v8, 0x50, v37
	v_and_b32_e32 v9, 0x7f, v9
	s_mul_u64 s[10:11], s[10:11], 0x6e
	v_mov_b32_e32 v137, 0
	v_mul_lo_u32 v7, v6, s15
	scratch_store_b64 off, v[10:11], off offset:100 ; 8-byte Folded Spill
	v_mad_co_u64_u32 v[10:11], null, 0x84, v6, v[4:5]
	v_min_i32_e32 v9, s5, v9
	s_wait_kmcnt 0x0
	s_add_nc_u64 s[0:1], s[0:1], s[10:11]
	v_mov_b32_e32 v131, 0
	v_mov_b32_e32 v147, 0
	scratch_store_b32 off, v7, off offset:108 ; 4-byte Folded Spill
	v_min_i32_e32 v7, s5, v8
	v_add_nc_u32_e32 v8, 0x58, v37
	v_dual_mov_b32 v125, 0 :: v_dual_lshlrev_b32 v100, 3, v9
	v_mov_b32_e32 v144, 0
	s_delay_alu instid0(VALU_DEP_4)
	v_mul_lo_u32 v6, v7, s15
	scratch_store_b64 off, v[10:11], off offset:112 ; 8-byte Folded Spill
	v_mad_co_u64_u32 v[10:11], null, 0x84, v7, v[4:5]
	v_mov_b32_e32 v139, 0
	v_mov_b32_e32 v155, 0
	;; [unrolled: 1-line block ×4, first 2 shown]
	scratch_store_b32 off, v6, off offset:120 ; 4-byte Folded Spill
	v_min_i32_e32 v6, s5, v8
	v_dual_mov_b32 v153, 0 :: v_dual_add_nc_u32 v8, 0x60, v37
	v_mov_b32_e32 v145, 0
	v_mov_b32_e32 v141, 0
	s_delay_alu instid0(VALU_DEP_4)
	v_mul_lo_u32 v7, v6, s15
	scratch_store_b64 off, v[10:11], off offset:124 ; 8-byte Folded Spill
	v_mad_co_u64_u32 v[11:12], null, 0x84, v6, v[4:5]
	v_ashrrev_i32_e32 v10, 31, v9
	v_mov_b32_e32 v151, 0
	scratch_store_b32 off, v7, off offset:132 ; 4-byte Folded Spill
	v_min_i32_e32 v7, s5, v8
	v_add_nc_u32_e32 v8, 0x68, v37
	v_lshrrev_b32_e32 v10, 28, v10
	s_delay_alu instid0(VALU_DEP_3)
	v_mul_lo_u32 v6, v7, s15
	scratch_store_b64 off, v[11:12], off offset:136 ; 8-byte Folded Spill
	v_mad_co_u64_u32 v[11:12], null, 0x84, v7, v[4:5]
	v_add_nc_u32_e32 v10, v9, v10
	scratch_store_b32 off, v6, off offset:144 ; 4-byte Folded Spill
	v_min_i32_e32 v6, s5, v8
	v_add_nc_u32_e32 v8, 0x70, v37
	s_delay_alu instid0(VALU_DEP_2)
	v_mul_lo_u32 v7, v6, s15
	scratch_store_b64 off, v[11:12], off offset:148 ; 8-byte Folded Spill
	v_mad_co_u64_u32 v[11:12], null, 0x84, v6, v[4:5]
	scratch_store_b32 off, v7, off offset:156 ; 4-byte Folded Spill
	v_min_i32_e32 v7, s5, v8
	v_add_nc_u32_e32 v8, 0x78, v37
	s_delay_alu instid0(VALU_DEP_2)
	v_mul_lo_u32 v6, v7, s15
	s_clause 0x1
	scratch_store_b64 off, v[11:12], off offset:160
	scratch_store_b32 off, v6, off offset:168
	v_min_i32_e32 v6, s5, v8
	v_ashrrev_i32_e32 v8, 4, v10
	v_mad_co_u64_u32 v[10:11], null, 0x84, v7, v[4:5]
	s_delay_alu instid0(VALU_DEP_3)
	v_mul_lo_u32 v7, v6, s15
	scratch_store_b64 off, v[10:11], off offset:172 ; 8-byte Folded Spill
	v_mad_co_u64_u32 v[11:12], null, 0x84, v6, v[4:5]
	v_mul_lo_u32 v6, v9, s15
	v_min_i32_e32 v10, s5, v15
	scratch_store_b32 off, v7, off offset:180 ; 4-byte Folded Spill
	v_lshlrev_b32_e32 v7, 2, v8
	v_lshlrev_b32_e32 v8, 2, v49
	v_cndmask_b32_e64 v5, 0, 1, vcc_lo
	scratch_store_b64 off, v[11:12], off offset:184 ; 8-byte Folded Spill
	v_lshrrev_b32_e32 v11, 31, v10
	scratch_store_b32 off, v6, off offset:192 ; 4-byte Folded Spill
	v_add_nc_u32_e32 v6, 16, v15
	v_add3_u32 v39, v7, v8, 0x9380
	v_add_nc_u32_e32 v8, 32, v15
	v_add_lshl_u32 v7, v10, v11, 1
	v_mul_lo_u32 v11, v10, s15
	v_min_i32_e32 v6, s5, v6
	scratch_store_b32 off, v5, off offset:196 ; 4-byte Folded Spill
	v_min_i32_e32 v8, s5, v8
	v_and_b32_e32 v7, -4, v7
	v_add_nc_u32_e32 v9, 48, v15
	v_lshrrev_b32_e32 v5, 31, v6
	v_lshlrev_b32_e32 v102, 6, v10
	v_mul_lo_u32 v10, v6, s15
	scratch_store_b32 off, v11, off offset:200 ; 4-byte Folded Spill
	v_lshrrev_b32_e32 v11, 31, v8
	v_add_lshl_u32 v5, v6, v5, 1
	v_add3_u32 v101, v7, v31, 0x4200
	v_min_i32_e32 v7, s5, v9
	v_lshlrev_b32_e32 v104, 6, v6
	v_add_lshl_u32 v9, v8, v11, 1
	v_and_b32_e32 v5, -4, v5
	v_lshlrev_b32_e32 v106, 6, v8
	v_add_nc_u32_e32 v11, 16, v16
	v_lshlrev_b32_e32 v108, 6, v7
	v_and_b32_e32 v9, -4, v9
	v_add3_u32 v103, v5, v31, 0x4200
	v_add_nc_u32_e32 v5, 64, v15
	v_cvt_f64_u32_e32 v[11:12], v11
	v_add_nc_u32_e32 v101, v101, v102
	v_add3_u32 v105, v9, v31, 0x4200
	v_mul_lo_u32 v9, v7, s15
	scratch_store_b32 off, v10, off offset:204 ; 4-byte Folded Spill
	v_lshrrev_b32_e32 v10, 31, v7
	v_min_i32_e32 v59, s5, v5
	v_add_nc_u32_e32 v5, 0x50, v15
	v_add_nc_u32_e32 v15, 0x70, v15
	;; [unrolled: 1-line block ×3, first 2 shown]
	v_add_lshl_u32 v6, v7, v10, 1
	v_mul_lo_u32 v10, v8, s15
	v_lshrrev_b32_e32 v8, 31, v59
	scratch_store_b32 off, v9, off offset:212 ; 4-byte Folded Spill
	v_add_nc_u32_e32 v9, 8, v16
	v_and_b32_e32 v6, -4, v6
	v_min_i32_e32 v60, s5, v5
	v_add_lshl_u32 v34, v59, v8, 1
	v_cvt_f64_u32_e32 v[7:8], v16
	v_mul_lo_u32 v16, v59, s15
	scratch_store_b32 off, v10, off offset:208 ; 4-byte Folded Spill
	v_add3_u32 v107, v6, v31, 0x4200
	v_cvt_f64_i32_e32 v[5:6], s7
	v_cvt_f64_u32_e32 v[9:10], v9
	v_and_b32_e32 v62, -4, v34
	v_cvt_f64_u32_e32 v[34:35], v35
	v_lshrrev_b32_e32 v58, 31, v60
	v_min_i32_e32 v65, s5, v15
	v_lshrrev_b32_e32 v15, 31, v61
	v_add3_u32 v109, v62, v31, 0x4200
	v_lshlrev_b32_e32 v110, 6, v59
	v_add_lshl_u32 v64, v60, v58, 1
	v_mul_lo_u32 v59, v60, s15
	v_add_lshl_u32 v15, v61, v15, 1
	v_lshlrev_b32_e32 v112, 6, v60
	v_mul_lo_u32 v60, v61, s15
	v_and_b32_e32 v62, -4, v64
	v_lshrrev_b32_e32 v64, 31, v65
	v_and_b32_e32 v15, -4, v15
	v_mul_lo_u32 v61, v65, s15
	v_lshlrev_b32_e32 v116, 6, v65
	v_add3_u32 v111, v62, v31, 0x4200
	v_add_lshl_u32 v62, v65, v64, 1
	v_bfe_u32 v64, v0, 3, 7
	v_add3_u32 v113, v15, v31, 0x4200
	v_and_b32_e32 v15, 3, v0
	v_add_nc_u32_e32 v103, v105, v106
	v_and_b32_e32 v62, -4, v62
	v_lshl_add_u32 v68, v37, 2, v64
	v_add_nc_u32_e32 v104, v107, v108
	v_cmp_gt_u32_e32 vcc_lo, 2, v15
	v_lshlrev_b32_e32 v66, 1, v15
	v_add3_u32 v115, v62, v31, 0x4200
	v_add_nc_u32_e32 v72, 0x60, v68
	v_add_nc_u16 v62, v15, -2
	v_min_i32_e32 v69, s5, v68
	v_add_nc_u32_e32 v106, v109, v110
	v_add_nc_u32_e32 v108, v113, v114
	v_min_i32_e32 v72, s5, v72
	s_wait_alu 0xfffd
	v_cndmask_b32_e32 v65, v62, v15, vcc_lo
	v_min_num_f64_e32 v[7:8], v[7:8], v[5:6]
	v_min_num_f64_e32 v[9:10], v[9:10], v[5:6]
	;; [unrolled: 1-line block ×8, first 2 shown]
	v_and_b32_e32 v35, 0xff, v65
	v_add_nc_u32_e32 v65, 32, v68
	v_ashrrev_i32_e32 v64, 31, v69
	v_mul_lo_u32 v67, v69, s15
	v_lshlrev_b32_e32 v117, 5, v69
	v_lshlrev_b32_e32 v118, 5, v72
	v_min_i32_e32 v70, s5, v65
	v_lshlrev_b32_e32 v65, 2, v35
	v_add_nc_u32_e32 v35, 64, v68
	v_lshrrev_b32_e32 v34, 30, v64
	v_and_b32_e32 v4, 28, v4
	v_ashrrev_i32_e32 v71, 31, v70
	v_lshlrev_b32_e32 v62, 1, v28
	v_min_i32_e32 v35, s5, v35
	v_add_nc_u32_e32 v34, v69, v34
	v_cmp_lt_u32_e32 vcc_lo, 3, v63
	v_lshrrev_b32_e32 v71, 30, v71
	v_mul_lo_u32 v68, v70, s15
	v_ashrrev_i32_e32 v69, 31, v35
	v_and_b32_e32 v34, -4, v34
	v_add_nc_u32_e32 v110, v115, v116
	v_add_nc_u32_e32 v71, v70, v71
	v_mov_b32_e32 v113, 0
	s_wait_alu 0xfffd
	v_cndmask_b32_e64 v63, 0, 1, vcc_lo
	v_add3_u32 v34, v34, v53, 0x8300
	v_and_b32_e32 v64, 4, v62
	v_add_nc_u32_e32 v107, v111, v112
	v_mov_b32_e32 v109, 0
	v_mov_b32_e32 v105, 0
	v_add_nc_u32_e32 v111, v34, v117
	v_cvt_i32_f64_e32 v7, v[7:8]
	v_cvt_i32_f64_e32 v9, v[9:10]
	v_ashrrev_i32_e32 v10, 31, v72
	v_cvt_i32_f64_e32 v13, v[13:14]
	v_cvt_i32_f64_e32 v14, v[24:25]
	;; [unrolled: 1-line block ×3, first 2 shown]
	v_bfe_u32 v24, v0, 2, 8
	v_cvt_i32_f64_e32 v5, v[5:6]
	v_lshrrev_b32_e32 v10, 30, v10
	v_cvt_i32_f64_e32 v11, v[11:12]
	v_cvt_i32_f64_e32 v27, v[32:33]
	v_lshlrev_b32_e32 v25, 2, v15
	v_lshrrev_b32_e32 v8, 30, v69
	v_add_nc_u32_e32 v6, v72, v10
	v_lshl_add_u32 v10, v37, 3, v24
	v_mul_lo_u32 v69, v35, s15
	v_lshlrev_b32_e32 v33, 5, v35
	v_add_nc_u32_e32 v8, v35, v8
	v_and_b32_e32 v35, 31, v0
	v_and_b32_e32 v10, 63, v10
	;; [unrolled: 1-line block ×3, first 2 shown]
	v_and_b32_e32 v6, -4, v6
	v_and_b32_e32 v12, -4, v71
	;; [unrolled: 1-line block ×3, first 2 shown]
	v_or_b32_e32 v24, s13, v10
	v_lshl_or_b32 v10, v10, 4, v25
	v_add3_u32 v6, v6, v53, 0x8300
	v_add3_u32 v12, v12, v53, 0x8300
	v_lshlrev_b32_e32 v32, 5, v70
	v_min_i32_e32 v24, s7, v24
	v_add3_u32 v8, v8, v53, 0x8300
	v_mul_lo_u32 v70, v72, s15
	v_lshl_or_b32 v35, v35, 2, 0x6300
	v_add_nc_u32_e32 v71, 0x97a0, v10
	v_mad_co_u64_u32 v[24:25], null, v24, s4, v[15:16]
	v_lshlrev_b32_e32 v25, 5, v28
	v_lshlrev_b32_e32 v10, 7, v2
	v_mul_lo_u32 v72, s4, v7
	v_lshlrev_b32_e32 v7, 7, v37
	v_mul_lo_u32 v73, s4, v9
	v_add3_u32 v81, v25, v0, 0x8300
	v_add_nc_u32_e32 v25, 0x60, v28
	v_mul_lo_u32 v77, s4, v26
	v_mul_lo_u32 v75, s4, v13
	v_mul_lo_u32 v79, s4, v5
	v_add_nc_u32_e32 v5, 32, v28
	v_lshrrev_b32_e32 v129, 4, v25
	v_mul_lo_u32 v74, s4, v11
	v_mul_lo_u32 v76, s4, v14
	v_lshlrev_b32_e32 v14, 7, v48
	v_lshlrev_b32_e32 v26, 5, v5
	v_and_b32_e32 v82, 0x1fc, v5
	v_lshrrev_b32_e32 v120, 4, v5
	v_mul_lo_u32 v78, s4, v27
	v_lshlrev_b32_e32 v15, 7, v90
	v_lshlrev_b32_e32 v27, 7, v91
	v_lshrrev_b32_e32 v0, 1, v5
	v_add3_u32 v82, v26, v82, 0x8300
	v_lshlrev_b32_e32 v26, 5, v97
	v_lshlrev_b32_e32 v84, 5, v25
	v_and_b32_e32 v85, 0x1fc, v25
	v_lshrrev_b32_e32 v127, 1, v25
	v_add_nc_u32_e32 v116, v6, v118
	v_lshlrev_b32_e32 v134, 2, v120
	v_dual_mov_b32 v129, 0 :: v_dual_lshlrev_b32 v142, 2, v129
	v_dual_mov_b32 v118, 0 :: v_dual_lshlrev_b32 v13, 7, v36
	;; [unrolled: 1-line block ×3, first 2 shown]
	v_lshlrev_b32_e32 v11, 7, v3
	v_lshlrev_b32_e32 v98, 6, v25
	;; [unrolled: 1-line block ×3, first 2 shown]
	v_add_co_u32 v25, s4, s2, v4
	v_add3_u32 v83, v26, v83, 0x8300
	v_add3_u32 v84, v84, v85, 0x8300
	v_lshlrev_b32_e32 v85, 5, v1
	v_lshlrev_b32_e32 v87, 5, v3
	;; [unrolled: 1-line block ×8, first 2 shown]
	s_wait_alu 0xf1ff
	v_add_co_ci_u32_e64 v26, null, s3, 0, s4
	v_add_nc_u32_e32 v112, v12, v32
	v_add_nc_u32_e32 v114, v8, v33
	;; [unrolled: 1-line block ×10, first 2 shown]
	v_lshlrev_b32_e32 v132, 2, v0
	v_dual_mov_b32 v115, 0 :: v_dual_lshlrev_b32 v140, 2, v127
	v_dual_mov_b32 v127, 0 :: v_dual_add_nc_u32 v100, v39, v100
	s_mov_b32 s5, 0
	scratch_store_b32 off, v16, off offset:216 ; 4-byte Folded Spill
	s_wait_alu 0xfffe
	s_mov_b32 s4, s5
	s_branch .LBB150_6
.LBB150_5:                              ;   in Loop: Header=BB150_6 Depth=1
	s_add_co_i32 s4, s4, 2
	s_wait_alu 0xfffe
	s_cmp_ge_i32 s4, s15
	s_cbranch_scc1 .LBB150_14
.LBB150_6:                              ; =>This Loop Header: Depth=1
                                        ;     Child Loop BB150_8 Depth 2
                                        ;       Child Loop BB150_10 Depth 3
                                        ;       Child Loop BB150_12 Depth 3
	s_clause 0x7
	scratch_load_b32 v2, off, off
	scratch_load_b32 v4, off, off offset:12
	scratch_load_b32 v6, off, off offset:24
	scratch_load_b32 v8, off, off offset:36
	scratch_load_b32 v10, off, off offset:48
	scratch_load_b32 v12, off, off offset:60
	scratch_load_b32 v14, off, off offset:72
	scratch_load_b32 v16, off, off offset:84
	s_wait_alu 0xfffe
	s_mul_u64 s[10:11], s[4:5], 0x6e
	s_lshl_b32 s7, s4, 3
	s_wait_alu 0xfffe
	s_add_nc_u64 s[10:11], s[0:1], s[10:11]
	s_wait_alu 0xfffe
	v_mad_co_u64_u32 v[0:1], null, 0x6e, v29, s[10:11]
	s_wait_loadcnt 0x7
	s_delay_alu instid0(VALU_DEP_1)
	v_mad_co_i64_i32 v[2:3], null, 0x6e, v2, v[0:1]
	s_wait_loadcnt 0x6
	v_mad_co_i64_i32 v[4:5], null, 0x6e, v4, v[0:1]
	s_wait_loadcnt 0x5
	;; [unrolled: 2-line block ×4, first 2 shown]
	v_mad_co_i64_i32 v[32:33], null, 0x6e, v16, v[0:1]
	scratch_load_b32 v16, off, off offset:96 ; 4-byte Folded Reload
	v_add_co_u32 v2, vcc_lo, v2, v31
	v_mad_co_i64_i32 v[10:11], null, 0x6e, v10, v[0:1]
	s_wait_alu 0xfffd
	v_add_co_ci_u32_e64 v3, null, 0, v3, vcc_lo
	v_add_co_u32 v4, vcc_lo, v4, v31
	v_mad_co_i64_i32 v[12:13], null, 0x6e, v12, v[0:1]
	s_wait_alu 0xfffd
	v_add_co_ci_u32_e64 v5, null, 0, v5, vcc_lo
	;; [unrolled: 4-line block ×3, first 2 shown]
	v_add_co_u32 v8, vcc_lo, v8, v31
	s_wait_alu 0xfffd
	v_add_co_ci_u32_e64 v9, null, 0, v9, vcc_lo
	v_add_co_u32 v10, vcc_lo, v10, v31
	s_wait_alu 0xfffd
	v_add_co_ci_u32_e64 v11, null, 0, v11, vcc_lo
	;; [unrolled: 3-line block ×5, first 2 shown]
	s_clause 0x7
	global_load_b32 v27, v[2:3], off offset:32
	global_load_b32 v36, v[4:5], off offset:32
	;; [unrolled: 1-line block ×8, first 2 shown]
	s_clause 0x5
	scratch_load_b32 v2, off, off offset:108
	scratch_load_b32 v6, off, off offset:120
	;; [unrolled: 1-line block ×6, first 2 shown]
	s_wait_loadcnt 0xe
	v_mad_co_i64_i32 v[34:35], null, 0x6e, v16, v[0:1]
	scratch_load_b32 v16, off, off offset:180 ; 4-byte Folded Reload
	v_add_co_u32 v4, vcc_lo, v34, v31
	s_wait_alu 0xfffd
	v_add_co_ci_u32_e64 v5, null, 0, v35, vcc_lo
	s_wait_loadcnt 0x6
	v_mad_co_i64_i32 v[2:3], null, 0x6e, v2, v[0:1]
	s_wait_loadcnt 0x5
	v_mad_co_i64_i32 v[6:7], null, 0x6e, v6, v[0:1]
	;; [unrolled: 2-line block ×6, first 2 shown]
	v_add_co_u32 v2, vcc_lo, v2, v31
	s_wait_alu 0xfffd
	v_add_co_ci_u32_e64 v3, null, 0, v3, vcc_lo
	v_add_co_u32 v6, vcc_lo, v6, v31
	s_wait_alu 0xfffd
	v_add_co_ci_u32_e64 v7, null, 0, v7, vcc_lo
	;; [unrolled: 3-line block ×6, first 2 shown]
	s_wait_loadcnt 0x0
	v_mad_co_i64_i32 v[0:1], null, 0x6e, v16, v[0:1]
	scratch_load_b32 v16, off, off offset:196 ; 4-byte Folded Reload
	v_add_co_u32 v0, vcc_lo, v0, v31
	s_wait_alu 0xfffd
	v_add_co_ci_u32_e64 v1, null, 0, v1, vcc_lo
	s_wait_loadcnt 0x0
	v_mad_co_u64_u32 v[32:33], null, 0x6e, v16, s[10:11]
	scratch_load_b32 v16, off, off offset:192 ; 4-byte Folded Reload
	s_clause 0x7
	global_load_b32 v164, v[4:5], off offset:32
	global_load_b32 v165, v[2:3], off offset:32
	global_load_b32 v166, v[6:7], off offset:32
	global_load_b32 v167, v[8:9], off offset:32
	global_load_b32 v168, v[10:11], off offset:32
	global_load_b32 v169, v[12:13], off offset:32
	global_load_b32 v170, v[14:15], off offset:32
	global_load_b32 v171, v[0:1], off offset:32
	s_clause 0x4
	scratch_load_b32 v2, off, off offset:200
	scratch_load_b32 v4, off, off offset:204
	;; [unrolled: 1-line block ×5, first 2 shown]
	v_add_co_u32 v32, vcc_lo, v32, v53
	s_wait_alu 0xfffd
	v_add_co_ci_u32_e64 v33, null, 0, v33, vcc_lo
	v_mad_co_u64_u32 v[10:11], null, 0x6e, v63, s[10:11]
	s_delay_alu instid0(VALU_DEP_2) | instskip(NEXT) | instid1(VALU_DEP_2)
	v_mad_co_i64_i32 v[14:15], null, 0x6e, v59, v[32:33]
	v_mad_co_i64_i32 v[158:159], null, 0x6e, v67, v[10:11]
	s_wait_loadcnt 0xd
	v_mad_co_i64_i32 v[34:35], null, 0x6e, v16, s[10:11]
	s_wait_loadcnt 0x4
	;; [unrolled: 2-line block ×4, first 2 shown]
	v_mad_co_i64_i32 v[6:7], null, 0x6e, v6, v[32:33]
	s_delay_alu instid0(VALU_DEP_4)
	v_mad_co_u64_u32 v[0:1], null, 0x6e, v49, v[34:35]
	s_wait_loadcnt 0x1
	v_mad_co_i64_i32 v[8:9], null, 0x6e, v8, v[32:33]
	s_wait_loadcnt 0x0
	v_mad_co_i64_i32 v[12:13], null, 0x6e, v12, v[32:33]
	v_mad_co_i64_i32 v[34:35], null, 0x6e, v60, v[32:33]
	s_clause 0x7
	global_load_u16 v172, v[0:1], off offset:108
	global_load_b32 v173, v[2:3], off
	global_load_b32 v174, v[4:5], off
	;; [unrolled: 1-line block ×7, first 2 shown]
	v_mad_co_i64_i32 v[2:3], null, 0x6e, v68, v[10:11]
	v_mad_co_i64_i32 v[6:7], null, 0x6e, v69, v[10:11]
	;; [unrolled: 1-line block ×4, first 2 shown]
	v_add_co_u32 v4, vcc_lo, v158, v65
	s_wait_alu 0xfffd
	v_add_co_ci_u32_e64 v5, null, 0, v159, vcc_lo
	v_add_co_u32 v10, vcc_lo, v2, v65
	s_wait_alu 0xfffd
	v_add_co_ci_u32_e64 v11, null, 0, v3, vcc_lo
	;; [unrolled: 3-line block ×4, first 2 shown]
	s_clause 0x8
	global_load_b32 v0, v[0:1], off
	global_load_b32 v1, v[4:5], off offset:96
	global_load_b32 v4, v[8:9], off offset:104
	;; [unrolled: 1-line block ×8, first 2 shown]
	scratch_load_b64 v[10:11], off, off offset:4 ; 8-byte Folded Reload
	v_add_nc_u32_e32 v158, s7, v24
	s_mov_b32 s10, 0
	s_wait_loadcnt 0x11
	v_cvt_f32_f16_e64 v9, v172
	s_wait_loadcnt 0xe
	v_not_b32_e32 v12, v175
	s_wait_loadcnt 0xd
	v_not_b32_e32 v13, v176
	;; [unrolled: 2-line block ×5, first 2 shown]
	s_wait_loadcnt 0x8
	v_ashrrev_i32_e32 v1, v64, v1
	s_wait_loadcnt 0x7
	v_ashrrev_i32_e32 v4, v66, v4
	;; [unrolled: 2-line block ×8, first 2 shown]
	s_wait_loadcnt 0x0
	ds_store_b32 v10, v27
	scratch_load_b64 v[10:11], off, off offset:16 ; 8-byte Folded Reload
	v_and_b32_e32 v1, 0xf0f0f0f, v1
	v_lshlrev_b32_e32 v3, 4, v3
	v_and_b32_e32 v6, 0xf0f0f0f, v6
	v_lshlrev_b32_e32 v2, 4, v2
	;; [unrolled: 2-line block ×4, first 2 shown]
	v_and_or_b32 v1, 0x30303030, v3, v1
	v_and_or_b32 v2, 0x30303030, v2, v6
	;; [unrolled: 1-line block ×3, first 2 shown]
	v_not_b32_e32 v27, v34
	v_and_or_b32 v4, 0x30303030, v4, v8
	v_lshrrev_b32_e32 v5, 16, v1
	v_and_b32_e32 v6, 0x3f00, v1
	v_lshlrev_b16 v1, 8, v1
	v_lshrrev_b32_e32 v7, 16, v2
	v_and_b32_e32 v8, 0x3f00, v2
	v_lshlrev_b16 v2, 8, v2
	s_delay_alu instid0(VALU_DEP_4) | instskip(NEXT) | instid1(VALU_DEP_2)
	v_add_nc_u16 v1, 0xe000, v1
	v_add_nc_u16 v2, 0xe000, v2
	s_delay_alu instid0(VALU_DEP_2) | instskip(NEXT) | instid1(VALU_DEP_2)
	v_lshrrev_b16 v1, 8, v1
	v_lshrrev_b16 v2, 8, v2
	s_delay_alu instid0(VALU_DEP_2) | instskip(NEXT) | instid1(VALU_DEP_2)
	v_or_b32_e32 v1, v6, v1
	v_or_b32_e32 v2, v8, v2
	s_delay_alu instid0(VALU_DEP_2) | instskip(NEXT) | instid1(VALU_DEP_2)
	v_add_nc_u16 v1, 0xe000, v1
	v_add_nc_u16 v2, 0xe000, v2
	s_delay_alu instid0(VALU_DEP_2) | instskip(NEXT) | instid1(VALU_DEP_2)
	v_and_b32_e32 v1, 0xffff, v1
	v_and_b32_e32 v2, 0xffff, v2
	s_wait_loadcnt 0x0
	ds_store_b32 v10, v36
	scratch_load_b64 v[10:11], off, off offset:28 ; 8-byte Folded Reload
	s_wait_loadcnt 0x0
	ds_store_b32 v10, v39
	scratch_load_b64 v[10:11], off, off offset:40 ; 8-byte Folded Reload
	;; [unrolled: 3-line block ×14, first 2 shown]
	s_wait_loadcnt 0x0
	v_not_b32_e32 v11, v174
	ds_store_b32 v10, v171
	v_not_b32_e32 v10, v173
	ds_store_b32 v100, v9
	ds_store_b32 v101, v10
	;; [unrolled: 1-line block ×6, first 2 shown]
	v_lshrrev_b32_e32 v9, 16, v3
	v_lshrrev_b32_e32 v11, 16, v4
	v_and_b32_e32 v13, 0x3f00, v5
	v_lshlrev_b16 v5, 8, v5
	v_and_b32_e32 v14, 0x3f00, v7
	v_lshlrev_b16 v7, 8, v7
	ds_store_b32 v107, v15
	v_and_b32_e32 v10, 0x3f00, v3
	v_lshlrev_b16 v3, 8, v3
	v_and_b32_e32 v15, 0x3f00, v9
	v_lshlrev_b16 v9, 8, v9
	;; [unrolled: 2-line block ×4, first 2 shown]
	v_add_nc_u16 v5, 0xe000, v5
	v_add_nc_u16 v7, 0xe000, v7
	;; [unrolled: 1-line block ×6, first 2 shown]
	v_lshrrev_b16 v5, 8, v5
	v_lshrrev_b16 v6, 8, v7
	;; [unrolled: 1-line block ×6, first 2 shown]
	v_or_b32_e32 v5, v13, v5
	v_or_b32_e32 v6, v14, v6
	;; [unrolled: 1-line block ×6, first 2 shown]
	v_add_nc_u16 v5, 0xe000, v5
	v_add_nc_u16 v6, 0xe000, v6
	;; [unrolled: 1-line block ×6, first 2 shown]
	v_lshlrev_b32_e32 v5, 16, v5
	v_lshlrev_b32_e32 v6, 16, v6
	v_and_b32_e32 v3, 0xffff, v3
	v_lshlrev_b32_e32 v7, 16, v7
	v_and_b32_e32 v4, 0xffff, v4
	v_lshlrev_b32_e32 v8, 16, v8
	v_or_b32_e32 v1, v1, v5
	v_or_b32_e32 v2, v2, v6
	;; [unrolled: 1-line block ×3, first 2 shown]
	ds_store_b32 v108, v27
	v_or_b32_e32 v4, v4, v8
	ds_store_b32 v110, v0
	ds_store_b32 v111, v1
	;; [unrolled: 1-line block ×5, first 2 shown]
	s_branch .LBB150_8
.LBB150_7:                              ;   in Loop: Header=BB150_8 Depth=2
                                        ; implicit-def: $sgpr10
	s_wait_alu 0xfffe
	s_and_b32 vcc_lo, exec_lo, s11
	s_wait_alu 0xfffe
	s_cbranch_vccnz .LBB150_5
.LBB150_8:                              ;   Parent Loop BB150_6 Depth=1
                                        ; =>  This Loop Header: Depth=2
                                        ;       Child Loop BB150_10 Depth 3
                                        ;       Child Loop BB150_12 Depth 3
	s_wait_alu 0xfffe
	s_lshr_b32 s11, s10, 1
	s_wait_alu 0xfffe
	s_or_b32 s11, s11, s4
	s_wait_alu 0xfffe
	s_cmp_lt_i32 s11, s15
	s_mov_b32 s11, -1
	s_cbranch_scc0 .LBB150_7
; %bb.9:                                ;   in Loop: Header=BB150_8 Depth=2
	v_lshl_add_u32 v0, s10, 5, v28
	v_lshl_add_u32 v8, s10, 2, v158
	s_or_b32 s16, s10, 1
	s_lshl_b32 s17, s10, 3
	s_wait_alu 0xfffe
	s_lshl_b32 s11, s16, 3
	v_lshrrev_b32_e32 v0, 3, v0
	v_mad_co_u64_u32 v[8:9], null, v8, 36, s[2:3]
	s_delay_alu instid0(VALU_DEP_2) | instskip(NEXT) | instid1(VALU_DEP_1)
	v_add_nc_u32_e32 v0, s7, v0
	v_add_nc_u32_e32 v10, v0, v79
	;; [unrolled: 1-line block ×7, first 2 shown]
	v_mad_co_i64_i32 v[10:11], null, v10, 36, v[25:26]
	v_add_nc_u32_e32 v14, v0, v77
	v_add_nc_u32_e32 v27, v0, v78
	v_mad_co_i64_i32 v[0:1], null, v1, 36, v[25:26]
	v_mad_co_i64_i32 v[2:3], null, v2, 36, v[25:26]
	;; [unrolled: 1-line block ×7, first 2 shown]
	s_clause 0x8
	global_load_b32 v8, v[8:9], off
	global_load_b32 v9, v[10:11], off offset:4
	global_load_b32 v0, v[0:1], off offset:4
	;; [unrolled: 1-line block ×8, first 2 shown]
	s_wait_loadcnt 0x8
	v_cvt_f32_f16_e32 v7, v8
	s_wait_loadcnt 0x7
	ds_store_b32 v130, v9
	s_wait_loadcnt 0x6
	ds_store_b32 v117, v0
	;; [unrolled: 2-line block ×8, first 2 shown]
	ds_store_b32 v71, v7
	s_wait_storecnt_dscnt 0x0
	s_barrier_signal -1
	s_barrier_wait -1
	global_inv scope:SCOPE_SE
.LBB150_10:                             ;   Parent Loop BB150_6 Depth=1
                                        ;     Parent Loop BB150_8 Depth=2
                                        ; =>    This Inner Loop Header: Depth=3
	s_lshl_b32 s18, s17, 2
	s_lshr_b32 s21, s17, 4
	s_wait_alu 0xfffe
	s_and_b32 s18, s18, 24
	v_lshlrev_b32_e32 v159, 2, v40
	s_wait_alu 0xfffe
	v_or_b32_e32 v0, s18, v80
	s_lshl_b32 s23, s21, 5
	s_and_b32 s22, s17, 0x3ffffff8
	s_wait_alu 0xfffe
	s_addk_co_i32 s23, 0x4200
	v_lshl_add_u32 v27, s22, 2, v92
	v_lshlrev_b32_e32 v9, 2, v0
	v_lshrrev_b32_e32 v0, 1, v0
	s_wait_alu 0xfffe
	v_add3_u32 v7, s23, v159, v93
	s_bfe_u32 s19, s17, 0x30001
	s_and_b32 s20, s17, 6
	v_lshlrev_b32_e32 v160, 2, v29
	ds_load_b32 v8, v0 offset:38816
	ds_load_2addr_b32 v[2:3], v7 offset1:1
	ds_load_2addr_b32 v[0:1], v27 offset1:1
	v_lshlrev_b32_e32 v161, 2, v62
	s_lshl_b32 s24, s21, 2
	s_and_b32 s21, s17, -2
	s_add_co_i32 s22, s24, 0x9380
	s_wait_alu 0xfffe
	v_add_nc_u32_e32 v205, s21, v81
	v_add_nc_u32_e32 v232, s21, v82
	s_add_co_i32 s17, s17, 2
	s_wait_alu 0xfffe
	s_cmp_lt_u32 s17, s11
	s_wait_dscnt 0x1
	v_ashrrev_i32_e32 v2, s19, v2
	s_wait_dscnt 0x0
	v_ashrrev_i32_e32 v0, s20, v0
	v_ashrrev_i32_e32 v3, s19, v3
	s_delay_alu instid0(VALU_DEP_3) | instskip(NEXT) | instid1(VALU_DEP_3)
	v_lshlrev_b32_e32 v2, 2, v2
	v_and_b32_e32 v4, 0x3030303, v0
	v_bfe_u32 v0, v0, 24, 2
	s_delay_alu instid0(VALU_DEP_4) | instskip(NEXT) | instid1(VALU_DEP_4)
	v_lshlrev_b32_e32 v3, 2, v3
	v_and_b32_e32 v2, 0x4040404, v2
	s_delay_alu instid0(VALU_DEP_4) | instskip(SKIP_1) | instid1(VALU_DEP_4)
	v_lshrrev_b32_e32 v5, 16, v4
	v_lshrrev_b16 v6, 8, v4
	v_and_b32_e32 v3, 0x4040404, v3
	s_delay_alu instid0(VALU_DEP_4)
	v_lshrrev_b32_e32 v11, 24, v2
	v_lshrrev_b32_e32 v10, 16, v2
	v_lshrrev_b16 v12, 8, v2
	v_sub_nc_u16 v13, v4, v2
	v_lshrrev_b16 v14, 8, v3
	v_sub_nc_u16 v11, v0, v11
	v_ashrrev_i32_e32 v0, s20, v1
	v_sub_nc_u16 v12, v6, v12
	v_sub_nc_u16 v10, v5, v10
	v_lshrrev_b32_e32 v5, 24, v3
	v_lshrrev_b32_e32 v6, 16, v3
	v_bfe_u32 v1, v0, 24, 2
	v_and_b32_e32 v0, 0x3030303, v0
	v_bfe_i32 v174, v11, 0, 16
	v_bfe_i32 v172, v13, 0, 8
	;; [unrolled: 1-line block ×3, first 2 shown]
	v_sub_nc_u16 v35, v1, v5
	v_lshrrev_b32_e32 v2, 16, v0
	v_lshrrev_b16 v4, 8, v0
	v_sub_nc_u16 v15, v0, v3
	ds_load_2addr_b32 v[0:1], v27 offset0:2 offset1:3
	v_bfe_i32 v176, v35, 0, 16
	v_sub_nc_u16 v34, v2, v6
	ds_load_2addr_b32 v[2:3], v7 offset0:2 offset1:3
	v_sub_nc_u16 v14, v4, v14
	v_bfe_i32 v179, v15, 0, 8
	v_bfe_i32 v173, v10, 0, 8
	;; [unrolled: 1-line block ×3, first 2 shown]
	s_delay_alu instid0(VALU_DEP_4)
	v_bfe_i32 v178, v14, 0, 16
	s_wait_dscnt 0x1
	v_ashrrev_i32_e32 v0, s20, v0
	s_wait_dscnt 0x0
	v_ashrrev_i32_e32 v2, s19, v2
	v_ashrrev_i32_e32 v3, s19, v3
	s_delay_alu instid0(VALU_DEP_3) | instskip(SKIP_1) | instid1(VALU_DEP_4)
	v_bfe_u32 v4, v0, 24, 2
	v_and_b32_e32 v0, 0x3030303, v0
	v_lshlrev_b32_e32 v2, 2, v2
	s_delay_alu instid0(VALU_DEP_4) | instskip(NEXT) | instid1(VALU_DEP_3)
	v_lshlrev_b32_e32 v3, 2, v3
	v_lshrrev_b32_e32 v5, 16, v0
	v_lshrrev_b16 v6, 8, v0
	s_delay_alu instid0(VALU_DEP_4) | instskip(NEXT) | instid1(VALU_DEP_4)
	v_and_b32_e32 v2, 0x4040404, v2
	v_and_b32_e32 v3, 0x4040404, v3
	s_delay_alu instid0(VALU_DEP_2)
	v_sub_nc_u16 v39, v0, v2
	v_ashrrev_i32_e32 v0, s20, v1
	v_lshrrev_b32_e32 v33, 16, v2
	v_lshrrev_b16 v36, 8, v2
	v_lshrrev_b32_e32 v32, 24, v2
	v_bfe_i32 v183, v39, 0, 8
	v_bfe_u32 v1, v0, 24, 2
	v_and_b32_e32 v0, 0x3030303, v0
	v_sub_nc_u16 v36, v6, v36
	v_sub_nc_u16 v162, v5, v33
	v_lshrrev_b32_e32 v5, 24, v3
	v_lshrrev_b32_e32 v6, 16, v3
	;; [unrolled: 1-line block ×3, first 2 shown]
	v_sub_nc_u16 v163, v4, v32
	v_lshrrev_b16 v4, 8, v0
	v_lshrrev_b16 v32, 8, v3
	v_sub_nc_u16 v164, v0, v3
	v_sub_nc_u16 v166, v2, v6
	;; [unrolled: 1-line block ×3, first 2 shown]
	ds_load_2addr_b32 v[0:1], v27 offset0:4 offset1:5
	ds_load_2addr_b32 v[2:3], v7 offset0:4 offset1:5
	v_sub_nc_u16 v165, v4, v32
	v_bfe_i32 v180, v163, 0, 16
	v_bfe_i32 v182, v36, 0, 16
	;; [unrolled: 1-line block ×6, first 2 shown]
	s_wait_dscnt 0x1
	v_ashrrev_i32_e32 v0, s20, v0
	s_wait_dscnt 0x0
	v_ashrrev_i32_e32 v2, s19, v2
	v_ashrrev_i32_e32 v3, s19, v3
	s_delay_alu instid0(VALU_DEP_3) | instskip(NEXT) | instid1(VALU_DEP_3)
	v_and_b32_e32 v4, 0x3030303, v0
	v_lshlrev_b32_e32 v2, 2, v2
	v_bfe_u32 v0, v0, 24, 2
	s_delay_alu instid0(VALU_DEP_4) | instskip(NEXT) | instid1(VALU_DEP_4)
	v_lshlrev_b32_e32 v3, 2, v3
	v_lshrrev_b32_e32 v5, 16, v4
	s_delay_alu instid0(VALU_DEP_4) | instskip(SKIP_1) | instid1(VALU_DEP_4)
	v_and_b32_e32 v2, 0x4040404, v2
	v_lshrrev_b16 v6, 8, v4
	v_and_b32_e32 v3, 0x4040404, v3
	s_delay_alu instid0(VALU_DEP_3) | instskip(SKIP_3) | instid1(VALU_DEP_4)
	v_lshrrev_b32_e32 v33, 24, v2
	v_lshrrev_b32_e32 v32, 16, v2
	v_lshrrev_b16 v48, 8, v2
	v_sub_nc_u16 v184, v4, v2
	v_sub_nc_u16 v170, v0, v33
	v_ashrrev_i32_e32 v0, s20, v1
	s_delay_alu instid0(VALU_DEP_4)
	v_sub_nc_u16 v168, v6, v48
	v_sub_nc_u16 v171, v5, v32
	v_lshrrev_b32_e32 v5, 24, v3
	v_lshrrev_b32_e32 v6, 16, v3
	v_bfe_u32 v1, v0, 24, 2
	v_and_b32_e32 v0, 0x3030303, v0
	v_lshrrev_b16 v32, 8, v3
	v_bfe_i32 v192, v168, 0, 16
	s_delay_alu instid0(VALU_DEP_4) | instskip(NEXT) | instid1(VALU_DEP_4)
	v_sub_nc_u16 v193, v1, v5
	v_lshrrev_b32_e32 v2, 16, v0
	v_lshrrev_b16 v4, 8, v0
	v_sub_nc_u16 v196, v0, v3
	ds_load_2addr_b32 v[0:1], v27 offset0:6 offset1:7
	v_bfe_i32 v193, v193, 0, 16
	v_sub_nc_u16 v194, v2, v6
	ds_load_2addr_b32 v[2:3], v7 offset0:6 offset1:7
	v_sub_nc_u16 v195, v4, v32
	v_bfe_i32 v196, v196, 0, 8
	v_bfe_i32 v194, v194, 0, 8
	s_delay_alu instid0(VALU_DEP_3)
	v_bfe_i32 v195, v195, 0, 16
	s_wait_dscnt 0x1
	v_ashrrev_i32_e32 v0, s20, v0
	s_wait_dscnt 0x0
	v_ashrrev_i32_e32 v2, s19, v2
	v_ashrrev_i32_e32 v3, s19, v3
	s_delay_alu instid0(VALU_DEP_3) | instskip(SKIP_1) | instid1(VALU_DEP_4)
	v_bfe_u32 v4, v0, 24, 2
	v_and_b32_e32 v0, 0x3030303, v0
	v_lshlrev_b32_e32 v2, 2, v2
	s_delay_alu instid0(VALU_DEP_4) | instskip(NEXT) | instid1(VALU_DEP_3)
	v_lshlrev_b32_e32 v3, 2, v3
	v_lshrrev_b32_e32 v5, 16, v0
	v_lshrrev_b16 v6, 8, v0
	s_delay_alu instid0(VALU_DEP_4) | instskip(NEXT) | instid1(VALU_DEP_4)
	v_and_b32_e32 v2, 0x4040404, v2
	v_and_b32_e32 v3, 0x4040404, v3
	s_delay_alu instid0(VALU_DEP_2)
	v_sub_nc_u16 v200, v0, v2
	v_ashrrev_i32_e32 v0, s20, v1
	v_lshrrev_b32_e32 v7, 24, v2
	v_lshrrev_b32_e32 v32, 16, v2
	v_lshrrev_b16 v33, 8, v2
	v_bfe_i32 v200, v200, 0, 8
	v_bfe_u32 v1, v0, 24, 2
	v_and_b32_e32 v0, 0x3030303, v0
	v_sub_nc_u16 v198, v5, v32
	v_sub_nc_u16 v199, v6, v33
	;; [unrolled: 1-line block ×3, first 2 shown]
	v_lshrrev_b32_e32 v5, 24, v3
	v_lshrrev_b32_e32 v2, 16, v0
	v_lshrrev_b16 v4, 8, v0
	v_lshrrev_b32_e32 v6, 16, v3
	v_lshrrev_b16 v7, 8, v3
	v_sub_nc_u16 v202, v0, v3
	v_add3_u32 v0, s22, v160, v161
	v_sub_nc_u16 v201, v1, v5
	v_sub_nc_u16 v203, v2, v6
	;; [unrolled: 1-line block ×3, first 2 shown]
	ds_load_b32 v169, v0
	ds_load_b128 v[4:7], v9 offset:25344
	ds_load_b128 v[0:3], v9 offset:25360
	v_bfe_i32 v197, v197, 0, 16
	v_bfe_i32 v199, v199, 0, 16
	v_bfe_i32 v201, v201, 0, 16
	v_bfe_i32 v198, v198, 0, 8
	v_bfe_i32 v203, v203, 0, 8
	v_bfe_i32 v208, v204, 0, 16
	v_bfe_i32 v210, v202, 0, 8
	s_wait_dscnt 0x1
	v_lshrrev_b16 v32, 8, v4
	v_lshrrev_b16 v33, 8, v5
	;; [unrolled: 1-line block ×4, first 2 shown]
	v_ashrrev_i32_e32 v11, 24, v5
	v_ashrrev_i32_e32 v190, 24, v4
	v_bfe_i32 v32, v32, 0, 8
	v_bfe_i32 v12, v5, 16, 8
	;; [unrolled: 1-line block ×4, first 2 shown]
	v_mul_i32_i24_e32 v11, v176, v11
	v_ashrrev_i32_e32 v15, 24, v6
	v_bfe_i32 v35, v48, 0, 8
	v_ashrrev_i32_e32 v39, 24, v7
	v_bfe_i32 v191, v185, 0, 8
	v_bfe_i32 v185, v167, 0, 16
	;; [unrolled: 1-line block ×4, first 2 shown]
	v_mul_i32_i24_e32 v10, v175, v32
	v_mul_i32_i24_e32 v14, v179, v33
	;; [unrolled: 1-line block ×4, first 2 shown]
	v_bfe_i32 v34, v6, 16, 8
	v_bfe_i32 v48, v6, 0, 8
	v_mul_i32_i24_e32 v35, v182, v35
	v_mul_i32_i24_e32 v15, v180, v15
	v_bfe_i32 v163, v7, 16, 8
	v_bfe_i32 v162, v7, 0, 8
	v_mul_i32_i24_e32 v39, v185, v39
	v_mad_i32_i24 v11, v174, v190, v11
	v_mul_i32_i24_e32 v36, v183, v48
	v_mul_i32_i24_e32 v34, v181, v34
	;; [unrolled: 1-line block ×5, first 2 shown]
	v_mad_i32_i24 v12, v173, v189, v12
	v_mad_i32_i24 v14, v172, v9, v14
	v_add3_u32 v10, v10, v13, v35
	v_add3_u32 v11, v11, v15, v39
	s_wait_dscnt 0x0
	v_ashrrev_i32_e32 v35, 24, v0
	v_add3_u32 v12, v12, v34, v163
	v_add3_u32 v13, v14, v36, v164
	v_lshrrev_b16 v14, 8, v3
	v_add3_u32 v10, v10, v165, v11
	v_bfe_i32 v189, v184, 0, 8
	v_bfe_i32 v191, v170, 0, 16
	;; [unrolled: 1-line block ×4, first 2 shown]
	v_add3_u32 v11, v13, v12, v10
	v_lshrrev_b16 v10, 8, v0
	v_lshrrev_b16 v12, 8, v1
	v_lshrrev_b16 v13, 8, v2
	v_ashrrev_i32_e32 v184, 24, v3
	v_bfe_i32 v163, v0, 0, 8
	v_bfe_i32 v164, v10, 0, 8
	v_ashrrev_i32_e32 v10, 24, v1
	v_bfe_i32 v12, v12, 0, 8
	v_bfe_i32 v13, v13, 0, 8
	;; [unrolled: 1-line block ×4, first 2 shown]
	v_mul_i32_i24_e32 v167, v193, v10
	v_ashrrev_i32_e32 v10, 24, v2
	v_mul_i32_i24_e32 v36, v192, v164
	v_mul_i32_i24_e32 v39, v196, v165
	;; [unrolled: 1-line block ×4, first 2 shown]
	v_bfe_i32 v168, v2, 16, 8
	v_bfe_i32 v34, v2, 0, 8
	v_mul_i32_i24_e32 v13, v199, v13
	v_mul_i32_i24_e32 v171, v197, v10
	v_bfe_i32 v206, v3, 16, 8
	v_bfe_i32 v14, v14, 0, 8
	;; [unrolled: 1-line block ×3, first 2 shown]
	v_mul_i32_i24_e32 v184, v201, v184
	v_mad_i32_i24 v35, v191, v35, v167
	v_mul_i32_i24_e32 v170, v200, v34
	v_mul_i32_i24_e32 v168, v198, v168
	;; [unrolled: 1-line block ×5, first 2 shown]
	v_mad_i32_i24 v15, v190, v15, v166
	v_mad_i32_i24 v39, v189, v163, v39
	v_add3_u32 v12, v36, v12, v13
	v_add3_u32 v35, v35, v171, v184
	v_perm_b32 v231, v4, v4, 0xc0c0302
	v_add3_u32 v15, v15, v168, v204
	v_add3_u32 v13, v39, v170, v202
	;; [unrolled: 1-line block ×4, first 2 shown]
	v_perm_b32 v6, v6, v6, 0xc030201
	v_perm_b32 v7, v7, v7, 0xc030201
	s_delay_alu instid0(VALU_DEP_3) | instskip(SKIP_4) | instid1(VALU_DEP_2)
	v_add3_u32 v12, v13, v15, v12
	ds_load_u16 v13, v205
	s_wait_dscnt 0x0
	v_bfe_i32 v216, v13, 0, 8
	v_lshrrev_b16 v14, 8, v13
	v_mul_lo_u32 v11, v11, v216
	s_delay_alu instid0(VALU_DEP_2) | instskip(SKIP_3) | instid1(VALU_DEP_2)
	v_bfe_i32 v212, v14, 0, 8
	ds_load_2addr_b32 v[13:14], v39 offset1:1
	v_mad_co_u64_u32 v[11:12], null, v12, v212, v[11:12]
	v_mul_f32_e32 v12, v8, v169
	v_cvt_f32_i32_e32 v11, v11
	s_delay_alu instid0(VALU_DEP_1)
	v_fmac_f32_e32 v30, v12, v11
	v_add_nc_u32_e32 v11, 0x1080, v27
	s_wait_dscnt 0x0
	v_ashrrev_i32_e32 v13, s19, v13
	v_ashrrev_i32_e32 v14, s19, v14
	ds_load_2addr_b32 v[11:12], v11 offset1:1
	v_lshlrev_b32_e32 v13, 2, v13
	v_lshlrev_b32_e32 v14, 2, v14
	s_delay_alu instid0(VALU_DEP_2) | instskip(NEXT) | instid1(VALU_DEP_2)
	v_and_b32_e32 v13, 0x4040404, v13
	v_and_b32_e32 v14, 0x4040404, v14
	s_delay_alu instid0(VALU_DEP_2) | instskip(SKIP_4) | instid1(VALU_DEP_1)
	v_lshrrev_b32_e32 v167, 16, v13
	v_lshrrev_b32_e32 v168, 24, v13
	v_lshrrev_b16 v166, 8, v13
	s_wait_dscnt 0x0
	v_ashrrev_i32_e32 v11, s20, v11
	v_and_b32_e32 v15, 0x3030303, v11
	v_bfe_u32 v11, v11, 24, 2
	s_delay_alu instid0(VALU_DEP_2) | instskip(NEXT) | instid1(VALU_DEP_2)
	v_lshrrev_b32_e32 v36, 16, v15
	v_sub_nc_u16 v11, v11, v168
	v_lshrrev_b16 v35, 8, v15
	v_sub_nc_u16 v223, v15, v13
	s_delay_alu instid0(VALU_DEP_4) | instskip(NEXT) | instid1(VALU_DEP_4)
	v_sub_nc_u16 v207, v36, v167
	v_lshlrev_b16 v11, 8, v11
	s_delay_alu instid0(VALU_DEP_3) | instskip(NEXT) | instid1(VALU_DEP_3)
	v_bfe_i32 v223, v223, 0, 8
	v_and_b32_e32 v36, 0xff, v207
	s_delay_alu instid0(VALU_DEP_1)
	v_or_b32_e32 v211, v36, v11
	v_sub_nc_u16 v11, v35, v166
	v_lshrrev_b32_e32 v36, 16, v14
	v_lshrrev_b32_e32 v166, 24, v14
	v_lshrrev_b16 v35, 8, v14
	v_perm_b32 v254, v211, v207, 0xc0c0500
	v_lshlrev_b16 v224, 8, v11
	v_ashrrev_i32_e32 v11, s20, v12
	s_delay_alu instid0(VALU_DEP_2) | instskip(NEXT) | instid1(VALU_DEP_2)
	v_bfe_i32 v224, v224, 8, 8
	v_and_b32_e32 v12, 0x3030303, v11
	v_bfe_u32 v11, v11, 24, 2
	s_delay_alu instid0(VALU_DEP_2) | instskip(NEXT) | instid1(VALU_DEP_2)
	v_lshrrev_b32_e32 v15, 16, v12
	v_sub_nc_u16 v11, v11, v166
	v_lshrrev_b16 v13, 8, v12
	v_sub_nc_u16 v225, v12, v14
	s_delay_alu instid0(VALU_DEP_4) | instskip(NEXT) | instid1(VALU_DEP_4)
	v_sub_nc_u16 v209, v15, v36
	v_lshlrev_b16 v11, 8, v11
	s_delay_alu instid0(VALU_DEP_3) | instskip(NEXT) | instid1(VALU_DEP_3)
	v_bfe_i32 v255, v225, 0, 8
	v_and_b32_e32 v15, 0xff, v209
	s_delay_alu instid0(VALU_DEP_1)
	v_or_b32_e32 v213, v15, v11
	v_sub_nc_u16 v11, v13, v35
	ds_load_2addr_b32 v[13:14], v39 offset0:2 offset1:3
	v_lshlrev_b16 v214, 8, v11
	v_add_nc_u32_e32 v11, 0x1088, v27
	ds_load_2addr_b32 v[11:12], v11 offset1:1
	s_wait_dscnt 0x1
	v_ashrrev_i32_e32 v13, s19, v13
	v_ashrrev_i32_e32 v14, s19, v14
	s_delay_alu instid0(VALU_DEP_2) | instskip(NEXT) | instid1(VALU_DEP_2)
	v_lshlrev_b32_e32 v13, 2, v13
	v_lshlrev_b32_e32 v14, 2, v14
	s_wait_dscnt 0x0
	v_ashrrev_i32_e32 v11, s20, v11
	s_delay_alu instid0(VALU_DEP_3) | instskip(NEXT) | instid1(VALU_DEP_3)
	v_and_b32_e32 v13, 0x4040404, v13
	v_and_b32_e32 v14, 0x4040404, v14
	s_delay_alu instid0(VALU_DEP_3) | instskip(SKIP_1) | instid1(VALU_DEP_4)
	v_and_b32_e32 v15, 0x3030303, v11
	v_bfe_u32 v11, v11, 24, 2
	v_lshrrev_b32_e32 v167, 16, v13
	v_lshrrev_b32_e32 v168, 24, v13
	v_lshrrev_b16 v166, 8, v13
	v_lshrrev_b32_e32 v36, 16, v15
	v_lshrrev_b16 v35, 8, v15
	v_sub_nc_u16 v229, v15, v13
	v_sub_nc_u16 v11, v11, v168
	s_delay_alu instid0(VALU_DEP_4) | instskip(NEXT) | instid1(VALU_DEP_3)
	v_sub_nc_u16 v217, v36, v167
	v_bfe_i32 v247, v229, 0, 8
	s_delay_alu instid0(VALU_DEP_3) | instskip(NEXT) | instid1(VALU_DEP_3)
	v_lshlrev_b16 v11, 8, v11
	v_and_b32_e32 v36, 0xff, v217
	s_delay_alu instid0(VALU_DEP_1) | instskip(SKIP_4) | instid1(VALU_DEP_4)
	v_or_b32_e32 v218, v36, v11
	v_sub_nc_u16 v11, v35, v166
	v_lshrrev_b32_e32 v36, 16, v14
	v_lshrrev_b32_e32 v166, 24, v14
	v_lshrrev_b16 v35, 8, v14
	v_lshlrev_b16 v219, 8, v11
	v_ashrrev_i32_e32 v11, s20, v12
	s_delay_alu instid0(VALU_DEP_1) | instskip(SKIP_1) | instid1(VALU_DEP_2)
	v_and_b32_e32 v12, 0x3030303, v11
	v_bfe_u32 v11, v11, 24, 2
	v_lshrrev_b32_e32 v15, 16, v12
	s_delay_alu instid0(VALU_DEP_2) | instskip(SKIP_2) | instid1(VALU_DEP_4)
	v_sub_nc_u16 v11, v11, v166
	v_lshrrev_b16 v13, 8, v12
	v_sub_nc_u16 v230, v12, v14
	v_sub_nc_u16 v220, v15, v36
	s_delay_alu instid0(VALU_DEP_4) | instskip(NEXT) | instid1(VALU_DEP_3)
	v_lshlrev_b16 v11, 8, v11
	v_bfe_i32 v4, v230, 0, 8
	s_delay_alu instid0(VALU_DEP_3) | instskip(NEXT) | instid1(VALU_DEP_1)
	v_and_b32_e32 v15, 0xff, v220
	v_or_b32_e32 v221, v15, v11
	v_sub_nc_u16 v11, v13, v35
	ds_load_2addr_b32 v[13:14], v39 offset0:4 offset1:5
	v_lshlrev_b16 v222, 8, v11
	v_add_nc_u32_e32 v11, 0x1090, v27
	ds_load_2addr_b32 v[11:12], v11 offset1:1
	s_wait_dscnt 0x1
	v_ashrrev_i32_e32 v13, s19, v13
	v_ashrrev_i32_e32 v14, s19, v14
	s_delay_alu instid0(VALU_DEP_2) | instskip(NEXT) | instid1(VALU_DEP_2)
	v_lshlrev_b32_e32 v13, 2, v13
	v_lshlrev_b32_e32 v14, 2, v14
	s_wait_dscnt 0x0
	v_ashrrev_i32_e32 v11, s20, v11
	s_delay_alu instid0(VALU_DEP_3) | instskip(SKIP_2) | instid1(VALU_DEP_4)
	v_and_b32_e32 v13, 0x4040404, v13
	v_ashrrev_i32_e32 v12, s20, v12
	v_and_b32_e32 v14, 0x4040404, v14
	v_and_b32_e32 v15, 0x3030303, v11
	v_bfe_u32 v11, v11, 24, 2
	v_lshrrev_b32_e32 v168, 24, v13
	v_lshrrev_b32_e32 v167, 16, v13
	v_lshrrev_b16 v166, 8, v13
	v_lshrrev_b32_e32 v36, 16, v15
	v_lshrrev_b16 v35, 8, v15
	v_sub_nc_u16 v11, v11, v168
	v_sub_nc_u16 v228, v15, v13
	v_and_b32_e32 v13, 0x3030303, v12
	v_bfe_u32 v12, v12, 24, 2
	v_sub_nc_u16 v35, v35, v166
	v_lshlrev_b16 v168, 8, v11
	v_sub_nc_u16 v11, v36, v167
	v_lshrrev_b32_e32 v166, 16, v14
	v_lshrrev_b16 v15, 8, v13
	v_lshlrev_b16 v227, 8, v35
	v_lshrrev_b32_e32 v35, 16, v13
	v_and_b32_e32 v36, 0xff, v11
	v_lshrrev_b16 v167, 8, v14
	v_sub_nc_u16 v206, v13, v14
	v_bfe_i32 v252, v228, 0, 8
	v_sub_nc_u16 v35, v35, v166
	v_or_b32_e32 v36, v36, v168
	v_lshrrev_b32_e32 v168, 24, v14
	v_bfe_i32 v253, v227, 8, 8
	v_bfe_i32 v236, v206, 0, 8
	v_and_b32_e32 v166, 0xff, v35
	v_perm_b32 v235, v36, v11, 0xc0c0500
	v_sub_nc_u16 v12, v12, v168
	v_perm_b32 v11, v1, v1, 0xc030201
	v_add3_u32 v36, s23, v136, v96
	s_delay_alu instid0(VALU_DEP_3) | instskip(NEXT) | instid1(VALU_DEP_1)
	v_lshlrev_b16 v12, 8, v12
	v_or_b32_e32 v166, v166, v12
	v_sub_nc_u16 v12, v15, v167
	ds_load_2addr_b32 v[14:15], v39 offset0:6 offset1:7
	v_perm_b32 v1, v166, v35, 0xc05000c
	v_lshlrev_b16 v167, 8, v12
	v_add_nc_u32_e32 v12, 0x1098, v27
	ds_load_2addr_b32 v[12:13], v12 offset1:1
	s_wait_dscnt 0x1
	v_ashrrev_i32_e32 v14, s19, v14
	v_ashrrev_i32_e32 v15, s19, v15
	s_delay_alu instid0(VALU_DEP_2) | instskip(NEXT) | instid1(VALU_DEP_2)
	v_lshlrev_b32_e32 v14, 2, v14
	v_lshlrev_b32_e32 v15, 2, v15
	s_wait_dscnt 0x0
	v_ashrrev_i32_e32 v12, s20, v12
	s_delay_alu instid0(VALU_DEP_3) | instskip(NEXT) | instid1(VALU_DEP_3)
	v_and_b32_e32 v14, 0x4040404, v14
	v_and_b32_e32 v15, 0x4040404, v15
	s_delay_alu instid0(VALU_DEP_3) | instskip(SKIP_1) | instid1(VALU_DEP_4)
	v_and_b32_e32 v168, 0x3030303, v12
	v_bfe_u32 v12, v12, 24, 2
	v_lshrrev_b32_e32 v171, 16, v14
	v_lshrrev_b32_e32 v202, 24, v14
	v_lshrrev_b16 v39, 8, v14
	v_lshrrev_b32_e32 v170, 16, v168
	v_lshrrev_b16 v184, 8, v168
	v_lshrrev_b32_e32 v204, 24, v15
	v_sub_nc_u16 v12, v12, v202
	v_lshrrev_b32_e32 v202, 16, v15
	v_sub_nc_u16 v170, v170, v171
	v_sub_nc_u16 v215, v168, v14
	v_lshrrev_b16 v168, 8, v15
	v_lshlrev_b16 v12, 8, v12
	s_delay_alu instid0(VALU_DEP_4) | instskip(NEXT) | instid1(VALU_DEP_1)
	v_and_b32_e32 v171, 0xff, v170
	v_or_b32_e32 v171, v171, v12
	v_sub_nc_u16 v12, v184, v39
	s_delay_alu instid0(VALU_DEP_1) | instskip(SKIP_1) | instid1(VALU_DEP_1)
	v_lshlrev_b16 v184, 8, v12
	v_ashrrev_i32_e32 v12, s20, v13
	v_and_b32_e32 v13, 0x3030303, v12
	v_bfe_u32 v12, v12, 24, 2
	s_delay_alu instid0(VALU_DEP_2) | instskip(NEXT) | instid1(VALU_DEP_2)
	v_lshrrev_b32_e32 v39, 16, v13
	v_sub_nc_u16 v12, v12, v204
	v_lshrrev_b16 v14, 8, v13
	v_sub_nc_u16 v226, v13, v15
	v_perm_b32 v13, v214, v214, 0xc0c0c01
	v_sub_nc_u16 v202, v39, v202
	v_lshlrev_b16 v12, 8, v12
	v_perm_b32 v15, v3, v3, 0xc030201
	s_delay_alu instid0(VALU_DEP_3) | instskip(NEXT) | instid1(VALU_DEP_1)
	v_and_b32_e32 v39, 0xff, v202
	v_or_b32_e32 v204, v39, v12
	v_sub_nc_u16 v12, v14, v168
	v_perm_b32 v14, v0, v0, 0xc0c0302
	s_delay_alu instid0(VALU_DEP_2) | instskip(SKIP_3) | instid1(VALU_DEP_1)
	v_lshlrev_b16 v205, 8, v12
	v_add3_u32 v12, s22, v134, v95
	ds_load_b32 v168, v12
	v_mul_i32_i24_e32 v12, v9, v223
	v_mad_i32_i24 v233, v32, v224, v12
	s_delay_alu instid0(VALU_DEP_1) | instskip(SKIP_2) | instid1(VALU_DEP_3)
	v_dot4_i32_iu8 v12, v231, v254, v233 neg_lo:[1,1,0]
	v_perm_b32 v233, v5, v5, 0xc030201
	v_perm_b32 v5, v213, v209, 0xc05000c
	v_mad_i32_i24 v12, v33, v255, v12
	s_delay_alu instid0(VALU_DEP_2) | instskip(SKIP_1) | instid1(VALU_DEP_2)
	v_or_b32_e32 v248, v5, v13
	v_perm_b32 v13, v219, v219, 0xc0c0c01
	v_dot4_i32_iu8 v5, v233, v248, v12 neg_lo:[1,1,0]
	v_perm_b32 v12, v218, v217, 0xc05000c
	v_bfe_i32 v218, v215, 0, 8
	v_bfe_i32 v217, v226, 0, 8
	s_delay_alu instid0(VALU_DEP_4) | instskip(NEXT) | instid1(VALU_DEP_4)
	v_mad_i32_i24 v5, v48, v247, v5
	v_or_b32_e32 v249, v12, v13
	v_perm_b32 v12, v221, v220, 0xc05000c
	v_perm_b32 v13, v222, v222, 0xc0c0c01
	s_delay_alu instid0(VALU_DEP_3) | instskip(NEXT) | instid1(VALU_DEP_2)
	v_dot4_i32_iu8 v5, v6, v249, v5 neg_lo:[1,1,0]
	v_or_b32_e32 v250, v12, v13
	ds_load_u16 v12, v232
	v_mad_i32_i24 v5, v162, v4, v5
	s_delay_alu instid0(VALU_DEP_1) | instskip(SKIP_4) | instid1(VALU_DEP_3)
	v_dot4_i32_iu8 v5, v7, v250, v5 neg_lo:[1,1,0]
	s_wait_dscnt 0x0
	v_lshrrev_b16 v13, 8, v12
	v_bfe_i32 v251, v12, 0, 8
	v_mul_i32_i24_e32 v12, v163, v252
	v_bfe_i32 v222, v13, 0, 8
	s_delay_alu instid0(VALU_DEP_3) | instskip(NEXT) | instid1(VALU_DEP_3)
	v_mul_lo_u32 v5, v5, v251
	v_mad_i32_i24 v12, v164, v253, v12
	s_delay_alu instid0(VALU_DEP_1) | instskip(SKIP_1) | instid1(VALU_DEP_2)
	v_dot4_i32_iu8 v0, v14, v235, v12 neg_lo:[1,1,0]
	v_perm_b32 v12, v167, v167, 0xc0c0c01
	v_mad_i32_i24 v0, v165, v236, v0
	s_delay_alu instid0(VALU_DEP_2) | instskip(SKIP_3) | instid1(VALU_DEP_4)
	v_or_b32_e32 v219, v1, v12
	v_perm_b32 v12, v2, v2, 0xc030201
	v_perm_b32 v1, v171, v170, 0xc05000c
	;; [unrolled: 1-line block ×3, first 2 shown]
	v_dot4_i32_iu8 v0, v11, v219, v0 neg_lo:[1,1,0]
	s_delay_alu instid0(VALU_DEP_2) | instskip(SKIP_1) | instid1(VALU_DEP_3)
	v_or_b32_e32 v220, v1, v2
	v_perm_b32 v1, v204, v202, 0xc05000c
	v_mad_i32_i24 v0, v34, v218, v0
	v_perm_b32 v2, v205, v205, 0xc0c0c01
	s_delay_alu instid0(VALU_DEP_2) | instskip(NEXT) | instid1(VALU_DEP_2)
	v_dot4_i32_iu8 v0, v12, v220, v0 neg_lo:[1,1,0]
	v_or_b32_e32 v221, v1, v2
	ds_load_2addr_b32 v[2:3], v36 offset1:1
	v_mad_i32_i24 v0, v10, v217, v0
	s_delay_alu instid0(VALU_DEP_1) | instskip(NEXT) | instid1(VALU_DEP_1)
	v_dot4_i32_iu8 v0, v15, v221, v0 neg_lo:[1,1,0]
	v_mad_co_u64_u32 v[0:1], null, v0, v222, v[5:6]
	v_mul_f32_e32 v1, v8, v168
	s_wait_dscnt 0x0
	v_ashrrev_i32_e32 v2, s19, v2
	s_delay_alu instid0(VALU_DEP_3) | instskip(SKIP_1) | instid1(VALU_DEP_2)
	v_cvt_f32_i32_e32 v0, v0
	v_ashrrev_i32_e32 v3, s19, v3
	v_dual_fmac_f32 v149, v1, v0 :: v_dual_lshlrev_b32 v2, 2, v2
	v_add_nc_u32_e32 v0, 0x2100, v27
	s_delay_alu instid0(VALU_DEP_3) | instskip(NEXT) | instid1(VALU_DEP_3)
	v_lshlrev_b32_e32 v3, 2, v3
	v_and_b32_e32 v2, 0x4040404, v2
	ds_load_2addr_b32 v[0:1], v0 offset1:1
	v_and_b32_e32 v3, 0x4040404, v3
	v_lshrrev_b32_e32 v166, 16, v2
	v_lshrrev_b32_e32 v167, 24, v2
	v_lshrrev_b16 v39, 8, v2
	s_delay_alu instid0(VALU_DEP_4) | instskip(SKIP_3) | instid1(VALU_DEP_1)
	v_lshrrev_b32_e32 v170, 16, v3
	v_lshrrev_b32_e32 v171, 24, v3
	s_wait_dscnt 0x0
	v_ashrrev_i32_e32 v0, s20, v0
	v_and_b32_e32 v5, 0x3030303, v0
	v_bfe_u32 v0, v0, 24, 2
	s_delay_alu instid0(VALU_DEP_2) | instskip(NEXT) | instid1(VALU_DEP_2)
	v_lshrrev_b32_e32 v35, 16, v5
	v_sub_nc_u16 v0, v0, v167
	v_lshrrev_b16 v13, 8, v5
	v_sub_nc_u16 v5, v5, v2
	v_lshrrev_b16 v167, 8, v3
	v_sub_nc_u16 v35, v35, v166
	v_lshlrev_b16 v0, 8, v0
	s_delay_alu instid0(VALU_DEP_2) | instskip(NEXT) | instid1(VALU_DEP_1)
	v_and_b32_e32 v166, 0xff, v35
	v_or_b32_e32 v166, v166, v0
	v_sub_nc_u16 v0, v13, v39
	s_delay_alu instid0(VALU_DEP_2) | instskip(NEXT) | instid1(VALU_DEP_2)
	v_perm_b32 v240, v166, v35, 0xc0c0500
	v_lshlrev_b16 v13, 8, v0
	v_ashrrev_i32_e32 v0, s20, v1
	s_delay_alu instid0(VALU_DEP_1) | instskip(SKIP_1) | instid1(VALU_DEP_2)
	v_and_b32_e32 v1, 0x3030303, v0
	v_bfe_u32 v0, v0, 24, 2
	v_lshrrev_b32_e32 v39, 16, v1
	s_delay_alu instid0(VALU_DEP_2) | instskip(SKIP_2) | instid1(VALU_DEP_4)
	v_sub_nc_u16 v0, v0, v171
	v_lshrrev_b16 v2, 8, v1
	v_sub_nc_u16 v171, v1, v3
	v_sub_nc_u16 v39, v39, v170
	s_delay_alu instid0(VALU_DEP_4) | instskip(NEXT) | instid1(VALU_DEP_3)
	v_lshlrev_b16 v0, 8, v0
	v_bfe_i32 v242, v171, 0, 8
	s_delay_alu instid0(VALU_DEP_3) | instskip(NEXT) | instid1(VALU_DEP_1)
	v_and_b32_e32 v170, 0xff, v39
	v_or_b32_e32 v170, v170, v0
	v_sub_nc_u16 v0, v2, v167
	ds_load_2addr_b32 v[2:3], v36 offset0:2 offset1:3
	v_lshlrev_b16 v167, 8, v0
	v_add_nc_u32_e32 v0, 0x2108, v27
	ds_load_2addr_b32 v[0:1], v0 offset1:1
	s_wait_dscnt 0x1
	v_ashrrev_i32_e32 v2, s19, v2
	v_ashrrev_i32_e32 v3, s19, v3
	s_delay_alu instid0(VALU_DEP_2) | instskip(NEXT) | instid1(VALU_DEP_2)
	v_lshlrev_b32_e32 v2, 2, v2
	v_lshlrev_b32_e32 v3, 2, v3
	s_wait_dscnt 0x0
	v_ashrrev_i32_e32 v0, s20, v0
	s_delay_alu instid0(VALU_DEP_3) | instskip(NEXT) | instid1(VALU_DEP_3)
	v_and_b32_e32 v2, 0x4040404, v2
	v_and_b32_e32 v3, 0x4040404, v3
	s_delay_alu instid0(VALU_DEP_3) | instskip(SKIP_1) | instid1(VALU_DEP_4)
	v_and_b32_e32 v184, 0x3030303, v0
	v_bfe_u32 v0, v0, 24, 2
	v_lshrrev_b32_e32 v206, 16, v2
	v_lshrrev_b32_e32 v207, 24, v2
	v_lshrrev_b16 v205, 8, v2
	v_lshrrev_b32_e32 v204, 16, v184
	v_lshrrev_b16 v202, 8, v184
	v_lshrrev_b32_e32 v209, 16, v3
	v_sub_nc_u16 v0, v0, v207
	v_lshrrev_b32_e32 v211, 24, v3
	v_sub_nc_u16 v204, v204, v206
	v_lshrrev_b16 v207, 8, v3
	s_delay_alu instid0(VALU_DEP_4) | instskip(NEXT) | instid1(VALU_DEP_3)
	v_lshlrev_b16 v0, 8, v0
	v_and_b32_e32 v206, 0xff, v204
	s_delay_alu instid0(VALU_DEP_1) | instskip(SKIP_2) | instid1(VALU_DEP_2)
	v_or_b32_e32 v206, v206, v0
	v_sub_nc_u16 v0, v202, v205
	v_sub_nc_u16 v205, v184, v2
	v_lshlrev_b16 v202, 8, v0
	v_ashrrev_i32_e32 v0, s20, v1
	s_delay_alu instid0(VALU_DEP_3) | instskip(NEXT) | instid1(VALU_DEP_2)
	v_bfe_i32 v241, v205, 0, 8
	v_and_b32_e32 v1, 0x3030303, v0
	v_bfe_u32 v0, v0, 24, 2
	s_delay_alu instid0(VALU_DEP_2) | instskip(NEXT) | instid1(VALU_DEP_2)
	v_lshrrev_b32_e32 v184, 16, v1
	v_sub_nc_u16 v0, v0, v211
	v_lshrrev_b16 v2, 8, v1
	v_sub_nc_u16 v213, v1, v3
	s_delay_alu instid0(VALU_DEP_4) | instskip(NEXT) | instid1(VALU_DEP_4)
	v_sub_nc_u16 v209, v184, v209
	v_lshlrev_b16 v0, 8, v0
	s_delay_alu instid0(VALU_DEP_2) | instskip(NEXT) | instid1(VALU_DEP_1)
	v_and_b32_e32 v184, 0xff, v209
	v_or_b32_e32 v211, v184, v0
	v_sub_nc_u16 v0, v2, v207
	ds_load_2addr_b32 v[2:3], v36 offset0:4 offset1:5
	v_lshlrev_b16 v207, 8, v0
	v_add_nc_u32_e32 v0, 0x2110, v27
	ds_load_2addr_b32 v[0:1], v0 offset1:1
	s_wait_dscnt 0x1
	v_ashrrev_i32_e32 v2, s19, v2
	v_ashrrev_i32_e32 v3, s19, v3
	s_delay_alu instid0(VALU_DEP_2) | instskip(NEXT) | instid1(VALU_DEP_2)
	v_lshlrev_b32_e32 v2, 2, v2
	v_lshlrev_b32_e32 v3, 2, v3
	s_wait_dscnt 0x0
	v_ashrrev_i32_e32 v0, s20, v0
	s_delay_alu instid0(VALU_DEP_3) | instskip(NEXT) | instid1(VALU_DEP_3)
	v_and_b32_e32 v2, 0x4040404, v2
	v_and_b32_e32 v3, 0x4040404, v3
	s_delay_alu instid0(VALU_DEP_3) | instskip(SKIP_1) | instid1(VALU_DEP_4)
	v_and_b32_e32 v184, 0x3030303, v0
	v_bfe_u32 v0, v0, 24, 2
	v_lshrrev_b32_e32 v226, 16, v2
	v_lshrrev_b32_e32 v227, 24, v2
	v_lshrrev_b16 v225, 8, v2
	v_lshrrev_b32_e32 v215, 16, v184
	v_lshrrev_b16 v214, 8, v184
	v_lshrrev_b32_e32 v228, 16, v3
	v_sub_nc_u16 v0, v0, v227
	v_lshrrev_b32_e32 v229, 24, v3
	v_sub_nc_u16 v215, v215, v226
	v_lshrrev_b16 v227, 8, v3
	s_delay_alu instid0(VALU_DEP_4) | instskip(NEXT) | instid1(VALU_DEP_3)
	v_lshlrev_b16 v0, 8, v0
	v_and_b32_e32 v226, 0xff, v215
	s_delay_alu instid0(VALU_DEP_1) | instskip(SKIP_2) | instid1(VALU_DEP_2)
	v_or_b32_e32 v226, v226, v0
	v_sub_nc_u16 v0, v214, v225
	v_sub_nc_u16 v225, v184, v2
	v_lshlrev_b16 v214, 8, v0
	v_ashrrev_i32_e32 v0, s20, v1
	s_delay_alu instid0(VALU_DEP_1) | instskip(SKIP_1) | instid1(VALU_DEP_2)
	v_and_b32_e32 v1, 0x3030303, v0
	v_bfe_u32 v0, v0, 24, 2
	v_lshrrev_b32_e32 v184, 16, v1
	s_delay_alu instid0(VALU_DEP_2) | instskip(SKIP_2) | instid1(VALU_DEP_4)
	v_sub_nc_u16 v0, v0, v229
	v_lshrrev_b16 v2, 8, v1
	v_sub_nc_u16 v230, v1, v3
	v_sub_nc_u16 v228, v184, v228
	s_delay_alu instid0(VALU_DEP_4) | instskip(NEXT) | instid1(VALU_DEP_2)
	v_lshlrev_b16 v0, 8, v0
	v_and_b32_e32 v184, 0xff, v228
	s_delay_alu instid0(VALU_DEP_1)
	v_or_b32_e32 v229, v184, v0
	v_sub_nc_u16 v0, v2, v227
	ds_load_2addr_b32 v[2:3], v36 offset0:6 offset1:7
	v_lshlrev_b16 v227, 8, v0
	v_add_nc_u32_e32 v0, 0x2118, v27
	ds_load_2addr_b32 v[0:1], v0 offset1:1
	s_wait_dscnt 0x1
	v_ashrrev_i32_e32 v2, s19, v2
	v_ashrrev_i32_e32 v3, s19, v3
	s_delay_alu instid0(VALU_DEP_2) | instskip(NEXT) | instid1(VALU_DEP_2)
	v_lshlrev_b32_e32 v2, 2, v2
	v_lshlrev_b32_e32 v3, 2, v3
	s_wait_dscnt 0x0
	v_ashrrev_i32_e32 v0, s20, v0
	s_delay_alu instid0(VALU_DEP_3) | instskip(NEXT) | instid1(VALU_DEP_3)
	v_and_b32_e32 v2, 0x4040404, v2
	v_and_b32_e32 v3, 0x4040404, v3
	s_delay_alu instid0(VALU_DEP_3) | instskip(SKIP_1) | instid1(VALU_DEP_4)
	v_and_b32_e32 v184, 0x3030303, v0
	v_bfe_u32 v0, v0, 24, 2
	v_lshrrev_b32_e32 v237, 16, v2
	v_lshrrev_b32_e32 v238, 24, v2
	v_lshrrev_b16 v36, 8, v2
	v_lshrrev_b32_e32 v234, 16, v184
	v_lshrrev_b16 v232, 8, v184
	v_lshrrev_b32_e32 v239, 24, v3
	v_sub_nc_u16 v0, v0, v238
	v_lshrrev_b32_e32 v238, 16, v3
	v_sub_nc_u16 v234, v234, v237
	v_sub_nc_u16 v2, v184, v2
	s_delay_alu instid0(VALU_DEP_4) | instskip(NEXT) | instid1(VALU_DEP_3)
	v_lshlrev_b16 v0, 8, v0
	v_and_b32_e32 v237, 0xff, v234
	s_delay_alu instid0(VALU_DEP_1) | instskip(SKIP_2) | instid1(VALU_DEP_2)
	v_or_b32_e32 v37, v237, v0
	v_sub_nc_u16 v0, v232, v36
	v_lshrrev_b16 v237, 8, v3
	v_lshlrev_b16 v36, 8, v0
	v_ashrrev_i32_e32 v0, s20, v1
	s_delay_alu instid0(VALU_DEP_1) | instskip(SKIP_1) | instid1(VALU_DEP_2)
	v_and_b32_e32 v1, 0x3030303, v0
	v_bfe_u32 v0, v0, 24, 2
	v_lshrrev_b32_e32 v232, 16, v1
	s_delay_alu instid0(VALU_DEP_2)
	v_sub_nc_u16 v0, v0, v239
	v_lshrrev_b16 v184, 8, v1
	v_sub_nc_u16 v1, v1, v3
	v_add3_u32 v3, s22, v138, v97
	v_sub_nc_u16 v232, v232, v238
	v_lshlrev_b16 v0, 8, v0
	v_bfe_i32 v239, v213, 0, 8
	v_bfe_i32 v205, v1, 0, 8
	s_delay_alu instid0(VALU_DEP_4) | instskip(NEXT) | instid1(VALU_DEP_1)
	v_and_b32_e32 v238, 0xff, v232
	v_or_b32_e32 v38, v238, v0
	v_sub_nc_u16 v0, v184, v237
	v_bfe_i32 v237, v5, 0, 8
	ds_load_b32 v184, v3
	v_bfe_i32 v238, v13, 8, 8
	v_perm_b32 v5, v170, v39, 0xc05000c
	v_lshlrev_b16 v41, 8, v0
	v_add_nc_u32_e32 v0, s21, v83
	v_perm_b32 v13, v167, v167, 0xc0c0c01
	ds_load_u16 v0, v0
	v_mul_i32_i24_e32 v3, v9, v237
	v_or_b32_e32 v243, v5, v13
	v_perm_b32 v5, v206, v204, 0xc05000c
	v_perm_b32 v13, v202, v202, 0xc0c0c01
	v_bfe_i32 v202, v225, 0, 8
	v_mad_i32_i24 v3, v32, v238, v3
	v_bfe_i32 v204, v214, 8, 8
	v_perm_b32 v206, v226, v215, 0xc0c0500
	v_or_b32_e32 v244, v5, v13
	v_perm_b32 v5, v211, v209, 0xc05000c
	v_dot4_i32_iu8 v3, v231, v240, v3 neg_lo:[1,1,0]
	v_perm_b32 v13, v207, v207, 0xc0c0c01
	v_bfe_i32 v209, v230, 0, 8
	v_bfe_i32 v207, v2, 0, 8
	v_perm_b32 v2, v229, v228, 0xc05000c
	v_mad_i32_i24 v3, v33, v242, v3
	v_or_b32_e32 v245, v5, v13
	s_wait_dscnt 0x0
	v_bfe_i32 v246, v0, 0, 8
	s_delay_alu instid0(VALU_DEP_3) | instskip(SKIP_1) | instid1(VALU_DEP_2)
	v_dot4_i32_iu8 v3, v233, v243, v3 neg_lo:[1,1,0]
	v_lshrrev_b16 v5, 8, v0
	v_mad_i32_i24 v3, v48, v241, v3
	s_delay_alu instid0(VALU_DEP_2) | instskip(NEXT) | instid1(VALU_DEP_2)
	v_bfe_i32 v215, v5, 0, 8
	v_dot4_i32_iu8 v3, v6, v244, v3 neg_lo:[1,1,0]
	s_delay_alu instid0(VALU_DEP_1) | instskip(NEXT) | instid1(VALU_DEP_1)
	v_mad_i32_i24 v3, v162, v239, v3
	v_dot4_i32_iu8 v3, v7, v245, v3 neg_lo:[1,1,0]
	s_delay_alu instid0(VALU_DEP_1) | instskip(SKIP_1) | instid1(VALU_DEP_1)
	v_mul_lo_u32 v0, v3, v246
	v_mul_i32_i24_e32 v3, v163, v202
	v_mad_i32_i24 v3, v164, v204, v3
	s_delay_alu instid0(VALU_DEP_1) | instskip(NEXT) | instid1(VALU_DEP_1)
	v_dot4_i32_iu8 v3, v14, v206, v3 neg_lo:[1,1,0]
	v_mad_i32_i24 v1, v165, v209, v3
	v_perm_b32 v3, v227, v227, 0xc0c0c01
	s_delay_alu instid0(VALU_DEP_1) | instskip(SKIP_3) | instid1(VALU_DEP_4)
	v_or_b32_e32 v211, v2, v3
	v_perm_b32 v2, v37, v234, 0xc05000c
	v_perm_b32 v3, v36, v36, 0xc0c0c01
	v_add3_u32 v36, s23, v140, v98
	v_dot4_i32_iu8 v1, v11, v211, v1 neg_lo:[1,1,0]
	s_delay_alu instid0(VALU_DEP_3) | instskip(SKIP_2) | instid1(VALU_DEP_4)
	v_or_b32_e32 v213, v2, v3
	v_perm_b32 v2, v38, v232, 0xc05000c
	v_perm_b32 v3, v41, v41, 0xc0c0c01
	v_mad_i32_i24 v1, v34, v207, v1
	s_delay_alu instid0(VALU_DEP_2) | instskip(NEXT) | instid1(VALU_DEP_2)
	v_or_b32_e32 v214, v2, v3
	v_dot4_i32_iu8 v1, v12, v213, v1 neg_lo:[1,1,0]
	ds_load_2addr_b32 v[2:3], v36 offset1:1
	v_mad_i32_i24 v1, v10, v205, v1
	s_delay_alu instid0(VALU_DEP_1) | instskip(NEXT) | instid1(VALU_DEP_1)
	v_dot4_i32_iu8 v1, v15, v214, v1 neg_lo:[1,1,0]
	v_mad_co_u64_u32 v[0:1], null, v1, v215, v[0:1]
	v_mul_f32_e32 v1, v8, v184
	s_wait_dscnt 0x0
	v_ashrrev_i32_e32 v2, s19, v2
	v_ashrrev_i32_e32 v3, s19, v3
	s_delay_alu instid0(VALU_DEP_4) | instskip(NEXT) | instid1(VALU_DEP_3)
	v_cvt_f32_i32_e32 v0, v0
	v_lshlrev_b32_e32 v2, 2, v2
	s_delay_alu instid0(VALU_DEP_2) | instskip(SKIP_1) | instid1(VALU_DEP_3)
	v_dual_fmac_f32 v154, v1, v0 :: v_dual_lshlrev_b32 v3, 2, v3
	v_add_nc_u32_e32 v0, 0x3180, v27
	v_and_b32_e32 v2, 0x4040404, v2
	s_delay_alu instid0(VALU_DEP_3)
	v_and_b32_e32 v3, 0x4040404, v3
	ds_load_2addr_b32 v[0:1], v0 offset1:1
	v_lshrrev_b32_e32 v38, 16, v2
	v_lshrrev_b32_e32 v39, 24, v2
	v_lshrrev_b16 v37, 8, v2
	v_lshrrev_b32_e32 v41, 16, v3
	v_lshrrev_b32_e32 v166, 24, v3
	s_wait_dscnt 0x0
	v_ashrrev_i32_e32 v0, s20, v0
	s_delay_alu instid0(VALU_DEP_1) | instskip(SKIP_1) | instid1(VALU_DEP_2)
	v_and_b32_e32 v5, 0x3030303, v0
	v_bfe_u32 v0, v0, 24, 2
	v_lshrrev_b32_e32 v35, 16, v5
	s_delay_alu instid0(VALU_DEP_2) | instskip(SKIP_2) | instid1(VALU_DEP_4)
	v_sub_nc_u16 v0, v0, v39
	v_lshrrev_b16 v13, 8, v5
	v_lshrrev_b16 v39, 8, v3
	v_sub_nc_u16 v35, v35, v38
	s_delay_alu instid0(VALU_DEP_4) | instskip(NEXT) | instid1(VALU_DEP_2)
	v_lshlrev_b16 v0, 8, v0
	v_and_b32_e32 v38, 0xff, v35
	s_delay_alu instid0(VALU_DEP_1) | instskip(SKIP_2) | instid1(VALU_DEP_2)
	v_or_b32_e32 v38, v38, v0
	v_sub_nc_u16 v0, v13, v37
	v_sub_nc_u16 v37, v5, v2
	v_lshlrev_b16 v13, 8, v0
	v_ashrrev_i32_e32 v0, s20, v1
	s_delay_alu instid0(VALU_DEP_1) | instskip(SKIP_1) | instid1(VALU_DEP_2)
	v_and_b32_e32 v1, 0x3030303, v0
	v_bfe_u32 v0, v0, 24, 2
	v_lshrrev_b32_e32 v5, 16, v1
	s_delay_alu instid0(VALU_DEP_2) | instskip(SKIP_2) | instid1(VALU_DEP_4)
	v_sub_nc_u16 v0, v0, v166
	v_lshrrev_b16 v2, 8, v1
	v_sub_nc_u16 v167, v1, v3
	v_sub_nc_u16 v41, v5, v41
	s_delay_alu instid0(VALU_DEP_4) | instskip(NEXT) | instid1(VALU_DEP_2)
	v_lshlrev_b16 v0, 8, v0
	v_and_b32_e32 v5, 0xff, v41
	s_delay_alu instid0(VALU_DEP_1)
	v_or_b32_e32 v166, v5, v0
	v_sub_nc_u16 v0, v2, v39
	ds_load_2addr_b32 v[2:3], v36 offset0:2 offset1:3
	v_lshlrev_b16 v39, 8, v0
	v_add_nc_u32_e32 v0, 0x3188, v27
	ds_load_2addr_b32 v[0:1], v0 offset1:1
	s_wait_dscnt 0x1
	v_ashrrev_i32_e32 v2, s19, v2
	v_ashrrev_i32_e32 v3, s19, v3
	s_delay_alu instid0(VALU_DEP_2) | instskip(NEXT) | instid1(VALU_DEP_2)
	v_lshlrev_b32_e32 v2, 2, v2
	v_lshlrev_b32_e32 v3, 2, v3
	s_wait_dscnt 0x0
	v_ashrrev_i32_e32 v0, s20, v0
	s_delay_alu instid0(VALU_DEP_3) | instskip(NEXT) | instid1(VALU_DEP_3)
	v_and_b32_e32 v2, 0x4040404, v2
	v_and_b32_e32 v3, 0x4040404, v3
	s_delay_alu instid0(VALU_DEP_3) | instskip(SKIP_1) | instid1(VALU_DEP_4)
	v_and_b32_e32 v5, 0x3030303, v0
	v_bfe_u32 v0, v0, 24, 2
	v_lshrrev_b32_e32 v226, 16, v2
	v_lshrrev_b32_e32 v227, 24, v2
	v_lshrrev_b16 v225, 8, v2
	v_lshrrev_b32_e32 v171, 16, v5
	v_lshrrev_b16 v170, 8, v5
	v_lshrrev_b32_e32 v228, 24, v3
	v_sub_nc_u16 v0, v0, v227
	v_sub_nc_u16 v227, v5, v2
	;; [unrolled: 1-line block ×3, first 2 shown]
	s_delay_alu instid0(VALU_DEP_3) | instskip(NEXT) | instid1(VALU_DEP_2)
	v_lshlrev_b16 v0, 8, v0
	v_and_b32_e32 v226, 0xff, v171
	s_delay_alu instid0(VALU_DEP_1) | instskip(SKIP_3) | instid1(VALU_DEP_3)
	v_or_b32_e32 v232, v226, v0
	v_sub_nc_u16 v0, v170, v225
	v_lshrrev_b32_e32 v226, 16, v3
	v_lshrrev_b16 v225, 8, v3
	v_lshlrev_b16 v170, 8, v0
	v_ashrrev_i32_e32 v0, s20, v1
	s_delay_alu instid0(VALU_DEP_1) | instskip(SKIP_1) | instid1(VALU_DEP_2)
	v_and_b32_e32 v1, 0x3030303, v0
	v_bfe_u32 v0, v0, 24, 2
	v_lshrrev_b32_e32 v5, 16, v1
	s_delay_alu instid0(VALU_DEP_2) | instskip(SKIP_2) | instid1(VALU_DEP_4)
	v_sub_nc_u16 v0, v0, v228
	v_lshrrev_b16 v2, 8, v1
	v_sub_nc_u16 v17, v1, v3
	v_sub_nc_u16 v234, v5, v226
	s_delay_alu instid0(VALU_DEP_4) | instskip(NEXT) | instid1(VALU_DEP_2)
	v_lshlrev_b16 v0, 8, v0
	v_and_b32_e32 v5, 0xff, v234
	s_delay_alu instid0(VALU_DEP_1)
	v_or_b32_e32 v16, v5, v0
	v_sub_nc_u16 v0, v2, v225
	ds_load_2addr_b32 v[2:3], v36 offset0:4 offset1:5
	v_lshlrev_b16 v42, 8, v0
	v_add_nc_u32_e32 v0, 0x3190, v27
	ds_load_2addr_b32 v[0:1], v0 offset1:1
	s_wait_dscnt 0x1
	v_ashrrev_i32_e32 v2, s19, v2
	v_ashrrev_i32_e32 v3, s19, v3
	s_delay_alu instid0(VALU_DEP_2) | instskip(NEXT) | instid1(VALU_DEP_2)
	v_lshlrev_b32_e32 v2, 2, v2
	v_lshlrev_b32_e32 v3, 2, v3
	s_wait_dscnt 0x0
	v_ashrrev_i32_e32 v0, s20, v0
	s_delay_alu instid0(VALU_DEP_3) | instskip(NEXT) | instid1(VALU_DEP_3)
	v_and_b32_e32 v2, 0x4040404, v2
	v_and_b32_e32 v3, 0x4040404, v3
	s_delay_alu instid0(VALU_DEP_3) | instskip(SKIP_1) | instid1(VALU_DEP_4)
	v_and_b32_e32 v5, 0x3030303, v0
	v_bfe_u32 v0, v0, 24, 2
	v_lshrrev_b32_e32 v229, 16, v2
	v_lshrrev_b32_e32 v230, 24, v2
	v_lshrrev_b16 v228, 8, v2
	v_lshrrev_b32_e32 v226, 16, v5
	v_lshrrev_b16 v225, 8, v5
	v_sub_nc_u16 v19, v5, v2
	v_sub_nc_u16 v0, v0, v230
	v_bfe_i32 v230, v167, 0, 8
	v_sub_nc_u16 v43, v226, v229
	v_bfe_i32 v229, v227, 0, 8
	v_bfe_i32 v227, v17, 0, 8
	v_lshlrev_b16 v0, 8, v0
	s_delay_alu instid0(VALU_DEP_4) | instskip(NEXT) | instid1(VALU_DEP_1)
	v_and_b32_e32 v226, 0xff, v43
	v_or_b32_e32 v18, v226, v0
	v_sub_nc_u16 v0, v225, v228
	v_lshrrev_b32_e32 v226, 16, v3
	v_lshrrev_b32_e32 v228, 24, v3
	v_lshrrev_b16 v225, 8, v3
	v_perm_b32 v167, v18, v43, 0xc0c0500
	v_lshlrev_b16 v44, 8, v0
	v_ashrrev_i32_e32 v0, s20, v1
	s_delay_alu instid0(VALU_DEP_1) | instskip(SKIP_1) | instid1(VALU_DEP_2)
	v_and_b32_e32 v1, 0x3030303, v0
	v_bfe_u32 v0, v0, 24, 2
	v_lshrrev_b32_e32 v5, 16, v1
	s_delay_alu instid0(VALU_DEP_2) | instskip(SKIP_2) | instid1(VALU_DEP_4)
	v_sub_nc_u16 v0, v0, v228
	v_lshrrev_b16 v2, 8, v1
	v_sub_nc_u16 v21, v1, v3
	v_sub_nc_u16 v45, v5, v226
	s_delay_alu instid0(VALU_DEP_4) | instskip(NEXT) | instid1(VALU_DEP_2)
	v_lshlrev_b16 v0, 8, v0
	v_and_b32_e32 v5, 0xff, v45
	s_delay_alu instid0(VALU_DEP_1)
	v_or_b32_e32 v20, v5, v0
	v_sub_nc_u16 v0, v2, v225
	ds_load_2addr_b32 v[2:3], v36 offset0:6 offset1:7
	v_lshlrev_b16 v46, 8, v0
	v_add_nc_u32_e32 v0, 0x3198, v27
	ds_load_2addr_b32 v[0:1], v0 offset1:1
	s_wait_dscnt 0x1
	v_ashrrev_i32_e32 v2, s19, v2
	v_ashrrev_i32_e32 v3, s19, v3
	s_delay_alu instid0(VALU_DEP_2) | instskip(NEXT) | instid1(VALU_DEP_2)
	v_lshlrev_b32_e32 v2, 2, v2
	v_lshlrev_b32_e32 v3, 2, v3
	s_wait_dscnt 0x0
	v_ashrrev_i32_e32 v0, s20, v0
	s_delay_alu instid0(VALU_DEP_3) | instskip(NEXT) | instid1(VALU_DEP_3)
	v_and_b32_e32 v2, 0x4040404, v2
	v_and_b32_e32 v3, 0x4040404, v3
	s_delay_alu instid0(VALU_DEP_3) | instskip(SKIP_1) | instid1(VALU_DEP_4)
	v_and_b32_e32 v5, 0x3030303, v0
	v_bfe_u32 v0, v0, 24, 2
	v_lshrrev_b32_e32 v226, 16, v2
	v_lshrrev_b32_e32 v228, 24, v2
	v_lshrrev_b16 v36, 8, v2
	v_lshrrev_b32_e32 v225, 16, v5
	v_lshrrev_b16 v27, 8, v5
	v_sub_nc_u16 v2, v5, v2
	v_sub_nc_u16 v0, v0, v228
	v_lshrrev_b32_e32 v228, 24, v3
	v_sub_nc_u16 v47, v225, v226
	v_lshrrev_b32_e32 v226, 16, v3
	s_delay_alu instid0(VALU_DEP_4) | instskip(NEXT) | instid1(VALU_DEP_3)
	v_lshlrev_b16 v0, 8, v0
	v_and_b32_e32 v225, 0xff, v47
	s_delay_alu instid0(VALU_DEP_1) | instskip(SKIP_2) | instid1(VALU_DEP_2)
	v_or_b32_e32 v22, v225, v0
	v_sub_nc_u16 v0, v27, v36
	v_lshrrev_b16 v225, 8, v3
	v_lshlrev_b16 v27, 8, v0
	v_ashrrev_i32_e32 v0, s20, v1
	s_delay_alu instid0(VALU_DEP_1) | instskip(SKIP_1) | instid1(VALU_DEP_2)
	v_and_b32_e32 v1, 0x3030303, v0
	v_bfe_u32 v0, v0, 24, 2
	v_lshrrev_b32_e32 v36, 16, v1
	s_delay_alu instid0(VALU_DEP_2)
	v_sub_nc_u16 v0, v0, v228
	v_lshrrev_b16 v5, 8, v1
	v_sub_nc_u16 v1, v1, v3
	v_add3_u32 v3, s22, v142, v99
	v_sub_nc_u16 v36, v36, v226
	v_lshlrev_b16 v0, 8, v0
	v_perm_b32 v228, v38, v35, 0xc0c0500
	s_delay_alu instid0(VALU_DEP_3) | instskip(NEXT) | instid1(VALU_DEP_1)
	v_and_b32_e32 v226, 0xff, v36
	v_or_b32_e32 v50, v226, v0
	v_sub_nc_u16 v0, v5, v225
	v_bfe_i32 v225, v37, 0, 8
	ds_load_b32 v5, v3
	v_bfe_i32 v226, v13, 8, 8
	v_perm_b32 v13, v39, v39, 0xc0c0c01
	v_lshlrev_b16 v23, 8, v0
	v_add_nc_u32_e32 v0, s21, v84
	ds_load_u16 v0, v0
	v_mul_i32_i24_e32 v3, v9, v225
	v_perm_b32 v9, v166, v41, 0xc05000c
	v_bfe_i32 v166, v21, 0, 8
	s_delay_alu instid0(VALU_DEP_3) | instskip(NEXT) | instid1(VALU_DEP_1)
	v_mad_i32_i24 v3, v32, v226, v3
	v_dot4_i32_iu8 v3, v231, v228, v3 neg_lo:[1,1,0]
	s_delay_alu instid0(VALU_DEP_4)
	v_or_b32_e32 v231, v9, v13
	v_perm_b32 v9, v232, v171, 0xc05000c
	v_perm_b32 v13, v170, v170, 0xc0c0c01
	v_bfe_i32 v171, v19, 0, 8
	v_mad_i32_i24 v3, v33, v230, v3
	v_bfe_i32 v170, v44, 8, 8
	s_delay_alu instid0(VALU_DEP_4) | instskip(SKIP_1) | instid1(VALU_DEP_4)
	v_or_b32_e32 v232, v9, v13
	v_perm_b32 v9, v42, v42, 0xc0c0c01
	v_dot4_i32_iu8 v3, v233, v231, v3 neg_lo:[1,1,0]
	s_delay_alu instid0(VALU_DEP_1) | instskip(NEXT) | instid1(VALU_DEP_1)
	v_mad_i32_i24 v3, v48, v229, v3
	v_dot4_i32_iu8 v3, v6, v232, v3 neg_lo:[1,1,0]
	v_perm_b32 v6, v16, v234, 0xc05000c
	s_wait_dscnt 0x0
	v_bfe_i32 v234, v0, 0, 8
	s_delay_alu instid0(VALU_DEP_3) | instskip(NEXT) | instid1(VALU_DEP_3)
	v_mad_i32_i24 v3, v162, v227, v3
	v_or_b32_e32 v233, v6, v9
	v_lshrrev_b16 v6, 8, v0
	v_bfe_i32 v162, v1, 0, 8
	s_delay_alu instid0(VALU_DEP_3) | instskip(NEXT) | instid1(VALU_DEP_3)
	v_dot4_i32_iu8 v3, v7, v233, v3 neg_lo:[1,1,0]
	v_bfe_i32 v6, v6, 0, 8
	s_delay_alu instid0(VALU_DEP_2) | instskip(SKIP_1) | instid1(VALU_DEP_1)
	v_mul_lo_u32 v0, v3, v234
	v_mul_i32_i24_e32 v3, v163, v171
	v_mad_i32_i24 v3, v164, v170, v3
	v_bfe_i32 v164, v2, 0, 8
	v_perm_b32 v2, v20, v45, 0xc05000c
	s_delay_alu instid0(VALU_DEP_3) | instskip(NEXT) | instid1(VALU_DEP_1)
	v_dot4_i32_iu8 v3, v14, v167, v3 neg_lo:[1,1,0]
	v_mad_i32_i24 v1, v165, v166, v3
	v_perm_b32 v3, v46, v46, 0xc0c0c01
	s_delay_alu instid0(VALU_DEP_1) | instskip(SKIP_2) | instid1(VALU_DEP_3)
	v_or_b32_e32 v165, v2, v3
	v_perm_b32 v2, v22, v47, 0xc05000c
	v_perm_b32 v3, v27, v27, 0xc0c0c01
	v_dot4_i32_iu8 v1, v11, v165, v1 neg_lo:[1,1,0]
	s_delay_alu instid0(VALU_DEP_2) | instskip(SKIP_2) | instid1(VALU_DEP_4)
	v_or_b32_e32 v163, v2, v3
	v_perm_b32 v2, v50, v36, 0xc05000c
	v_perm_b32 v3, v23, v23, 0xc0c0c01
	v_mad_i32_i24 v1, v34, v164, v1
	s_delay_alu instid0(VALU_DEP_2) | instskip(NEXT) | instid1(VALU_DEP_2)
	v_or_b32_e32 v7, v2, v3
	v_dot4_i32_iu8 v1, v12, v163, v1 neg_lo:[1,1,0]
	s_delay_alu instid0(VALU_DEP_1) | instskip(NEXT) | instid1(VALU_DEP_1)
	v_mad_i32_i24 v1, v10, v162, v1
	v_dot4_i32_iu8 v1, v15, v7, v1 neg_lo:[1,1,0]
	s_delay_alu instid0(VALU_DEP_1) | instskip(SKIP_1) | instid1(VALU_DEP_2)
	v_mad_co_u64_u32 v[0:1], null, v1, v6, v[0:1]
	v_mul_f32_e32 v1, v8, v5
	v_cvt_f32_i32_e32 v0, v0
	s_delay_alu instid0(VALU_DEP_1) | instskip(SKIP_1) | instid1(VALU_DEP_1)
	v_fmac_f32_e32 v157, v1, v0
	v_or_b32_e32 v0, s18, v85
	v_lshlrev_b32_e32 v8, 2, v0
	v_lshrrev_b32_e32 v0, 1, v0
	ds_load_b32 v14, v0 offset:38816
	ds_load_b128 v[0:3], v8 offset:25344
	ds_load_b128 v[8:11], v8 offset:25360
	s_wait_dscnt 0x1
	v_bfe_i32 v15, v0, 0, 8
	v_bfe_i32 v16, v0, 8, 8
	;; [unrolled: 1-line block ×3, first 2 shown]
	v_ashrrev_i32_e32 v13, 24, v0
	v_bfe_i32 v17, v1, 0, 8
	v_mul_i32_i24_e32 v55, v172, v15
	v_bfe_i32 v18, v1, 8, 8
	v_mul_i32_i24_e32 v12, v173, v12
	v_mul_i32_i24_e32 v13, v174, v13
	v_bfe_i32 v19, v1, 16, 8
	v_mad_i32_i24 v55, v175, v16, v55
	v_ashrrev_i32_e32 v20, 24, v1
	s_wait_dscnt 0x0
	v_bfe_i32 v36, v8, 0, 8
	v_mul_i32_i24_e32 v18, v178, v18
	v_bfe_i32 v21, v2, 0, 8
	v_add3_u32 v12, v55, v12, v13
	v_mul_i32_i24_e32 v13, v179, v17
	v_bfe_i32 v22, v2, 8, 8
	v_bfe_i32 v37, v8, 8, 8
	;; [unrolled: 1-line block ×3, first 2 shown]
	v_ashrrev_i32_e32 v39, 24, v8
	v_mul_i32_i24_e32 v19, v177, v19
	v_mul_i32_i24_e32 v20, v176, v20
	v_add3_u32 v12, v12, v13, v18
	v_mul_i32_i24_e32 v13, v189, v36
	v_bfe_i32 v23, v2, 16, 8
	v_ashrrev_i32_e32 v27, 24, v2
	v_bfe_i32 v41, v9, 0, 8
	v_bfe_i32 v42, v9, 8, 8
	v_mul_i32_i24_e32 v55, v183, v21
	v_mul_i32_i24_e32 v22, v182, v22
	v_add3_u32 v12, v12, v19, v20
	v_mul_i32_i24_e32 v18, v190, v38
	v_mul_i32_i24_e32 v19, v191, v39
	v_mad_i32_i24 v13, v192, v37, v13
	v_bfe_i32 v32, v3, 0, 8
	v_bfe_i32 v33, v3, 8, 8
	;; [unrolled: 1-line block ×3, first 2 shown]
	v_ashrrev_i32_e32 v44, 24, v9
	v_mul_i32_i24_e32 v23, v181, v23
	v_mul_i32_i24_e32 v27, v180, v27
	v_add3_u32 v12, v12, v55, v22
	v_add3_u32 v13, v13, v18, v19
	v_mul_i32_i24_e32 v18, v196, v41
	v_mul_i32_i24_e32 v19, v195, v42
	v_bfe_i32 v34, v3, 16, 8
	v_ashrrev_i32_e32 v35, 24, v3
	v_bfe_i32 v45, v10, 0, 8
	v_bfe_i32 v46, v10, 8, 8
	v_mul_i32_i24_e32 v56, v188, v32
	v_mul_i32_i24_e32 v33, v187, v33
	v_add3_u32 v12, v12, v23, v27
	v_mul_i32_i24_e32 v20, v194, v43
	v_mul_i32_i24_e32 v22, v193, v44
	v_add3_u32 v13, v13, v18, v19
	v_bfe_i32 v47, v10, 16, 8
	v_ashrrev_i32_e32 v48, 24, v10
	v_mul_i32_i24_e32 v34, v186, v34
	v_mul_i32_i24_e32 v35, v185, v35
	v_add3_u32 v12, v12, v56, v33
	v_mul_i32_i24_e32 v23, v200, v45
	v_mul_i32_i24_e32 v27, v199, v46
	v_add3_u32 v13, v13, v20, v22
	v_bfe_i32 v50, v11, 0, 8
	v_bfe_i32 v51, v11, 8, 8
	v_add3_u32 v12, v12, v34, v35
	v_mul_i32_i24_e32 v33, v198, v47
	v_mul_i32_i24_e32 v34, v197, v48
	v_add3_u32 v13, v13, v23, v27
	v_bfe_i32 v52, v11, 16, 8
	v_ashrrev_i32_e32 v54, 24, v11
	v_mul_i32_i24_e32 v35, v210, v50
	v_mul_i32_i24_e32 v38, v208, v51
	v_add3_u32 v13, v13, v33, v34
	v_mul_i32_i24_e32 v39, v203, v52
	v_mul_i32_i24_e32 v42, v201, v54
	v_mul_lo_u32 v12, v12, v216
	v_perm_b32 v8, v8, v8, 0xc0c0302
	v_add3_u32 v13, v13, v35, v38
	v_perm_b32 v9, v9, v9, 0xc030201
	v_perm_b32 v2, v2, v2, 0xc030201
	;; [unrolled: 1-line block ×4, first 2 shown]
	v_add3_u32 v13, v13, v39, v42
	v_perm_b32 v11, v11, v11, 0xc030201
	s_delay_alu instid0(VALU_DEP_2) | instskip(SKIP_1) | instid1(VALU_DEP_2)
	v_mad_co_u64_u32 v[12:13], null, v13, v212, v[12:13]
	v_mul_f32_e32 v13, v169, v14
	v_cvt_f32_i32_e32 v12, v12
	s_delay_alu instid0(VALU_DEP_1) | instskip(SKIP_2) | instid1(VALU_DEP_2)
	v_fmac_f32_e32 v135, v13, v12
	v_mul_i32_i24_e32 v12, v15, v223
	v_perm_b32 v13, v0, v0, 0xc0c0302
	v_mad_i32_i24 v12, v16, v224, v12
	s_delay_alu instid0(VALU_DEP_1) | instskip(SKIP_2) | instid1(VALU_DEP_3)
	v_dot4_i32_iu8 v0, v13, v254, v12 neg_lo:[1,1,0]
	v_perm_b32 v12, v1, v1, 0xc030201
	v_mul_i32_i24_e32 v1, v36, v252
	v_mad_i32_i24 v0, v17, v255, v0
	s_delay_alu instid0(VALU_DEP_2) | instskip(NEXT) | instid1(VALU_DEP_2)
	v_mad_i32_i24 v1, v37, v253, v1
	v_dot4_i32_iu8 v0, v12, v248, v0 neg_lo:[1,1,0]
	s_delay_alu instid0(VALU_DEP_2) | instskip(NEXT) | instid1(VALU_DEP_2)
	v_dot4_i32_iu8 v1, v8, v235, v1 neg_lo:[1,1,0]
	v_mad_i32_i24 v0, v21, v247, v0
	s_delay_alu instid0(VALU_DEP_2) | instskip(NEXT) | instid1(VALU_DEP_2)
	v_mad_i32_i24 v1, v41, v236, v1
	v_dot4_i32_iu8 v0, v2, v249, v0 neg_lo:[1,1,0]
	s_delay_alu instid0(VALU_DEP_2) | instskip(NEXT) | instid1(VALU_DEP_2)
	v_dot4_i32_iu8 v1, v9, v219, v1 neg_lo:[1,1,0]
	v_mad_i32_i24 v0, v32, v4, v0
	s_delay_alu instid0(VALU_DEP_2) | instskip(NEXT) | instid1(VALU_DEP_2)
	v_mad_i32_i24 v1, v45, v218, v1
	v_dot4_i32_iu8 v0, v3, v250, v0 neg_lo:[1,1,0]
	s_delay_alu instid0(VALU_DEP_2) | instskip(NEXT) | instid1(VALU_DEP_2)
	v_dot4_i32_iu8 v1, v10, v220, v1 neg_lo:[1,1,0]
	v_mul_lo_u32 v0, v0, v251
	s_delay_alu instid0(VALU_DEP_2) | instskip(NEXT) | instid1(VALU_DEP_1)
	v_mad_i32_i24 v1, v50, v217, v1
	v_dot4_i32_iu8 v1, v11, v221, v1 neg_lo:[1,1,0]
	s_delay_alu instid0(VALU_DEP_1) | instskip(SKIP_1) | instid1(VALU_DEP_2)
	v_mad_co_u64_u32 v[0:1], null, v1, v222, v[0:1]
	v_mul_f32_e32 v1, v168, v14
	v_cvt_f32_i32_e32 v0, v0
	s_delay_alu instid0(VALU_DEP_1) | instskip(SKIP_2) | instid1(VALU_DEP_2)
	v_fmac_f32_e32 v146, v1, v0
	v_mul_i32_i24_e32 v0, v15, v237
	v_mul_i32_i24_e32 v1, v36, v202
	v_mad_i32_i24 v0, v16, v238, v0
	s_delay_alu instid0(VALU_DEP_2) | instskip(NEXT) | instid1(VALU_DEP_2)
	v_mad_i32_i24 v1, v37, v204, v1
	v_dot4_i32_iu8 v0, v13, v240, v0 neg_lo:[1,1,0]
	s_delay_alu instid0(VALU_DEP_2) | instskip(NEXT) | instid1(VALU_DEP_2)
	v_dot4_i32_iu8 v1, v8, v206, v1 neg_lo:[1,1,0]
	v_mad_i32_i24 v0, v17, v242, v0
	s_delay_alu instid0(VALU_DEP_2) | instskip(NEXT) | instid1(VALU_DEP_2)
	v_mad_i32_i24 v1, v41, v209, v1
	v_dot4_i32_iu8 v0, v12, v243, v0 neg_lo:[1,1,0]
	s_delay_alu instid0(VALU_DEP_2) | instskip(NEXT) | instid1(VALU_DEP_2)
	v_dot4_i32_iu8 v1, v9, v211, v1 neg_lo:[1,1,0]
	;; [unrolled: 6-line block ×4, first 2 shown]
	v_mul_lo_u32 v0, v0, v246
	s_delay_alu instid0(VALU_DEP_1) | instskip(SKIP_1) | instid1(VALU_DEP_2)
	v_mad_co_u64_u32 v[0:1], null, v1, v215, v[0:1]
	v_mul_f32_e32 v1, v184, v14
	v_cvt_f32_i32_e32 v0, v0
	s_delay_alu instid0(VALU_DEP_1) | instskip(SKIP_2) | instid1(VALU_DEP_2)
	v_fmac_f32_e32 v152, v1, v0
	v_mul_i32_i24_e32 v0, v15, v225
	v_mul_i32_i24_e32 v1, v36, v171
	v_mad_i32_i24 v0, v16, v226, v0
	s_delay_alu instid0(VALU_DEP_2) | instskip(NEXT) | instid1(VALU_DEP_2)
	v_mad_i32_i24 v1, v37, v170, v1
	v_dot4_i32_iu8 v0, v13, v228, v0 neg_lo:[1,1,0]
	s_delay_alu instid0(VALU_DEP_2) | instskip(NEXT) | instid1(VALU_DEP_2)
	v_dot4_i32_iu8 v1, v8, v167, v1 neg_lo:[1,1,0]
	v_mad_i32_i24 v0, v17, v230, v0
	s_delay_alu instid0(VALU_DEP_2) | instskip(NEXT) | instid1(VALU_DEP_2)
	v_mad_i32_i24 v1, v41, v166, v1
	v_dot4_i32_iu8 v0, v12, v231, v0 neg_lo:[1,1,0]
	s_delay_alu instid0(VALU_DEP_2) | instskip(NEXT) | instid1(VALU_DEP_2)
	v_dot4_i32_iu8 v1, v9, v165, v1 neg_lo:[1,1,0]
	;; [unrolled: 6-line block ×4, first 2 shown]
	v_mul_lo_u32 v0, v0, v234
	s_delay_alu instid0(VALU_DEP_1) | instskip(SKIP_1) | instid1(VALU_DEP_2)
	v_mad_co_u64_u32 v[0:1], null, v1, v6, v[0:1]
	v_mul_f32_e32 v1, v5, v14
	v_cvt_f32_i32_e32 v0, v0
	s_delay_alu instid0(VALU_DEP_1) | instskip(SKIP_1) | instid1(VALU_DEP_1)
	v_fmac_f32_e32 v156, v1, v0
	v_or_b32_e32 v0, s18, v86
	v_lshlrev_b32_e32 v8, 2, v0
	v_lshrrev_b32_e32 v0, 1, v0
	ds_load_b32 v14, v0 offset:38816
	ds_load_b128 v[0:3], v8 offset:25344
	ds_load_b128 v[8:11], v8 offset:25360
	s_wait_dscnt 0x1
	v_bfe_i32 v15, v0, 0, 8
	v_bfe_i32 v16, v0, 8, 8
	v_bfe_i32 v12, v0, 16, 8
	v_ashrrev_i32_e32 v13, 24, v0
	v_bfe_i32 v17, v1, 0, 8
	v_mul_i32_i24_e32 v55, v172, v15
	v_bfe_i32 v18, v1, 8, 8
	v_mul_i32_i24_e32 v12, v173, v12
	v_mul_i32_i24_e32 v13, v174, v13
	v_bfe_i32 v19, v1, 16, 8
	v_mad_i32_i24 v55, v175, v16, v55
	v_ashrrev_i32_e32 v20, 24, v1
	s_wait_dscnt 0x0
	v_bfe_i32 v36, v8, 0, 8
	v_mul_i32_i24_e32 v18, v178, v18
	v_bfe_i32 v21, v2, 0, 8
	v_add3_u32 v12, v55, v12, v13
	v_mul_i32_i24_e32 v13, v179, v17
	v_bfe_i32 v22, v2, 8, 8
	v_bfe_i32 v37, v8, 8, 8
	;; [unrolled: 1-line block ×3, first 2 shown]
	v_ashrrev_i32_e32 v39, 24, v8
	v_mul_i32_i24_e32 v19, v177, v19
	v_mul_i32_i24_e32 v20, v176, v20
	v_add3_u32 v12, v12, v13, v18
	v_mul_i32_i24_e32 v13, v189, v36
	v_bfe_i32 v23, v2, 16, 8
	v_ashrrev_i32_e32 v27, 24, v2
	v_bfe_i32 v41, v9, 0, 8
	v_bfe_i32 v42, v9, 8, 8
	v_mul_i32_i24_e32 v55, v183, v21
	v_mul_i32_i24_e32 v22, v182, v22
	v_add3_u32 v12, v12, v19, v20
	v_mul_i32_i24_e32 v18, v190, v38
	v_mul_i32_i24_e32 v19, v191, v39
	v_mad_i32_i24 v13, v192, v37, v13
	v_bfe_i32 v32, v3, 0, 8
	v_bfe_i32 v33, v3, 8, 8
	;; [unrolled: 1-line block ×3, first 2 shown]
	v_ashrrev_i32_e32 v44, 24, v9
	v_mul_i32_i24_e32 v23, v181, v23
	v_mul_i32_i24_e32 v27, v180, v27
	v_add3_u32 v12, v12, v55, v22
	v_add3_u32 v13, v13, v18, v19
	v_mul_i32_i24_e32 v18, v196, v41
	v_mul_i32_i24_e32 v19, v195, v42
	v_bfe_i32 v34, v3, 16, 8
	v_ashrrev_i32_e32 v35, 24, v3
	v_bfe_i32 v45, v10, 0, 8
	v_bfe_i32 v46, v10, 8, 8
	v_mul_i32_i24_e32 v56, v188, v32
	v_mul_i32_i24_e32 v33, v187, v33
	v_add3_u32 v12, v12, v23, v27
	v_mul_i32_i24_e32 v20, v194, v43
	v_mul_i32_i24_e32 v22, v193, v44
	v_add3_u32 v13, v13, v18, v19
	v_bfe_i32 v47, v10, 16, 8
	v_ashrrev_i32_e32 v48, 24, v10
	v_mul_i32_i24_e32 v34, v186, v34
	v_mul_i32_i24_e32 v35, v185, v35
	v_add3_u32 v12, v12, v56, v33
	v_mul_i32_i24_e32 v23, v200, v45
	v_mul_i32_i24_e32 v27, v199, v46
	v_add3_u32 v13, v13, v20, v22
	v_bfe_i32 v50, v11, 0, 8
	v_bfe_i32 v51, v11, 8, 8
	v_add3_u32 v12, v12, v34, v35
	v_mul_i32_i24_e32 v33, v198, v47
	v_mul_i32_i24_e32 v34, v197, v48
	v_add3_u32 v13, v13, v23, v27
	v_bfe_i32 v52, v11, 16, 8
	v_ashrrev_i32_e32 v54, 24, v11
	v_mul_i32_i24_e32 v35, v210, v50
	v_mul_i32_i24_e32 v38, v208, v51
	v_add3_u32 v13, v13, v33, v34
	v_mul_i32_i24_e32 v39, v203, v52
	v_mul_i32_i24_e32 v42, v201, v54
	v_mul_lo_u32 v12, v12, v216
	v_perm_b32 v8, v8, v8, 0xc0c0302
	v_add3_u32 v13, v13, v35, v38
	v_perm_b32 v9, v9, v9, 0xc030201
	v_perm_b32 v2, v2, v2, 0xc030201
	;; [unrolled: 1-line block ×4, first 2 shown]
	v_add3_u32 v13, v13, v39, v42
	v_perm_b32 v11, v11, v11, 0xc030201
	s_delay_alu instid0(VALU_DEP_2) | instskip(SKIP_1) | instid1(VALU_DEP_2)
	v_mad_co_u64_u32 v[12:13], null, v13, v212, v[12:13]
	v_mul_f32_e32 v13, v169, v14
	v_cvt_f32_i32_e32 v12, v12
	s_delay_alu instid0(VALU_DEP_1) | instskip(SKIP_2) | instid1(VALU_DEP_2)
	v_fmac_f32_e32 v129, v13, v12
	v_mul_i32_i24_e32 v12, v15, v223
	v_perm_b32 v13, v0, v0, 0xc0c0302
	v_mad_i32_i24 v12, v16, v224, v12
	s_delay_alu instid0(VALU_DEP_1) | instskip(SKIP_2) | instid1(VALU_DEP_3)
	v_dot4_i32_iu8 v0, v13, v254, v12 neg_lo:[1,1,0]
	v_perm_b32 v12, v1, v1, 0xc030201
	v_mul_i32_i24_e32 v1, v36, v252
	v_mad_i32_i24 v0, v17, v255, v0
	s_delay_alu instid0(VALU_DEP_2) | instskip(NEXT) | instid1(VALU_DEP_2)
	v_mad_i32_i24 v1, v37, v253, v1
	v_dot4_i32_iu8 v0, v12, v248, v0 neg_lo:[1,1,0]
	s_delay_alu instid0(VALU_DEP_2) | instskip(NEXT) | instid1(VALU_DEP_2)
	v_dot4_i32_iu8 v1, v8, v235, v1 neg_lo:[1,1,0]
	v_mad_i32_i24 v0, v21, v247, v0
	s_delay_alu instid0(VALU_DEP_2) | instskip(NEXT) | instid1(VALU_DEP_2)
	v_mad_i32_i24 v1, v41, v236, v1
	v_dot4_i32_iu8 v0, v2, v249, v0 neg_lo:[1,1,0]
	s_delay_alu instid0(VALU_DEP_2) | instskip(NEXT) | instid1(VALU_DEP_2)
	v_dot4_i32_iu8 v1, v9, v219, v1 neg_lo:[1,1,0]
	v_mad_i32_i24 v0, v32, v4, v0
	s_delay_alu instid0(VALU_DEP_2) | instskip(NEXT) | instid1(VALU_DEP_2)
	v_mad_i32_i24 v1, v45, v218, v1
	v_dot4_i32_iu8 v0, v3, v250, v0 neg_lo:[1,1,0]
	s_delay_alu instid0(VALU_DEP_2) | instskip(NEXT) | instid1(VALU_DEP_2)
	v_dot4_i32_iu8 v1, v10, v220, v1 neg_lo:[1,1,0]
	v_mul_lo_u32 v0, v0, v251
	s_delay_alu instid0(VALU_DEP_2) | instskip(NEXT) | instid1(VALU_DEP_1)
	v_mad_i32_i24 v1, v50, v217, v1
	v_dot4_i32_iu8 v1, v11, v221, v1 neg_lo:[1,1,0]
	s_delay_alu instid0(VALU_DEP_1) | instskip(SKIP_1) | instid1(VALU_DEP_2)
	v_mad_co_u64_u32 v[0:1], null, v1, v222, v[0:1]
	v_mul_f32_e32 v1, v168, v14
	v_cvt_f32_i32_e32 v0, v0
	s_delay_alu instid0(VALU_DEP_1) | instskip(SKIP_2) | instid1(VALU_DEP_2)
	v_fmac_f32_e32 v143, v1, v0
	v_mul_i32_i24_e32 v0, v15, v237
	v_mul_i32_i24_e32 v1, v36, v202
	v_mad_i32_i24 v0, v16, v238, v0
	s_delay_alu instid0(VALU_DEP_2) | instskip(NEXT) | instid1(VALU_DEP_2)
	v_mad_i32_i24 v1, v37, v204, v1
	v_dot4_i32_iu8 v0, v13, v240, v0 neg_lo:[1,1,0]
	s_delay_alu instid0(VALU_DEP_2) | instskip(NEXT) | instid1(VALU_DEP_2)
	v_dot4_i32_iu8 v1, v8, v206, v1 neg_lo:[1,1,0]
	v_mad_i32_i24 v0, v17, v242, v0
	s_delay_alu instid0(VALU_DEP_2) | instskip(NEXT) | instid1(VALU_DEP_2)
	v_mad_i32_i24 v1, v41, v209, v1
	v_dot4_i32_iu8 v0, v12, v243, v0 neg_lo:[1,1,0]
	s_delay_alu instid0(VALU_DEP_2) | instskip(NEXT) | instid1(VALU_DEP_2)
	v_dot4_i32_iu8 v1, v9, v211, v1 neg_lo:[1,1,0]
	;; [unrolled: 6-line block ×4, first 2 shown]
	v_mul_lo_u32 v0, v0, v246
	s_delay_alu instid0(VALU_DEP_1) | instskip(SKIP_1) | instid1(VALU_DEP_2)
	v_mad_co_u64_u32 v[0:1], null, v1, v215, v[0:1]
	v_mul_f32_e32 v1, v184, v14
	v_cvt_f32_i32_e32 v0, v0
	s_delay_alu instid0(VALU_DEP_1) | instskip(SKIP_2) | instid1(VALU_DEP_2)
	v_fmac_f32_e32 v150, v1, v0
	v_mul_i32_i24_e32 v0, v15, v225
	v_mul_i32_i24_e32 v1, v36, v171
	v_mad_i32_i24 v0, v16, v226, v0
	s_delay_alu instid0(VALU_DEP_2) | instskip(NEXT) | instid1(VALU_DEP_2)
	v_mad_i32_i24 v1, v37, v170, v1
	v_dot4_i32_iu8 v0, v13, v228, v0 neg_lo:[1,1,0]
	s_delay_alu instid0(VALU_DEP_2) | instskip(NEXT) | instid1(VALU_DEP_2)
	v_dot4_i32_iu8 v1, v8, v167, v1 neg_lo:[1,1,0]
	v_mad_i32_i24 v0, v17, v230, v0
	s_delay_alu instid0(VALU_DEP_2) | instskip(NEXT) | instid1(VALU_DEP_2)
	v_mad_i32_i24 v1, v41, v166, v1
	v_dot4_i32_iu8 v0, v12, v231, v0 neg_lo:[1,1,0]
	s_delay_alu instid0(VALU_DEP_2) | instskip(NEXT) | instid1(VALU_DEP_2)
	v_dot4_i32_iu8 v1, v9, v165, v1 neg_lo:[1,1,0]
	;; [unrolled: 6-line block ×4, first 2 shown]
	v_mul_lo_u32 v0, v0, v234
	s_delay_alu instid0(VALU_DEP_1) | instskip(SKIP_1) | instid1(VALU_DEP_2)
	v_mad_co_u64_u32 v[0:1], null, v1, v6, v[0:1]
	v_mul_f32_e32 v1, v5, v14
	v_cvt_f32_i32_e32 v0, v0
	s_delay_alu instid0(VALU_DEP_1) | instskip(SKIP_1) | instid1(VALU_DEP_1)
	v_fmac_f32_e32 v155, v1, v0
	v_or_b32_e32 v0, s18, v87
	v_lshlrev_b32_e32 v8, 2, v0
	v_lshrrev_b32_e32 v0, 1, v0
	ds_load_b32 v14, v0 offset:38816
	ds_load_b128 v[0:3], v8 offset:25344
	ds_load_b128 v[8:11], v8 offset:25360
	s_wait_dscnt 0x1
	v_bfe_i32 v15, v0, 0, 8
	v_bfe_i32 v16, v0, 8, 8
	;; [unrolled: 1-line block ×3, first 2 shown]
	v_ashrrev_i32_e32 v13, 24, v0
	v_bfe_i32 v17, v1, 0, 8
	v_mul_i32_i24_e32 v55, v172, v15
	v_bfe_i32 v18, v1, 8, 8
	v_mul_i32_i24_e32 v12, v173, v12
	v_mul_i32_i24_e32 v13, v174, v13
	v_bfe_i32 v19, v1, 16, 8
	v_mad_i32_i24 v55, v175, v16, v55
	v_ashrrev_i32_e32 v20, 24, v1
	s_wait_dscnt 0x0
	v_bfe_i32 v36, v8, 0, 8
	v_mul_i32_i24_e32 v18, v178, v18
	v_bfe_i32 v21, v2, 0, 8
	v_add3_u32 v12, v55, v12, v13
	v_mul_i32_i24_e32 v13, v179, v17
	v_bfe_i32 v22, v2, 8, 8
	v_bfe_i32 v37, v8, 8, 8
	;; [unrolled: 1-line block ×3, first 2 shown]
	v_ashrrev_i32_e32 v39, 24, v8
	v_mul_i32_i24_e32 v19, v177, v19
	v_mul_i32_i24_e32 v20, v176, v20
	v_add3_u32 v12, v12, v13, v18
	v_mul_i32_i24_e32 v13, v189, v36
	v_bfe_i32 v23, v2, 16, 8
	v_ashrrev_i32_e32 v27, 24, v2
	v_bfe_i32 v41, v9, 0, 8
	v_bfe_i32 v42, v9, 8, 8
	v_mul_i32_i24_e32 v55, v183, v21
	v_mul_i32_i24_e32 v22, v182, v22
	v_add3_u32 v12, v12, v19, v20
	v_mul_i32_i24_e32 v18, v190, v38
	v_mul_i32_i24_e32 v19, v191, v39
	v_mad_i32_i24 v13, v192, v37, v13
	v_bfe_i32 v32, v3, 0, 8
	v_bfe_i32 v33, v3, 8, 8
	;; [unrolled: 1-line block ×3, first 2 shown]
	v_ashrrev_i32_e32 v44, 24, v9
	v_mul_i32_i24_e32 v23, v181, v23
	v_mul_i32_i24_e32 v27, v180, v27
	v_add3_u32 v12, v12, v55, v22
	v_add3_u32 v13, v13, v18, v19
	v_mul_i32_i24_e32 v18, v196, v41
	v_mul_i32_i24_e32 v19, v195, v42
	v_bfe_i32 v34, v3, 16, 8
	v_ashrrev_i32_e32 v35, 24, v3
	v_bfe_i32 v45, v10, 0, 8
	v_bfe_i32 v46, v10, 8, 8
	v_mul_i32_i24_e32 v56, v188, v32
	v_mul_i32_i24_e32 v33, v187, v33
	v_add3_u32 v12, v12, v23, v27
	v_mul_i32_i24_e32 v20, v194, v43
	v_mul_i32_i24_e32 v22, v193, v44
	v_add3_u32 v13, v13, v18, v19
	v_bfe_i32 v47, v10, 16, 8
	v_ashrrev_i32_e32 v48, 24, v10
	v_mul_i32_i24_e32 v34, v186, v34
	v_mul_i32_i24_e32 v35, v185, v35
	v_add3_u32 v12, v12, v56, v33
	v_mul_i32_i24_e32 v23, v200, v45
	v_mul_i32_i24_e32 v27, v199, v46
	v_add3_u32 v13, v13, v20, v22
	v_bfe_i32 v50, v11, 0, 8
	v_bfe_i32 v51, v11, 8, 8
	v_add3_u32 v12, v12, v34, v35
	v_mul_i32_i24_e32 v33, v198, v47
	v_mul_i32_i24_e32 v34, v197, v48
	v_add3_u32 v13, v13, v23, v27
	v_bfe_i32 v52, v11, 16, 8
	v_ashrrev_i32_e32 v54, 24, v11
	v_mul_i32_i24_e32 v35, v210, v50
	v_mul_i32_i24_e32 v38, v208, v51
	v_add3_u32 v13, v13, v33, v34
	v_mul_i32_i24_e32 v39, v203, v52
	v_mul_i32_i24_e32 v42, v201, v54
	v_mul_lo_u32 v12, v12, v216
	v_perm_b32 v8, v8, v8, 0xc0c0302
	v_add3_u32 v13, v13, v35, v38
	v_perm_b32 v9, v9, v9, 0xc030201
	v_perm_b32 v2, v2, v2, 0xc030201
	v_perm_b32 v10, v10, v10, 0xc030201
	v_perm_b32 v3, v3, v3, 0xc030201
	v_add3_u32 v13, v13, v39, v42
	v_perm_b32 v11, v11, v11, 0xc030201
	s_delay_alu instid0(VALU_DEP_2) | instskip(SKIP_1) | instid1(VALU_DEP_2)
	v_mad_co_u64_u32 v[12:13], null, v13, v212, v[12:13]
	v_mul_f32_e32 v13, v169, v14
	v_cvt_f32_i32_e32 v12, v12
	s_delay_alu instid0(VALU_DEP_1) | instskip(SKIP_2) | instid1(VALU_DEP_2)
	v_fmac_f32_e32 v123, v13, v12
	v_mul_i32_i24_e32 v12, v15, v223
	v_perm_b32 v13, v0, v0, 0xc0c0302
	v_mad_i32_i24 v12, v16, v224, v12
	s_delay_alu instid0(VALU_DEP_1) | instskip(SKIP_2) | instid1(VALU_DEP_3)
	v_dot4_i32_iu8 v0, v13, v254, v12 neg_lo:[1,1,0]
	v_perm_b32 v12, v1, v1, 0xc030201
	v_mul_i32_i24_e32 v1, v36, v252
	v_mad_i32_i24 v0, v17, v255, v0
	s_delay_alu instid0(VALU_DEP_2) | instskip(NEXT) | instid1(VALU_DEP_2)
	v_mad_i32_i24 v1, v37, v253, v1
	v_dot4_i32_iu8 v0, v12, v248, v0 neg_lo:[1,1,0]
	s_delay_alu instid0(VALU_DEP_2) | instskip(NEXT) | instid1(VALU_DEP_2)
	v_dot4_i32_iu8 v1, v8, v235, v1 neg_lo:[1,1,0]
	v_mad_i32_i24 v0, v21, v247, v0
	s_delay_alu instid0(VALU_DEP_2) | instskip(NEXT) | instid1(VALU_DEP_2)
	v_mad_i32_i24 v1, v41, v236, v1
	v_dot4_i32_iu8 v0, v2, v249, v0 neg_lo:[1,1,0]
	s_delay_alu instid0(VALU_DEP_2) | instskip(NEXT) | instid1(VALU_DEP_2)
	v_dot4_i32_iu8 v1, v9, v219, v1 neg_lo:[1,1,0]
	;; [unrolled: 6-line block ×3, first 2 shown]
	v_mul_lo_u32 v0, v0, v251
	s_delay_alu instid0(VALU_DEP_2) | instskip(NEXT) | instid1(VALU_DEP_1)
	v_mad_i32_i24 v1, v50, v217, v1
	v_dot4_i32_iu8 v1, v11, v221, v1 neg_lo:[1,1,0]
	s_delay_alu instid0(VALU_DEP_1) | instskip(SKIP_1) | instid1(VALU_DEP_2)
	v_mad_co_u64_u32 v[0:1], null, v1, v222, v[0:1]
	v_mul_f32_e32 v1, v168, v14
	v_cvt_f32_i32_e32 v0, v0
	s_delay_alu instid0(VALU_DEP_1) | instskip(SKIP_2) | instid1(VALU_DEP_2)
	v_fmac_f32_e32 v137, v1, v0
	v_mul_i32_i24_e32 v0, v15, v237
	v_mul_i32_i24_e32 v1, v36, v202
	v_mad_i32_i24 v0, v16, v238, v0
	s_delay_alu instid0(VALU_DEP_2) | instskip(NEXT) | instid1(VALU_DEP_2)
	v_mad_i32_i24 v1, v37, v204, v1
	v_dot4_i32_iu8 v0, v13, v240, v0 neg_lo:[1,1,0]
	s_delay_alu instid0(VALU_DEP_2) | instskip(NEXT) | instid1(VALU_DEP_2)
	v_dot4_i32_iu8 v1, v8, v206, v1 neg_lo:[1,1,0]
	v_mad_i32_i24 v0, v17, v242, v0
	s_delay_alu instid0(VALU_DEP_2) | instskip(NEXT) | instid1(VALU_DEP_2)
	v_mad_i32_i24 v1, v41, v209, v1
	v_dot4_i32_iu8 v0, v12, v243, v0 neg_lo:[1,1,0]
	s_delay_alu instid0(VALU_DEP_2) | instskip(NEXT) | instid1(VALU_DEP_2)
	v_dot4_i32_iu8 v1, v9, v211, v1 neg_lo:[1,1,0]
	;; [unrolled: 6-line block ×4, first 2 shown]
	v_mul_lo_u32 v0, v0, v246
	s_delay_alu instid0(VALU_DEP_1) | instskip(SKIP_1) | instid1(VALU_DEP_2)
	v_mad_co_u64_u32 v[0:1], null, v1, v215, v[0:1]
	v_mul_f32_e32 v1, v184, v14
	v_cvt_f32_i32_e32 v0, v0
	s_delay_alu instid0(VALU_DEP_1) | instskip(SKIP_2) | instid1(VALU_DEP_2)
	v_fmac_f32_e32 v147, v1, v0
	v_mul_i32_i24_e32 v0, v15, v225
	v_mul_i32_i24_e32 v1, v36, v171
	v_mad_i32_i24 v0, v16, v226, v0
	s_delay_alu instid0(VALU_DEP_2) | instskip(NEXT) | instid1(VALU_DEP_2)
	v_mad_i32_i24 v1, v37, v170, v1
	v_dot4_i32_iu8 v0, v13, v228, v0 neg_lo:[1,1,0]
	s_delay_alu instid0(VALU_DEP_2) | instskip(NEXT) | instid1(VALU_DEP_2)
	v_dot4_i32_iu8 v1, v8, v167, v1 neg_lo:[1,1,0]
	v_mad_i32_i24 v0, v17, v230, v0
	s_delay_alu instid0(VALU_DEP_2) | instskip(NEXT) | instid1(VALU_DEP_2)
	v_mad_i32_i24 v1, v41, v166, v1
	v_dot4_i32_iu8 v0, v12, v231, v0 neg_lo:[1,1,0]
	s_delay_alu instid0(VALU_DEP_2) | instskip(NEXT) | instid1(VALU_DEP_2)
	v_dot4_i32_iu8 v1, v9, v165, v1 neg_lo:[1,1,0]
	;; [unrolled: 6-line block ×4, first 2 shown]
	v_mul_lo_u32 v0, v0, v234
	s_delay_alu instid0(VALU_DEP_1) | instskip(SKIP_1) | instid1(VALU_DEP_2)
	v_mad_co_u64_u32 v[0:1], null, v1, v6, v[0:1]
	v_mul_f32_e32 v1, v5, v14
	v_cvt_f32_i32_e32 v0, v0
	s_delay_alu instid0(VALU_DEP_1) | instskip(SKIP_1) | instid1(VALU_DEP_1)
	v_fmac_f32_e32 v153, v1, v0
	v_or_b32_e32 v0, s18, v88
	v_lshlrev_b32_e32 v1, 2, v0
	v_lshrrev_b32_e32 v0, 1, v0
	ds_load_b32 v8, v0 offset:38816
	ds_load_b128 v[32:35], v1 offset:25344
	ds_load_b128 v[0:3], v1 offset:25360
	s_wait_dscnt 0x1
	v_bfe_i32 v11, v32, 0, 8
	v_bfe_i32 v12, v32, 8, 8
	;; [unrolled: 1-line block ×3, first 2 shown]
	v_ashrrev_i32_e32 v10, 24, v32
	v_bfe_i32 v13, v33, 0, 8
	v_mul_i32_i24_e32 v55, v172, v11
	v_bfe_i32 v14, v33, 8, 8
	v_mul_i32_i24_e32 v9, v173, v9
	v_mul_i32_i24_e32 v10, v174, v10
	v_bfe_i32 v15, v33, 16, 8
	v_mad_i32_i24 v55, v175, v12, v55
	v_ashrrev_i32_e32 v16, 24, v33
	s_wait_dscnt 0x0
	v_bfe_i32 v36, v0, 0, 8
	v_mul_i32_i24_e32 v14, v178, v14
	v_bfe_i32 v17, v34, 0, 8
	v_add3_u32 v9, v55, v9, v10
	v_mul_i32_i24_e32 v10, v179, v13
	v_bfe_i32 v18, v34, 8, 8
	v_bfe_i32 v37, v0, 8, 8
	;; [unrolled: 1-line block ×3, first 2 shown]
	v_ashrrev_i32_e32 v39, 24, v0
	v_mul_i32_i24_e32 v15, v177, v15
	v_mul_i32_i24_e32 v16, v176, v16
	v_add3_u32 v9, v9, v10, v14
	v_mul_i32_i24_e32 v10, v189, v36
	v_bfe_i32 v19, v34, 16, 8
	v_ashrrev_i32_e32 v20, 24, v34
	v_bfe_i32 v41, v1, 0, 8
	v_bfe_i32 v42, v1, 8, 8
	v_mul_i32_i24_e32 v55, v183, v17
	v_mul_i32_i24_e32 v18, v182, v18
	v_add3_u32 v9, v9, v15, v16
	v_mul_i32_i24_e32 v14, v190, v38
	v_mul_i32_i24_e32 v15, v191, v39
	v_mad_i32_i24 v10, v192, v37, v10
	v_bfe_i32 v21, v35, 0, 8
	v_bfe_i32 v22, v35, 8, 8
	;; [unrolled: 1-line block ×3, first 2 shown]
	v_ashrrev_i32_e32 v44, 24, v1
	v_mul_i32_i24_e32 v19, v181, v19
	v_mul_i32_i24_e32 v20, v180, v20
	v_add3_u32 v9, v9, v55, v18
	v_add3_u32 v10, v10, v14, v15
	v_mul_i32_i24_e32 v14, v196, v41
	v_mul_i32_i24_e32 v15, v195, v42
	v_bfe_i32 v23, v35, 16, 8
	v_ashrrev_i32_e32 v27, 24, v35
	v_bfe_i32 v45, v2, 0, 8
	v_bfe_i32 v46, v2, 8, 8
	v_mul_i32_i24_e32 v56, v188, v21
	v_mul_i32_i24_e32 v22, v187, v22
	v_add3_u32 v9, v9, v19, v20
	v_mul_i32_i24_e32 v16, v194, v43
	v_mul_i32_i24_e32 v18, v193, v44
	v_add3_u32 v10, v10, v14, v15
	v_bfe_i32 v47, v2, 16, 8
	v_ashrrev_i32_e32 v48, 24, v2
	v_mul_i32_i24_e32 v23, v186, v23
	v_mul_i32_i24_e32 v27, v185, v27
	v_add3_u32 v9, v9, v56, v22
	v_mul_i32_i24_e32 v19, v200, v45
	v_mul_i32_i24_e32 v20, v199, v46
	v_add3_u32 v10, v10, v16, v18
	v_bfe_i32 v50, v3, 0, 8
	v_bfe_i32 v51, v3, 8, 8
	v_add3_u32 v9, v9, v23, v27
	v_mul_i32_i24_e32 v22, v198, v47
	v_mul_i32_i24_e32 v23, v197, v48
	v_add3_u32 v10, v10, v19, v20
	v_bfe_i32 v52, v3, 16, 8
	v_ashrrev_i32_e32 v54, 24, v3
	v_mul_i32_i24_e32 v27, v210, v50
	v_mul_i32_i24_e32 v38, v208, v51
	v_add3_u32 v10, v10, v22, v23
	v_mul_i32_i24_e32 v39, v203, v52
	v_mul_i32_i24_e32 v42, v201, v54
	v_mul_lo_u32 v9, v9, v216
	v_mul_i32_i24_e32 v18, v36, v252
	v_add3_u32 v10, v10, v27, v38
	v_perm_b32 v19, v0, v0, 0xc0c0302
	v_perm_b32 v14, v33, v33, 0xc030201
	;; [unrolled: 1-line block ×3, first 2 shown]
	v_mad_i32_i24 v18, v37, v253, v18
	v_add3_u32 v10, v10, v39, v42
	v_perm_b32 v2, v2, v2, 0xc030201
	v_perm_b32 v16, v35, v35, 0xc030201
	;; [unrolled: 1-line block ×3, first 2 shown]
	v_dot4_i32_iu8 v0, v19, v235, v18 neg_lo:[1,1,0]
	v_mad_co_u64_u32 v[9:10], null, v10, v212, v[9:10]
	v_mul_f32_e32 v10, v169, v8
	v_perm_b32 v18, v1, v1, 0xc030201
	s_delay_alu instid0(VALU_DEP_4) | instskip(NEXT) | instid1(VALU_DEP_4)
	v_mad_i32_i24 v0, v41, v236, v0
	v_cvt_f32_i32_e32 v9, v9
	s_delay_alu instid0(VALU_DEP_2) | instskip(NEXT) | instid1(VALU_DEP_2)
	v_dot4_i32_iu8 v0, v18, v219, v0 neg_lo:[1,1,0]
	v_fmac_f32_e32 v118, v10, v9
	v_mul_i32_i24_e32 v9, v11, v223
	v_perm_b32 v10, v32, v32, 0xc0c0302
	s_delay_alu instid0(VALU_DEP_4) | instskip(NEXT) | instid1(VALU_DEP_3)
	v_mad_i32_i24 v0, v45, v218, v0
	v_mad_i32_i24 v9, v12, v224, v9
	s_delay_alu instid0(VALU_DEP_2) | instskip(NEXT) | instid1(VALU_DEP_2)
	v_dot4_i32_iu8 v0, v2, v220, v0 neg_lo:[1,1,0]
	v_dot4_i32_iu8 v9, v10, v254, v9 neg_lo:[1,1,0]
	s_delay_alu instid0(VALU_DEP_2) | instskip(NEXT) | instid1(VALU_DEP_2)
	v_mad_i32_i24 v0, v50, v217, v0
	v_mad_i32_i24 v9, v13, v255, v9
	s_delay_alu instid0(VALU_DEP_2) | instskip(NEXT) | instid1(VALU_DEP_2)
	v_dot4_i32_iu8 v0, v3, v221, v0 neg_lo:[1,1,0]
	v_dot4_i32_iu8 v9, v14, v248, v9 neg_lo:[1,1,0]
	s_delay_alu instid0(VALU_DEP_1) | instskip(NEXT) | instid1(VALU_DEP_1)
	v_mad_i32_i24 v9, v17, v247, v9
	v_dot4_i32_iu8 v9, v15, v249, v9 neg_lo:[1,1,0]
	s_delay_alu instid0(VALU_DEP_1) | instskip(NEXT) | instid1(VALU_DEP_1)
	v_mad_i32_i24 v9, v21, v4, v9
	v_dot4_i32_iu8 v9, v16, v250, v9 neg_lo:[1,1,0]
	s_delay_alu instid0(VALU_DEP_1) | instskip(NEXT) | instid1(VALU_DEP_1)
	v_mul_lo_u32 v9, v9, v251
	v_mad_co_u64_u32 v[0:1], null, v0, v222, v[9:10]
	v_mul_f32_e32 v1, v168, v8
	s_delay_alu instid0(VALU_DEP_2) | instskip(NEXT) | instid1(VALU_DEP_1)
	v_cvt_f32_i32_e32 v0, v0
	v_fmac_f32_e32 v131, v1, v0
	v_mul_i32_i24_e32 v0, v11, v237
	v_mul_i32_i24_e32 v1, v36, v202
	s_delay_alu instid0(VALU_DEP_2) | instskip(NEXT) | instid1(VALU_DEP_2)
	v_mad_i32_i24 v0, v12, v238, v0
	v_mad_i32_i24 v1, v37, v204, v1
	s_delay_alu instid0(VALU_DEP_2) | instskip(NEXT) | instid1(VALU_DEP_2)
	v_dot4_i32_iu8 v0, v10, v240, v0 neg_lo:[1,1,0]
	v_dot4_i32_iu8 v1, v19, v206, v1 neg_lo:[1,1,0]
	s_delay_alu instid0(VALU_DEP_2) | instskip(NEXT) | instid1(VALU_DEP_2)
	v_mad_i32_i24 v0, v13, v242, v0
	v_mad_i32_i24 v1, v41, v209, v1
	s_delay_alu instid0(VALU_DEP_2) | instskip(NEXT) | instid1(VALU_DEP_2)
	v_dot4_i32_iu8 v0, v14, v243, v0 neg_lo:[1,1,0]
	v_dot4_i32_iu8 v1, v18, v211, v1 neg_lo:[1,1,0]
	;; [unrolled: 6-line block ×4, first 2 shown]
	s_delay_alu instid0(VALU_DEP_2) | instskip(NEXT) | instid1(VALU_DEP_1)
	v_mul_lo_u32 v0, v0, v246
	v_mad_co_u64_u32 v[0:1], null, v1, v215, v[0:1]
	v_mul_f32_e32 v1, v184, v8
	s_delay_alu instid0(VALU_DEP_2) | instskip(NEXT) | instid1(VALU_DEP_1)
	v_cvt_f32_i32_e32 v0, v0
	v_fmac_f32_e32 v144, v1, v0
	v_mul_i32_i24_e32 v0, v11, v225
	v_mul_i32_i24_e32 v1, v36, v171
	s_delay_alu instid0(VALU_DEP_2) | instskip(NEXT) | instid1(VALU_DEP_2)
	v_mad_i32_i24 v0, v12, v226, v0
	v_mad_i32_i24 v1, v37, v170, v1
	s_delay_alu instid0(VALU_DEP_2) | instskip(NEXT) | instid1(VALU_DEP_2)
	v_dot4_i32_iu8 v0, v10, v228, v0 neg_lo:[1,1,0]
	v_dot4_i32_iu8 v1, v19, v167, v1 neg_lo:[1,1,0]
	s_delay_alu instid0(VALU_DEP_2) | instskip(NEXT) | instid1(VALU_DEP_2)
	v_mad_i32_i24 v0, v13, v230, v0
	v_mad_i32_i24 v1, v41, v166, v1
	s_delay_alu instid0(VALU_DEP_2) | instskip(NEXT) | instid1(VALU_DEP_2)
	v_dot4_i32_iu8 v0, v14, v231, v0 neg_lo:[1,1,0]
	v_dot4_i32_iu8 v1, v18, v165, v1 neg_lo:[1,1,0]
	;; [unrolled: 6-line block ×4, first 2 shown]
	s_delay_alu instid0(VALU_DEP_2) | instskip(NEXT) | instid1(VALU_DEP_1)
	v_mul_lo_u32 v0, v0, v234
	v_mad_co_u64_u32 v[0:1], null, v1, v6, v[0:1]
	v_mul_f32_e32 v1, v5, v8
	s_delay_alu instid0(VALU_DEP_2) | instskip(NEXT) | instid1(VALU_DEP_1)
	v_cvt_f32_i32_e32 v0, v0
	v_fmac_f32_e32 v151, v1, v0
	v_or_b32_e32 v0, s18, v89
	s_delay_alu instid0(VALU_DEP_1)
	v_lshlrev_b32_e32 v8, 2, v0
	v_lshrrev_b32_e32 v0, 1, v0
	ds_load_b32 v14, v0 offset:38816
	ds_load_b128 v[0:3], v8 offset:25344
	ds_load_b128 v[8:11], v8 offset:25360
	s_wait_dscnt 0x1
	v_bfe_i32 v15, v0, 0, 8
	v_bfe_i32 v16, v0, 8, 8
	;; [unrolled: 1-line block ×3, first 2 shown]
	v_ashrrev_i32_e32 v13, 24, v0
	v_bfe_i32 v17, v1, 0, 8
	v_mul_i32_i24_e32 v55, v172, v15
	v_bfe_i32 v18, v1, 8, 8
	v_mul_i32_i24_e32 v12, v173, v12
	v_mul_i32_i24_e32 v13, v174, v13
	v_bfe_i32 v19, v1, 16, 8
	v_mad_i32_i24 v55, v175, v16, v55
	v_ashrrev_i32_e32 v20, 24, v1
	s_wait_dscnt 0x0
	v_bfe_i32 v36, v8, 0, 8
	v_mul_i32_i24_e32 v18, v178, v18
	v_bfe_i32 v21, v2, 0, 8
	v_add3_u32 v12, v55, v12, v13
	v_mul_i32_i24_e32 v13, v179, v17
	v_bfe_i32 v22, v2, 8, 8
	v_bfe_i32 v37, v8, 8, 8
	;; [unrolled: 1-line block ×3, first 2 shown]
	v_ashrrev_i32_e32 v39, 24, v8
	v_mul_i32_i24_e32 v19, v177, v19
	v_mul_i32_i24_e32 v20, v176, v20
	v_add3_u32 v12, v12, v13, v18
	v_mul_i32_i24_e32 v13, v189, v36
	v_bfe_i32 v23, v2, 16, 8
	v_ashrrev_i32_e32 v27, 24, v2
	v_bfe_i32 v41, v9, 0, 8
	v_bfe_i32 v42, v9, 8, 8
	v_mul_i32_i24_e32 v55, v183, v21
	v_mul_i32_i24_e32 v22, v182, v22
	v_add3_u32 v12, v12, v19, v20
	v_mul_i32_i24_e32 v18, v190, v38
	v_mul_i32_i24_e32 v19, v191, v39
	v_mad_i32_i24 v13, v192, v37, v13
	v_bfe_i32 v32, v3, 0, 8
	v_bfe_i32 v33, v3, 8, 8
	;; [unrolled: 1-line block ×3, first 2 shown]
	v_ashrrev_i32_e32 v44, 24, v9
	v_mul_i32_i24_e32 v23, v181, v23
	v_mul_i32_i24_e32 v27, v180, v27
	v_add3_u32 v12, v12, v55, v22
	v_add3_u32 v13, v13, v18, v19
	v_mul_i32_i24_e32 v18, v196, v41
	v_mul_i32_i24_e32 v19, v195, v42
	v_bfe_i32 v34, v3, 16, 8
	v_ashrrev_i32_e32 v35, 24, v3
	v_bfe_i32 v45, v10, 0, 8
	v_bfe_i32 v46, v10, 8, 8
	v_mul_i32_i24_e32 v56, v188, v32
	v_mul_i32_i24_e32 v33, v187, v33
	v_add3_u32 v12, v12, v23, v27
	v_mul_i32_i24_e32 v20, v194, v43
	v_mul_i32_i24_e32 v22, v193, v44
	v_add3_u32 v13, v13, v18, v19
	v_bfe_i32 v47, v10, 16, 8
	v_ashrrev_i32_e32 v48, 24, v10
	v_mul_i32_i24_e32 v34, v186, v34
	v_mul_i32_i24_e32 v35, v185, v35
	v_add3_u32 v12, v12, v56, v33
	v_mul_i32_i24_e32 v23, v200, v45
	v_mul_i32_i24_e32 v27, v199, v46
	v_add3_u32 v13, v13, v20, v22
	v_bfe_i32 v50, v11, 0, 8
	v_bfe_i32 v51, v11, 8, 8
	v_add3_u32 v12, v12, v34, v35
	v_mul_i32_i24_e32 v33, v198, v47
	v_mul_i32_i24_e32 v34, v197, v48
	v_add3_u32 v13, v13, v23, v27
	v_bfe_i32 v52, v11, 16, 8
	v_ashrrev_i32_e32 v54, 24, v11
	v_mul_i32_i24_e32 v35, v210, v50
	v_mul_i32_i24_e32 v38, v208, v51
	v_add3_u32 v13, v13, v33, v34
	v_mul_i32_i24_e32 v39, v203, v52
	v_mul_i32_i24_e32 v42, v201, v54
	v_mul_lo_u32 v12, v12, v216
	v_perm_b32 v8, v8, v8, 0xc0c0302
	v_add3_u32 v13, v13, v35, v38
	v_perm_b32 v9, v9, v9, 0xc030201
	v_perm_b32 v2, v2, v2, 0xc030201
	;; [unrolled: 1-line block ×4, first 2 shown]
	v_add3_u32 v13, v13, v39, v42
	v_perm_b32 v11, v11, v11, 0xc030201
	s_delay_alu instid0(VALU_DEP_2) | instskip(SKIP_1) | instid1(VALU_DEP_2)
	v_mad_co_u64_u32 v[12:13], null, v13, v212, v[12:13]
	v_mul_f32_e32 v13, v169, v14
	v_cvt_f32_i32_e32 v12, v12
	s_delay_alu instid0(VALU_DEP_1) | instskip(SKIP_2) | instid1(VALU_DEP_2)
	v_fmac_f32_e32 v113, v13, v12
	v_mul_i32_i24_e32 v12, v15, v223
	v_perm_b32 v13, v0, v0, 0xc0c0302
	v_mad_i32_i24 v12, v16, v224, v12
	s_delay_alu instid0(VALU_DEP_1) | instskip(SKIP_2) | instid1(VALU_DEP_3)
	v_dot4_i32_iu8 v0, v13, v254, v12 neg_lo:[1,1,0]
	v_perm_b32 v12, v1, v1, 0xc030201
	v_mul_i32_i24_e32 v1, v36, v252
	v_mad_i32_i24 v0, v17, v255, v0
	s_delay_alu instid0(VALU_DEP_2) | instskip(NEXT) | instid1(VALU_DEP_2)
	v_mad_i32_i24 v1, v37, v253, v1
	v_dot4_i32_iu8 v0, v12, v248, v0 neg_lo:[1,1,0]
	s_delay_alu instid0(VALU_DEP_2) | instskip(NEXT) | instid1(VALU_DEP_2)
	v_dot4_i32_iu8 v1, v8, v235, v1 neg_lo:[1,1,0]
	v_mad_i32_i24 v0, v21, v247, v0
	s_delay_alu instid0(VALU_DEP_2) | instskip(NEXT) | instid1(VALU_DEP_2)
	v_mad_i32_i24 v1, v41, v236, v1
	v_dot4_i32_iu8 v0, v2, v249, v0 neg_lo:[1,1,0]
	s_delay_alu instid0(VALU_DEP_2) | instskip(NEXT) | instid1(VALU_DEP_2)
	v_dot4_i32_iu8 v1, v9, v219, v1 neg_lo:[1,1,0]
	;; [unrolled: 6-line block ×3, first 2 shown]
	v_mul_lo_u32 v0, v0, v251
	s_delay_alu instid0(VALU_DEP_2) | instskip(NEXT) | instid1(VALU_DEP_1)
	v_mad_i32_i24 v1, v50, v217, v1
	v_dot4_i32_iu8 v1, v11, v221, v1 neg_lo:[1,1,0]
	s_delay_alu instid0(VALU_DEP_1) | instskip(SKIP_1) | instid1(VALU_DEP_2)
	v_mad_co_u64_u32 v[0:1], null, v1, v222, v[0:1]
	v_mul_f32_e32 v1, v168, v14
	v_cvt_f32_i32_e32 v0, v0
	s_delay_alu instid0(VALU_DEP_1) | instskip(SKIP_2) | instid1(VALU_DEP_2)
	v_fmac_f32_e32 v125, v1, v0
	v_mul_i32_i24_e32 v0, v15, v237
	v_mul_i32_i24_e32 v1, v36, v202
	v_mad_i32_i24 v0, v16, v238, v0
	s_delay_alu instid0(VALU_DEP_2) | instskip(NEXT) | instid1(VALU_DEP_2)
	v_mad_i32_i24 v1, v37, v204, v1
	v_dot4_i32_iu8 v0, v13, v240, v0 neg_lo:[1,1,0]
	s_delay_alu instid0(VALU_DEP_2) | instskip(NEXT) | instid1(VALU_DEP_2)
	v_dot4_i32_iu8 v1, v8, v206, v1 neg_lo:[1,1,0]
	v_mad_i32_i24 v0, v17, v242, v0
	s_delay_alu instid0(VALU_DEP_2) | instskip(NEXT) | instid1(VALU_DEP_2)
	v_mad_i32_i24 v1, v41, v209, v1
	v_dot4_i32_iu8 v0, v12, v243, v0 neg_lo:[1,1,0]
	s_delay_alu instid0(VALU_DEP_2) | instskip(NEXT) | instid1(VALU_DEP_2)
	v_dot4_i32_iu8 v1, v9, v211, v1 neg_lo:[1,1,0]
	;; [unrolled: 6-line block ×4, first 2 shown]
	v_mul_lo_u32 v0, v0, v246
	s_delay_alu instid0(VALU_DEP_1) | instskip(SKIP_1) | instid1(VALU_DEP_2)
	v_mad_co_u64_u32 v[0:1], null, v1, v215, v[0:1]
	v_mul_f32_e32 v1, v184, v14
	v_cvt_f32_i32_e32 v0, v0
	s_delay_alu instid0(VALU_DEP_1) | instskip(SKIP_2) | instid1(VALU_DEP_2)
	v_fmac_f32_e32 v139, v1, v0
	v_mul_i32_i24_e32 v0, v15, v225
	v_mul_i32_i24_e32 v1, v36, v171
	v_mad_i32_i24 v0, v16, v226, v0
	s_delay_alu instid0(VALU_DEP_2) | instskip(NEXT) | instid1(VALU_DEP_2)
	v_mad_i32_i24 v1, v37, v170, v1
	v_dot4_i32_iu8 v0, v13, v228, v0 neg_lo:[1,1,0]
	s_delay_alu instid0(VALU_DEP_2) | instskip(NEXT) | instid1(VALU_DEP_2)
	v_dot4_i32_iu8 v1, v8, v167, v1 neg_lo:[1,1,0]
	v_mad_i32_i24 v0, v17, v230, v0
	s_delay_alu instid0(VALU_DEP_2) | instskip(NEXT) | instid1(VALU_DEP_2)
	v_mad_i32_i24 v1, v41, v166, v1
	v_dot4_i32_iu8 v0, v12, v231, v0 neg_lo:[1,1,0]
	s_delay_alu instid0(VALU_DEP_2) | instskip(NEXT) | instid1(VALU_DEP_2)
	v_dot4_i32_iu8 v1, v9, v165, v1 neg_lo:[1,1,0]
	;; [unrolled: 6-line block ×4, first 2 shown]
	v_mul_lo_u32 v0, v0, v234
	s_delay_alu instid0(VALU_DEP_1) | instskip(SKIP_1) | instid1(VALU_DEP_2)
	v_mad_co_u64_u32 v[0:1], null, v1, v6, v[0:1]
	v_mul_f32_e32 v1, v5, v14
	v_cvt_f32_i32_e32 v0, v0
	s_delay_alu instid0(VALU_DEP_1) | instskip(SKIP_1) | instid1(VALU_DEP_1)
	v_fmac_f32_e32 v148, v1, v0
	v_or_b32_e32 v0, s18, v90
	v_lshlrev_b32_e32 v8, 2, v0
	v_lshrrev_b32_e32 v0, 1, v0
	ds_load_b32 v14, v0 offset:38816
	ds_load_b128 v[0:3], v8 offset:25344
	ds_load_b128 v[8:11], v8 offset:25360
	s_wait_dscnt 0x1
	v_bfe_i32 v15, v0, 0, 8
	v_bfe_i32 v16, v0, 8, 8
	;; [unrolled: 1-line block ×3, first 2 shown]
	v_ashrrev_i32_e32 v13, 24, v0
	v_bfe_i32 v17, v1, 0, 8
	v_mul_i32_i24_e32 v55, v172, v15
	v_bfe_i32 v18, v1, 8, 8
	v_mul_i32_i24_e32 v12, v173, v12
	v_mul_i32_i24_e32 v13, v174, v13
	v_bfe_i32 v19, v1, 16, 8
	v_mad_i32_i24 v55, v175, v16, v55
	v_ashrrev_i32_e32 v20, 24, v1
	s_wait_dscnt 0x0
	v_bfe_i32 v36, v8, 0, 8
	v_mul_i32_i24_e32 v18, v178, v18
	v_bfe_i32 v21, v2, 0, 8
	v_add3_u32 v12, v55, v12, v13
	v_mul_i32_i24_e32 v13, v179, v17
	v_bfe_i32 v22, v2, 8, 8
	v_bfe_i32 v37, v8, 8, 8
	;; [unrolled: 1-line block ×3, first 2 shown]
	v_ashrrev_i32_e32 v39, 24, v8
	v_mul_i32_i24_e32 v19, v177, v19
	v_mul_i32_i24_e32 v20, v176, v20
	v_add3_u32 v12, v12, v13, v18
	v_mul_i32_i24_e32 v13, v189, v36
	v_bfe_i32 v23, v2, 16, 8
	v_ashrrev_i32_e32 v27, 24, v2
	v_bfe_i32 v41, v9, 0, 8
	v_bfe_i32 v42, v9, 8, 8
	v_mul_i32_i24_e32 v55, v183, v21
	v_mul_i32_i24_e32 v22, v182, v22
	v_add3_u32 v12, v12, v19, v20
	v_mul_i32_i24_e32 v18, v190, v38
	v_mul_i32_i24_e32 v19, v191, v39
	v_mad_i32_i24 v13, v192, v37, v13
	v_bfe_i32 v32, v3, 0, 8
	v_bfe_i32 v33, v3, 8, 8
	;; [unrolled: 1-line block ×3, first 2 shown]
	v_ashrrev_i32_e32 v44, 24, v9
	v_mul_i32_i24_e32 v23, v181, v23
	v_mul_i32_i24_e32 v27, v180, v27
	v_add3_u32 v12, v12, v55, v22
	v_add3_u32 v13, v13, v18, v19
	v_mul_i32_i24_e32 v18, v196, v41
	v_mul_i32_i24_e32 v19, v195, v42
	v_bfe_i32 v34, v3, 16, 8
	v_ashrrev_i32_e32 v35, 24, v3
	v_bfe_i32 v45, v10, 0, 8
	v_bfe_i32 v46, v10, 8, 8
	v_mul_i32_i24_e32 v56, v188, v32
	v_mul_i32_i24_e32 v33, v187, v33
	v_add3_u32 v12, v12, v23, v27
	v_mul_i32_i24_e32 v20, v194, v43
	v_mul_i32_i24_e32 v22, v193, v44
	v_add3_u32 v13, v13, v18, v19
	v_bfe_i32 v47, v10, 16, 8
	v_ashrrev_i32_e32 v48, 24, v10
	v_mul_i32_i24_e32 v34, v186, v34
	v_mul_i32_i24_e32 v35, v185, v35
	v_add3_u32 v12, v12, v56, v33
	v_mul_i32_i24_e32 v23, v200, v45
	v_mul_i32_i24_e32 v27, v199, v46
	v_add3_u32 v13, v13, v20, v22
	v_bfe_i32 v50, v11, 0, 8
	v_bfe_i32 v51, v11, 8, 8
	v_add3_u32 v12, v12, v34, v35
	v_mul_i32_i24_e32 v33, v198, v47
	v_mul_i32_i24_e32 v34, v197, v48
	v_add3_u32 v13, v13, v23, v27
	v_bfe_i32 v52, v11, 16, 8
	v_ashrrev_i32_e32 v54, 24, v11
	v_mul_i32_i24_e32 v35, v210, v50
	v_mul_i32_i24_e32 v38, v208, v51
	v_add3_u32 v13, v13, v33, v34
	v_mul_i32_i24_e32 v39, v203, v52
	v_mul_i32_i24_e32 v42, v201, v54
	v_mul_lo_u32 v12, v12, v216
	v_perm_b32 v8, v8, v8, 0xc0c0302
	v_add3_u32 v13, v13, v35, v38
	v_perm_b32 v9, v9, v9, 0xc030201
	v_perm_b32 v2, v2, v2, 0xc030201
	;; [unrolled: 1-line block ×4, first 2 shown]
	v_add3_u32 v13, v13, v39, v42
	v_perm_b32 v11, v11, v11, 0xc030201
	s_delay_alu instid0(VALU_DEP_2) | instskip(SKIP_1) | instid1(VALU_DEP_2)
	v_mad_co_u64_u32 v[12:13], null, v13, v212, v[12:13]
	v_mul_f32_e32 v13, v169, v14
	v_cvt_f32_i32_e32 v12, v12
	s_delay_alu instid0(VALU_DEP_1) | instskip(SKIP_2) | instid1(VALU_DEP_2)
	v_fmac_f32_e32 v109, v13, v12
	v_mul_i32_i24_e32 v12, v15, v223
	v_perm_b32 v13, v0, v0, 0xc0c0302
	v_mad_i32_i24 v12, v16, v224, v12
	s_delay_alu instid0(VALU_DEP_1) | instskip(SKIP_2) | instid1(VALU_DEP_3)
	v_dot4_i32_iu8 v0, v13, v254, v12 neg_lo:[1,1,0]
	v_perm_b32 v12, v1, v1, 0xc030201
	v_mul_i32_i24_e32 v1, v36, v252
	v_mad_i32_i24 v0, v17, v255, v0
	s_delay_alu instid0(VALU_DEP_2) | instskip(NEXT) | instid1(VALU_DEP_2)
	v_mad_i32_i24 v1, v37, v253, v1
	v_dot4_i32_iu8 v0, v12, v248, v0 neg_lo:[1,1,0]
	s_delay_alu instid0(VALU_DEP_2) | instskip(NEXT) | instid1(VALU_DEP_2)
	v_dot4_i32_iu8 v1, v8, v235, v1 neg_lo:[1,1,0]
	v_mad_i32_i24 v0, v21, v247, v0
	s_delay_alu instid0(VALU_DEP_2) | instskip(NEXT) | instid1(VALU_DEP_2)
	v_mad_i32_i24 v1, v41, v236, v1
	v_dot4_i32_iu8 v0, v2, v249, v0 neg_lo:[1,1,0]
	s_delay_alu instid0(VALU_DEP_2) | instskip(NEXT) | instid1(VALU_DEP_2)
	v_dot4_i32_iu8 v1, v9, v219, v1 neg_lo:[1,1,0]
	v_mad_i32_i24 v0, v32, v4, v0
	s_delay_alu instid0(VALU_DEP_2) | instskip(NEXT) | instid1(VALU_DEP_2)
	v_mad_i32_i24 v1, v45, v218, v1
	v_dot4_i32_iu8 v0, v3, v250, v0 neg_lo:[1,1,0]
	s_delay_alu instid0(VALU_DEP_2) | instskip(NEXT) | instid1(VALU_DEP_2)
	v_dot4_i32_iu8 v1, v10, v220, v1 neg_lo:[1,1,0]
	v_mul_lo_u32 v0, v0, v251
	s_delay_alu instid0(VALU_DEP_2) | instskip(NEXT) | instid1(VALU_DEP_1)
	v_mad_i32_i24 v1, v50, v217, v1
	v_dot4_i32_iu8 v1, v11, v221, v1 neg_lo:[1,1,0]
	s_delay_alu instid0(VALU_DEP_1) | instskip(SKIP_1) | instid1(VALU_DEP_2)
	v_mad_co_u64_u32 v[0:1], null, v1, v222, v[0:1]
	v_mul_f32_e32 v1, v168, v14
	v_cvt_f32_i32_e32 v0, v0
	s_delay_alu instid0(VALU_DEP_1) | instskip(SKIP_2) | instid1(VALU_DEP_2)
	v_fmac_f32_e32 v120, v1, v0
	v_mul_i32_i24_e32 v0, v15, v237
	v_mul_i32_i24_e32 v1, v36, v202
	v_mad_i32_i24 v0, v16, v238, v0
	s_delay_alu instid0(VALU_DEP_2) | instskip(NEXT) | instid1(VALU_DEP_2)
	v_mad_i32_i24 v1, v37, v204, v1
	v_dot4_i32_iu8 v0, v13, v240, v0 neg_lo:[1,1,0]
	s_delay_alu instid0(VALU_DEP_2) | instskip(NEXT) | instid1(VALU_DEP_2)
	v_dot4_i32_iu8 v1, v8, v206, v1 neg_lo:[1,1,0]
	v_mad_i32_i24 v0, v17, v242, v0
	s_delay_alu instid0(VALU_DEP_2) | instskip(NEXT) | instid1(VALU_DEP_2)
	v_mad_i32_i24 v1, v41, v209, v1
	v_dot4_i32_iu8 v0, v12, v243, v0 neg_lo:[1,1,0]
	s_delay_alu instid0(VALU_DEP_2) | instskip(NEXT) | instid1(VALU_DEP_2)
	v_dot4_i32_iu8 v1, v9, v211, v1 neg_lo:[1,1,0]
	v_mad_i32_i24 v0, v21, v241, v0
	s_delay_alu instid0(VALU_DEP_2) | instskip(NEXT) | instid1(VALU_DEP_2)
	v_mad_i32_i24 v1, v45, v207, v1
	v_dot4_i32_iu8 v0, v2, v244, v0 neg_lo:[1,1,0]
	s_delay_alu instid0(VALU_DEP_2) | instskip(NEXT) | instid1(VALU_DEP_2)
	v_dot4_i32_iu8 v1, v10, v213, v1 neg_lo:[1,1,0]
	v_mad_i32_i24 v0, v32, v239, v0
	s_delay_alu instid0(VALU_DEP_2) | instskip(NEXT) | instid1(VALU_DEP_2)
	v_mad_i32_i24 v1, v50, v205, v1
	v_dot4_i32_iu8 v0, v3, v245, v0 neg_lo:[1,1,0]
	s_delay_alu instid0(VALU_DEP_2) | instskip(NEXT) | instid1(VALU_DEP_2)
	v_dot4_i32_iu8 v1, v11, v214, v1 neg_lo:[1,1,0]
	v_mul_lo_u32 v0, v0, v246
	s_delay_alu instid0(VALU_DEP_1) | instskip(SKIP_1) | instid1(VALU_DEP_2)
	v_mad_co_u64_u32 v[0:1], null, v1, v215, v[0:1]
	v_mul_f32_e32 v1, v184, v14
	v_cvt_f32_i32_e32 v0, v0
	s_delay_alu instid0(VALU_DEP_1) | instskip(SKIP_2) | instid1(VALU_DEP_2)
	v_fmac_f32_e32 v133, v1, v0
	v_mul_i32_i24_e32 v0, v15, v225
	v_mul_i32_i24_e32 v1, v36, v171
	v_mad_i32_i24 v0, v16, v226, v0
	s_delay_alu instid0(VALU_DEP_2) | instskip(NEXT) | instid1(VALU_DEP_2)
	v_mad_i32_i24 v1, v37, v170, v1
	v_dot4_i32_iu8 v0, v13, v228, v0 neg_lo:[1,1,0]
	s_delay_alu instid0(VALU_DEP_2) | instskip(NEXT) | instid1(VALU_DEP_2)
	v_dot4_i32_iu8 v1, v8, v167, v1 neg_lo:[1,1,0]
	v_mad_i32_i24 v0, v17, v230, v0
	s_delay_alu instid0(VALU_DEP_2) | instskip(NEXT) | instid1(VALU_DEP_2)
	v_mad_i32_i24 v1, v41, v166, v1
	v_dot4_i32_iu8 v0, v12, v231, v0 neg_lo:[1,1,0]
	s_delay_alu instid0(VALU_DEP_2) | instskip(NEXT) | instid1(VALU_DEP_2)
	v_dot4_i32_iu8 v1, v9, v165, v1 neg_lo:[1,1,0]
	;; [unrolled: 6-line block ×4, first 2 shown]
	v_mul_lo_u32 v0, v0, v234
	s_delay_alu instid0(VALU_DEP_1) | instskip(SKIP_1) | instid1(VALU_DEP_2)
	v_mad_co_u64_u32 v[0:1], null, v1, v6, v[0:1]
	v_mul_f32_e32 v1, v5, v14
	v_cvt_f32_i32_e32 v0, v0
	s_delay_alu instid0(VALU_DEP_1) | instskip(SKIP_1) | instid1(VALU_DEP_1)
	v_fmac_f32_e32 v145, v1, v0
	v_or_b32_e32 v0, s18, v91
	v_lshlrev_b32_e32 v1, 2, v0
	v_lshrrev_b32_e32 v0, 1, v0
	ds_load_b32 v48, v0 offset:38816
	ds_load_b128 v[12:15], v1 offset:25344
	ds_load_b128 v[0:3], v1 offset:25360
	s_wait_dscnt 0x1
	v_bfe_i32 v10, v12, 0, 8
	v_bfe_i32 v34, v12, 8, 8
	;; [unrolled: 1-line block ×3, first 2 shown]
	v_ashrrev_i32_e32 v17, 24, v12
	v_bfe_i32 v35, v13, 0, 8
	v_mul_i32_i24_e32 v55, v172, v10
	v_bfe_i32 v18, v13, 8, 8
	v_mul_i32_i24_e32 v16, v173, v16
	v_mul_i32_i24_e32 v17, v174, v17
	v_bfe_i32 v19, v13, 16, 8
	v_mad_i32_i24 v55, v175, v34, v55
	v_ashrrev_i32_e32 v20, 24, v13
	v_mul_i32_i24_e32 v18, v178, v18
	v_bfe_i32 v11, v14, 0, 8
	v_bfe_i32 v21, v14, 8, 8
	v_add3_u32 v16, v55, v16, v17
	v_mul_i32_i24_e32 v17, v179, v35
	v_mul_i32_i24_e32 v19, v177, v19
	;; [unrolled: 1-line block ×3, first 2 shown]
	v_bfe_i32 v22, v14, 16, 8
	v_ashrrev_i32_e32 v23, 24, v14
	v_add3_u32 v16, v16, v17, v18
	v_mul_i32_i24_e32 v55, v183, v11
	v_mul_i32_i24_e32 v21, v182, v21
	v_bfe_i32 v36, v15, 0, 8
	v_bfe_i32 v37, v15, 8, 8
	v_add3_u32 v16, v16, v19, v20
	v_mul_i32_i24_e32 v22, v181, v22
	v_mul_i32_i24_e32 v23, v180, v23
	v_bfe_i32 v38, v15, 16, 8
	v_ashrrev_i32_e32 v39, 24, v15
	v_add3_u32 v16, v16, v55, v21
	v_mul_i32_i24_e32 v56, v188, v36
	v_mul_i32_i24_e32 v37, v187, v37
	;; [unrolled: 1-line block ×4, first 2 shown]
	v_add3_u32 v16, v16, v22, v23
	s_wait_dscnt 0x0
	v_bfe_i32 v9, v0, 0, 8
	v_bfe_i32 v33, v0, 8, 8
	;; [unrolled: 1-line block ×3, first 2 shown]
	v_ashrrev_i32_e32 v42, 24, v0
	v_add3_u32 v16, v16, v56, v37
	v_bfe_i32 v8, v1, 0, 8
	v_bfe_i32 v43, v1, 8, 8
	v_mul_i32_i24_e32 v17, v190, v41
	v_mul_i32_i24_e32 v18, v191, v42
	v_add3_u32 v16, v16, v38, v39
	v_bfe_i32 v44, v1, 16, 8
	v_ashrrev_i32_e32 v45, 24, v1
	v_bfe_i32 v32, v2, 0, 8
	v_bfe_i32 v46, v2, 8, 8
	v_mul_lo_u32 v39, v16, v216
	v_mul_i32_i24_e32 v16, v189, v9
	v_mul_i32_i24_e32 v19, v194, v44
	;; [unrolled: 1-line block ×3, first 2 shown]
	v_bfe_i32 v47, v2, 16, 8
	v_ashrrev_i32_e32 v50, 24, v2
	v_mad_i32_i24 v16, v192, v33, v16
	v_mul_i32_i24_e32 v21, v200, v32
	v_mul_i32_i24_e32 v22, v199, v46
	v_bfe_i32 v27, v3, 0, 8
	v_bfe_i32 v51, v3, 8, 8
	v_add3_u32 v16, v16, v17, v18
	v_mul_i32_i24_e32 v17, v196, v8
	v_mul_i32_i24_e32 v18, v195, v43
	;; [unrolled: 1-line block ×4, first 2 shown]
	v_bfe_i32 v52, v3, 16, 8
	v_ashrrev_i32_e32 v54, 24, v3
	v_add3_u32 v16, v16, v17, v18
	v_mul_i32_i24_e32 v38, v210, v27
	v_mul_i32_i24_e32 v41, v208, v51
	;; [unrolled: 1-line block ×4, first 2 shown]
	v_add3_u32 v16, v16, v19, v20
	v_perm_b32 v174, v13, v13, 0xc030201
	v_perm_b32 v175, v14, v14, 0xc030201
	;; [unrolled: 1-line block ×4, first 2 shown]
	v_add3_u32 v16, v16, v21, v22
	s_delay_alu instid0(VALU_DEP_1) | instskip(NEXT) | instid1(VALU_DEP_1)
	v_add3_u32 v16, v16, v23, v37
	v_add3_u32 v16, v16, v38, v41
	s_delay_alu instid0(VALU_DEP_1) | instskip(NEXT) | instid1(VALU_DEP_1)
	v_add3_u32 v16, v16, v42, v43
	v_mad_co_u64_u32 v[172:173], null, v16, v212, v[39:40]
	v_mul_f32_e32 v16, v169, v48
	v_perm_b32 v173, v12, v12, 0xc0c0302
	v_perm_b32 v169, v1, v1, 0xc030201
	;; [unrolled: 1-line block ×3, first 2 shown]
	v_cvt_f32_i32_e32 v17, v172
	v_perm_b32 v172, v0, v0, 0xc0c0302
	s_delay_alu instid0(VALU_DEP_2) | instskip(SKIP_1) | instid1(VALU_DEP_1)
	v_fmac_f32_e32 v105, v16, v17
	v_mul_i32_i24_e32 v16, v10, v223
	v_mad_i32_i24 v16, v34, v224, v16
	s_delay_alu instid0(VALU_DEP_1) | instskip(NEXT) | instid1(VALU_DEP_1)
	v_dot4_i32_iu8 v12, v173, v254, v16 neg_lo:[1,1,0]
	v_mad_i32_i24 v12, v35, v255, v12
	s_delay_alu instid0(VALU_DEP_1) | instskip(NEXT) | instid1(VALU_DEP_1)
	v_dot4_i32_iu8 v12, v174, v248, v12 neg_lo:[1,1,0]
	;; [unrolled: 3-line block ×3, first 2 shown]
	v_mad_i32_i24 v4, v36, v4, v12
	v_mul_i32_i24_e32 v12, v9, v252
	s_delay_alu instid0(VALU_DEP_2) | instskip(NEXT) | instid1(VALU_DEP_2)
	v_dot4_i32_iu8 v4, v176, v250, v4 neg_lo:[1,1,0]
	v_mad_i32_i24 v12, v33, v253, v12
	s_delay_alu instid0(VALU_DEP_2) | instskip(NEXT) | instid1(VALU_DEP_2)
	v_mul_lo_u32 v4, v4, v251
	v_dot4_i32_iu8 v0, v172, v235, v12 neg_lo:[1,1,0]
	s_delay_alu instid0(VALU_DEP_1) | instskip(NEXT) | instid1(VALU_DEP_1)
	v_mad_i32_i24 v0, v8, v236, v0
	v_dot4_i32_iu8 v0, v169, v219, v0 neg_lo:[1,1,0]
	s_delay_alu instid0(VALU_DEP_1) | instskip(NEXT) | instid1(VALU_DEP_1)
	v_mad_i32_i24 v0, v32, v218, v0
	;; [unrolled: 3-line block ×3, first 2 shown]
	v_dot4_i32_iu8 v0, v1, v221, v0 neg_lo:[1,1,0]
	s_delay_alu instid0(VALU_DEP_1) | instskip(SKIP_1) | instid1(VALU_DEP_2)
	v_mad_co_u64_u32 v[3:4], null, v0, v222, v[4:5]
	v_mul_f32_e32 v0, v168, v48
	v_cvt_f32_i32_e32 v3, v3
	s_delay_alu instid0(VALU_DEP_1) | instskip(SKIP_2) | instid1(VALU_DEP_2)
	v_fmac_f32_e32 v115, v0, v3
	v_mul_i32_i24_e32 v0, v10, v237
	v_mul_i32_i24_e32 v3, v9, v202
	v_mad_i32_i24 v0, v34, v238, v0
	s_delay_alu instid0(VALU_DEP_2) | instskip(NEXT) | instid1(VALU_DEP_2)
	v_mad_i32_i24 v3, v33, v204, v3
	v_dot4_i32_iu8 v0, v173, v240, v0 neg_lo:[1,1,0]
	s_delay_alu instid0(VALU_DEP_2) | instskip(NEXT) | instid1(VALU_DEP_2)
	v_dot4_i32_iu8 v3, v172, v206, v3 neg_lo:[1,1,0]
	v_mad_i32_i24 v0, v35, v242, v0
	s_delay_alu instid0(VALU_DEP_2) | instskip(NEXT) | instid1(VALU_DEP_2)
	v_mad_i32_i24 v3, v8, v209, v3
	v_dot4_i32_iu8 v0, v174, v243, v0 neg_lo:[1,1,0]
	s_delay_alu instid0(VALU_DEP_2) | instskip(NEXT) | instid1(VALU_DEP_2)
	v_dot4_i32_iu8 v3, v169, v211, v3 neg_lo:[1,1,0]
	;; [unrolled: 6-line block ×4, first 2 shown]
	v_mul_lo_u32 v0, v0, v246
	s_delay_alu instid0(VALU_DEP_1) | instskip(SKIP_1) | instid1(VALU_DEP_2)
	v_mad_co_u64_u32 v[3:4], null, v3, v215, v[0:1]
	v_mul_f32_e32 v0, v184, v48
	v_cvt_f32_i32_e32 v3, v3
	s_delay_alu instid0(VALU_DEP_1) | instskip(SKIP_2) | instid1(VALU_DEP_2)
	v_fmac_f32_e32 v127, v0, v3
	v_mul_i32_i24_e32 v0, v10, v225
	v_mul_i32_i24_e32 v3, v9, v171
	v_mad_i32_i24 v0, v34, v226, v0
	s_delay_alu instid0(VALU_DEP_2) | instskip(NEXT) | instid1(VALU_DEP_2)
	v_mad_i32_i24 v3, v33, v170, v3
	v_dot4_i32_iu8 v0, v173, v228, v0 neg_lo:[1,1,0]
	s_delay_alu instid0(VALU_DEP_2) | instskip(NEXT) | instid1(VALU_DEP_2)
	v_dot4_i32_iu8 v3, v172, v167, v3 neg_lo:[1,1,0]
	v_mad_i32_i24 v0, v35, v230, v0
	s_delay_alu instid0(VALU_DEP_2) | instskip(NEXT) | instid1(VALU_DEP_2)
	v_mad_i32_i24 v3, v8, v166, v3
	v_dot4_i32_iu8 v0, v174, v231, v0 neg_lo:[1,1,0]
	s_delay_alu instid0(VALU_DEP_2) | instskip(NEXT) | instid1(VALU_DEP_2)
	v_dot4_i32_iu8 v3, v169, v165, v3 neg_lo:[1,1,0]
	;; [unrolled: 6-line block ×4, first 2 shown]
	v_mul_lo_u32 v0, v0, v234
	s_delay_alu instid0(VALU_DEP_1) | instskip(SKIP_1) | instid1(VALU_DEP_2)
	v_mad_co_u64_u32 v[0:1], null, v1, v6, v[0:1]
	v_mul_f32_e32 v1, v5, v48
	v_cvt_f32_i32_e32 v0, v0
	s_delay_alu instid0(VALU_DEP_1)
	v_fmac_f32_e32 v141, v1, v0
	s_cbranch_scc1 .LBB150_10
; %bb.11:                               ;   in Loop: Header=BB150_8 Depth=2
	v_lshl_add_u32 v0, s16, 5, v28
	v_lshl_add_u32 v9, s16, 2, v158
	s_wait_loadcnt 0x0
	s_barrier_signal -1
	s_barrier_wait -1
	v_lshrrev_b32_e32 v0, 3, v0
	global_inv scope:SCOPE_SE
	s_add_co_i32 s10, s10, 2
	s_wait_alu 0xfffe
	s_lshl_b32 s16, s10, 3
	v_add_nc_u32_e32 v8, s7, v0
	s_delay_alu instid0(VALU_DEP_1)
	v_add_nc_u32_e32 v10, v8, v79
	v_add_nc_u32_e32 v0, v8, v72
	;; [unrolled: 1-line block ×8, first 2 shown]
	v_mad_co_u64_u32 v[8:9], null, v9, 36, s[2:3]
	v_mad_co_i64_i32 v[10:11], null, v10, 36, v[25:26]
	v_mad_co_i64_i32 v[0:1], null, v0, 36, v[25:26]
	v_mad_co_i64_i32 v[2:3], null, v2, 36, v[25:26]
	v_mad_co_i64_i32 v[4:5], null, v4, 36, v[25:26]
	v_mad_co_i64_i32 v[6:7], null, v6, 36, v[25:26]
	v_mad_co_i64_i32 v[12:13], null, v12, 36, v[25:26]
	v_mad_co_i64_i32 v[14:15], null, v14, 36, v[25:26]
	v_mad_co_i64_i32 v[32:33], null, v16, 36, v[25:26]
	s_clause 0x8
	global_load_b32 v8, v[8:9], off
	global_load_b32 v9, v[10:11], off offset:4
	global_load_b32 v0, v[0:1], off offset:4
	;; [unrolled: 1-line block ×8, first 2 shown]
	s_wait_loadcnt 0x8
	v_cvt_f32_f16_e32 v7, v8
	s_wait_loadcnt 0x7
	ds_store_b32 v130, v9
	s_wait_loadcnt 0x6
	ds_store_b32 v117, v0
	;; [unrolled: 2-line block ×8, first 2 shown]
	ds_store_b32 v71, v7
	s_wait_dscnt 0x0
	s_barrier_signal -1
	s_barrier_wait -1
	global_inv scope:SCOPE_SE
.LBB150_12:                             ;   Parent Loop BB150_6 Depth=1
                                        ;     Parent Loop BB150_8 Depth=2
                                        ; =>    This Inner Loop Header: Depth=3
	s_lshl_b32 s17, s11, 2
	s_lshr_b32 s20, s11, 4
	s_wait_alu 0xfffe
	s_and_b32 s17, s17, 24
	s_lshl_b32 s22, s20, 5
	s_wait_alu 0xfffe
	v_or_b32_e32 v0, s17, v80
	s_addk_co_i32 s22, 0x4200
	s_and_b32 s21, s11, 0x3ffffff8
	s_wait_alu 0xfffe
	v_add3_u32 v7, s22, v159, v93
	v_lshl_add_u32 v27, s21, 2, v92
	v_lshlrev_b32_e32 v9, 2, v0
	v_lshrrev_b32_e32 v0, 1, v0
	s_bfe_u32 s18, s11, 0x30001
	s_and_b32 s19, s11, 6
	s_lshl_b32 s23, s20, 2
	ds_load_2addr_b32 v[2:3], v7 offset1:1
	ds_load_b32 v8, v0 offset:38816
	ds_load_2addr_b32 v[0:1], v27 offset1:1
	s_wait_alu 0xfffe
	s_add_co_i32 s21, s23, 0x9380
	s_and_b32 s20, s11, -2
	s_add_co_i32 s11, s11, 2
	s_wait_alu 0xfffe
	v_add_nc_u32_e32 v56, s20, v81
	v_add_nc_u32_e32 v232, s20, v82
	s_cmp_lt_u32 s11, s16
	s_wait_dscnt 0x2
	v_ashrrev_i32_e32 v2, s18, v2
	v_ashrrev_i32_e32 v3, s18, v3
	s_wait_dscnt 0x0
	v_ashrrev_i32_e32 v0, s19, v0
	s_delay_alu instid0(VALU_DEP_3) | instskip(NEXT) | instid1(VALU_DEP_3)
	v_lshlrev_b32_e32 v2, 2, v2
	v_lshlrev_b32_e32 v3, 2, v3
	s_delay_alu instid0(VALU_DEP_3) | instskip(SKIP_1) | instid1(VALU_DEP_4)
	v_and_b32_e32 v4, 0x3030303, v0
	v_bfe_u32 v0, v0, 24, 2
	v_and_b32_e32 v2, 0x4040404, v2
	s_delay_alu instid0(VALU_DEP_4) | instskip(NEXT) | instid1(VALU_DEP_4)
	v_and_b32_e32 v3, 0x4040404, v3
	v_lshrrev_b32_e32 v5, 16, v4
	v_lshrrev_b16 v6, 8, v4
	s_delay_alu instid0(VALU_DEP_4)
	v_lshrrev_b32_e32 v11, 24, v2
	v_lshrrev_b32_e32 v10, 16, v2
	v_lshrrev_b16 v12, 8, v2
	v_sub_nc_u16 v13, v4, v2
	v_lshrrev_b16 v14, 8, v3
	v_sub_nc_u16 v11, v0, v11
	v_ashrrev_i32_e32 v0, s19, v1
	v_sub_nc_u16 v12, v6, v12
	v_sub_nc_u16 v10, v5, v10
	v_lshrrev_b32_e32 v5, 24, v3
	v_lshrrev_b32_e32 v6, 16, v3
	v_bfe_u32 v1, v0, 24, 2
	v_and_b32_e32 v0, 0x3030303, v0
	v_bfe_i32 v174, v11, 0, 16
	v_bfe_i32 v172, v13, 0, 8
	;; [unrolled: 1-line block ×3, first 2 shown]
	v_sub_nc_u16 v17, v1, v5
	v_lshrrev_b32_e32 v2, 16, v0
	v_lshrrev_b16 v4, 8, v0
	v_sub_nc_u16 v15, v0, v3
	ds_load_2addr_b32 v[0:1], v27 offset0:2 offset1:3
	v_bfe_i32 v176, v17, 0, 16
	v_sub_nc_u16 v16, v2, v6
	ds_load_2addr_b32 v[2:3], v7 offset0:2 offset1:3
	v_sub_nc_u16 v14, v4, v14
	v_bfe_i32 v179, v15, 0, 8
	v_bfe_i32 v173, v10, 0, 8
	;; [unrolled: 1-line block ×3, first 2 shown]
	s_delay_alu instid0(VALU_DEP_4)
	v_bfe_i32 v178, v14, 0, 16
	s_wait_dscnt 0x1
	v_ashrrev_i32_e32 v0, s19, v0
	s_wait_dscnt 0x0
	v_ashrrev_i32_e32 v2, s18, v2
	v_ashrrev_i32_e32 v3, s18, v3
	s_delay_alu instid0(VALU_DEP_3) | instskip(SKIP_1) | instid1(VALU_DEP_4)
	v_bfe_u32 v4, v0, 24, 2
	v_and_b32_e32 v0, 0x3030303, v0
	v_lshlrev_b32_e32 v2, 2, v2
	s_delay_alu instid0(VALU_DEP_4) | instskip(NEXT) | instid1(VALU_DEP_3)
	v_lshlrev_b32_e32 v3, 2, v3
	v_lshrrev_b32_e32 v5, 16, v0
	v_lshrrev_b16 v6, 8, v0
	s_delay_alu instid0(VALU_DEP_4) | instskip(NEXT) | instid1(VALU_DEP_4)
	v_and_b32_e32 v2, 0x4040404, v2
	v_and_b32_e32 v3, 0x4040404, v3
	s_delay_alu instid0(VALU_DEP_2)
	v_sub_nc_u16 v21, v0, v2
	v_ashrrev_i32_e32 v0, s19, v1
	v_lshrrev_b32_e32 v19, 16, v2
	v_lshrrev_b16 v20, 8, v2
	v_lshrrev_b32_e32 v18, 24, v2
	v_lshrrev_b16 v22, 8, v3
	v_bfe_u32 v1, v0, 24, 2
	v_and_b32_e32 v0, 0x3030303, v0
	v_sub_nc_u16 v20, v6, v20
	v_sub_nc_u16 v19, v5, v19
	v_lshrrev_b32_e32 v5, 24, v3
	v_lshrrev_b32_e32 v6, 16, v3
	;; [unrolled: 1-line block ×3, first 2 shown]
	v_sub_nc_u16 v18, v4, v18
	v_lshrrev_b16 v4, 8, v0
	v_sub_nc_u16 v23, v0, v3
	v_sub_nc_u16 v35, v1, v5
	;; [unrolled: 1-line block ×3, first 2 shown]
	ds_load_2addr_b32 v[0:1], v27 offset0:4 offset1:5
	ds_load_2addr_b32 v[2:3], v7 offset0:4 offset1:5
	v_sub_nc_u16 v22, v4, v22
	v_bfe_i32 v180, v18, 0, 16
	v_bfe_i32 v181, v19, 0, 8
	;; [unrolled: 1-line block ×8, first 2 shown]
	s_wait_dscnt 0x1
	v_ashrrev_i32_e32 v0, s19, v0
	s_wait_dscnt 0x0
	v_ashrrev_i32_e32 v2, s18, v2
	v_ashrrev_i32_e32 v3, s18, v3
	s_delay_alu instid0(VALU_DEP_3) | instskip(NEXT) | instid1(VALU_DEP_3)
	v_and_b32_e32 v4, 0x3030303, v0
	v_lshlrev_b32_e32 v2, 2, v2
	v_bfe_u32 v0, v0, 24, 2
	s_delay_alu instid0(VALU_DEP_4) | instskip(NEXT) | instid1(VALU_DEP_4)
	v_lshlrev_b32_e32 v3, 2, v3
	v_lshrrev_b32_e32 v5, 16, v4
	s_delay_alu instid0(VALU_DEP_4) | instskip(SKIP_1) | instid1(VALU_DEP_4)
	v_and_b32_e32 v2, 0x4040404, v2
	v_lshrrev_b16 v6, 8, v4
	v_and_b32_e32 v3, 0x4040404, v3
	s_delay_alu instid0(VALU_DEP_3) | instskip(SKIP_3) | instid1(VALU_DEP_4)
	v_lshrrev_b32_e32 v33, 24, v2
	v_lshrrev_b32_e32 v32, 16, v2
	v_lshrrev_b16 v36, 8, v2
	v_sub_nc_u16 v39, v4, v2
	v_sub_nc_u16 v37, v0, v33
	v_ashrrev_i32_e32 v0, s19, v1
	s_delay_alu instid0(VALU_DEP_4)
	v_sub_nc_u16 v36, v6, v36
	v_sub_nc_u16 v38, v5, v32
	v_lshrrev_b32_e32 v5, 24, v3
	v_lshrrev_b32_e32 v6, 16, v3
	v_bfe_u32 v1, v0, 24, 2
	v_and_b32_e32 v0, 0x3030303, v0
	v_lshrrev_b16 v32, 8, v3
	v_bfe_i32 v191, v37, 0, 16
	v_bfe_i32 v192, v36, 0, 16
	v_sub_nc_u16 v44, v1, v5
	v_lshrrev_b32_e32 v2, 16, v0
	v_lshrrev_b16 v4, 8, v0
	v_sub_nc_u16 v41, v0, v3
	ds_load_2addr_b32 v[0:1], v27 offset0:6 offset1:7
	v_bfe_i32 v193, v44, 0, 16
	v_sub_nc_u16 v43, v2, v6
	ds_load_2addr_b32 v[2:3], v7 offset0:6 offset1:7
	v_sub_nc_u16 v42, v4, v32
	v_bfe_i32 v196, v41, 0, 8
	v_bfe_i32 v189, v39, 0, 8
	;; [unrolled: 1-line block ×5, first 2 shown]
	s_wait_dscnt 0x1
	v_ashrrev_i32_e32 v0, s19, v0
	s_wait_dscnt 0x0
	v_ashrrev_i32_e32 v2, s18, v2
	v_ashrrev_i32_e32 v3, s18, v3
	s_delay_alu instid0(VALU_DEP_3) | instskip(SKIP_1) | instid1(VALU_DEP_4)
	v_bfe_u32 v4, v0, 24, 2
	v_and_b32_e32 v0, 0x3030303, v0
	v_lshlrev_b32_e32 v2, 2, v2
	s_delay_alu instid0(VALU_DEP_4) | instskip(NEXT) | instid1(VALU_DEP_3)
	v_lshlrev_b32_e32 v3, 2, v3
	v_lshrrev_b32_e32 v5, 16, v0
	v_lshrrev_b16 v6, 8, v0
	s_delay_alu instid0(VALU_DEP_4) | instskip(NEXT) | instid1(VALU_DEP_4)
	v_and_b32_e32 v2, 0x4040404, v2
	v_and_b32_e32 v3, 0x4040404, v3
	s_delay_alu instid0(VALU_DEP_2)
	v_sub_nc_u16 v45, v0, v2
	v_ashrrev_i32_e32 v0, s19, v1
	v_lshrrev_b32_e32 v7, 24, v2
	v_lshrrev_b32_e32 v32, 16, v2
	v_lshrrev_b16 v33, 8, v2
	v_bfe_i32 v200, v45, 0, 8
	v_bfe_u32 v1, v0, 24, 2
	v_and_b32_e32 v0, 0x3030303, v0
	v_sub_nc_u16 v47, v5, v32
	v_sub_nc_u16 v46, v6, v33
	;; [unrolled: 1-line block ×3, first 2 shown]
	v_lshrrev_b32_e32 v5, 24, v3
	v_lshrrev_b32_e32 v2, 16, v0
	v_lshrrev_b16 v4, 8, v0
	v_lshrrev_b32_e32 v6, 16, v3
	v_lshrrev_b16 v7, 8, v3
	v_sub_nc_u16 v51, v0, v3
	v_add3_u32 v0, s21, v160, v161
	v_sub_nc_u16 v55, v1, v5
	v_sub_nc_u16 v54, v2, v6
	;; [unrolled: 1-line block ×3, first 2 shown]
	ds_load_b32 v169, v0
	ds_load_b128 v[4:7], v9 offset:25344
	ds_load_b128 v[0:3], v9 offset:25360
	v_bfe_i32 v197, v50, 0, 16
	v_bfe_i32 v199, v46, 0, 16
	;; [unrolled: 1-line block ×7, first 2 shown]
	s_wait_dscnt 0x1
	v_lshrrev_b16 v32, 8, v4
	v_lshrrev_b16 v33, 8, v5
	;; [unrolled: 1-line block ×3, first 2 shown]
	v_ashrrev_i32_e32 v11, 24, v5
	v_lshrrev_b16 v162, 8, v7
	v_ashrrev_i32_e32 v164, 24, v4
	v_bfe_i32 v32, v32, 0, 8
	v_bfe_i32 v12, v5, 16, 8
	v_bfe_i32 v13, v33, 0, 8
	v_bfe_i32 v33, v5, 0, 8
	v_mul_i32_i24_e32 v11, v176, v11
	v_ashrrev_i32_e32 v15, 24, v6
	v_bfe_i32 v17, v48, 0, 8
	v_ashrrev_i32_e32 v19, 24, v7
	v_bfe_i32 v9, v4, 0, 8
	v_bfe_i32 v163, v4, 16, 8
	v_mul_i32_i24_e32 v10, v175, v32
	v_mul_i32_i24_e32 v14, v179, v33
	;; [unrolled: 1-line block ×4, first 2 shown]
	v_bfe_i32 v16, v6, 16, 8
	v_bfe_i32 v48, v6, 0, 8
	v_mul_i32_i24_e32 v17, v182, v17
	v_mul_i32_i24_e32 v15, v180, v15
	v_bfe_i32 v20, v7, 16, 8
	v_bfe_i32 v21, v162, 0, 8
	;; [unrolled: 1-line block ×3, first 2 shown]
	v_mul_i32_i24_e32 v19, v185, v19
	v_mad_i32_i24 v11, v174, v164, v11
	v_mul_i32_i24_e32 v18, v183, v48
	v_mul_i32_i24_e32 v16, v181, v16
	;; [unrolled: 1-line block ×5, first 2 shown]
	v_mad_i32_i24 v12, v173, v163, v12
	v_mad_i32_i24 v14, v172, v9, v14
	v_add3_u32 v10, v10, v13, v17
	v_add3_u32 v11, v11, v15, v19
	s_wait_dscnt 0x0
	v_bfe_i32 v165, v1, 0, 8
	v_add3_u32 v12, v12, v16, v20
	v_add3_u32 v13, v14, v18, v22
	v_lshrrev_b16 v14, 8, v3
	v_add3_u32 v10, v10, v21, v11
	v_ashrrev_i32_e32 v16, 24, v0
	v_bfe_i32 v18, v1, 16, 8
	v_ashrrev_i32_e32 v35, 24, v3
	v_bfe_i32 v163, v0, 0, 8
	v_add3_u32 v11, v13, v12, v10
	v_lshrrev_b16 v10, 8, v0
	v_lshrrev_b16 v12, 8, v1
	;; [unrolled: 1-line block ×3, first 2 shown]
	v_bfe_i32 v15, v0, 16, 8
	v_mul_i32_i24_e32 v19, v196, v165
	v_bfe_i32 v164, v10, 0, 8
	v_ashrrev_i32_e32 v10, 24, v1
	v_bfe_i32 v12, v12, 0, 8
	v_bfe_i32 v13, v13, 0, 8
	v_mul_i32_i24_e32 v18, v194, v18
	v_mul_i32_i24_e32 v17, v192, v164
	;; [unrolled: 1-line block ×3, first 2 shown]
	v_ashrrev_i32_e32 v10, 24, v2
	v_mul_i32_i24_e32 v12, v195, v12
	v_bfe_i32 v21, v2, 16, 8
	v_bfe_i32 v34, v2, 0, 8
	v_mul_i32_i24_e32 v13, v199, v13
	v_mul_i32_i24_e32 v23, v197, v10
	v_bfe_i32 v36, v3, 16, 8
	v_bfe_i32 v14, v14, 0, 8
	;; [unrolled: 1-line block ×3, first 2 shown]
	v_mul_i32_i24_e32 v35, v201, v35
	v_mad_i32_i24 v16, v191, v16, v20
	v_mul_i32_i24_e32 v22, v200, v34
	v_mul_i32_i24_e32 v21, v198, v21
	;; [unrolled: 1-line block ×5, first 2 shown]
	v_mad_i32_i24 v15, v190, v15, v18
	v_mad_i32_i24 v18, v189, v163, v19
	v_add3_u32 v12, v17, v12, v13
	v_add3_u32 v16, v16, v23, v35
	v_perm_b32 v231, v4, v4, 0xc0c0302
	v_add3_u32 v15, v15, v21, v36
	v_add3_u32 v13, v18, v22, v37
	;; [unrolled: 1-line block ×4, first 2 shown]
	v_perm_b32 v6, v6, v6, 0xc030201
	v_perm_b32 v7, v7, v7, 0xc030201
	s_delay_alu instid0(VALU_DEP_3) | instskip(SKIP_4) | instid1(VALU_DEP_2)
	v_add3_u32 v12, v13, v15, v12
	ds_load_u16 v13, v56
	s_wait_dscnt 0x0
	v_bfe_i32 v216, v13, 0, 8
	v_lshrrev_b16 v14, 8, v13
	v_mul_lo_u32 v11, v11, v216
	s_delay_alu instid0(VALU_DEP_2) | instskip(SKIP_3) | instid1(VALU_DEP_2)
	v_bfe_i32 v212, v14, 0, 8
	ds_load_2addr_b32 v[13:14], v18 offset1:1
	v_mad_co_u64_u32 v[11:12], null, v12, v212, v[11:12]
	v_mul_f32_e32 v12, v8, v169
	v_cvt_f32_i32_e32 v11, v11
	s_delay_alu instid0(VALU_DEP_1)
	v_fmac_f32_e32 v30, v12, v11
	v_add_nc_u32_e32 v11, 0x1080, v27
	s_wait_dscnt 0x0
	v_ashrrev_i32_e32 v13, s18, v13
	v_ashrrev_i32_e32 v14, s18, v14
	ds_load_2addr_b32 v[11:12], v11 offset1:1
	v_lshlrev_b32_e32 v13, 2, v13
	v_lshlrev_b32_e32 v14, 2, v14
	s_delay_alu instid0(VALU_DEP_2) | instskip(NEXT) | instid1(VALU_DEP_2)
	v_and_b32_e32 v13, 0x4040404, v13
	v_and_b32_e32 v14, 0x4040404, v14
	s_delay_alu instid0(VALU_DEP_2) | instskip(SKIP_4) | instid1(VALU_DEP_1)
	v_lshrrev_b32_e32 v20, 16, v13
	v_lshrrev_b32_e32 v21, 24, v13
	v_lshrrev_b16 v19, 8, v13
	s_wait_dscnt 0x0
	v_ashrrev_i32_e32 v11, s19, v11
	v_and_b32_e32 v15, 0x3030303, v11
	v_bfe_u32 v11, v11, 24, 2
	s_delay_alu instid0(VALU_DEP_2) | instskip(NEXT) | instid1(VALU_DEP_2)
	v_lshrrev_b32_e32 v17, 16, v15
	v_sub_nc_u16 v11, v11, v21
	v_lshrrev_b16 v16, 8, v15
	v_lshrrev_b32_e32 v21, 24, v14
	s_delay_alu instid0(VALU_DEP_4) | instskip(NEXT) | instid1(VALU_DEP_4)
	v_sub_nc_u16 v207, v17, v20
	v_lshlrev_b16 v11, 8, v11
	v_lshrrev_b32_e32 v20, 16, v14
	s_delay_alu instid0(VALU_DEP_3) | instskip(NEXT) | instid1(VALU_DEP_1)
	v_and_b32_e32 v17, 0xff, v207
	v_or_b32_e32 v211, v17, v11
	v_sub_nc_u16 v11, v16, v19
	v_sub_nc_u16 v17, v15, v13
	v_lshrrev_b16 v19, 8, v14
	s_delay_alu instid0(VALU_DEP_4) | instskip(NEXT) | instid1(VALU_DEP_4)
	v_perm_b32 v254, v211, v207, 0xc0c0500
	v_lshlrev_b16 v16, 8, v11
	v_ashrrev_i32_e32 v11, s19, v12
	v_bfe_i32 v223, v17, 0, 8
	v_add3_u32 v17, s22, v136, v96
	s_delay_alu instid0(VALU_DEP_4) | instskip(NEXT) | instid1(VALU_DEP_4)
	v_bfe_i32 v224, v16, 8, 8
	v_and_b32_e32 v12, 0x3030303, v11
	v_bfe_u32 v11, v11, 24, 2
	s_delay_alu instid0(VALU_DEP_2) | instskip(NEXT) | instid1(VALU_DEP_2)
	v_lshrrev_b32_e32 v15, 16, v12
	v_sub_nc_u16 v11, v11, v21
	v_lshrrev_b16 v13, 8, v12
	v_sub_nc_u16 v225, v12, v14
	s_delay_alu instid0(VALU_DEP_4) | instskip(NEXT) | instid1(VALU_DEP_4)
	v_sub_nc_u16 v209, v15, v20
	v_lshlrev_b16 v11, 8, v11
	s_delay_alu instid0(VALU_DEP_3) | instskip(NEXT) | instid1(VALU_DEP_3)
	v_bfe_i32 v255, v225, 0, 8
	v_and_b32_e32 v15, 0xff, v209
	s_delay_alu instid0(VALU_DEP_1)
	v_or_b32_e32 v213, v15, v11
	v_sub_nc_u16 v11, v13, v19
	ds_load_2addr_b32 v[13:14], v18 offset0:2 offset1:3
	v_lshlrev_b16 v214, 8, v11
	v_add_nc_u32_e32 v11, 0x1088, v27
	ds_load_2addr_b32 v[11:12], v11 offset1:1
	s_wait_dscnt 0x1
	v_ashrrev_i32_e32 v13, s18, v13
	v_ashrrev_i32_e32 v14, s18, v14
	s_delay_alu instid0(VALU_DEP_2) | instskip(NEXT) | instid1(VALU_DEP_2)
	v_lshlrev_b32_e32 v13, 2, v13
	v_lshlrev_b32_e32 v14, 2, v14
	s_wait_dscnt 0x0
	v_ashrrev_i32_e32 v11, s19, v11
	s_delay_alu instid0(VALU_DEP_3) | instskip(NEXT) | instid1(VALU_DEP_3)
	v_and_b32_e32 v13, 0x4040404, v13
	v_and_b32_e32 v14, 0x4040404, v14
	s_delay_alu instid0(VALU_DEP_3) | instskip(SKIP_1) | instid1(VALU_DEP_4)
	v_and_b32_e32 v15, 0x3030303, v11
	v_bfe_u32 v11, v11, 24, 2
	v_lshrrev_b32_e32 v22, 16, v13
	v_lshrrev_b32_e32 v23, 24, v13
	v_lshrrev_b16 v21, 8, v13
	v_lshrrev_b32_e32 v20, 16, v15
	v_lshrrev_b16 v19, 8, v15
	v_sub_nc_u16 v229, v15, v13
	v_sub_nc_u16 v11, v11, v23
	s_delay_alu instid0(VALU_DEP_4) | instskip(NEXT) | instid1(VALU_DEP_3)
	v_sub_nc_u16 v217, v20, v22
	v_bfe_i32 v247, v229, 0, 8
	s_delay_alu instid0(VALU_DEP_3) | instskip(NEXT) | instid1(VALU_DEP_3)
	v_lshlrev_b16 v11, 8, v11
	v_and_b32_e32 v20, 0xff, v217
	s_delay_alu instid0(VALU_DEP_1) | instskip(SKIP_4) | instid1(VALU_DEP_4)
	v_or_b32_e32 v218, v20, v11
	v_sub_nc_u16 v11, v19, v21
	v_lshrrev_b32_e32 v20, 16, v14
	v_lshrrev_b32_e32 v21, 24, v14
	v_lshrrev_b16 v19, 8, v14
	v_lshlrev_b16 v219, 8, v11
	v_ashrrev_i32_e32 v11, s19, v12
	s_delay_alu instid0(VALU_DEP_1) | instskip(SKIP_1) | instid1(VALU_DEP_2)
	v_and_b32_e32 v12, 0x3030303, v11
	v_bfe_u32 v11, v11, 24, 2
	v_lshrrev_b32_e32 v15, 16, v12
	s_delay_alu instid0(VALU_DEP_2) | instskip(SKIP_2) | instid1(VALU_DEP_4)
	v_sub_nc_u16 v11, v11, v21
	v_lshrrev_b16 v13, 8, v12
	v_sub_nc_u16 v230, v12, v14
	v_sub_nc_u16 v220, v15, v20
	s_delay_alu instid0(VALU_DEP_4) | instskip(NEXT) | instid1(VALU_DEP_3)
	v_lshlrev_b16 v11, 8, v11
	v_bfe_i32 v4, v230, 0, 8
	s_delay_alu instid0(VALU_DEP_3) | instskip(NEXT) | instid1(VALU_DEP_1)
	v_and_b32_e32 v15, 0xff, v220
	v_or_b32_e32 v221, v15, v11
	v_sub_nc_u16 v11, v13, v19
	ds_load_2addr_b32 v[13:14], v18 offset0:4 offset1:5
	v_lshlrev_b16 v222, 8, v11
	v_add_nc_u32_e32 v11, 0x1090, v27
	ds_load_2addr_b32 v[11:12], v11 offset1:1
	s_wait_dscnt 0x1
	v_ashrrev_i32_e32 v13, s18, v13
	v_ashrrev_i32_e32 v14, s18, v14
	s_delay_alu instid0(VALU_DEP_2) | instskip(NEXT) | instid1(VALU_DEP_2)
	v_lshlrev_b32_e32 v13, 2, v13
	v_lshlrev_b32_e32 v14, 2, v14
	s_wait_dscnt 0x0
	v_ashrrev_i32_e32 v11, s19, v11
	s_delay_alu instid0(VALU_DEP_3) | instskip(SKIP_2) | instid1(VALU_DEP_4)
	v_and_b32_e32 v13, 0x4040404, v13
	v_ashrrev_i32_e32 v12, s19, v12
	v_and_b32_e32 v14, 0x4040404, v14
	v_and_b32_e32 v15, 0x3030303, v11
	v_bfe_u32 v11, v11, 24, 2
	v_lshrrev_b16 v21, 8, v13
	v_lshrrev_b32_e32 v23, 24, v13
	v_lshrrev_b32_e32 v22, 16, v13
	v_lshrrev_b16 v19, 8, v15
	v_lshrrev_b32_e32 v20, 16, v15
	v_sub_nc_u16 v228, v15, v13
	v_sub_nc_u16 v11, v11, v23
	v_and_b32_e32 v13, 0x3030303, v12
	v_sub_nc_u16 v19, v19, v21
	v_bfe_u32 v12, v12, 24, 2
	v_lshrrev_b32_e32 v21, 16, v14
	v_lshlrev_b16 v23, 8, v11
	v_sub_nc_u16 v11, v20, v22
	v_lshlrev_b16 v227, 8, v19
	v_lshrrev_b32_e32 v19, 16, v13
	v_lshrrev_b32_e32 v22, 24, v14
	v_lshrrev_b16 v15, 8, v13
	v_and_b32_e32 v20, 0xff, v11
	v_sub_nc_u16 v206, v13, v14
	v_sub_nc_u16 v35, v19, v21
	;; [unrolled: 1-line block ×3, first 2 shown]
	v_bfe_i32 v252, v228, 0, 8
	v_or_b32_e32 v36, v20, v23
	v_lshrrev_b16 v20, 8, v14
	v_and_b32_e32 v19, 0xff, v35
	v_lshlrev_b16 v12, 8, v12
	v_bfe_i32 v253, v227, 8, 8
	v_perm_b32 v235, v36, v11, 0xc0c0500
	v_bfe_i32 v236, v206, 0, 8
	v_perm_b32 v11, v1, v1, 0xc030201
	v_or_b32_e32 v166, v19, v12
	v_sub_nc_u16 v12, v15, v20
	ds_load_2addr_b32 v[14:15], v18 offset0:6 offset1:7
	v_perm_b32 v1, v166, v35, 0xc05000c
	v_lshlrev_b16 v167, 8, v12
	v_add_nc_u32_e32 v12, 0x1098, v27
	ds_load_2addr_b32 v[12:13], v12 offset1:1
	s_wait_dscnt 0x1
	v_ashrrev_i32_e32 v14, s18, v14
	v_ashrrev_i32_e32 v15, s18, v15
	s_delay_alu instid0(VALU_DEP_2) | instskip(NEXT) | instid1(VALU_DEP_2)
	v_lshlrev_b32_e32 v14, 2, v14
	v_lshlrev_b32_e32 v15, 2, v15
	s_wait_dscnt 0x0
	v_ashrrev_i32_e32 v12, s19, v12
	s_delay_alu instid0(VALU_DEP_3) | instskip(NEXT) | instid1(VALU_DEP_3)
	v_and_b32_e32 v14, 0x4040404, v14
	v_and_b32_e32 v15, 0x4040404, v15
	s_delay_alu instid0(VALU_DEP_3) | instskip(SKIP_1) | instid1(VALU_DEP_4)
	v_and_b32_e32 v19, 0x3030303, v12
	v_bfe_u32 v12, v12, 24, 2
	v_lshrrev_b32_e32 v22, 16, v14
	v_lshrrev_b32_e32 v23, 24, v14
	v_lshrrev_b16 v18, 8, v14
	v_lshrrev_b32_e32 v21, 16, v19
	v_lshrrev_b16 v20, 8, v19
	v_sub_nc_u16 v215, v19, v14
	v_sub_nc_u16 v12, v12, v23
	v_lshrrev_b16 v19, 8, v15
	v_sub_nc_u16 v170, v21, v22
	s_delay_alu instid0(VALU_DEP_3) | instskip(NEXT) | instid1(VALU_DEP_2)
	v_lshlrev_b16 v12, 8, v12
	v_and_b32_e32 v21, 0xff, v170
	s_delay_alu instid0(VALU_DEP_1) | instskip(SKIP_3) | instid1(VALU_DEP_3)
	v_or_b32_e32 v171, v21, v12
	v_sub_nc_u16 v12, v20, v18
	v_lshrrev_b32_e32 v20, 16, v15
	v_lshrrev_b32_e32 v21, 24, v15
	v_lshlrev_b16 v184, 8, v12
	v_ashrrev_i32_e32 v12, s19, v13
	s_delay_alu instid0(VALU_DEP_1) | instskip(SKIP_1) | instid1(VALU_DEP_2)
	v_and_b32_e32 v13, 0x3030303, v12
	v_bfe_u32 v12, v12, 24, 2
	v_lshrrev_b32_e32 v18, 16, v13
	s_delay_alu instid0(VALU_DEP_2)
	v_sub_nc_u16 v12, v12, v21
	v_lshrrev_b16 v14, 8, v13
	v_sub_nc_u16 v226, v13, v15
	v_perm_b32 v13, v214, v214, 0xc0c0c01
	v_sub_nc_u16 v202, v18, v20
	v_lshlrev_b16 v12, 8, v12
	v_perm_b32 v15, v3, v3, 0xc030201
	s_delay_alu instid0(VALU_DEP_3) | instskip(NEXT) | instid1(VALU_DEP_1)
	v_and_b32_e32 v18, 0xff, v202
	v_or_b32_e32 v204, v18, v12
	v_sub_nc_u16 v12, v14, v19
	v_perm_b32 v14, v0, v0, 0xc0c0302
	s_delay_alu instid0(VALU_DEP_2) | instskip(SKIP_3) | instid1(VALU_DEP_1)
	v_lshlrev_b16 v205, 8, v12
	v_add3_u32 v12, s21, v134, v95
	ds_load_b32 v168, v12
	v_mul_i32_i24_e32 v12, v9, v223
	v_mad_i32_i24 v233, v32, v224, v12
	s_delay_alu instid0(VALU_DEP_1) | instskip(SKIP_2) | instid1(VALU_DEP_3)
	v_dot4_i32_iu8 v12, v231, v254, v233 neg_lo:[1,1,0]
	v_perm_b32 v233, v5, v5, 0xc030201
	v_perm_b32 v5, v213, v209, 0xc05000c
	v_mad_i32_i24 v12, v33, v255, v12
	s_delay_alu instid0(VALU_DEP_2) | instskip(SKIP_1) | instid1(VALU_DEP_2)
	v_or_b32_e32 v248, v5, v13
	v_perm_b32 v13, v219, v219, 0xc0c0c01
	v_dot4_i32_iu8 v5, v233, v248, v12 neg_lo:[1,1,0]
	v_perm_b32 v12, v218, v217, 0xc05000c
	v_bfe_i32 v218, v215, 0, 8
	v_bfe_i32 v217, v226, 0, 8
	s_delay_alu instid0(VALU_DEP_4) | instskip(NEXT) | instid1(VALU_DEP_4)
	v_mad_i32_i24 v5, v48, v247, v5
	v_or_b32_e32 v249, v12, v13
	v_perm_b32 v12, v221, v220, 0xc05000c
	v_perm_b32 v13, v222, v222, 0xc0c0c01
	s_delay_alu instid0(VALU_DEP_3) | instskip(NEXT) | instid1(VALU_DEP_2)
	v_dot4_i32_iu8 v5, v6, v249, v5 neg_lo:[1,1,0]
	v_or_b32_e32 v250, v12, v13
	ds_load_u16 v12, v232
	v_mad_i32_i24 v5, v162, v4, v5
	s_delay_alu instid0(VALU_DEP_1) | instskip(SKIP_4) | instid1(VALU_DEP_3)
	v_dot4_i32_iu8 v5, v7, v250, v5 neg_lo:[1,1,0]
	s_wait_dscnt 0x0
	v_lshrrev_b16 v13, 8, v12
	v_bfe_i32 v251, v12, 0, 8
	v_mul_i32_i24_e32 v12, v163, v252
	v_bfe_i32 v222, v13, 0, 8
	s_delay_alu instid0(VALU_DEP_3) | instskip(NEXT) | instid1(VALU_DEP_3)
	v_mul_lo_u32 v5, v5, v251
	v_mad_i32_i24 v12, v164, v253, v12
	s_delay_alu instid0(VALU_DEP_1) | instskip(SKIP_1) | instid1(VALU_DEP_2)
	v_dot4_i32_iu8 v0, v14, v235, v12 neg_lo:[1,1,0]
	v_perm_b32 v12, v167, v167, 0xc0c0c01
	v_mad_i32_i24 v0, v165, v236, v0
	s_delay_alu instid0(VALU_DEP_2) | instskip(SKIP_3) | instid1(VALU_DEP_4)
	v_or_b32_e32 v219, v1, v12
	v_perm_b32 v12, v2, v2, 0xc030201
	v_perm_b32 v1, v171, v170, 0xc05000c
	;; [unrolled: 1-line block ×3, first 2 shown]
	v_dot4_i32_iu8 v0, v11, v219, v0 neg_lo:[1,1,0]
	s_delay_alu instid0(VALU_DEP_2) | instskip(SKIP_1) | instid1(VALU_DEP_3)
	v_or_b32_e32 v220, v1, v2
	v_perm_b32 v1, v204, v202, 0xc05000c
	v_mad_i32_i24 v0, v34, v218, v0
	v_perm_b32 v2, v205, v205, 0xc0c0c01
	s_delay_alu instid0(VALU_DEP_2) | instskip(NEXT) | instid1(VALU_DEP_2)
	v_dot4_i32_iu8 v0, v12, v220, v0 neg_lo:[1,1,0]
	v_or_b32_e32 v221, v1, v2
	ds_load_2addr_b32 v[2:3], v17 offset1:1
	v_mad_i32_i24 v0, v10, v217, v0
	s_delay_alu instid0(VALU_DEP_1) | instskip(NEXT) | instid1(VALU_DEP_1)
	v_dot4_i32_iu8 v0, v15, v221, v0 neg_lo:[1,1,0]
	v_mad_co_u64_u32 v[0:1], null, v0, v222, v[5:6]
	v_mul_f32_e32 v1, v8, v168
	s_wait_dscnt 0x0
	v_ashrrev_i32_e32 v2, s18, v2
	s_delay_alu instid0(VALU_DEP_3) | instskip(SKIP_1) | instid1(VALU_DEP_2)
	v_cvt_f32_i32_e32 v0, v0
	v_ashrrev_i32_e32 v3, s18, v3
	v_dual_fmac_f32 v149, v1, v0 :: v_dual_lshlrev_b32 v2, 2, v2
	v_add_nc_u32_e32 v0, 0x2100, v27
	s_delay_alu instid0(VALU_DEP_3) | instskip(NEXT) | instid1(VALU_DEP_3)
	v_lshlrev_b32_e32 v3, 2, v3
	v_and_b32_e32 v2, 0x4040404, v2
	ds_load_2addr_b32 v[0:1], v0 offset1:1
	v_and_b32_e32 v3, 0x4040404, v3
	v_lshrrev_b32_e32 v19, 16, v2
	v_lshrrev_b32_e32 v20, 24, v2
	v_lshrrev_b16 v18, 8, v2
	s_delay_alu instid0(VALU_DEP_4) | instskip(SKIP_3) | instid1(VALU_DEP_1)
	v_lshrrev_b32_e32 v21, 16, v3
	v_lshrrev_b32_e32 v22, 24, v3
	s_wait_dscnt 0x0
	v_ashrrev_i32_e32 v0, s19, v0
	v_and_b32_e32 v5, 0x3030303, v0
	v_bfe_u32 v0, v0, 24, 2
	s_delay_alu instid0(VALU_DEP_2) | instskip(NEXT) | instid1(VALU_DEP_2)
	v_lshrrev_b32_e32 v16, 16, v5
	v_sub_nc_u16 v0, v0, v20
	v_lshrrev_b16 v13, 8, v5
	v_sub_nc_u16 v5, v5, v2
	v_lshrrev_b16 v20, 8, v3
	v_sub_nc_u16 v16, v16, v19
	v_lshlrev_b16 v0, 8, v0
	s_delay_alu instid0(VALU_DEP_4) | instskip(NEXT) | instid1(VALU_DEP_3)
	v_bfe_i32 v237, v5, 0, 8
	v_and_b32_e32 v19, 0xff, v16
	s_delay_alu instid0(VALU_DEP_1) | instskip(SKIP_1) | instid1(VALU_DEP_2)
	v_or_b32_e32 v19, v19, v0
	v_sub_nc_u16 v0, v13, v18
	v_perm_b32 v240, v19, v16, 0xc0c0500
	s_delay_alu instid0(VALU_DEP_2) | instskip(SKIP_1) | instid1(VALU_DEP_2)
	v_lshlrev_b16 v13, 8, v0
	v_ashrrev_i32_e32 v0, s19, v1
	v_bfe_i32 v238, v13, 8, 8
	s_delay_alu instid0(VALU_DEP_2) | instskip(SKIP_1) | instid1(VALU_DEP_2)
	v_and_b32_e32 v1, 0x3030303, v0
	v_bfe_u32 v0, v0, 24, 2
	v_lshrrev_b32_e32 v18, 16, v1
	s_delay_alu instid0(VALU_DEP_2) | instskip(SKIP_2) | instid1(VALU_DEP_4)
	v_sub_nc_u16 v0, v0, v22
	v_lshrrev_b16 v2, 8, v1
	v_sub_nc_u16 v22, v1, v3
	v_sub_nc_u16 v18, v18, v21
	s_delay_alu instid0(VALU_DEP_4) | instskip(NEXT) | instid1(VALU_DEP_3)
	v_lshlrev_b16 v0, 8, v0
	v_bfe_i32 v242, v22, 0, 8
	s_delay_alu instid0(VALU_DEP_3) | instskip(NEXT) | instid1(VALU_DEP_1)
	v_and_b32_e32 v21, 0xff, v18
	v_or_b32_e32 v21, v21, v0
	v_sub_nc_u16 v0, v2, v20
	ds_load_2addr_b32 v[2:3], v17 offset0:2 offset1:3
	v_perm_b32 v5, v21, v18, 0xc05000c
	v_lshlrev_b16 v20, 8, v0
	v_add_nc_u32_e32 v0, 0x2108, v27
	s_delay_alu instid0(VALU_DEP_2)
	v_perm_b32 v13, v20, v20, 0xc0c0c01
	ds_load_2addr_b32 v[0:1], v0 offset1:1
	v_or_b32_e32 v243, v5, v13
	s_wait_dscnt 0x1
	v_ashrrev_i32_e32 v2, s18, v2
	v_ashrrev_i32_e32 v3, s18, v3
	s_delay_alu instid0(VALU_DEP_2) | instskip(NEXT) | instid1(VALU_DEP_2)
	v_lshlrev_b32_e32 v2, 2, v2
	v_lshlrev_b32_e32 v3, 2, v3
	s_wait_dscnt 0x0
	v_ashrrev_i32_e32 v0, s19, v0
	s_delay_alu instid0(VALU_DEP_3) | instskip(NEXT) | instid1(VALU_DEP_3)
	v_and_b32_e32 v2, 0x4040404, v2
	v_and_b32_e32 v3, 0x4040404, v3
	s_delay_alu instid0(VALU_DEP_3) | instskip(SKIP_1) | instid1(VALU_DEP_4)
	v_and_b32_e32 v23, 0x3030303, v0
	v_bfe_u32 v0, v0, 24, 2
	v_lshrrev_b32_e32 v38, 16, v2
	v_lshrrev_b32_e32 v39, 24, v2
	v_lshrrev_b16 v37, 8, v2
	v_lshrrev_b32_e32 v36, 16, v23
	v_lshrrev_b16 v35, 8, v23
	v_lshrrev_b32_e32 v41, 16, v3
	v_sub_nc_u16 v0, v0, v39
	v_lshrrev_b32_e32 v42, 24, v3
	v_sub_nc_u16 v36, v36, v38
	v_sub_nc_u16 v23, v23, v2
	v_lshrrev_b16 v39, 8, v3
	v_lshlrev_b16 v0, 8, v0
	s_delay_alu instid0(VALU_DEP_4) | instskip(NEXT) | instid1(VALU_DEP_4)
	v_and_b32_e32 v38, 0xff, v36
	v_bfe_i32 v241, v23, 0, 8
	s_delay_alu instid0(VALU_DEP_2) | instskip(SKIP_1) | instid1(VALU_DEP_2)
	v_or_b32_e32 v38, v38, v0
	v_sub_nc_u16 v0, v35, v37
	v_perm_b32 v5, v38, v36, 0xc05000c
	s_delay_alu instid0(VALU_DEP_2) | instskip(SKIP_1) | instid1(VALU_DEP_2)
	v_lshlrev_b16 v35, 8, v0
	v_ashrrev_i32_e32 v0, s19, v1
	v_perm_b32 v13, v35, v35, 0xc0c0c01
	s_delay_alu instid0(VALU_DEP_2) | instskip(SKIP_1) | instid1(VALU_DEP_3)
	v_and_b32_e32 v1, 0x3030303, v0
	v_bfe_u32 v0, v0, 24, 2
	v_or_b32_e32 v244, v5, v13
	s_delay_alu instid0(VALU_DEP_3) | instskip(NEXT) | instid1(VALU_DEP_3)
	v_lshrrev_b32_e32 v37, 16, v1
	v_sub_nc_u16 v0, v0, v42
	v_lshrrev_b16 v2, 8, v1
	v_sub_nc_u16 v42, v1, v3
	s_delay_alu instid0(VALU_DEP_4) | instskip(NEXT) | instid1(VALU_DEP_4)
	v_sub_nc_u16 v37, v37, v41
	v_lshlrev_b16 v0, 8, v0
	s_delay_alu instid0(VALU_DEP_3) | instskip(NEXT) | instid1(VALU_DEP_3)
	v_bfe_i32 v239, v42, 0, 8
	v_and_b32_e32 v41, 0xff, v37
	s_delay_alu instid0(VALU_DEP_1)
	v_or_b32_e32 v41, v41, v0
	v_sub_nc_u16 v0, v2, v39
	ds_load_2addr_b32 v[2:3], v17 offset0:4 offset1:5
	v_perm_b32 v5, v41, v37, 0xc05000c
	v_lshlrev_b16 v39, 8, v0
	v_add_nc_u32_e32 v0, 0x2110, v27
	s_delay_alu instid0(VALU_DEP_2)
	v_perm_b32 v13, v39, v39, 0xc0c0c01
	ds_load_2addr_b32 v[0:1], v0 offset1:1
	v_or_b32_e32 v245, v5, v13
	s_wait_dscnt 0x1
	v_ashrrev_i32_e32 v2, s18, v2
	v_ashrrev_i32_e32 v3, s18, v3
	s_delay_alu instid0(VALU_DEP_2) | instskip(NEXT) | instid1(VALU_DEP_2)
	v_lshlrev_b32_e32 v2, 2, v2
	v_lshlrev_b32_e32 v3, 2, v3
	s_wait_dscnt 0x0
	v_ashrrev_i32_e32 v0, s19, v0
	s_delay_alu instid0(VALU_DEP_3) | instskip(NEXT) | instid1(VALU_DEP_3)
	v_and_b32_e32 v2, 0x4040404, v2
	v_and_b32_e32 v3, 0x4040404, v3
	s_delay_alu instid0(VALU_DEP_3) | instskip(SKIP_1) | instid1(VALU_DEP_4)
	v_and_b32_e32 v43, 0x3030303, v0
	v_bfe_u32 v0, v0, 24, 2
	v_lshrrev_b32_e32 v47, 16, v2
	v_lshrrev_b32_e32 v50, 24, v2
	v_lshrrev_b16 v46, 8, v2
	v_lshrrev_b32_e32 v45, 16, v43
	v_lshrrev_b16 v44, 8, v43
	v_lshrrev_b32_e32 v51, 16, v3
	v_sub_nc_u16 v0, v0, v50
	v_lshrrev_b32_e32 v52, 24, v3
	v_sub_nc_u16 v45, v45, v47
	v_sub_nc_u16 v43, v43, v2
	v_lshrrev_b16 v50, 8, v3
	v_lshlrev_b16 v0, 8, v0
	s_delay_alu instid0(VALU_DEP_4) | instskip(NEXT) | instid1(VALU_DEP_4)
	v_and_b32_e32 v47, 0xff, v45
	v_bfe_i32 v202, v43, 0, 8
	s_delay_alu instid0(VALU_DEP_2) | instskip(SKIP_1) | instid1(VALU_DEP_2)
	v_or_b32_e32 v47, v47, v0
	v_sub_nc_u16 v0, v44, v46
	v_perm_b32 v206, v47, v45, 0xc0c0500
	s_delay_alu instid0(VALU_DEP_2) | instskip(SKIP_1) | instid1(VALU_DEP_2)
	v_lshlrev_b16 v44, 8, v0
	v_ashrrev_i32_e32 v0, s19, v1
	v_bfe_i32 v204, v44, 8, 8
	s_delay_alu instid0(VALU_DEP_2) | instskip(SKIP_1) | instid1(VALU_DEP_2)
	v_and_b32_e32 v1, 0x3030303, v0
	v_bfe_u32 v0, v0, 24, 2
	v_lshrrev_b32_e32 v46, 16, v1
	s_delay_alu instid0(VALU_DEP_2) | instskip(SKIP_2) | instid1(VALU_DEP_4)
	v_sub_nc_u16 v0, v0, v52
	v_lshrrev_b16 v2, 8, v1
	v_sub_nc_u16 v52, v1, v3
	v_sub_nc_u16 v46, v46, v51
	s_delay_alu instid0(VALU_DEP_4) | instskip(NEXT) | instid1(VALU_DEP_3)
	v_lshlrev_b16 v0, 8, v0
	v_bfe_i32 v209, v52, 0, 8
	s_delay_alu instid0(VALU_DEP_3) | instskip(NEXT) | instid1(VALU_DEP_1)
	v_and_b32_e32 v51, 0xff, v46
	v_or_b32_e32 v51, v51, v0
	v_sub_nc_u16 v0, v2, v50
	ds_load_2addr_b32 v[2:3], v17 offset0:6 offset1:7
	v_lshlrev_b16 v50, 8, v0
	v_add_nc_u32_e32 v0, 0x2118, v27
	ds_load_2addr_b32 v[0:1], v0 offset1:1
	s_wait_dscnt 0x1
	v_ashrrev_i32_e32 v2, s18, v2
	v_ashrrev_i32_e32 v3, s18, v3
	s_delay_alu instid0(VALU_DEP_2) | instskip(NEXT) | instid1(VALU_DEP_2)
	v_lshlrev_b32_e32 v2, 2, v2
	v_lshlrev_b32_e32 v3, 2, v3
	s_wait_dscnt 0x0
	v_ashrrev_i32_e32 v0, s19, v0
	s_delay_alu instid0(VALU_DEP_3) | instskip(NEXT) | instid1(VALU_DEP_3)
	v_and_b32_e32 v2, 0x4040404, v2
	v_and_b32_e32 v3, 0x4040404, v3
	s_delay_alu instid0(VALU_DEP_3) | instskip(SKIP_1) | instid1(VALU_DEP_4)
	v_and_b32_e32 v54, 0x3030303, v0
	v_bfe_u32 v0, v0, 24, 2
	v_lshrrev_b32_e32 v166, 16, v2
	v_lshrrev_b32_e32 v167, 24, v2
	v_lshrrev_b16 v17, 8, v2
	v_lshrrev_b32_e32 v56, 16, v54
	v_lshrrev_b16 v55, 8, v54
	v_lshrrev_b32_e32 v170, 16, v3
	v_sub_nc_u16 v0, v0, v167
	v_lshrrev_b32_e32 v171, 24, v3
	v_sub_nc_u16 v56, v56, v166
	v_sub_nc_u16 v2, v54, v2
	v_lshrrev_b16 v167, 8, v3
	v_lshlrev_b16 v0, 8, v0
	s_delay_alu instid0(VALU_DEP_4) | instskip(NEXT) | instid1(VALU_DEP_4)
	v_and_b32_e32 v166, 0xff, v56
	v_bfe_i32 v207, v2, 0, 8
	v_perm_b32 v2, v51, v46, 0xc05000c
	s_delay_alu instid0(VALU_DEP_3) | instskip(SKIP_1) | instid1(VALU_DEP_1)
	v_or_b32_e32 v166, v166, v0
	v_sub_nc_u16 v0, v55, v17
	v_lshlrev_b16 v17, 8, v0
	v_ashrrev_i32_e32 v0, s19, v1
	s_delay_alu instid0(VALU_DEP_1) | instskip(SKIP_1) | instid1(VALU_DEP_2)
	v_and_b32_e32 v1, 0x3030303, v0
	v_bfe_u32 v0, v0, 24, 2
	v_lshrrev_b32_e32 v55, 16, v1
	s_delay_alu instid0(VALU_DEP_2)
	v_sub_nc_u16 v0, v0, v171
	v_lshrrev_b16 v54, 8, v1
	v_sub_nc_u16 v1, v1, v3
	v_add3_u32 v3, s21, v138, v97
	v_sub_nc_u16 v55, v55, v170
	v_lshlrev_b16 v0, 8, v0
	s_delay_alu instid0(VALU_DEP_4) | instskip(SKIP_2) | instid1(VALU_DEP_1)
	v_bfe_i32 v205, v1, 0, 8
	ds_load_b32 v184, v3
	v_and_b32_e32 v170, 0xff, v55
	v_or_b32_e32 v170, v170, v0
	v_sub_nc_u16 v0, v54, v167
	s_delay_alu instid0(VALU_DEP_1) | instskip(SKIP_3) | instid1(VALU_DEP_1)
	v_lshlrev_b16 v54, 8, v0
	v_add_nc_u32_e32 v0, s20, v83
	ds_load_u16 v0, v0
	v_mul_i32_i24_e32 v3, v9, v237
	v_mad_i32_i24 v3, v32, v238, v3
	s_delay_alu instid0(VALU_DEP_1) | instskip(NEXT) | instid1(VALU_DEP_1)
	v_dot4_i32_iu8 v3, v231, v240, v3 neg_lo:[1,1,0]
	v_mad_i32_i24 v3, v33, v242, v3
	s_wait_dscnt 0x0
	v_bfe_i32 v246, v0, 0, 8
	s_delay_alu instid0(VALU_DEP_2) | instskip(SKIP_1) | instid1(VALU_DEP_2)
	v_dot4_i32_iu8 v3, v233, v243, v3 neg_lo:[1,1,0]
	v_lshrrev_b16 v5, 8, v0
	v_mad_i32_i24 v3, v48, v241, v3
	s_delay_alu instid0(VALU_DEP_2) | instskip(NEXT) | instid1(VALU_DEP_2)
	v_bfe_i32 v215, v5, 0, 8
	v_dot4_i32_iu8 v3, v6, v244, v3 neg_lo:[1,1,0]
	s_delay_alu instid0(VALU_DEP_1) | instskip(NEXT) | instid1(VALU_DEP_1)
	v_mad_i32_i24 v3, v162, v239, v3
	v_dot4_i32_iu8 v3, v7, v245, v3 neg_lo:[1,1,0]
	s_delay_alu instid0(VALU_DEP_1) | instskip(SKIP_1) | instid1(VALU_DEP_1)
	v_mul_lo_u32 v0, v3, v246
	v_mul_i32_i24_e32 v3, v163, v202
	v_mad_i32_i24 v3, v164, v204, v3
	s_delay_alu instid0(VALU_DEP_1) | instskip(NEXT) | instid1(VALU_DEP_1)
	v_dot4_i32_iu8 v3, v14, v206, v3 neg_lo:[1,1,0]
	v_mad_i32_i24 v1, v165, v209, v3
	v_perm_b32 v3, v50, v50, 0xc0c0c01
	s_delay_alu instid0(VALU_DEP_1) | instskip(SKIP_3) | instid1(VALU_DEP_4)
	v_or_b32_e32 v211, v2, v3
	v_perm_b32 v2, v166, v56, 0xc05000c
	v_perm_b32 v3, v17, v17, 0xc0c0c01
	v_add3_u32 v17, s22, v140, v98
	v_dot4_i32_iu8 v1, v11, v211, v1 neg_lo:[1,1,0]
	s_delay_alu instid0(VALU_DEP_3) | instskip(SKIP_2) | instid1(VALU_DEP_4)
	v_or_b32_e32 v213, v2, v3
	v_perm_b32 v2, v170, v55, 0xc05000c
	v_perm_b32 v3, v54, v54, 0xc0c0c01
	v_mad_i32_i24 v1, v34, v207, v1
	s_delay_alu instid0(VALU_DEP_2) | instskip(NEXT) | instid1(VALU_DEP_2)
	v_or_b32_e32 v214, v2, v3
	v_dot4_i32_iu8 v1, v12, v213, v1 neg_lo:[1,1,0]
	ds_load_2addr_b32 v[2:3], v17 offset1:1
	v_mad_i32_i24 v1, v10, v205, v1
	s_delay_alu instid0(VALU_DEP_1) | instskip(NEXT) | instid1(VALU_DEP_1)
	v_dot4_i32_iu8 v1, v15, v214, v1 neg_lo:[1,1,0]
	v_mad_co_u64_u32 v[0:1], null, v1, v215, v[0:1]
	v_mul_f32_e32 v1, v8, v184
	s_wait_dscnt 0x0
	v_ashrrev_i32_e32 v2, s18, v2
	v_ashrrev_i32_e32 v3, s18, v3
	s_delay_alu instid0(VALU_DEP_4) | instskip(NEXT) | instid1(VALU_DEP_3)
	v_cvt_f32_i32_e32 v0, v0
	v_lshlrev_b32_e32 v2, 2, v2
	s_delay_alu instid0(VALU_DEP_2) | instskip(SKIP_1) | instid1(VALU_DEP_3)
	v_dual_fmac_f32 v154, v1, v0 :: v_dual_lshlrev_b32 v3, 2, v3
	v_add_nc_u32_e32 v0, 0x3180, v27
	v_and_b32_e32 v2, 0x4040404, v2
	s_delay_alu instid0(VALU_DEP_3)
	v_and_b32_e32 v3, 0x4040404, v3
	ds_load_2addr_b32 v[0:1], v0 offset1:1
	v_lshrrev_b32_e32 v19, 16, v2
	v_lshrrev_b32_e32 v20, 24, v2
	v_lshrrev_b16 v18, 8, v2
	v_lshrrev_b32_e32 v21, 16, v3
	v_lshrrev_b32_e32 v22, 24, v3
	s_wait_dscnt 0x0
	v_ashrrev_i32_e32 v0, s19, v0
	s_delay_alu instid0(VALU_DEP_1) | instskip(SKIP_1) | instid1(VALU_DEP_2)
	v_and_b32_e32 v5, 0x3030303, v0
	v_bfe_u32 v0, v0, 24, 2
	v_lshrrev_b32_e32 v16, 16, v5
	s_delay_alu instid0(VALU_DEP_2) | instskip(SKIP_2) | instid1(VALU_DEP_4)
	v_sub_nc_u16 v0, v0, v20
	v_lshrrev_b16 v13, 8, v5
	v_lshrrev_b16 v20, 8, v3
	v_sub_nc_u16 v16, v16, v19
	s_delay_alu instid0(VALU_DEP_4) | instskip(NEXT) | instid1(VALU_DEP_2)
	v_lshlrev_b16 v0, 8, v0
	v_and_b32_e32 v19, 0xff, v16
	s_delay_alu instid0(VALU_DEP_1) | instskip(SKIP_2) | instid1(VALU_DEP_3)
	v_or_b32_e32 v19, v19, v0
	v_sub_nc_u16 v0, v13, v18
	v_sub_nc_u16 v18, v5, v2
	v_perm_b32 v228, v19, v16, 0xc0c0500
	s_delay_alu instid0(VALU_DEP_3) | instskip(SKIP_1) | instid1(VALU_DEP_4)
	v_lshlrev_b16 v13, 8, v0
	v_ashrrev_i32_e32 v0, s19, v1
	v_bfe_i32 v225, v18, 0, 8
	s_delay_alu instid0(VALU_DEP_3) | instskip(NEXT) | instid1(VALU_DEP_3)
	v_bfe_i32 v226, v13, 8, 8
	v_and_b32_e32 v1, 0x3030303, v0
	v_bfe_u32 v0, v0, 24, 2
	s_delay_alu instid0(VALU_DEP_2) | instskip(NEXT) | instid1(VALU_DEP_2)
	v_lshrrev_b32_e32 v5, 16, v1
	v_sub_nc_u16 v0, v0, v22
	v_lshrrev_b16 v2, 8, v1
	v_sub_nc_u16 v23, v1, v3
	s_delay_alu instid0(VALU_DEP_4) | instskip(NEXT) | instid1(VALU_DEP_4)
	v_sub_nc_u16 v21, v5, v21
	v_lshlrev_b16 v0, 8, v0
	s_delay_alu instid0(VALU_DEP_3) | instskip(NEXT) | instid1(VALU_DEP_3)
	v_bfe_i32 v230, v23, 0, 8
	v_and_b32_e32 v5, 0xff, v21
	s_delay_alu instid0(VALU_DEP_1) | instskip(SKIP_4) | instid1(VALU_DEP_2)
	v_or_b32_e32 v22, v5, v0
	v_sub_nc_u16 v0, v2, v20
	ds_load_2addr_b32 v[2:3], v17 offset0:2 offset1:3
	v_lshlrev_b16 v20, 8, v0
	v_add_nc_u32_e32 v0, 0x3188, v27
	v_perm_b32 v13, v20, v20, 0xc0c0c01
	ds_load_2addr_b32 v[0:1], v0 offset1:1
	s_wait_dscnt 0x1
	v_ashrrev_i32_e32 v2, s18, v2
	v_ashrrev_i32_e32 v3, s18, v3
	s_delay_alu instid0(VALU_DEP_2) | instskip(NEXT) | instid1(VALU_DEP_2)
	v_lshlrev_b32_e32 v2, 2, v2
	v_lshlrev_b32_e32 v3, 2, v3
	s_wait_dscnt 0x0
	v_ashrrev_i32_e32 v0, s19, v0
	s_delay_alu instid0(VALU_DEP_3) | instskip(NEXT) | instid1(VALU_DEP_3)
	v_and_b32_e32 v2, 0x4040404, v2
	v_and_b32_e32 v3, 0x4040404, v3
	s_delay_alu instid0(VALU_DEP_3) | instskip(SKIP_1) | instid1(VALU_DEP_4)
	v_and_b32_e32 v5, 0x3030303, v0
	v_bfe_u32 v0, v0, 24, 2
	v_lshrrev_b32_e32 v38, 16, v2
	v_lshrrev_b32_e32 v39, 24, v2
	v_lshrrev_b16 v37, 8, v2
	v_lshrrev_b32_e32 v36, 16, v5
	v_lshrrev_b16 v35, 8, v5
	v_lshrrev_b32_e32 v41, 16, v3
	v_sub_nc_u16 v0, v0, v39
	v_lshrrev_b32_e32 v42, 24, v3
	v_sub_nc_u16 v36, v36, v38
	v_lshrrev_b16 v39, 8, v3
	s_delay_alu instid0(VALU_DEP_4) | instskip(NEXT) | instid1(VALU_DEP_3)
	v_lshlrev_b16 v0, 8, v0
	v_and_b32_e32 v38, 0xff, v36
	s_delay_alu instid0(VALU_DEP_1) | instskip(SKIP_2) | instid1(VALU_DEP_2)
	v_or_b32_e32 v38, v38, v0
	v_sub_nc_u16 v0, v35, v37
	v_sub_nc_u16 v37, v5, v2
	v_lshlrev_b16 v35, 8, v0
	v_ashrrev_i32_e32 v0, s19, v1
	s_delay_alu instid0(VALU_DEP_3) | instskip(NEXT) | instid1(VALU_DEP_2)
	v_bfe_i32 v229, v37, 0, 8
	v_and_b32_e32 v1, 0x3030303, v0
	v_bfe_u32 v0, v0, 24, 2
	s_delay_alu instid0(VALU_DEP_2) | instskip(NEXT) | instid1(VALU_DEP_2)
	v_lshrrev_b32_e32 v5, 16, v1
	v_sub_nc_u16 v0, v0, v42
	v_lshrrev_b16 v2, 8, v1
	v_sub_nc_u16 v43, v1, v3
	s_delay_alu instid0(VALU_DEP_4) | instskip(NEXT) | instid1(VALU_DEP_4)
	v_sub_nc_u16 v41, v5, v41
	v_lshlrev_b16 v0, 8, v0
	s_delay_alu instid0(VALU_DEP_3) | instskip(NEXT) | instid1(VALU_DEP_3)
	v_bfe_i32 v227, v43, 0, 8
	v_and_b32_e32 v5, 0xff, v41
	s_delay_alu instid0(VALU_DEP_1)
	v_or_b32_e32 v42, v5, v0
	v_sub_nc_u16 v0, v2, v39
	ds_load_2addr_b32 v[2:3], v17 offset0:4 offset1:5
	v_lshlrev_b16 v39, 8, v0
	v_add_nc_u32_e32 v0, 0x3190, v27
	ds_load_2addr_b32 v[0:1], v0 offset1:1
	s_wait_dscnt 0x1
	v_ashrrev_i32_e32 v2, s18, v2
	v_ashrrev_i32_e32 v3, s18, v3
	s_delay_alu instid0(VALU_DEP_2) | instskip(NEXT) | instid1(VALU_DEP_2)
	v_lshlrev_b32_e32 v2, 2, v2
	v_lshlrev_b32_e32 v3, 2, v3
	s_wait_dscnt 0x0
	v_ashrrev_i32_e32 v0, s19, v0
	s_delay_alu instid0(VALU_DEP_3) | instskip(NEXT) | instid1(VALU_DEP_3)
	v_and_b32_e32 v2, 0x4040404, v2
	v_and_b32_e32 v3, 0x4040404, v3
	s_delay_alu instid0(VALU_DEP_3) | instskip(SKIP_1) | instid1(VALU_DEP_4)
	v_and_b32_e32 v5, 0x3030303, v0
	v_bfe_u32 v0, v0, 24, 2
	v_lshrrev_b32_e32 v47, 16, v2
	v_lshrrev_b32_e32 v50, 24, v2
	v_lshrrev_b16 v46, 8, v2
	v_lshrrev_b32_e32 v45, 16, v5
	v_lshrrev_b16 v44, 8, v5
	v_lshrrev_b32_e32 v51, 16, v3
	v_sub_nc_u16 v0, v0, v50
	v_lshrrev_b32_e32 v52, 24, v3
	v_sub_nc_u16 v45, v45, v47
	v_lshrrev_b16 v50, 8, v3
	s_delay_alu instid0(VALU_DEP_4) | instskip(NEXT) | instid1(VALU_DEP_3)
	v_lshlrev_b16 v0, 8, v0
	v_and_b32_e32 v47, 0xff, v45
	s_delay_alu instid0(VALU_DEP_1) | instskip(SKIP_2) | instid1(VALU_DEP_2)
	v_or_b32_e32 v47, v47, v0
	v_sub_nc_u16 v0, v44, v46
	v_sub_nc_u16 v46, v5, v2
	v_lshlrev_b16 v44, 8, v0
	v_ashrrev_i32_e32 v0, s19, v1
	s_delay_alu instid0(VALU_DEP_3) | instskip(NEXT) | instid1(VALU_DEP_2)
	v_bfe_i32 v171, v46, 0, 8
	v_and_b32_e32 v1, 0x3030303, v0
	v_bfe_u32 v0, v0, 24, 2
	s_delay_alu instid0(VALU_DEP_2) | instskip(NEXT) | instid1(VALU_DEP_2)
	v_lshrrev_b32_e32 v5, 16, v1
	v_sub_nc_u16 v0, v0, v52
	v_lshrrev_b16 v2, 8, v1
	v_sub_nc_u16 v54, v1, v3
	s_delay_alu instid0(VALU_DEP_4) | instskip(NEXT) | instid1(VALU_DEP_4)
	v_sub_nc_u16 v51, v5, v51
	v_lshlrev_b16 v0, 8, v0
	s_delay_alu instid0(VALU_DEP_2) | instskip(NEXT) | instid1(VALU_DEP_1)
	v_and_b32_e32 v5, 0xff, v51
	v_or_b32_e32 v52, v5, v0
	v_sub_nc_u16 v0, v2, v50
	ds_load_2addr_b32 v[2:3], v17 offset0:6 offset1:7
	v_lshlrev_b16 v50, 8, v0
	v_add_nc_u32_e32 v0, 0x3198, v27
	ds_load_2addr_b32 v[0:1], v0 offset1:1
	s_wait_dscnt 0x1
	v_ashrrev_i32_e32 v2, s18, v2
	v_ashrrev_i32_e32 v3, s18, v3
	s_delay_alu instid0(VALU_DEP_2) | instskip(NEXT) | instid1(VALU_DEP_2)
	v_lshlrev_b32_e32 v2, 2, v2
	v_lshlrev_b32_e32 v3, 2, v3
	s_wait_dscnt 0x0
	v_ashrrev_i32_e32 v0, s19, v0
	s_delay_alu instid0(VALU_DEP_3) | instskip(NEXT) | instid1(VALU_DEP_3)
	v_and_b32_e32 v2, 0x4040404, v2
	v_and_b32_e32 v3, 0x4040404, v3
	s_delay_alu instid0(VALU_DEP_3) | instskip(SKIP_1) | instid1(VALU_DEP_4)
	v_and_b32_e32 v5, 0x3030303, v0
	v_bfe_u32 v0, v0, 24, 2
	v_lshrrev_b32_e32 v56, 16, v2
	v_lshrrev_b32_e32 v166, 24, v2
	v_lshrrev_b16 v17, 8, v2
	v_lshrrev_b32_e32 v55, 16, v5
	v_lshrrev_b16 v27, 8, v5
	v_lshrrev_b32_e32 v167, 16, v3
	v_sub_nc_u16 v0, v0, v166
	v_lshrrev_b32_e32 v170, 24, v3
	v_sub_nc_u16 v55, v55, v56
	v_sub_nc_u16 v2, v5, v2
	v_lshrrev_b16 v166, 8, v3
	v_lshlrev_b16 v0, 8, v0
	s_delay_alu instid0(VALU_DEP_4) | instskip(NEXT) | instid1(VALU_DEP_1)
	v_and_b32_e32 v56, 0xff, v55
	v_or_b32_e32 v56, v56, v0
	v_sub_nc_u16 v0, v27, v17
	s_delay_alu instid0(VALU_DEP_1) | instskip(SKIP_1) | instid1(VALU_DEP_1)
	v_lshlrev_b16 v17, 8, v0
	v_ashrrev_i32_e32 v0, s19, v1
	v_and_b32_e32 v1, 0x3030303, v0
	v_bfe_u32 v0, v0, 24, 2
	s_delay_alu instid0(VALU_DEP_2) | instskip(NEXT) | instid1(VALU_DEP_2)
	v_lshrrev_b32_e32 v27, 16, v1
	v_sub_nc_u16 v0, v0, v170
	v_lshrrev_b16 v5, 8, v1
	v_sub_nc_u16 v1, v1, v3
	v_add3_u32 v3, s21, v142, v99
	v_sub_nc_u16 v27, v27, v167
	v_lshlrev_b16 v0, 8, v0
	v_bfe_i32 v170, v44, 8, 8
	s_delay_alu instid0(VALU_DEP_3) | instskip(NEXT) | instid1(VALU_DEP_1)
	v_and_b32_e32 v167, 0xff, v27
	v_or_b32_e32 v57, v167, v0
	v_sub_nc_u16 v0, v5, v166
	ds_load_b32 v5, v3
	v_perm_b32 v167, v47, v45, 0xc0c0500
	v_bfe_i32 v166, v54, 0, 8
	v_lshlrev_b16 v58, 8, v0
	v_add_nc_u32_e32 v0, s20, v84
	ds_load_u16 v0, v0
	v_mul_i32_i24_e32 v3, v9, v225
	v_perm_b32 v9, v22, v21, 0xc05000c
	s_delay_alu instid0(VALU_DEP_2) | instskip(NEXT) | instid1(VALU_DEP_1)
	v_mad_i32_i24 v3, v32, v226, v3
	v_dot4_i32_iu8 v3, v231, v228, v3 neg_lo:[1,1,0]
	s_delay_alu instid0(VALU_DEP_3) | instskip(SKIP_2) | instid1(VALU_DEP_4)
	v_or_b32_e32 v231, v9, v13
	v_perm_b32 v9, v38, v36, 0xc05000c
	v_perm_b32 v13, v35, v35, 0xc0c0c01
	v_mad_i32_i24 v3, v33, v230, v3
	s_delay_alu instid0(VALU_DEP_2) | instskip(SKIP_1) | instid1(VALU_DEP_3)
	v_or_b32_e32 v232, v9, v13
	v_perm_b32 v9, v39, v39, 0xc0c0c01
	v_dot4_i32_iu8 v3, v233, v231, v3 neg_lo:[1,1,0]
	s_wait_dscnt 0x0
	v_bfe_i32 v234, v0, 0, 8
	s_delay_alu instid0(VALU_DEP_2) | instskip(NEXT) | instid1(VALU_DEP_1)
	v_mad_i32_i24 v3, v48, v229, v3
	v_dot4_i32_iu8 v3, v6, v232, v3 neg_lo:[1,1,0]
	v_perm_b32 v6, v42, v41, 0xc05000c
	s_delay_alu instid0(VALU_DEP_2) | instskip(NEXT) | instid1(VALU_DEP_2)
	v_mad_i32_i24 v3, v162, v227, v3
	v_or_b32_e32 v233, v6, v9
	v_lshrrev_b16 v6, 8, v0
	v_bfe_i32 v162, v1, 0, 8
	s_delay_alu instid0(VALU_DEP_3) | instskip(NEXT) | instid1(VALU_DEP_3)
	v_dot4_i32_iu8 v3, v7, v233, v3 neg_lo:[1,1,0]
	v_bfe_i32 v6, v6, 0, 8
	s_delay_alu instid0(VALU_DEP_2) | instskip(SKIP_1) | instid1(VALU_DEP_1)
	v_mul_lo_u32 v0, v3, v234
	v_mul_i32_i24_e32 v3, v163, v171
	v_mad_i32_i24 v3, v164, v170, v3
	v_bfe_i32 v164, v2, 0, 8
	v_perm_b32 v2, v52, v51, 0xc05000c
	s_delay_alu instid0(VALU_DEP_3) | instskip(NEXT) | instid1(VALU_DEP_1)
	v_dot4_i32_iu8 v3, v14, v167, v3 neg_lo:[1,1,0]
	v_mad_i32_i24 v1, v165, v166, v3
	v_perm_b32 v3, v50, v50, 0xc0c0c01
	s_delay_alu instid0(VALU_DEP_1) | instskip(SKIP_2) | instid1(VALU_DEP_3)
	v_or_b32_e32 v165, v2, v3
	v_perm_b32 v2, v56, v55, 0xc05000c
	v_perm_b32 v3, v17, v17, 0xc0c0c01
	v_dot4_i32_iu8 v1, v11, v165, v1 neg_lo:[1,1,0]
	s_delay_alu instid0(VALU_DEP_2) | instskip(SKIP_2) | instid1(VALU_DEP_4)
	v_or_b32_e32 v163, v2, v3
	v_perm_b32 v2, v57, v27, 0xc05000c
	v_perm_b32 v3, v58, v58, 0xc0c0c01
	v_mad_i32_i24 v1, v34, v164, v1
	s_delay_alu instid0(VALU_DEP_2) | instskip(NEXT) | instid1(VALU_DEP_2)
	v_or_b32_e32 v7, v2, v3
	v_dot4_i32_iu8 v1, v12, v163, v1 neg_lo:[1,1,0]
	s_delay_alu instid0(VALU_DEP_1) | instskip(NEXT) | instid1(VALU_DEP_1)
	v_mad_i32_i24 v1, v10, v162, v1
	v_dot4_i32_iu8 v1, v15, v7, v1 neg_lo:[1,1,0]
	s_delay_alu instid0(VALU_DEP_1) | instskip(SKIP_1) | instid1(VALU_DEP_2)
	v_mad_co_u64_u32 v[0:1], null, v1, v6, v[0:1]
	v_mul_f32_e32 v1, v8, v5
	v_cvt_f32_i32_e32 v0, v0
	s_delay_alu instid0(VALU_DEP_1) | instskip(SKIP_1) | instid1(VALU_DEP_1)
	v_fmac_f32_e32 v157, v1, v0
	v_or_b32_e32 v0, s17, v85
	v_lshlrev_b32_e32 v8, 2, v0
	v_lshrrev_b32_e32 v0, 1, v0
	ds_load_b32 v14, v0 offset:38816
	ds_load_b128 v[0:3], v8 offset:25344
	ds_load_b128 v[8:11], v8 offset:25360
	s_wait_dscnt 0x1
	v_bfe_i32 v15, v0, 0, 8
	v_bfe_i32 v16, v0, 8, 8
	;; [unrolled: 1-line block ×3, first 2 shown]
	v_ashrrev_i32_e32 v13, 24, v0
	v_bfe_i32 v17, v1, 0, 8
	v_mul_i32_i24_e32 v55, v172, v15
	v_bfe_i32 v18, v1, 8, 8
	v_mul_i32_i24_e32 v12, v173, v12
	v_mul_i32_i24_e32 v13, v174, v13
	v_bfe_i32 v19, v1, 16, 8
	v_mad_i32_i24 v55, v175, v16, v55
	v_ashrrev_i32_e32 v20, 24, v1
	s_wait_dscnt 0x0
	v_bfe_i32 v36, v8, 0, 8
	v_mul_i32_i24_e32 v18, v178, v18
	v_bfe_i32 v21, v2, 0, 8
	v_add3_u32 v12, v55, v12, v13
	v_mul_i32_i24_e32 v13, v179, v17
	v_bfe_i32 v22, v2, 8, 8
	v_bfe_i32 v37, v8, 8, 8
	;; [unrolled: 1-line block ×3, first 2 shown]
	v_ashrrev_i32_e32 v39, 24, v8
	v_mul_i32_i24_e32 v19, v177, v19
	v_mul_i32_i24_e32 v20, v176, v20
	v_add3_u32 v12, v12, v13, v18
	v_mul_i32_i24_e32 v13, v189, v36
	v_bfe_i32 v23, v2, 16, 8
	v_ashrrev_i32_e32 v27, 24, v2
	v_bfe_i32 v41, v9, 0, 8
	v_bfe_i32 v42, v9, 8, 8
	v_mul_i32_i24_e32 v55, v183, v21
	v_mul_i32_i24_e32 v22, v182, v22
	v_add3_u32 v12, v12, v19, v20
	v_mul_i32_i24_e32 v18, v190, v38
	v_mul_i32_i24_e32 v19, v191, v39
	v_mad_i32_i24 v13, v192, v37, v13
	v_bfe_i32 v32, v3, 0, 8
	v_bfe_i32 v33, v3, 8, 8
	;; [unrolled: 1-line block ×3, first 2 shown]
	v_ashrrev_i32_e32 v44, 24, v9
	v_mul_i32_i24_e32 v23, v181, v23
	v_mul_i32_i24_e32 v27, v180, v27
	v_add3_u32 v12, v12, v55, v22
	v_add3_u32 v13, v13, v18, v19
	v_mul_i32_i24_e32 v18, v196, v41
	v_mul_i32_i24_e32 v19, v195, v42
	v_bfe_i32 v34, v3, 16, 8
	v_ashrrev_i32_e32 v35, 24, v3
	v_bfe_i32 v45, v10, 0, 8
	v_bfe_i32 v46, v10, 8, 8
	v_mul_i32_i24_e32 v56, v188, v32
	v_mul_i32_i24_e32 v33, v187, v33
	v_add3_u32 v12, v12, v23, v27
	v_mul_i32_i24_e32 v20, v194, v43
	v_mul_i32_i24_e32 v22, v193, v44
	v_add3_u32 v13, v13, v18, v19
	v_bfe_i32 v47, v10, 16, 8
	v_ashrrev_i32_e32 v48, 24, v10
	v_mul_i32_i24_e32 v34, v186, v34
	v_mul_i32_i24_e32 v35, v185, v35
	v_add3_u32 v12, v12, v56, v33
	v_mul_i32_i24_e32 v23, v200, v45
	v_mul_i32_i24_e32 v27, v199, v46
	v_add3_u32 v13, v13, v20, v22
	v_bfe_i32 v50, v11, 0, 8
	v_bfe_i32 v51, v11, 8, 8
	v_add3_u32 v12, v12, v34, v35
	v_mul_i32_i24_e32 v33, v198, v47
	v_mul_i32_i24_e32 v34, v197, v48
	v_add3_u32 v13, v13, v23, v27
	v_bfe_i32 v52, v11, 16, 8
	v_ashrrev_i32_e32 v54, 24, v11
	v_mul_i32_i24_e32 v35, v210, v50
	v_mul_i32_i24_e32 v38, v208, v51
	v_add3_u32 v13, v13, v33, v34
	v_mul_i32_i24_e32 v39, v203, v52
	v_mul_i32_i24_e32 v42, v201, v54
	v_mul_lo_u32 v12, v12, v216
	v_perm_b32 v8, v8, v8, 0xc0c0302
	v_add3_u32 v13, v13, v35, v38
	v_perm_b32 v9, v9, v9, 0xc030201
	v_perm_b32 v2, v2, v2, 0xc030201
	;; [unrolled: 1-line block ×4, first 2 shown]
	v_add3_u32 v13, v13, v39, v42
	v_perm_b32 v11, v11, v11, 0xc030201
	s_delay_alu instid0(VALU_DEP_2) | instskip(SKIP_1) | instid1(VALU_DEP_2)
	v_mad_co_u64_u32 v[12:13], null, v13, v212, v[12:13]
	v_mul_f32_e32 v13, v169, v14
	v_cvt_f32_i32_e32 v12, v12
	s_delay_alu instid0(VALU_DEP_1) | instskip(SKIP_2) | instid1(VALU_DEP_2)
	v_fmac_f32_e32 v135, v13, v12
	v_mul_i32_i24_e32 v12, v15, v223
	v_perm_b32 v13, v0, v0, 0xc0c0302
	v_mad_i32_i24 v12, v16, v224, v12
	s_delay_alu instid0(VALU_DEP_1) | instskip(SKIP_2) | instid1(VALU_DEP_3)
	v_dot4_i32_iu8 v0, v13, v254, v12 neg_lo:[1,1,0]
	v_perm_b32 v12, v1, v1, 0xc030201
	v_mul_i32_i24_e32 v1, v36, v252
	v_mad_i32_i24 v0, v17, v255, v0
	s_delay_alu instid0(VALU_DEP_2) | instskip(NEXT) | instid1(VALU_DEP_2)
	v_mad_i32_i24 v1, v37, v253, v1
	v_dot4_i32_iu8 v0, v12, v248, v0 neg_lo:[1,1,0]
	s_delay_alu instid0(VALU_DEP_2) | instskip(NEXT) | instid1(VALU_DEP_2)
	v_dot4_i32_iu8 v1, v8, v235, v1 neg_lo:[1,1,0]
	v_mad_i32_i24 v0, v21, v247, v0
	s_delay_alu instid0(VALU_DEP_2) | instskip(NEXT) | instid1(VALU_DEP_2)
	v_mad_i32_i24 v1, v41, v236, v1
	v_dot4_i32_iu8 v0, v2, v249, v0 neg_lo:[1,1,0]
	s_delay_alu instid0(VALU_DEP_2) | instskip(NEXT) | instid1(VALU_DEP_2)
	v_dot4_i32_iu8 v1, v9, v219, v1 neg_lo:[1,1,0]
	;; [unrolled: 6-line block ×3, first 2 shown]
	v_mul_lo_u32 v0, v0, v251
	s_delay_alu instid0(VALU_DEP_2) | instskip(NEXT) | instid1(VALU_DEP_1)
	v_mad_i32_i24 v1, v50, v217, v1
	v_dot4_i32_iu8 v1, v11, v221, v1 neg_lo:[1,1,0]
	s_delay_alu instid0(VALU_DEP_1) | instskip(SKIP_1) | instid1(VALU_DEP_2)
	v_mad_co_u64_u32 v[0:1], null, v1, v222, v[0:1]
	v_mul_f32_e32 v1, v168, v14
	v_cvt_f32_i32_e32 v0, v0
	s_delay_alu instid0(VALU_DEP_1) | instskip(SKIP_2) | instid1(VALU_DEP_2)
	v_fmac_f32_e32 v146, v1, v0
	v_mul_i32_i24_e32 v0, v15, v237
	v_mul_i32_i24_e32 v1, v36, v202
	v_mad_i32_i24 v0, v16, v238, v0
	s_delay_alu instid0(VALU_DEP_2) | instskip(NEXT) | instid1(VALU_DEP_2)
	v_mad_i32_i24 v1, v37, v204, v1
	v_dot4_i32_iu8 v0, v13, v240, v0 neg_lo:[1,1,0]
	s_delay_alu instid0(VALU_DEP_2) | instskip(NEXT) | instid1(VALU_DEP_2)
	v_dot4_i32_iu8 v1, v8, v206, v1 neg_lo:[1,1,0]
	v_mad_i32_i24 v0, v17, v242, v0
	s_delay_alu instid0(VALU_DEP_2) | instskip(NEXT) | instid1(VALU_DEP_2)
	v_mad_i32_i24 v1, v41, v209, v1
	v_dot4_i32_iu8 v0, v12, v243, v0 neg_lo:[1,1,0]
	s_delay_alu instid0(VALU_DEP_2) | instskip(NEXT) | instid1(VALU_DEP_2)
	v_dot4_i32_iu8 v1, v9, v211, v1 neg_lo:[1,1,0]
	;; [unrolled: 6-line block ×4, first 2 shown]
	v_mul_lo_u32 v0, v0, v246
	s_delay_alu instid0(VALU_DEP_1) | instskip(SKIP_1) | instid1(VALU_DEP_2)
	v_mad_co_u64_u32 v[0:1], null, v1, v215, v[0:1]
	v_mul_f32_e32 v1, v184, v14
	v_cvt_f32_i32_e32 v0, v0
	s_delay_alu instid0(VALU_DEP_1) | instskip(SKIP_2) | instid1(VALU_DEP_2)
	v_fmac_f32_e32 v152, v1, v0
	v_mul_i32_i24_e32 v0, v15, v225
	v_mul_i32_i24_e32 v1, v36, v171
	v_mad_i32_i24 v0, v16, v226, v0
	s_delay_alu instid0(VALU_DEP_2) | instskip(NEXT) | instid1(VALU_DEP_2)
	v_mad_i32_i24 v1, v37, v170, v1
	v_dot4_i32_iu8 v0, v13, v228, v0 neg_lo:[1,1,0]
	s_delay_alu instid0(VALU_DEP_2) | instskip(NEXT) | instid1(VALU_DEP_2)
	v_dot4_i32_iu8 v1, v8, v167, v1 neg_lo:[1,1,0]
	v_mad_i32_i24 v0, v17, v230, v0
	s_delay_alu instid0(VALU_DEP_2) | instskip(NEXT) | instid1(VALU_DEP_2)
	v_mad_i32_i24 v1, v41, v166, v1
	v_dot4_i32_iu8 v0, v12, v231, v0 neg_lo:[1,1,0]
	s_delay_alu instid0(VALU_DEP_2) | instskip(NEXT) | instid1(VALU_DEP_2)
	v_dot4_i32_iu8 v1, v9, v165, v1 neg_lo:[1,1,0]
	;; [unrolled: 6-line block ×4, first 2 shown]
	v_mul_lo_u32 v0, v0, v234
	s_delay_alu instid0(VALU_DEP_1) | instskip(SKIP_1) | instid1(VALU_DEP_2)
	v_mad_co_u64_u32 v[0:1], null, v1, v6, v[0:1]
	v_mul_f32_e32 v1, v5, v14
	v_cvt_f32_i32_e32 v0, v0
	s_delay_alu instid0(VALU_DEP_1) | instskip(SKIP_1) | instid1(VALU_DEP_1)
	v_fmac_f32_e32 v156, v1, v0
	v_or_b32_e32 v0, s17, v86
	v_lshlrev_b32_e32 v8, 2, v0
	v_lshrrev_b32_e32 v0, 1, v0
	ds_load_b32 v14, v0 offset:38816
	ds_load_b128 v[0:3], v8 offset:25344
	ds_load_b128 v[8:11], v8 offset:25360
	s_wait_dscnt 0x1
	v_bfe_i32 v15, v0, 0, 8
	v_bfe_i32 v16, v0, 8, 8
	;; [unrolled: 1-line block ×3, first 2 shown]
	v_ashrrev_i32_e32 v13, 24, v0
	v_bfe_i32 v17, v1, 0, 8
	v_mul_i32_i24_e32 v55, v172, v15
	v_bfe_i32 v18, v1, 8, 8
	v_mul_i32_i24_e32 v12, v173, v12
	v_mul_i32_i24_e32 v13, v174, v13
	v_bfe_i32 v19, v1, 16, 8
	v_mad_i32_i24 v55, v175, v16, v55
	v_ashrrev_i32_e32 v20, 24, v1
	s_wait_dscnt 0x0
	v_bfe_i32 v36, v8, 0, 8
	v_mul_i32_i24_e32 v18, v178, v18
	v_bfe_i32 v21, v2, 0, 8
	v_add3_u32 v12, v55, v12, v13
	v_mul_i32_i24_e32 v13, v179, v17
	v_bfe_i32 v22, v2, 8, 8
	v_bfe_i32 v37, v8, 8, 8
	;; [unrolled: 1-line block ×3, first 2 shown]
	v_ashrrev_i32_e32 v39, 24, v8
	v_mul_i32_i24_e32 v19, v177, v19
	v_mul_i32_i24_e32 v20, v176, v20
	v_add3_u32 v12, v12, v13, v18
	v_mul_i32_i24_e32 v13, v189, v36
	v_bfe_i32 v23, v2, 16, 8
	v_ashrrev_i32_e32 v27, 24, v2
	v_bfe_i32 v41, v9, 0, 8
	v_bfe_i32 v42, v9, 8, 8
	v_mul_i32_i24_e32 v55, v183, v21
	v_mul_i32_i24_e32 v22, v182, v22
	v_add3_u32 v12, v12, v19, v20
	v_mul_i32_i24_e32 v18, v190, v38
	v_mul_i32_i24_e32 v19, v191, v39
	v_mad_i32_i24 v13, v192, v37, v13
	v_bfe_i32 v32, v3, 0, 8
	v_bfe_i32 v33, v3, 8, 8
	;; [unrolled: 1-line block ×3, first 2 shown]
	v_ashrrev_i32_e32 v44, 24, v9
	v_mul_i32_i24_e32 v23, v181, v23
	v_mul_i32_i24_e32 v27, v180, v27
	v_add3_u32 v12, v12, v55, v22
	v_add3_u32 v13, v13, v18, v19
	v_mul_i32_i24_e32 v18, v196, v41
	v_mul_i32_i24_e32 v19, v195, v42
	v_bfe_i32 v34, v3, 16, 8
	v_ashrrev_i32_e32 v35, 24, v3
	v_bfe_i32 v45, v10, 0, 8
	v_bfe_i32 v46, v10, 8, 8
	v_mul_i32_i24_e32 v56, v188, v32
	v_mul_i32_i24_e32 v33, v187, v33
	v_add3_u32 v12, v12, v23, v27
	v_mul_i32_i24_e32 v20, v194, v43
	v_mul_i32_i24_e32 v22, v193, v44
	v_add3_u32 v13, v13, v18, v19
	v_bfe_i32 v47, v10, 16, 8
	v_ashrrev_i32_e32 v48, 24, v10
	v_mul_i32_i24_e32 v34, v186, v34
	v_mul_i32_i24_e32 v35, v185, v35
	v_add3_u32 v12, v12, v56, v33
	v_mul_i32_i24_e32 v23, v200, v45
	v_mul_i32_i24_e32 v27, v199, v46
	v_add3_u32 v13, v13, v20, v22
	v_bfe_i32 v50, v11, 0, 8
	v_bfe_i32 v51, v11, 8, 8
	v_add3_u32 v12, v12, v34, v35
	v_mul_i32_i24_e32 v33, v198, v47
	v_mul_i32_i24_e32 v34, v197, v48
	v_add3_u32 v13, v13, v23, v27
	v_bfe_i32 v52, v11, 16, 8
	v_ashrrev_i32_e32 v54, 24, v11
	v_mul_i32_i24_e32 v35, v210, v50
	v_mul_i32_i24_e32 v38, v208, v51
	v_add3_u32 v13, v13, v33, v34
	v_mul_i32_i24_e32 v39, v203, v52
	v_mul_i32_i24_e32 v42, v201, v54
	v_mul_lo_u32 v12, v12, v216
	v_perm_b32 v8, v8, v8, 0xc0c0302
	v_add3_u32 v13, v13, v35, v38
	v_perm_b32 v9, v9, v9, 0xc030201
	v_perm_b32 v2, v2, v2, 0xc030201
	;; [unrolled: 1-line block ×4, first 2 shown]
	v_add3_u32 v13, v13, v39, v42
	v_perm_b32 v11, v11, v11, 0xc030201
	s_delay_alu instid0(VALU_DEP_2) | instskip(SKIP_1) | instid1(VALU_DEP_2)
	v_mad_co_u64_u32 v[12:13], null, v13, v212, v[12:13]
	v_mul_f32_e32 v13, v169, v14
	v_cvt_f32_i32_e32 v12, v12
	s_delay_alu instid0(VALU_DEP_1) | instskip(SKIP_2) | instid1(VALU_DEP_2)
	v_fmac_f32_e32 v129, v13, v12
	v_mul_i32_i24_e32 v12, v15, v223
	v_perm_b32 v13, v0, v0, 0xc0c0302
	v_mad_i32_i24 v12, v16, v224, v12
	s_delay_alu instid0(VALU_DEP_1) | instskip(SKIP_2) | instid1(VALU_DEP_3)
	v_dot4_i32_iu8 v0, v13, v254, v12 neg_lo:[1,1,0]
	v_perm_b32 v12, v1, v1, 0xc030201
	v_mul_i32_i24_e32 v1, v36, v252
	v_mad_i32_i24 v0, v17, v255, v0
	s_delay_alu instid0(VALU_DEP_2) | instskip(NEXT) | instid1(VALU_DEP_2)
	v_mad_i32_i24 v1, v37, v253, v1
	v_dot4_i32_iu8 v0, v12, v248, v0 neg_lo:[1,1,0]
	s_delay_alu instid0(VALU_DEP_2) | instskip(NEXT) | instid1(VALU_DEP_2)
	v_dot4_i32_iu8 v1, v8, v235, v1 neg_lo:[1,1,0]
	v_mad_i32_i24 v0, v21, v247, v0
	s_delay_alu instid0(VALU_DEP_2) | instskip(NEXT) | instid1(VALU_DEP_2)
	v_mad_i32_i24 v1, v41, v236, v1
	v_dot4_i32_iu8 v0, v2, v249, v0 neg_lo:[1,1,0]
	s_delay_alu instid0(VALU_DEP_2) | instskip(NEXT) | instid1(VALU_DEP_2)
	v_dot4_i32_iu8 v1, v9, v219, v1 neg_lo:[1,1,0]
	;; [unrolled: 6-line block ×3, first 2 shown]
	v_mul_lo_u32 v0, v0, v251
	s_delay_alu instid0(VALU_DEP_2) | instskip(NEXT) | instid1(VALU_DEP_1)
	v_mad_i32_i24 v1, v50, v217, v1
	v_dot4_i32_iu8 v1, v11, v221, v1 neg_lo:[1,1,0]
	s_delay_alu instid0(VALU_DEP_1) | instskip(SKIP_1) | instid1(VALU_DEP_2)
	v_mad_co_u64_u32 v[0:1], null, v1, v222, v[0:1]
	v_mul_f32_e32 v1, v168, v14
	v_cvt_f32_i32_e32 v0, v0
	s_delay_alu instid0(VALU_DEP_1) | instskip(SKIP_2) | instid1(VALU_DEP_2)
	v_fmac_f32_e32 v143, v1, v0
	v_mul_i32_i24_e32 v0, v15, v237
	v_mul_i32_i24_e32 v1, v36, v202
	v_mad_i32_i24 v0, v16, v238, v0
	s_delay_alu instid0(VALU_DEP_2) | instskip(NEXT) | instid1(VALU_DEP_2)
	v_mad_i32_i24 v1, v37, v204, v1
	v_dot4_i32_iu8 v0, v13, v240, v0 neg_lo:[1,1,0]
	s_delay_alu instid0(VALU_DEP_2) | instskip(NEXT) | instid1(VALU_DEP_2)
	v_dot4_i32_iu8 v1, v8, v206, v1 neg_lo:[1,1,0]
	v_mad_i32_i24 v0, v17, v242, v0
	s_delay_alu instid0(VALU_DEP_2) | instskip(NEXT) | instid1(VALU_DEP_2)
	v_mad_i32_i24 v1, v41, v209, v1
	v_dot4_i32_iu8 v0, v12, v243, v0 neg_lo:[1,1,0]
	s_delay_alu instid0(VALU_DEP_2) | instskip(NEXT) | instid1(VALU_DEP_2)
	v_dot4_i32_iu8 v1, v9, v211, v1 neg_lo:[1,1,0]
	;; [unrolled: 6-line block ×4, first 2 shown]
	v_mul_lo_u32 v0, v0, v246
	s_delay_alu instid0(VALU_DEP_1) | instskip(SKIP_1) | instid1(VALU_DEP_2)
	v_mad_co_u64_u32 v[0:1], null, v1, v215, v[0:1]
	v_mul_f32_e32 v1, v184, v14
	v_cvt_f32_i32_e32 v0, v0
	s_delay_alu instid0(VALU_DEP_1) | instskip(SKIP_2) | instid1(VALU_DEP_2)
	v_fmac_f32_e32 v150, v1, v0
	v_mul_i32_i24_e32 v0, v15, v225
	v_mul_i32_i24_e32 v1, v36, v171
	v_mad_i32_i24 v0, v16, v226, v0
	s_delay_alu instid0(VALU_DEP_2) | instskip(NEXT) | instid1(VALU_DEP_2)
	v_mad_i32_i24 v1, v37, v170, v1
	v_dot4_i32_iu8 v0, v13, v228, v0 neg_lo:[1,1,0]
	s_delay_alu instid0(VALU_DEP_2) | instskip(NEXT) | instid1(VALU_DEP_2)
	v_dot4_i32_iu8 v1, v8, v167, v1 neg_lo:[1,1,0]
	v_mad_i32_i24 v0, v17, v230, v0
	s_delay_alu instid0(VALU_DEP_2) | instskip(NEXT) | instid1(VALU_DEP_2)
	v_mad_i32_i24 v1, v41, v166, v1
	v_dot4_i32_iu8 v0, v12, v231, v0 neg_lo:[1,1,0]
	s_delay_alu instid0(VALU_DEP_2) | instskip(NEXT) | instid1(VALU_DEP_2)
	v_dot4_i32_iu8 v1, v9, v165, v1 neg_lo:[1,1,0]
	;; [unrolled: 6-line block ×4, first 2 shown]
	v_mul_lo_u32 v0, v0, v234
	s_delay_alu instid0(VALU_DEP_1) | instskip(SKIP_1) | instid1(VALU_DEP_2)
	v_mad_co_u64_u32 v[0:1], null, v1, v6, v[0:1]
	v_mul_f32_e32 v1, v5, v14
	v_cvt_f32_i32_e32 v0, v0
	s_delay_alu instid0(VALU_DEP_1) | instskip(SKIP_1) | instid1(VALU_DEP_1)
	v_fmac_f32_e32 v155, v1, v0
	v_or_b32_e32 v0, s17, v87
	v_lshlrev_b32_e32 v8, 2, v0
	v_lshrrev_b32_e32 v0, 1, v0
	ds_load_b32 v14, v0 offset:38816
	ds_load_b128 v[0:3], v8 offset:25344
	ds_load_b128 v[8:11], v8 offset:25360
	s_wait_dscnt 0x1
	v_bfe_i32 v15, v0, 0, 8
	v_bfe_i32 v16, v0, 8, 8
	;; [unrolled: 1-line block ×3, first 2 shown]
	v_ashrrev_i32_e32 v13, 24, v0
	v_bfe_i32 v17, v1, 0, 8
	v_mul_i32_i24_e32 v55, v172, v15
	v_bfe_i32 v18, v1, 8, 8
	v_mul_i32_i24_e32 v12, v173, v12
	v_mul_i32_i24_e32 v13, v174, v13
	v_bfe_i32 v19, v1, 16, 8
	v_mad_i32_i24 v55, v175, v16, v55
	v_ashrrev_i32_e32 v20, 24, v1
	s_wait_dscnt 0x0
	v_bfe_i32 v36, v8, 0, 8
	v_mul_i32_i24_e32 v18, v178, v18
	v_bfe_i32 v21, v2, 0, 8
	v_add3_u32 v12, v55, v12, v13
	v_mul_i32_i24_e32 v13, v179, v17
	v_bfe_i32 v22, v2, 8, 8
	v_bfe_i32 v37, v8, 8, 8
	;; [unrolled: 1-line block ×3, first 2 shown]
	v_ashrrev_i32_e32 v39, 24, v8
	v_mul_i32_i24_e32 v19, v177, v19
	v_mul_i32_i24_e32 v20, v176, v20
	v_add3_u32 v12, v12, v13, v18
	v_mul_i32_i24_e32 v13, v189, v36
	v_bfe_i32 v23, v2, 16, 8
	v_ashrrev_i32_e32 v27, 24, v2
	v_bfe_i32 v41, v9, 0, 8
	v_bfe_i32 v42, v9, 8, 8
	v_mul_i32_i24_e32 v55, v183, v21
	v_mul_i32_i24_e32 v22, v182, v22
	v_add3_u32 v12, v12, v19, v20
	v_mul_i32_i24_e32 v18, v190, v38
	v_mul_i32_i24_e32 v19, v191, v39
	v_mad_i32_i24 v13, v192, v37, v13
	v_bfe_i32 v32, v3, 0, 8
	v_bfe_i32 v33, v3, 8, 8
	;; [unrolled: 1-line block ×3, first 2 shown]
	v_ashrrev_i32_e32 v44, 24, v9
	v_mul_i32_i24_e32 v23, v181, v23
	v_mul_i32_i24_e32 v27, v180, v27
	v_add3_u32 v12, v12, v55, v22
	v_add3_u32 v13, v13, v18, v19
	v_mul_i32_i24_e32 v18, v196, v41
	v_mul_i32_i24_e32 v19, v195, v42
	v_bfe_i32 v34, v3, 16, 8
	v_ashrrev_i32_e32 v35, 24, v3
	v_bfe_i32 v45, v10, 0, 8
	v_bfe_i32 v46, v10, 8, 8
	v_mul_i32_i24_e32 v56, v188, v32
	v_mul_i32_i24_e32 v33, v187, v33
	v_add3_u32 v12, v12, v23, v27
	v_mul_i32_i24_e32 v20, v194, v43
	v_mul_i32_i24_e32 v22, v193, v44
	v_add3_u32 v13, v13, v18, v19
	v_bfe_i32 v47, v10, 16, 8
	v_ashrrev_i32_e32 v48, 24, v10
	v_mul_i32_i24_e32 v34, v186, v34
	v_mul_i32_i24_e32 v35, v185, v35
	v_add3_u32 v12, v12, v56, v33
	v_mul_i32_i24_e32 v23, v200, v45
	v_mul_i32_i24_e32 v27, v199, v46
	v_add3_u32 v13, v13, v20, v22
	v_bfe_i32 v50, v11, 0, 8
	v_bfe_i32 v51, v11, 8, 8
	v_add3_u32 v12, v12, v34, v35
	v_mul_i32_i24_e32 v33, v198, v47
	v_mul_i32_i24_e32 v34, v197, v48
	v_add3_u32 v13, v13, v23, v27
	v_bfe_i32 v52, v11, 16, 8
	v_ashrrev_i32_e32 v54, 24, v11
	v_mul_i32_i24_e32 v35, v210, v50
	v_mul_i32_i24_e32 v38, v208, v51
	v_add3_u32 v13, v13, v33, v34
	v_mul_i32_i24_e32 v39, v203, v52
	v_mul_i32_i24_e32 v42, v201, v54
	v_mul_lo_u32 v12, v12, v216
	v_perm_b32 v8, v8, v8, 0xc0c0302
	v_add3_u32 v13, v13, v35, v38
	v_perm_b32 v9, v9, v9, 0xc030201
	v_perm_b32 v2, v2, v2, 0xc030201
	;; [unrolled: 1-line block ×4, first 2 shown]
	v_add3_u32 v13, v13, v39, v42
	v_perm_b32 v11, v11, v11, 0xc030201
	s_delay_alu instid0(VALU_DEP_2) | instskip(SKIP_1) | instid1(VALU_DEP_2)
	v_mad_co_u64_u32 v[12:13], null, v13, v212, v[12:13]
	v_mul_f32_e32 v13, v169, v14
	v_cvt_f32_i32_e32 v12, v12
	s_delay_alu instid0(VALU_DEP_1) | instskip(SKIP_2) | instid1(VALU_DEP_2)
	v_fmac_f32_e32 v123, v13, v12
	v_mul_i32_i24_e32 v12, v15, v223
	v_perm_b32 v13, v0, v0, 0xc0c0302
	v_mad_i32_i24 v12, v16, v224, v12
	s_delay_alu instid0(VALU_DEP_1) | instskip(SKIP_2) | instid1(VALU_DEP_3)
	v_dot4_i32_iu8 v0, v13, v254, v12 neg_lo:[1,1,0]
	v_perm_b32 v12, v1, v1, 0xc030201
	v_mul_i32_i24_e32 v1, v36, v252
	v_mad_i32_i24 v0, v17, v255, v0
	s_delay_alu instid0(VALU_DEP_2) | instskip(NEXT) | instid1(VALU_DEP_2)
	v_mad_i32_i24 v1, v37, v253, v1
	v_dot4_i32_iu8 v0, v12, v248, v0 neg_lo:[1,1,0]
	s_delay_alu instid0(VALU_DEP_2) | instskip(NEXT) | instid1(VALU_DEP_2)
	v_dot4_i32_iu8 v1, v8, v235, v1 neg_lo:[1,1,0]
	v_mad_i32_i24 v0, v21, v247, v0
	s_delay_alu instid0(VALU_DEP_2) | instskip(NEXT) | instid1(VALU_DEP_2)
	v_mad_i32_i24 v1, v41, v236, v1
	v_dot4_i32_iu8 v0, v2, v249, v0 neg_lo:[1,1,0]
	s_delay_alu instid0(VALU_DEP_2) | instskip(NEXT) | instid1(VALU_DEP_2)
	v_dot4_i32_iu8 v1, v9, v219, v1 neg_lo:[1,1,0]
	;; [unrolled: 6-line block ×3, first 2 shown]
	v_mul_lo_u32 v0, v0, v251
	s_delay_alu instid0(VALU_DEP_2) | instskip(NEXT) | instid1(VALU_DEP_1)
	v_mad_i32_i24 v1, v50, v217, v1
	v_dot4_i32_iu8 v1, v11, v221, v1 neg_lo:[1,1,0]
	s_delay_alu instid0(VALU_DEP_1) | instskip(SKIP_1) | instid1(VALU_DEP_2)
	v_mad_co_u64_u32 v[0:1], null, v1, v222, v[0:1]
	v_mul_f32_e32 v1, v168, v14
	v_cvt_f32_i32_e32 v0, v0
	s_delay_alu instid0(VALU_DEP_1) | instskip(SKIP_2) | instid1(VALU_DEP_2)
	v_fmac_f32_e32 v137, v1, v0
	v_mul_i32_i24_e32 v0, v15, v237
	v_mul_i32_i24_e32 v1, v36, v202
	v_mad_i32_i24 v0, v16, v238, v0
	s_delay_alu instid0(VALU_DEP_2) | instskip(NEXT) | instid1(VALU_DEP_2)
	v_mad_i32_i24 v1, v37, v204, v1
	v_dot4_i32_iu8 v0, v13, v240, v0 neg_lo:[1,1,0]
	s_delay_alu instid0(VALU_DEP_2) | instskip(NEXT) | instid1(VALU_DEP_2)
	v_dot4_i32_iu8 v1, v8, v206, v1 neg_lo:[1,1,0]
	v_mad_i32_i24 v0, v17, v242, v0
	s_delay_alu instid0(VALU_DEP_2) | instskip(NEXT) | instid1(VALU_DEP_2)
	v_mad_i32_i24 v1, v41, v209, v1
	v_dot4_i32_iu8 v0, v12, v243, v0 neg_lo:[1,1,0]
	s_delay_alu instid0(VALU_DEP_2) | instskip(NEXT) | instid1(VALU_DEP_2)
	v_dot4_i32_iu8 v1, v9, v211, v1 neg_lo:[1,1,0]
	;; [unrolled: 6-line block ×4, first 2 shown]
	v_mul_lo_u32 v0, v0, v246
	s_delay_alu instid0(VALU_DEP_1) | instskip(SKIP_1) | instid1(VALU_DEP_2)
	v_mad_co_u64_u32 v[0:1], null, v1, v215, v[0:1]
	v_mul_f32_e32 v1, v184, v14
	v_cvt_f32_i32_e32 v0, v0
	s_delay_alu instid0(VALU_DEP_1) | instskip(SKIP_2) | instid1(VALU_DEP_2)
	v_fmac_f32_e32 v147, v1, v0
	v_mul_i32_i24_e32 v0, v15, v225
	v_mul_i32_i24_e32 v1, v36, v171
	v_mad_i32_i24 v0, v16, v226, v0
	s_delay_alu instid0(VALU_DEP_2) | instskip(NEXT) | instid1(VALU_DEP_2)
	v_mad_i32_i24 v1, v37, v170, v1
	v_dot4_i32_iu8 v0, v13, v228, v0 neg_lo:[1,1,0]
	s_delay_alu instid0(VALU_DEP_2) | instskip(NEXT) | instid1(VALU_DEP_2)
	v_dot4_i32_iu8 v1, v8, v167, v1 neg_lo:[1,1,0]
	v_mad_i32_i24 v0, v17, v230, v0
	s_delay_alu instid0(VALU_DEP_2) | instskip(NEXT) | instid1(VALU_DEP_2)
	v_mad_i32_i24 v1, v41, v166, v1
	v_dot4_i32_iu8 v0, v12, v231, v0 neg_lo:[1,1,0]
	s_delay_alu instid0(VALU_DEP_2) | instskip(NEXT) | instid1(VALU_DEP_2)
	v_dot4_i32_iu8 v1, v9, v165, v1 neg_lo:[1,1,0]
	;; [unrolled: 6-line block ×4, first 2 shown]
	v_mul_lo_u32 v0, v0, v234
	s_delay_alu instid0(VALU_DEP_1) | instskip(SKIP_1) | instid1(VALU_DEP_2)
	v_mad_co_u64_u32 v[0:1], null, v1, v6, v[0:1]
	v_mul_f32_e32 v1, v5, v14
	v_cvt_f32_i32_e32 v0, v0
	s_delay_alu instid0(VALU_DEP_1) | instskip(SKIP_1) | instid1(VALU_DEP_1)
	v_fmac_f32_e32 v153, v1, v0
	v_or_b32_e32 v0, s17, v88
	v_lshlrev_b32_e32 v1, 2, v0
	v_lshrrev_b32_e32 v0, 1, v0
	ds_load_b32 v8, v0 offset:38816
	ds_load_b128 v[9:12], v1 offset:25344
	ds_load_b128 v[0:3], v1 offset:25360
	s_wait_dscnt 0x1
	v_bfe_i32 v15, v9, 0, 8
	v_bfe_i32 v16, v9, 8, 8
	v_bfe_i32 v13, v9, 16, 8
	v_ashrrev_i32_e32 v14, 24, v9
	v_bfe_i32 v17, v10, 0, 8
	v_mul_i32_i24_e32 v55, v172, v15
	v_bfe_i32 v18, v10, 8, 8
	v_mul_i32_i24_e32 v13, v173, v13
	v_mul_i32_i24_e32 v14, v174, v14
	v_bfe_i32 v19, v10, 16, 8
	v_mad_i32_i24 v55, v175, v16, v55
	v_ashrrev_i32_e32 v20, 24, v10
	s_wait_dscnt 0x0
	v_bfe_i32 v36, v0, 0, 8
	v_mul_i32_i24_e32 v18, v178, v18
	v_bfe_i32 v21, v11, 0, 8
	v_add3_u32 v13, v55, v13, v14
	v_mul_i32_i24_e32 v14, v179, v17
	v_bfe_i32 v22, v11, 8, 8
	v_bfe_i32 v37, v0, 8, 8
	;; [unrolled: 1-line block ×3, first 2 shown]
	v_ashrrev_i32_e32 v39, 24, v0
	v_mul_i32_i24_e32 v19, v177, v19
	v_mul_i32_i24_e32 v20, v176, v20
	v_add3_u32 v13, v13, v14, v18
	v_mul_i32_i24_e32 v14, v189, v36
	v_bfe_i32 v23, v11, 16, 8
	v_ashrrev_i32_e32 v27, 24, v11
	v_bfe_i32 v41, v1, 0, 8
	v_bfe_i32 v42, v1, 8, 8
	v_mul_i32_i24_e32 v55, v183, v21
	v_mul_i32_i24_e32 v22, v182, v22
	v_add3_u32 v13, v13, v19, v20
	v_mul_i32_i24_e32 v18, v190, v38
	v_mul_i32_i24_e32 v19, v191, v39
	v_mad_i32_i24 v14, v192, v37, v14
	v_bfe_i32 v32, v12, 0, 8
	v_bfe_i32 v33, v12, 8, 8
	v_bfe_i32 v43, v1, 16, 8
	v_ashrrev_i32_e32 v44, 24, v1
	v_mul_i32_i24_e32 v23, v181, v23
	v_mul_i32_i24_e32 v27, v180, v27
	v_add3_u32 v13, v13, v55, v22
	v_add3_u32 v14, v14, v18, v19
	v_mul_i32_i24_e32 v18, v196, v41
	v_mul_i32_i24_e32 v19, v195, v42
	v_bfe_i32 v34, v12, 16, 8
	v_ashrrev_i32_e32 v35, 24, v12
	v_bfe_i32 v45, v2, 0, 8
	v_bfe_i32 v46, v2, 8, 8
	v_mul_i32_i24_e32 v56, v188, v32
	v_mul_i32_i24_e32 v33, v187, v33
	v_add3_u32 v13, v13, v23, v27
	v_mul_i32_i24_e32 v20, v194, v43
	v_mul_i32_i24_e32 v22, v193, v44
	v_add3_u32 v14, v14, v18, v19
	v_bfe_i32 v47, v2, 16, 8
	v_ashrrev_i32_e32 v48, 24, v2
	v_mul_i32_i24_e32 v34, v186, v34
	v_mul_i32_i24_e32 v35, v185, v35
	v_add3_u32 v13, v13, v56, v33
	v_mul_i32_i24_e32 v23, v200, v45
	v_mul_i32_i24_e32 v27, v199, v46
	v_add3_u32 v14, v14, v20, v22
	v_bfe_i32 v50, v3, 0, 8
	v_bfe_i32 v51, v3, 8, 8
	v_add3_u32 v13, v13, v34, v35
	v_mul_i32_i24_e32 v33, v198, v47
	v_mul_i32_i24_e32 v34, v197, v48
	v_add3_u32 v14, v14, v23, v27
	v_bfe_i32 v52, v3, 16, 8
	v_ashrrev_i32_e32 v54, 24, v3
	v_mul_i32_i24_e32 v35, v210, v50
	v_mul_i32_i24_e32 v38, v208, v51
	v_add3_u32 v14, v14, v33, v34
	v_mul_i32_i24_e32 v39, v203, v52
	v_mul_i32_i24_e32 v42, v201, v54
	v_mul_lo_u32 v13, v13, v216
	v_perm_b32 v18, v0, v0, 0xc0c0302
	v_add3_u32 v14, v14, v35, v38
	v_perm_b32 v10, v10, v10, 0xc030201
	v_perm_b32 v11, v11, v11, 0xc030201
	;; [unrolled: 1-line block ×4, first 2 shown]
	v_add3_u32 v14, v14, v39, v42
	v_perm_b32 v3, v3, v3, 0xc030201
	s_delay_alu instid0(VALU_DEP_2) | instskip(SKIP_1) | instid1(VALU_DEP_2)
	v_mad_co_u64_u32 v[13:14], null, v14, v212, v[13:14]
	v_mul_f32_e32 v14, v169, v8
	v_cvt_f32_i32_e32 v13, v13
	s_delay_alu instid0(VALU_DEP_1) | instskip(SKIP_2) | instid1(VALU_DEP_2)
	v_fmac_f32_e32 v118, v14, v13
	v_mul_i32_i24_e32 v13, v15, v223
	v_perm_b32 v14, v9, v9, 0xc0c0302
	v_mad_i32_i24 v13, v16, v224, v13
	s_delay_alu instid0(VALU_DEP_1) | instskip(SKIP_1) | instid1(VALU_DEP_2)
	v_dot4_i32_iu8 v9, v14, v254, v13 neg_lo:[1,1,0]
	v_mul_i32_i24_e32 v13, v36, v252
	v_mad_i32_i24 v9, v17, v255, v9
	s_delay_alu instid0(VALU_DEP_2) | instskip(NEXT) | instid1(VALU_DEP_2)
	v_mad_i32_i24 v13, v37, v253, v13
	v_dot4_i32_iu8 v9, v10, v248, v9 neg_lo:[1,1,0]
	s_delay_alu instid0(VALU_DEP_2) | instskip(SKIP_1) | instid1(VALU_DEP_3)
	v_dot4_i32_iu8 v0, v18, v235, v13 neg_lo:[1,1,0]
	v_perm_b32 v13, v1, v1, 0xc030201
	v_mad_i32_i24 v9, v21, v247, v9
	s_delay_alu instid0(VALU_DEP_3) | instskip(NEXT) | instid1(VALU_DEP_2)
	v_mad_i32_i24 v0, v41, v236, v0
	v_dot4_i32_iu8 v9, v11, v249, v9 neg_lo:[1,1,0]
	s_delay_alu instid0(VALU_DEP_2) | instskip(NEXT) | instid1(VALU_DEP_2)
	v_dot4_i32_iu8 v0, v13, v219, v0 neg_lo:[1,1,0]
	v_mad_i32_i24 v9, v32, v4, v9
	s_delay_alu instid0(VALU_DEP_2) | instskip(NEXT) | instid1(VALU_DEP_2)
	v_mad_i32_i24 v0, v45, v218, v0
	v_dot4_i32_iu8 v9, v12, v250, v9 neg_lo:[1,1,0]
	s_delay_alu instid0(VALU_DEP_2) | instskip(NEXT) | instid1(VALU_DEP_2)
	v_dot4_i32_iu8 v0, v2, v220, v0 neg_lo:[1,1,0]
	v_mul_lo_u32 v9, v9, v251
	s_delay_alu instid0(VALU_DEP_2) | instskip(NEXT) | instid1(VALU_DEP_1)
	v_mad_i32_i24 v0, v50, v217, v0
	v_dot4_i32_iu8 v0, v3, v221, v0 neg_lo:[1,1,0]
	s_delay_alu instid0(VALU_DEP_1) | instskip(SKIP_1) | instid1(VALU_DEP_2)
	v_mad_co_u64_u32 v[0:1], null, v0, v222, v[9:10]
	v_mul_f32_e32 v1, v168, v8
	v_cvt_f32_i32_e32 v0, v0
	s_delay_alu instid0(VALU_DEP_1) | instskip(SKIP_2) | instid1(VALU_DEP_2)
	v_fmac_f32_e32 v131, v1, v0
	v_mul_i32_i24_e32 v0, v15, v237
	v_mul_i32_i24_e32 v1, v36, v202
	v_mad_i32_i24 v0, v16, v238, v0
	s_delay_alu instid0(VALU_DEP_2) | instskip(NEXT) | instid1(VALU_DEP_2)
	v_mad_i32_i24 v1, v37, v204, v1
	v_dot4_i32_iu8 v0, v14, v240, v0 neg_lo:[1,1,0]
	s_delay_alu instid0(VALU_DEP_2) | instskip(NEXT) | instid1(VALU_DEP_2)
	v_dot4_i32_iu8 v1, v18, v206, v1 neg_lo:[1,1,0]
	v_mad_i32_i24 v0, v17, v242, v0
	s_delay_alu instid0(VALU_DEP_2) | instskip(NEXT) | instid1(VALU_DEP_2)
	v_mad_i32_i24 v1, v41, v209, v1
	v_dot4_i32_iu8 v0, v10, v243, v0 neg_lo:[1,1,0]
	s_delay_alu instid0(VALU_DEP_2) | instskip(NEXT) | instid1(VALU_DEP_2)
	v_dot4_i32_iu8 v1, v13, v211, v1 neg_lo:[1,1,0]
	;; [unrolled: 6-line block ×4, first 2 shown]
	v_mul_lo_u32 v0, v0, v246
	s_delay_alu instid0(VALU_DEP_1) | instskip(SKIP_1) | instid1(VALU_DEP_2)
	v_mad_co_u64_u32 v[0:1], null, v1, v215, v[0:1]
	v_mul_f32_e32 v1, v184, v8
	v_cvt_f32_i32_e32 v0, v0
	s_delay_alu instid0(VALU_DEP_1) | instskip(SKIP_2) | instid1(VALU_DEP_2)
	v_fmac_f32_e32 v144, v1, v0
	v_mul_i32_i24_e32 v0, v15, v225
	v_mul_i32_i24_e32 v1, v36, v171
	v_mad_i32_i24 v0, v16, v226, v0
	s_delay_alu instid0(VALU_DEP_2) | instskip(NEXT) | instid1(VALU_DEP_2)
	v_mad_i32_i24 v1, v37, v170, v1
	v_dot4_i32_iu8 v0, v14, v228, v0 neg_lo:[1,1,0]
	s_delay_alu instid0(VALU_DEP_2) | instskip(NEXT) | instid1(VALU_DEP_2)
	v_dot4_i32_iu8 v1, v18, v167, v1 neg_lo:[1,1,0]
	v_mad_i32_i24 v0, v17, v230, v0
	s_delay_alu instid0(VALU_DEP_2) | instskip(NEXT) | instid1(VALU_DEP_2)
	v_mad_i32_i24 v1, v41, v166, v1
	v_dot4_i32_iu8 v0, v10, v231, v0 neg_lo:[1,1,0]
	s_delay_alu instid0(VALU_DEP_2) | instskip(NEXT) | instid1(VALU_DEP_2)
	v_dot4_i32_iu8 v1, v13, v165, v1 neg_lo:[1,1,0]
	;; [unrolled: 6-line block ×4, first 2 shown]
	v_mul_lo_u32 v0, v0, v234
	s_delay_alu instid0(VALU_DEP_1) | instskip(SKIP_1) | instid1(VALU_DEP_2)
	v_mad_co_u64_u32 v[0:1], null, v1, v6, v[0:1]
	v_mul_f32_e32 v1, v5, v8
	v_cvt_f32_i32_e32 v0, v0
	s_delay_alu instid0(VALU_DEP_1) | instskip(SKIP_1) | instid1(VALU_DEP_1)
	v_fmac_f32_e32 v151, v1, v0
	v_or_b32_e32 v0, s17, v89
	v_lshlrev_b32_e32 v8, 2, v0
	v_lshrrev_b32_e32 v0, 1, v0
	ds_load_b32 v14, v0 offset:38816
	ds_load_b128 v[0:3], v8 offset:25344
	ds_load_b128 v[8:11], v8 offset:25360
	s_wait_dscnt 0x1
	v_bfe_i32 v15, v0, 0, 8
	v_bfe_i32 v16, v0, 8, 8
	;; [unrolled: 1-line block ×3, first 2 shown]
	v_ashrrev_i32_e32 v13, 24, v0
	v_bfe_i32 v17, v1, 0, 8
	v_mul_i32_i24_e32 v55, v172, v15
	v_bfe_i32 v18, v1, 8, 8
	v_mul_i32_i24_e32 v12, v173, v12
	v_mul_i32_i24_e32 v13, v174, v13
	v_bfe_i32 v19, v1, 16, 8
	v_mad_i32_i24 v55, v175, v16, v55
	v_ashrrev_i32_e32 v20, 24, v1
	s_wait_dscnt 0x0
	v_bfe_i32 v36, v8, 0, 8
	v_mul_i32_i24_e32 v18, v178, v18
	v_bfe_i32 v21, v2, 0, 8
	v_add3_u32 v12, v55, v12, v13
	v_mul_i32_i24_e32 v13, v179, v17
	v_bfe_i32 v22, v2, 8, 8
	v_bfe_i32 v37, v8, 8, 8
	;; [unrolled: 1-line block ×3, first 2 shown]
	v_ashrrev_i32_e32 v39, 24, v8
	v_mul_i32_i24_e32 v19, v177, v19
	v_mul_i32_i24_e32 v20, v176, v20
	v_add3_u32 v12, v12, v13, v18
	v_mul_i32_i24_e32 v13, v189, v36
	v_bfe_i32 v23, v2, 16, 8
	v_ashrrev_i32_e32 v27, 24, v2
	v_bfe_i32 v41, v9, 0, 8
	v_bfe_i32 v42, v9, 8, 8
	v_mul_i32_i24_e32 v55, v183, v21
	v_mul_i32_i24_e32 v22, v182, v22
	v_add3_u32 v12, v12, v19, v20
	v_mul_i32_i24_e32 v18, v190, v38
	v_mul_i32_i24_e32 v19, v191, v39
	v_mad_i32_i24 v13, v192, v37, v13
	v_bfe_i32 v32, v3, 0, 8
	v_bfe_i32 v33, v3, 8, 8
	;; [unrolled: 1-line block ×3, first 2 shown]
	v_ashrrev_i32_e32 v44, 24, v9
	v_mul_i32_i24_e32 v23, v181, v23
	v_mul_i32_i24_e32 v27, v180, v27
	v_add3_u32 v12, v12, v55, v22
	v_add3_u32 v13, v13, v18, v19
	v_mul_i32_i24_e32 v18, v196, v41
	v_mul_i32_i24_e32 v19, v195, v42
	v_bfe_i32 v34, v3, 16, 8
	v_ashrrev_i32_e32 v35, 24, v3
	v_bfe_i32 v45, v10, 0, 8
	v_bfe_i32 v46, v10, 8, 8
	v_mul_i32_i24_e32 v56, v188, v32
	v_mul_i32_i24_e32 v33, v187, v33
	v_add3_u32 v12, v12, v23, v27
	v_mul_i32_i24_e32 v20, v194, v43
	v_mul_i32_i24_e32 v22, v193, v44
	v_add3_u32 v13, v13, v18, v19
	v_bfe_i32 v47, v10, 16, 8
	v_ashrrev_i32_e32 v48, 24, v10
	v_mul_i32_i24_e32 v34, v186, v34
	v_mul_i32_i24_e32 v35, v185, v35
	v_add3_u32 v12, v12, v56, v33
	v_mul_i32_i24_e32 v23, v200, v45
	v_mul_i32_i24_e32 v27, v199, v46
	v_add3_u32 v13, v13, v20, v22
	v_bfe_i32 v50, v11, 0, 8
	v_bfe_i32 v51, v11, 8, 8
	v_add3_u32 v12, v12, v34, v35
	v_mul_i32_i24_e32 v33, v198, v47
	v_mul_i32_i24_e32 v34, v197, v48
	v_add3_u32 v13, v13, v23, v27
	v_bfe_i32 v52, v11, 16, 8
	v_ashrrev_i32_e32 v54, 24, v11
	v_mul_i32_i24_e32 v35, v210, v50
	v_mul_i32_i24_e32 v38, v208, v51
	v_add3_u32 v13, v13, v33, v34
	v_mul_i32_i24_e32 v39, v203, v52
	v_mul_i32_i24_e32 v42, v201, v54
	v_mul_lo_u32 v12, v12, v216
	v_perm_b32 v8, v8, v8, 0xc0c0302
	v_add3_u32 v13, v13, v35, v38
	v_perm_b32 v9, v9, v9, 0xc030201
	v_perm_b32 v2, v2, v2, 0xc030201
	;; [unrolled: 1-line block ×4, first 2 shown]
	v_add3_u32 v13, v13, v39, v42
	v_perm_b32 v11, v11, v11, 0xc030201
	s_delay_alu instid0(VALU_DEP_2) | instskip(SKIP_1) | instid1(VALU_DEP_2)
	v_mad_co_u64_u32 v[12:13], null, v13, v212, v[12:13]
	v_mul_f32_e32 v13, v169, v14
	v_cvt_f32_i32_e32 v12, v12
	s_delay_alu instid0(VALU_DEP_1) | instskip(SKIP_2) | instid1(VALU_DEP_2)
	v_fmac_f32_e32 v113, v13, v12
	v_mul_i32_i24_e32 v12, v15, v223
	v_perm_b32 v13, v0, v0, 0xc0c0302
	v_mad_i32_i24 v12, v16, v224, v12
	s_delay_alu instid0(VALU_DEP_1) | instskip(SKIP_2) | instid1(VALU_DEP_3)
	v_dot4_i32_iu8 v0, v13, v254, v12 neg_lo:[1,1,0]
	v_perm_b32 v12, v1, v1, 0xc030201
	v_mul_i32_i24_e32 v1, v36, v252
	v_mad_i32_i24 v0, v17, v255, v0
	s_delay_alu instid0(VALU_DEP_2) | instskip(NEXT) | instid1(VALU_DEP_2)
	v_mad_i32_i24 v1, v37, v253, v1
	v_dot4_i32_iu8 v0, v12, v248, v0 neg_lo:[1,1,0]
	s_delay_alu instid0(VALU_DEP_2) | instskip(NEXT) | instid1(VALU_DEP_2)
	v_dot4_i32_iu8 v1, v8, v235, v1 neg_lo:[1,1,0]
	v_mad_i32_i24 v0, v21, v247, v0
	s_delay_alu instid0(VALU_DEP_2) | instskip(NEXT) | instid1(VALU_DEP_2)
	v_mad_i32_i24 v1, v41, v236, v1
	v_dot4_i32_iu8 v0, v2, v249, v0 neg_lo:[1,1,0]
	s_delay_alu instid0(VALU_DEP_2) | instskip(NEXT) | instid1(VALU_DEP_2)
	v_dot4_i32_iu8 v1, v9, v219, v1 neg_lo:[1,1,0]
	;; [unrolled: 6-line block ×3, first 2 shown]
	v_mul_lo_u32 v0, v0, v251
	s_delay_alu instid0(VALU_DEP_2) | instskip(NEXT) | instid1(VALU_DEP_1)
	v_mad_i32_i24 v1, v50, v217, v1
	v_dot4_i32_iu8 v1, v11, v221, v1 neg_lo:[1,1,0]
	s_delay_alu instid0(VALU_DEP_1) | instskip(SKIP_1) | instid1(VALU_DEP_2)
	v_mad_co_u64_u32 v[0:1], null, v1, v222, v[0:1]
	v_mul_f32_e32 v1, v168, v14
	v_cvt_f32_i32_e32 v0, v0
	s_delay_alu instid0(VALU_DEP_1) | instskip(SKIP_2) | instid1(VALU_DEP_2)
	v_fmac_f32_e32 v125, v1, v0
	v_mul_i32_i24_e32 v0, v15, v237
	v_mul_i32_i24_e32 v1, v36, v202
	v_mad_i32_i24 v0, v16, v238, v0
	s_delay_alu instid0(VALU_DEP_2) | instskip(NEXT) | instid1(VALU_DEP_2)
	v_mad_i32_i24 v1, v37, v204, v1
	v_dot4_i32_iu8 v0, v13, v240, v0 neg_lo:[1,1,0]
	s_delay_alu instid0(VALU_DEP_2) | instskip(NEXT) | instid1(VALU_DEP_2)
	v_dot4_i32_iu8 v1, v8, v206, v1 neg_lo:[1,1,0]
	v_mad_i32_i24 v0, v17, v242, v0
	s_delay_alu instid0(VALU_DEP_2) | instskip(NEXT) | instid1(VALU_DEP_2)
	v_mad_i32_i24 v1, v41, v209, v1
	v_dot4_i32_iu8 v0, v12, v243, v0 neg_lo:[1,1,0]
	s_delay_alu instid0(VALU_DEP_2) | instskip(NEXT) | instid1(VALU_DEP_2)
	v_dot4_i32_iu8 v1, v9, v211, v1 neg_lo:[1,1,0]
	;; [unrolled: 6-line block ×4, first 2 shown]
	v_mul_lo_u32 v0, v0, v246
	s_delay_alu instid0(VALU_DEP_1) | instskip(SKIP_1) | instid1(VALU_DEP_2)
	v_mad_co_u64_u32 v[0:1], null, v1, v215, v[0:1]
	v_mul_f32_e32 v1, v184, v14
	v_cvt_f32_i32_e32 v0, v0
	s_delay_alu instid0(VALU_DEP_1) | instskip(SKIP_2) | instid1(VALU_DEP_2)
	v_fmac_f32_e32 v139, v1, v0
	v_mul_i32_i24_e32 v0, v15, v225
	v_mul_i32_i24_e32 v1, v36, v171
	v_mad_i32_i24 v0, v16, v226, v0
	s_delay_alu instid0(VALU_DEP_2) | instskip(NEXT) | instid1(VALU_DEP_2)
	v_mad_i32_i24 v1, v37, v170, v1
	v_dot4_i32_iu8 v0, v13, v228, v0 neg_lo:[1,1,0]
	s_delay_alu instid0(VALU_DEP_2) | instskip(NEXT) | instid1(VALU_DEP_2)
	v_dot4_i32_iu8 v1, v8, v167, v1 neg_lo:[1,1,0]
	v_mad_i32_i24 v0, v17, v230, v0
	s_delay_alu instid0(VALU_DEP_2) | instskip(NEXT) | instid1(VALU_DEP_2)
	v_mad_i32_i24 v1, v41, v166, v1
	v_dot4_i32_iu8 v0, v12, v231, v0 neg_lo:[1,1,0]
	s_delay_alu instid0(VALU_DEP_2) | instskip(NEXT) | instid1(VALU_DEP_2)
	v_dot4_i32_iu8 v1, v9, v165, v1 neg_lo:[1,1,0]
	;; [unrolled: 6-line block ×4, first 2 shown]
	v_mul_lo_u32 v0, v0, v234
	s_delay_alu instid0(VALU_DEP_1) | instskip(SKIP_1) | instid1(VALU_DEP_2)
	v_mad_co_u64_u32 v[0:1], null, v1, v6, v[0:1]
	v_mul_f32_e32 v1, v5, v14
	v_cvt_f32_i32_e32 v0, v0
	s_delay_alu instid0(VALU_DEP_1) | instskip(SKIP_1) | instid1(VALU_DEP_1)
	v_fmac_f32_e32 v148, v1, v0
	v_or_b32_e32 v0, s17, v90
	v_lshlrev_b32_e32 v8, 2, v0
	v_lshrrev_b32_e32 v0, 1, v0
	ds_load_b32 v14, v0 offset:38816
	ds_load_b128 v[0:3], v8 offset:25344
	ds_load_b128 v[8:11], v8 offset:25360
	s_wait_dscnt 0x1
	v_bfe_i32 v15, v0, 0, 8
	v_bfe_i32 v16, v0, 8, 8
	;; [unrolled: 1-line block ×3, first 2 shown]
	v_ashrrev_i32_e32 v13, 24, v0
	v_bfe_i32 v17, v1, 0, 8
	v_mul_i32_i24_e32 v55, v172, v15
	v_bfe_i32 v18, v1, 8, 8
	v_mul_i32_i24_e32 v12, v173, v12
	v_mul_i32_i24_e32 v13, v174, v13
	v_bfe_i32 v19, v1, 16, 8
	v_mad_i32_i24 v55, v175, v16, v55
	v_ashrrev_i32_e32 v20, 24, v1
	s_wait_dscnt 0x0
	v_bfe_i32 v36, v8, 0, 8
	v_mul_i32_i24_e32 v18, v178, v18
	v_bfe_i32 v21, v2, 0, 8
	v_add3_u32 v12, v55, v12, v13
	v_mul_i32_i24_e32 v13, v179, v17
	v_bfe_i32 v22, v2, 8, 8
	v_bfe_i32 v37, v8, 8, 8
	;; [unrolled: 1-line block ×3, first 2 shown]
	v_ashrrev_i32_e32 v39, 24, v8
	v_mul_i32_i24_e32 v19, v177, v19
	v_mul_i32_i24_e32 v20, v176, v20
	v_add3_u32 v12, v12, v13, v18
	v_mul_i32_i24_e32 v13, v189, v36
	v_bfe_i32 v23, v2, 16, 8
	v_ashrrev_i32_e32 v27, 24, v2
	v_bfe_i32 v41, v9, 0, 8
	v_bfe_i32 v42, v9, 8, 8
	v_mul_i32_i24_e32 v55, v183, v21
	v_mul_i32_i24_e32 v22, v182, v22
	v_add3_u32 v12, v12, v19, v20
	v_mul_i32_i24_e32 v18, v190, v38
	v_mul_i32_i24_e32 v19, v191, v39
	v_mad_i32_i24 v13, v192, v37, v13
	v_bfe_i32 v32, v3, 0, 8
	v_bfe_i32 v33, v3, 8, 8
	;; [unrolled: 1-line block ×3, first 2 shown]
	v_ashrrev_i32_e32 v44, 24, v9
	v_mul_i32_i24_e32 v23, v181, v23
	v_mul_i32_i24_e32 v27, v180, v27
	v_add3_u32 v12, v12, v55, v22
	v_add3_u32 v13, v13, v18, v19
	v_mul_i32_i24_e32 v18, v196, v41
	v_mul_i32_i24_e32 v19, v195, v42
	v_bfe_i32 v34, v3, 16, 8
	v_ashrrev_i32_e32 v35, 24, v3
	v_bfe_i32 v45, v10, 0, 8
	v_bfe_i32 v46, v10, 8, 8
	v_mul_i32_i24_e32 v56, v188, v32
	v_mul_i32_i24_e32 v33, v187, v33
	v_add3_u32 v12, v12, v23, v27
	v_mul_i32_i24_e32 v20, v194, v43
	v_mul_i32_i24_e32 v22, v193, v44
	v_add3_u32 v13, v13, v18, v19
	v_bfe_i32 v47, v10, 16, 8
	v_ashrrev_i32_e32 v48, 24, v10
	v_mul_i32_i24_e32 v34, v186, v34
	v_mul_i32_i24_e32 v35, v185, v35
	v_add3_u32 v12, v12, v56, v33
	v_mul_i32_i24_e32 v23, v200, v45
	v_mul_i32_i24_e32 v27, v199, v46
	v_add3_u32 v13, v13, v20, v22
	v_bfe_i32 v50, v11, 0, 8
	v_bfe_i32 v51, v11, 8, 8
	v_add3_u32 v12, v12, v34, v35
	v_mul_i32_i24_e32 v33, v198, v47
	v_mul_i32_i24_e32 v34, v197, v48
	v_add3_u32 v13, v13, v23, v27
	v_bfe_i32 v52, v11, 16, 8
	v_ashrrev_i32_e32 v54, 24, v11
	v_mul_i32_i24_e32 v35, v210, v50
	v_mul_i32_i24_e32 v38, v208, v51
	v_add3_u32 v13, v13, v33, v34
	v_mul_i32_i24_e32 v39, v203, v52
	v_mul_i32_i24_e32 v42, v201, v54
	v_mul_lo_u32 v12, v12, v216
	v_perm_b32 v8, v8, v8, 0xc0c0302
	v_add3_u32 v13, v13, v35, v38
	v_perm_b32 v9, v9, v9, 0xc030201
	v_perm_b32 v2, v2, v2, 0xc030201
	;; [unrolled: 1-line block ×4, first 2 shown]
	v_add3_u32 v13, v13, v39, v42
	v_perm_b32 v11, v11, v11, 0xc030201
	s_delay_alu instid0(VALU_DEP_2) | instskip(SKIP_1) | instid1(VALU_DEP_2)
	v_mad_co_u64_u32 v[12:13], null, v13, v212, v[12:13]
	v_mul_f32_e32 v13, v169, v14
	v_cvt_f32_i32_e32 v12, v12
	s_delay_alu instid0(VALU_DEP_1) | instskip(SKIP_2) | instid1(VALU_DEP_2)
	v_fmac_f32_e32 v109, v13, v12
	v_mul_i32_i24_e32 v12, v15, v223
	v_perm_b32 v13, v0, v0, 0xc0c0302
	v_mad_i32_i24 v12, v16, v224, v12
	s_delay_alu instid0(VALU_DEP_1) | instskip(SKIP_2) | instid1(VALU_DEP_3)
	v_dot4_i32_iu8 v0, v13, v254, v12 neg_lo:[1,1,0]
	v_perm_b32 v12, v1, v1, 0xc030201
	v_mul_i32_i24_e32 v1, v36, v252
	v_mad_i32_i24 v0, v17, v255, v0
	s_delay_alu instid0(VALU_DEP_2) | instskip(NEXT) | instid1(VALU_DEP_2)
	v_mad_i32_i24 v1, v37, v253, v1
	v_dot4_i32_iu8 v0, v12, v248, v0 neg_lo:[1,1,0]
	s_delay_alu instid0(VALU_DEP_2) | instskip(NEXT) | instid1(VALU_DEP_2)
	v_dot4_i32_iu8 v1, v8, v235, v1 neg_lo:[1,1,0]
	v_mad_i32_i24 v0, v21, v247, v0
	s_delay_alu instid0(VALU_DEP_2) | instskip(NEXT) | instid1(VALU_DEP_2)
	v_mad_i32_i24 v1, v41, v236, v1
	v_dot4_i32_iu8 v0, v2, v249, v0 neg_lo:[1,1,0]
	s_delay_alu instid0(VALU_DEP_2) | instskip(NEXT) | instid1(VALU_DEP_2)
	v_dot4_i32_iu8 v1, v9, v219, v1 neg_lo:[1,1,0]
	;; [unrolled: 6-line block ×3, first 2 shown]
	v_mul_lo_u32 v0, v0, v251
	s_delay_alu instid0(VALU_DEP_2) | instskip(NEXT) | instid1(VALU_DEP_1)
	v_mad_i32_i24 v1, v50, v217, v1
	v_dot4_i32_iu8 v1, v11, v221, v1 neg_lo:[1,1,0]
	s_delay_alu instid0(VALU_DEP_1) | instskip(SKIP_1) | instid1(VALU_DEP_2)
	v_mad_co_u64_u32 v[0:1], null, v1, v222, v[0:1]
	v_mul_f32_e32 v1, v168, v14
	v_cvt_f32_i32_e32 v0, v0
	s_delay_alu instid0(VALU_DEP_1) | instskip(SKIP_2) | instid1(VALU_DEP_2)
	v_fmac_f32_e32 v120, v1, v0
	v_mul_i32_i24_e32 v0, v15, v237
	v_mul_i32_i24_e32 v1, v36, v202
	v_mad_i32_i24 v0, v16, v238, v0
	s_delay_alu instid0(VALU_DEP_2) | instskip(NEXT) | instid1(VALU_DEP_2)
	v_mad_i32_i24 v1, v37, v204, v1
	v_dot4_i32_iu8 v0, v13, v240, v0 neg_lo:[1,1,0]
	s_delay_alu instid0(VALU_DEP_2) | instskip(NEXT) | instid1(VALU_DEP_2)
	v_dot4_i32_iu8 v1, v8, v206, v1 neg_lo:[1,1,0]
	v_mad_i32_i24 v0, v17, v242, v0
	s_delay_alu instid0(VALU_DEP_2) | instskip(NEXT) | instid1(VALU_DEP_2)
	v_mad_i32_i24 v1, v41, v209, v1
	v_dot4_i32_iu8 v0, v12, v243, v0 neg_lo:[1,1,0]
	s_delay_alu instid0(VALU_DEP_2) | instskip(NEXT) | instid1(VALU_DEP_2)
	v_dot4_i32_iu8 v1, v9, v211, v1 neg_lo:[1,1,0]
	;; [unrolled: 6-line block ×4, first 2 shown]
	v_mul_lo_u32 v0, v0, v246
	s_delay_alu instid0(VALU_DEP_1) | instskip(SKIP_1) | instid1(VALU_DEP_2)
	v_mad_co_u64_u32 v[0:1], null, v1, v215, v[0:1]
	v_mul_f32_e32 v1, v184, v14
	v_cvt_f32_i32_e32 v0, v0
	s_delay_alu instid0(VALU_DEP_1) | instskip(SKIP_2) | instid1(VALU_DEP_2)
	v_fmac_f32_e32 v133, v1, v0
	v_mul_i32_i24_e32 v0, v15, v225
	v_mul_i32_i24_e32 v1, v36, v171
	v_mad_i32_i24 v0, v16, v226, v0
	s_delay_alu instid0(VALU_DEP_2) | instskip(NEXT) | instid1(VALU_DEP_2)
	v_mad_i32_i24 v1, v37, v170, v1
	v_dot4_i32_iu8 v0, v13, v228, v0 neg_lo:[1,1,0]
	s_delay_alu instid0(VALU_DEP_2) | instskip(NEXT) | instid1(VALU_DEP_2)
	v_dot4_i32_iu8 v1, v8, v167, v1 neg_lo:[1,1,0]
	v_mad_i32_i24 v0, v17, v230, v0
	s_delay_alu instid0(VALU_DEP_2) | instskip(NEXT) | instid1(VALU_DEP_2)
	v_mad_i32_i24 v1, v41, v166, v1
	v_dot4_i32_iu8 v0, v12, v231, v0 neg_lo:[1,1,0]
	s_delay_alu instid0(VALU_DEP_2) | instskip(NEXT) | instid1(VALU_DEP_2)
	v_dot4_i32_iu8 v1, v9, v165, v1 neg_lo:[1,1,0]
	;; [unrolled: 6-line block ×4, first 2 shown]
	v_mul_lo_u32 v0, v0, v234
	s_delay_alu instid0(VALU_DEP_1) | instskip(SKIP_1) | instid1(VALU_DEP_2)
	v_mad_co_u64_u32 v[0:1], null, v1, v6, v[0:1]
	v_mul_f32_e32 v1, v5, v14
	v_cvt_f32_i32_e32 v0, v0
	s_delay_alu instid0(VALU_DEP_1) | instskip(SKIP_1) | instid1(VALU_DEP_1)
	v_fmac_f32_e32 v145, v1, v0
	v_or_b32_e32 v0, s17, v91
	v_lshlrev_b32_e32 v1, 2, v0
	v_lshrrev_b32_e32 v0, 1, v0
	ds_load_b32 v48, v0 offset:38816
	ds_load_b128 v[12:15], v1 offset:25344
	ds_load_b128 v[0:3], v1 offset:25360
	s_wait_dscnt 0x1
	v_bfe_i32 v10, v12, 0, 8
	v_bfe_i32 v34, v12, 8, 8
	;; [unrolled: 1-line block ×3, first 2 shown]
	v_ashrrev_i32_e32 v17, 24, v12
	v_bfe_i32 v35, v13, 0, 8
	v_mul_i32_i24_e32 v55, v172, v10
	v_bfe_i32 v18, v13, 8, 8
	v_mul_i32_i24_e32 v16, v173, v16
	v_mul_i32_i24_e32 v17, v174, v17
	v_bfe_i32 v19, v13, 16, 8
	v_mad_i32_i24 v55, v175, v34, v55
	v_ashrrev_i32_e32 v20, 24, v13
	v_mul_i32_i24_e32 v18, v178, v18
	v_bfe_i32 v11, v14, 0, 8
	v_bfe_i32 v21, v14, 8, 8
	v_add3_u32 v16, v55, v16, v17
	v_mul_i32_i24_e32 v17, v179, v35
	v_mul_i32_i24_e32 v19, v177, v19
	;; [unrolled: 1-line block ×3, first 2 shown]
	v_bfe_i32 v22, v14, 16, 8
	v_ashrrev_i32_e32 v23, 24, v14
	v_add3_u32 v16, v16, v17, v18
	v_mul_i32_i24_e32 v55, v183, v11
	v_mul_i32_i24_e32 v21, v182, v21
	v_bfe_i32 v36, v15, 0, 8
	v_bfe_i32 v37, v15, 8, 8
	v_add3_u32 v16, v16, v19, v20
	v_mul_i32_i24_e32 v22, v181, v22
	v_mul_i32_i24_e32 v23, v180, v23
	v_bfe_i32 v38, v15, 16, 8
	v_ashrrev_i32_e32 v39, 24, v15
	v_add3_u32 v16, v16, v55, v21
	v_mul_i32_i24_e32 v56, v188, v36
	v_mul_i32_i24_e32 v37, v187, v37
	;; [unrolled: 1-line block ×4, first 2 shown]
	v_add3_u32 v16, v16, v22, v23
	s_wait_dscnt 0x0
	v_bfe_i32 v9, v0, 0, 8
	v_bfe_i32 v33, v0, 8, 8
	;; [unrolled: 1-line block ×3, first 2 shown]
	v_ashrrev_i32_e32 v42, 24, v0
	v_add3_u32 v16, v16, v56, v37
	v_bfe_i32 v8, v1, 0, 8
	v_bfe_i32 v43, v1, 8, 8
	v_mul_i32_i24_e32 v17, v190, v41
	v_mul_i32_i24_e32 v18, v191, v42
	v_add3_u32 v16, v16, v38, v39
	v_bfe_i32 v44, v1, 16, 8
	v_ashrrev_i32_e32 v45, 24, v1
	v_bfe_i32 v32, v2, 0, 8
	v_bfe_i32 v46, v2, 8, 8
	v_mul_lo_u32 v39, v16, v216
	v_mul_i32_i24_e32 v16, v189, v9
	v_mul_i32_i24_e32 v19, v194, v44
	;; [unrolled: 1-line block ×3, first 2 shown]
	v_bfe_i32 v47, v2, 16, 8
	v_ashrrev_i32_e32 v50, 24, v2
	v_mad_i32_i24 v16, v192, v33, v16
	v_mul_i32_i24_e32 v21, v200, v32
	v_mul_i32_i24_e32 v22, v199, v46
	v_bfe_i32 v27, v3, 0, 8
	v_bfe_i32 v51, v3, 8, 8
	v_add3_u32 v16, v16, v17, v18
	v_mul_i32_i24_e32 v17, v196, v8
	v_mul_i32_i24_e32 v18, v195, v43
	;; [unrolled: 1-line block ×4, first 2 shown]
	v_bfe_i32 v52, v3, 16, 8
	v_ashrrev_i32_e32 v54, 24, v3
	v_add3_u32 v16, v16, v17, v18
	v_mul_i32_i24_e32 v38, v210, v27
	v_mul_i32_i24_e32 v41, v208, v51
	;; [unrolled: 1-line block ×4, first 2 shown]
	v_add3_u32 v16, v16, v19, v20
	v_perm_b32 v174, v13, v13, 0xc030201
	v_perm_b32 v175, v14, v14, 0xc030201
	;; [unrolled: 1-line block ×4, first 2 shown]
	v_add3_u32 v16, v16, v21, v22
	s_delay_alu instid0(VALU_DEP_1) | instskip(NEXT) | instid1(VALU_DEP_1)
	v_add3_u32 v16, v16, v23, v37
	v_add3_u32 v16, v16, v38, v41
	s_delay_alu instid0(VALU_DEP_1) | instskip(NEXT) | instid1(VALU_DEP_1)
	v_add3_u32 v16, v16, v42, v43
	v_mad_co_u64_u32 v[172:173], null, v16, v212, v[39:40]
	v_mul_f32_e32 v16, v169, v48
	v_perm_b32 v173, v12, v12, 0xc0c0302
	v_perm_b32 v169, v1, v1, 0xc030201
	;; [unrolled: 1-line block ×3, first 2 shown]
	v_cvt_f32_i32_e32 v17, v172
	v_perm_b32 v172, v0, v0, 0xc0c0302
	s_delay_alu instid0(VALU_DEP_2) | instskip(SKIP_1) | instid1(VALU_DEP_1)
	v_fmac_f32_e32 v105, v16, v17
	v_mul_i32_i24_e32 v16, v10, v223
	v_mad_i32_i24 v16, v34, v224, v16
	s_delay_alu instid0(VALU_DEP_1) | instskip(NEXT) | instid1(VALU_DEP_1)
	v_dot4_i32_iu8 v12, v173, v254, v16 neg_lo:[1,1,0]
	v_mad_i32_i24 v12, v35, v255, v12
	s_delay_alu instid0(VALU_DEP_1) | instskip(NEXT) | instid1(VALU_DEP_1)
	v_dot4_i32_iu8 v12, v174, v248, v12 neg_lo:[1,1,0]
	;; [unrolled: 3-line block ×3, first 2 shown]
	v_mad_i32_i24 v4, v36, v4, v12
	v_mul_i32_i24_e32 v12, v9, v252
	s_delay_alu instid0(VALU_DEP_2) | instskip(NEXT) | instid1(VALU_DEP_2)
	v_dot4_i32_iu8 v4, v176, v250, v4 neg_lo:[1,1,0]
	v_mad_i32_i24 v12, v33, v253, v12
	s_delay_alu instid0(VALU_DEP_2) | instskip(NEXT) | instid1(VALU_DEP_2)
	v_mul_lo_u32 v4, v4, v251
	v_dot4_i32_iu8 v0, v172, v235, v12 neg_lo:[1,1,0]
	s_delay_alu instid0(VALU_DEP_1) | instskip(NEXT) | instid1(VALU_DEP_1)
	v_mad_i32_i24 v0, v8, v236, v0
	v_dot4_i32_iu8 v0, v169, v219, v0 neg_lo:[1,1,0]
	s_delay_alu instid0(VALU_DEP_1) | instskip(NEXT) | instid1(VALU_DEP_1)
	v_mad_i32_i24 v0, v32, v218, v0
	;; [unrolled: 3-line block ×3, first 2 shown]
	v_dot4_i32_iu8 v0, v1, v221, v0 neg_lo:[1,1,0]
	s_delay_alu instid0(VALU_DEP_1) | instskip(SKIP_1) | instid1(VALU_DEP_2)
	v_mad_co_u64_u32 v[3:4], null, v0, v222, v[4:5]
	v_mul_f32_e32 v0, v168, v48
	v_cvt_f32_i32_e32 v3, v3
	s_delay_alu instid0(VALU_DEP_1) | instskip(SKIP_2) | instid1(VALU_DEP_2)
	v_fmac_f32_e32 v115, v0, v3
	v_mul_i32_i24_e32 v0, v10, v237
	v_mul_i32_i24_e32 v3, v9, v202
	v_mad_i32_i24 v0, v34, v238, v0
	s_delay_alu instid0(VALU_DEP_2) | instskip(NEXT) | instid1(VALU_DEP_2)
	v_mad_i32_i24 v3, v33, v204, v3
	v_dot4_i32_iu8 v0, v173, v240, v0 neg_lo:[1,1,0]
	s_delay_alu instid0(VALU_DEP_2) | instskip(NEXT) | instid1(VALU_DEP_2)
	v_dot4_i32_iu8 v3, v172, v206, v3 neg_lo:[1,1,0]
	v_mad_i32_i24 v0, v35, v242, v0
	s_delay_alu instid0(VALU_DEP_2) | instskip(NEXT) | instid1(VALU_DEP_2)
	v_mad_i32_i24 v3, v8, v209, v3
	v_dot4_i32_iu8 v0, v174, v243, v0 neg_lo:[1,1,0]
	s_delay_alu instid0(VALU_DEP_2) | instskip(NEXT) | instid1(VALU_DEP_2)
	v_dot4_i32_iu8 v3, v169, v211, v3 neg_lo:[1,1,0]
	;; [unrolled: 6-line block ×4, first 2 shown]
	v_mul_lo_u32 v0, v0, v246
	s_delay_alu instid0(VALU_DEP_1) | instskip(SKIP_1) | instid1(VALU_DEP_2)
	v_mad_co_u64_u32 v[3:4], null, v3, v215, v[0:1]
	v_mul_f32_e32 v0, v184, v48
	v_cvt_f32_i32_e32 v3, v3
	s_delay_alu instid0(VALU_DEP_1) | instskip(SKIP_2) | instid1(VALU_DEP_2)
	v_fmac_f32_e32 v127, v0, v3
	v_mul_i32_i24_e32 v0, v10, v225
	v_mul_i32_i24_e32 v3, v9, v171
	v_mad_i32_i24 v0, v34, v226, v0
	s_delay_alu instid0(VALU_DEP_2) | instskip(NEXT) | instid1(VALU_DEP_2)
	v_mad_i32_i24 v3, v33, v170, v3
	v_dot4_i32_iu8 v0, v173, v228, v0 neg_lo:[1,1,0]
	s_delay_alu instid0(VALU_DEP_2) | instskip(NEXT) | instid1(VALU_DEP_2)
	v_dot4_i32_iu8 v3, v172, v167, v3 neg_lo:[1,1,0]
	v_mad_i32_i24 v0, v35, v230, v0
	s_delay_alu instid0(VALU_DEP_2) | instskip(NEXT) | instid1(VALU_DEP_2)
	v_mad_i32_i24 v3, v8, v166, v3
	v_dot4_i32_iu8 v0, v174, v231, v0 neg_lo:[1,1,0]
	s_delay_alu instid0(VALU_DEP_2) | instskip(NEXT) | instid1(VALU_DEP_2)
	v_dot4_i32_iu8 v3, v169, v165, v3 neg_lo:[1,1,0]
	;; [unrolled: 6-line block ×4, first 2 shown]
	v_mul_lo_u32 v0, v0, v234
	s_delay_alu instid0(VALU_DEP_1) | instskip(SKIP_1) | instid1(VALU_DEP_2)
	v_mad_co_u64_u32 v[0:1], null, v1, v6, v[0:1]
	v_mul_f32_e32 v1, v5, v48
	v_cvt_f32_i32_e32 v0, v0
	s_delay_alu instid0(VALU_DEP_1)
	v_fmac_f32_e32 v141, v1, v0
	s_cbranch_scc1 .LBB150_12
; %bb.13:                               ;   in Loop: Header=BB150_8 Depth=2
	s_cmp_eq_u32 s10, 4
	s_wait_loadcnt 0x0
	s_barrier_signal -1
	s_barrier_wait -1
	s_cselect_b32 s11, -1, 0
	global_inv scope:SCOPE_SE
	s_wait_alu 0xfffe
	s_and_b32 vcc_lo, exec_lo, s11
	s_wait_alu 0xfffe
	s_cbranch_vccz .LBB150_8
	s_branch .LBB150_5
.LBB150_14:
	s_clause 0x1
	scratch_load_b32 v6, off, off offset:220 th:TH_LOAD_LU
	scratch_load_b32 v36, off, off offset:224
	v_cvt_f16_f32_e32 v12, v30
	v_cvt_f16_f32_e64 v13, v149
	v_cvt_f16_f32_e64 v14, v154
	;; [unrolled: 1-line block ×11, first 2 shown]
	v_cvt_f16_f32_e32 v24, v123
	v_cvt_f16_f32_e64 v23, v137
	v_cvt_f16_f32_e64 v22, v147
	;; [unrolled: 1-line block ×3, first 2 shown]
	v_cvt_f16_f32_e32 v20, v118
	v_cvt_f16_f32_e64 v19, v131
	v_cvt_f16_f32_e64 v18, v144
	;; [unrolled: 1-line block ×3, first 2 shown]
	v_cvt_f16_f32_e32 v16, v113
	v_cvt_f16_f32_e32 v15, v125
	v_cvt_f16_f32_e64 v11, v139
	v_cvt_f16_f32_e64 v10, v148
	v_cvt_f16_f32_e32 v9, v109
	v_cvt_f16_f32_e32 v8, v120
	v_cvt_f16_f32_e64 v7, v133
	v_cvt_f16_f32_e64 v5, v145
	v_cvt_f16_f32_e32 v4, v105
	v_cvt_f16_f32_e32 v3, v115
	;; [unrolled: 1-line block ×3, first 2 shown]
	v_cvt_f16_f32_e64 v1, v141
	v_mov_b32_e32 v35, v28
.LBB150_15:
	s_mov_b32 s0, exec_lo
	s_wait_loadcnt 0x0
	v_cmpx_gt_u32_e64 s6, v36
	s_cbranch_execz .LBB150_66
; %bb.16:
	v_add_nc_u32_e32 v0, s14, v35
	v_mul_lo_u32 v28, v36, s12
	s_delay_alu instid0(VALU_DEP_2)
	v_cmp_gt_u32_e32 vcc_lo, s12, v0
	s_and_saveexec_b32 s1, vcc_lo
	s_cbranch_execz .LBB150_18
; %bb.17:
	s_delay_alu instid0(VALU_DEP_2) | instskip(NEXT) | instid1(VALU_DEP_1)
	v_dual_mov_b32 v36, 0 :: v_dual_add_nc_u32 v35, v0, v28
	v_lshlrev_b64_e32 v[35:36], 1, v[35:36]
	s_wait_kmcnt 0x0
	s_delay_alu instid0(VALU_DEP_1) | instskip(NEXT) | instid1(VALU_DEP_1)
	v_add_co_u32 v35, s0, s8, v35
	v_add_co_ci_u32_e64 v36, null, s9, v36, s0
	global_store_b16 v[35:36], v12, off
.LBB150_18:
	s_or_b32 exec_lo, exec_lo, s1
	v_add_nc_u32_e32 v12, 32, v0
	s_delay_alu instid0(VALU_DEP_1)
	v_cmp_gt_u32_e64 s0, s12, v12
	s_and_saveexec_b32 s2, s0
	s_cbranch_execz .LBB150_20
; %bb.19:
	v_dual_mov_b32 v36, 0 :: v_dual_add_nc_u32 v35, v12, v28
	s_delay_alu instid0(VALU_DEP_1) | instskip(SKIP_1) | instid1(VALU_DEP_1)
	v_lshlrev_b64_e32 v[35:36], 1, v[35:36]
	s_wait_kmcnt 0x0
	v_add_co_u32 v35, s1, s8, v35
	s_wait_alu 0xf1ff
	s_delay_alu instid0(VALU_DEP_2)
	v_add_co_ci_u32_e64 v36, null, s9, v36, s1
	global_store_b16 v[35:36], v13, off
.LBB150_20:
	s_wait_alu 0xfffe
	s_or_b32 exec_lo, exec_lo, s2
	v_add_nc_u32_e32 v13, 64, v0
	s_delay_alu instid0(VALU_DEP_1)
	v_cmp_gt_u32_e64 s1, s12, v13
	s_and_saveexec_b32 s3, s1
	s_cbranch_execz .LBB150_22
; %bb.21:
	v_dual_mov_b32 v36, 0 :: v_dual_add_nc_u32 v35, v13, v28
	s_delay_alu instid0(VALU_DEP_1) | instskip(SKIP_1) | instid1(VALU_DEP_1)
	v_lshlrev_b64_e32 v[35:36], 1, v[35:36]
	s_wait_kmcnt 0x0
	v_add_co_u32 v35, s2, s8, v35
	s_wait_alu 0xf1ff
	s_delay_alu instid0(VALU_DEP_2)
	v_add_co_ci_u32_e64 v36, null, s9, v36, s2
	global_store_b16 v[35:36], v14, off
.LBB150_22:
	s_wait_alu 0xfffe
	;; [unrolled: 18-line block ×3, first 2 shown]
	s_or_b32 exec_lo, exec_lo, s4
	v_add3_u32 v28, v6, s13, 8
	s_delay_alu instid0(VALU_DEP_1)
	v_cmp_gt_u32_e64 s3, s6, v28
	s_and_b32 exec_lo, exec_lo, s3
	s_cbranch_execz .LBB150_66
; %bb.25:
	v_mul_lo_u32 v28, v28, s12
	s_and_saveexec_b32 s4, vcc_lo
	s_cbranch_execnz .LBB150_67
; %bb.26:
	s_wait_alu 0xfffe
	s_or_b32 exec_lo, exec_lo, s4
	s_and_saveexec_b32 s4, s0
	s_cbranch_execnz .LBB150_68
.LBB150_27:
	s_wait_alu 0xfffe
	s_or_b32 exec_lo, exec_lo, s4
	s_and_saveexec_b32 s4, s1
	s_cbranch_execnz .LBB150_69
.LBB150_28:
	s_wait_alu 0xfffe
	s_or_b32 exec_lo, exec_lo, s4
	s_and_saveexec_b32 s4, s2
	s_cbranch_execz .LBB150_30
.LBB150_29:
	v_dual_mov_b32 v32, 0 :: v_dual_add_nc_u32 v31, v28, v14
	s_delay_alu instid0(VALU_DEP_1) | instskip(SKIP_1) | instid1(VALU_DEP_1)
	v_lshlrev_b64_e32 v[31:32], 1, v[31:32]
	s_wait_kmcnt 0x0
	v_add_co_u32 v31, s3, s8, v31
	s_wait_alu 0xf1ff
	s_delay_alu instid0(VALU_DEP_2)
	v_add_co_ci_u32_e64 v32, null, s9, v32, s3
	global_store_b16 v[31:32], v30, off
.LBB150_30:
	s_wait_alu 0xfffe
	s_or_b32 exec_lo, exec_lo, s4
	v_add3_u32 v28, v6, s13, 16
	s_delay_alu instid0(VALU_DEP_1)
	v_cmp_gt_u32_e64 s3, s6, v28
	s_and_b32 exec_lo, exec_lo, s3
	s_cbranch_execz .LBB150_66
; %bb.31:
	v_mul_lo_u32 v28, v28, s12
	s_and_saveexec_b32 s4, vcc_lo
	s_cbranch_execnz .LBB150_70
; %bb.32:
	s_wait_alu 0xfffe
	s_or_b32 exec_lo, exec_lo, s4
	s_and_saveexec_b32 s4, s0
	s_cbranch_execnz .LBB150_71
.LBB150_33:
	s_wait_alu 0xfffe
	s_or_b32 exec_lo, exec_lo, s4
	s_and_saveexec_b32 s4, s1
	s_cbranch_execnz .LBB150_72
.LBB150_34:
	s_wait_alu 0xfffe
	s_or_b32 exec_lo, exec_lo, s4
	s_and_saveexec_b32 s4, s2
	s_cbranch_execz .LBB150_36
.LBB150_35:
	v_dual_mov_b32 v27, 0 :: v_dual_add_nc_u32 v26, v28, v14
	s_delay_alu instid0(VALU_DEP_1) | instskip(SKIP_1) | instid1(VALU_DEP_1)
	v_lshlrev_b64_e32 v[26:27], 1, v[26:27]
	s_wait_kmcnt 0x0
	v_add_co_u32 v26, s3, s8, v26
	s_wait_alu 0xf1ff
	s_delay_alu instid0(VALU_DEP_2)
	v_add_co_ci_u32_e64 v27, null, s9, v27, s3
	global_store_b16 v[26:27], v25, off
.LBB150_36:
	s_wait_alu 0xfffe
	s_or_b32 exec_lo, exec_lo, s4
	v_add3_u32 v25, v6, s13, 24
	s_delay_alu instid0(VALU_DEP_1)
	v_cmp_gt_u32_e64 s3, s6, v25
	s_and_b32 exec_lo, exec_lo, s3
	s_cbranch_execz .LBB150_66
; %bb.37:
	v_mul_lo_u32 v25, v25, s12
	s_and_saveexec_b32 s4, vcc_lo
	s_cbranch_execnz .LBB150_73
; %bb.38:
	s_wait_alu 0xfffe
	s_or_b32 exec_lo, exec_lo, s4
	s_and_saveexec_b32 s4, s0
	s_cbranch_execnz .LBB150_74
.LBB150_39:
	s_wait_alu 0xfffe
	s_or_b32 exec_lo, exec_lo, s4
	s_and_saveexec_b32 s4, s1
	s_cbranch_execnz .LBB150_75
.LBB150_40:
	s_wait_alu 0xfffe
	s_or_b32 exec_lo, exec_lo, s4
	s_and_saveexec_b32 s4, s2
	s_cbranch_execz .LBB150_42
.LBB150_41:
	v_dual_mov_b32 v23, 0 :: v_dual_add_nc_u32 v22, v25, v14
	s_delay_alu instid0(VALU_DEP_1) | instskip(SKIP_1) | instid1(VALU_DEP_1)
	v_lshlrev_b64_e32 v[22:23], 1, v[22:23]
	s_wait_kmcnt 0x0
	v_add_co_u32 v22, s3, s8, v22
	s_wait_alu 0xf1ff
	s_delay_alu instid0(VALU_DEP_2)
	v_add_co_ci_u32_e64 v23, null, s9, v23, s3
	global_store_b16 v[22:23], v21, off
.LBB150_42:
	s_wait_alu 0xfffe
	s_or_b32 exec_lo, exec_lo, s4
	v_add3_u32 v21, v6, s13, 32
	s_delay_alu instid0(VALU_DEP_1)
	v_cmp_gt_u32_e64 s3, s6, v21
	s_and_b32 exec_lo, exec_lo, s3
	s_cbranch_execz .LBB150_66
; %bb.43:
	v_mul_lo_u32 v21, v21, s12
	s_and_saveexec_b32 s4, vcc_lo
	s_cbranch_execnz .LBB150_76
; %bb.44:
	s_wait_alu 0xfffe
	s_or_b32 exec_lo, exec_lo, s4
	s_and_saveexec_b32 s4, s0
	s_cbranch_execnz .LBB150_77
.LBB150_45:
	s_wait_alu 0xfffe
	s_or_b32 exec_lo, exec_lo, s4
	s_and_saveexec_b32 s4, s1
	s_cbranch_execnz .LBB150_78
.LBB150_46:
	s_wait_alu 0xfffe
	s_or_b32 exec_lo, exec_lo, s4
	s_and_saveexec_b32 s4, s2
	s_cbranch_execz .LBB150_48
.LBB150_47:
	v_dual_mov_b32 v19, 0 :: v_dual_add_nc_u32 v18, v21, v14
	s_delay_alu instid0(VALU_DEP_1) | instskip(SKIP_1) | instid1(VALU_DEP_1)
	v_lshlrev_b64_e32 v[18:19], 1, v[18:19]
	s_wait_kmcnt 0x0
	v_add_co_u32 v18, s3, s8, v18
	s_wait_alu 0xf1ff
	s_delay_alu instid0(VALU_DEP_2)
	v_add_co_ci_u32_e64 v19, null, s9, v19, s3
	global_store_b16 v[18:19], v17, off
.LBB150_48:
	s_wait_alu 0xfffe
	s_or_b32 exec_lo, exec_lo, s4
	v_add3_u32 v17, v6, s13, 40
	s_delay_alu instid0(VALU_DEP_1)
	v_cmp_gt_u32_e64 s3, s6, v17
	s_and_b32 exec_lo, exec_lo, s3
	s_cbranch_execz .LBB150_66
; %bb.49:
	v_mul_lo_u32 v17, v17, s12
	s_and_saveexec_b32 s4, vcc_lo
	s_cbranch_execnz .LBB150_79
; %bb.50:
	s_wait_alu 0xfffe
	s_or_b32 exec_lo, exec_lo, s4
	s_and_saveexec_b32 s4, s0
	s_cbranch_execnz .LBB150_80
.LBB150_51:
	s_wait_alu 0xfffe
	s_or_b32 exec_lo, exec_lo, s4
	s_and_saveexec_b32 s4, s1
	s_cbranch_execnz .LBB150_81
.LBB150_52:
	s_wait_alu 0xfffe
	s_or_b32 exec_lo, exec_lo, s4
	s_and_saveexec_b32 s4, s2
	s_cbranch_execz .LBB150_54
.LBB150_53:
	v_dual_mov_b32 v16, 0 :: v_dual_add_nc_u32 v15, v17, v14
	s_delay_alu instid0(VALU_DEP_1) | instskip(SKIP_1) | instid1(VALU_DEP_1)
	v_lshlrev_b64_e32 v[15:16], 1, v[15:16]
	s_wait_kmcnt 0x0
	v_add_co_u32 v15, s3, s8, v15
	s_wait_alu 0xf1ff
	s_delay_alu instid0(VALU_DEP_2)
	v_add_co_ci_u32_e64 v16, null, s9, v16, s3
	global_store_b16 v[15:16], v10, off
.LBB150_54:
	s_wait_alu 0xfffe
	s_or_b32 exec_lo, exec_lo, s4
	v_add3_u32 v10, v6, s13, 48
	s_delay_alu instid0(VALU_DEP_1)
	v_cmp_gt_u32_e64 s3, s6, v10
	s_and_b32 exec_lo, exec_lo, s3
	s_cbranch_execz .LBB150_66
; %bb.55:
	v_mul_lo_u32 v10, v10, s12
	s_and_saveexec_b32 s4, vcc_lo
	s_cbranch_execnz .LBB150_82
; %bb.56:
	s_wait_alu 0xfffe
	s_or_b32 exec_lo, exec_lo, s4
	s_and_saveexec_b32 s4, s0
	s_cbranch_execnz .LBB150_83
.LBB150_57:
	s_wait_alu 0xfffe
	s_or_b32 exec_lo, exec_lo, s4
	s_and_saveexec_b32 s4, s1
	s_cbranch_execnz .LBB150_84
.LBB150_58:
	s_wait_alu 0xfffe
	s_or_b32 exec_lo, exec_lo, s4
	s_and_saveexec_b32 s4, s2
	s_cbranch_execz .LBB150_60
.LBB150_59:
	v_dual_mov_b32 v8, 0 :: v_dual_add_nc_u32 v7, v10, v14
	s_delay_alu instid0(VALU_DEP_1) | instskip(SKIP_1) | instid1(VALU_DEP_1)
	v_lshlrev_b64_e32 v[7:8], 1, v[7:8]
	s_wait_kmcnt 0x0
	v_add_co_u32 v7, s3, s8, v7
	s_wait_alu 0xf1ff
	s_delay_alu instid0(VALU_DEP_2)
	v_add_co_ci_u32_e64 v8, null, s9, v8, s3
	global_store_b16 v[7:8], v5, off
.LBB150_60:
	s_wait_alu 0xfffe
	s_or_b32 exec_lo, exec_lo, s4
	v_add3_u32 v5, v6, s13, 56
	s_delay_alu instid0(VALU_DEP_1)
	v_cmp_gt_u32_e64 s3, s6, v5
	s_and_b32 exec_lo, exec_lo, s3
	s_cbranch_execz .LBB150_66
; %bb.61:
	v_mul_lo_u32 v5, v5, s12
	s_and_saveexec_b32 s3, vcc_lo
	s_cbranch_execnz .LBB150_85
; %bb.62:
	s_wait_alu 0xfffe
	s_or_b32 exec_lo, exec_lo, s3
	s_and_saveexec_b32 s3, s0
	s_cbranch_execnz .LBB150_86
.LBB150_63:
	s_wait_alu 0xfffe
	s_or_b32 exec_lo, exec_lo, s3
	s_and_saveexec_b32 s0, s1
	s_cbranch_execnz .LBB150_87
.LBB150_64:
	s_wait_alu 0xfffe
	s_or_b32 exec_lo, exec_lo, s0
	s_delay_alu instid0(SALU_CYCLE_1)
	s_and_b32 exec_lo, exec_lo, s2
	s_cbranch_execz .LBB150_66
.LBB150_65:
	v_dual_mov_b32 v3, 0 :: v_dual_add_nc_u32 v2, v5, v14
	s_delay_alu instid0(VALU_DEP_1) | instskip(SKIP_1) | instid1(VALU_DEP_1)
	v_lshlrev_b64_e32 v[2:3], 1, v[2:3]
	s_wait_kmcnt 0x0
	v_add_co_u32 v2, vcc_lo, s8, v2
	s_wait_alu 0xfffd
	s_delay_alu instid0(VALU_DEP_2)
	v_add_co_ci_u32_e64 v3, null, s9, v3, vcc_lo
	global_store_b16 v[2:3], v1, off
.LBB150_66:
	s_nop 0
	s_sendmsg sendmsg(MSG_DEALLOC_VGPRS)
	s_endpgm
.LBB150_67:
	s_delay_alu instid0(VALU_DEP_1) | instskip(NEXT) | instid1(VALU_DEP_1)
	v_dual_mov_b32 v35, 0 :: v_dual_add_nc_u32 v34, v28, v0
	v_lshlrev_b64_e32 v[34:35], 1, v[34:35]
	s_wait_kmcnt 0x0
	s_delay_alu instid0(VALU_DEP_1) | instskip(SKIP_1) | instid1(VALU_DEP_2)
	v_add_co_u32 v34, s3, s8, v34
	s_wait_alu 0xf1ff
	v_add_co_ci_u32_e64 v35, null, s9, v35, s3
	global_store_b16 v[34:35], v33, off
	s_wait_alu 0xfffe
	s_or_b32 exec_lo, exec_lo, s4
	s_and_saveexec_b32 s4, s0
	s_cbranch_execz .LBB150_27
.LBB150_68:
	s_delay_alu instid0(VALU_DEP_1) | instskip(NEXT) | instid1(VALU_DEP_1)
	v_dual_mov_b32 v34, 0 :: v_dual_add_nc_u32 v33, v28, v12
	v_lshlrev_b64_e32 v[33:34], 1, v[33:34]
	s_wait_kmcnt 0x0
	s_delay_alu instid0(VALU_DEP_1) | instskip(SKIP_1) | instid1(VALU_DEP_2)
	v_add_co_u32 v33, s3, s8, v33
	s_wait_alu 0xf1ff
	v_add_co_ci_u32_e64 v34, null, s9, v34, s3
	global_store_b16 v[33:34], v32, off
	s_wait_alu 0xfffe
	s_or_b32 exec_lo, exec_lo, s4
	s_and_saveexec_b32 s4, s1
	s_cbranch_execz .LBB150_28
.LBB150_69:
	v_dual_mov_b32 v33, 0 :: v_dual_add_nc_u32 v32, v28, v13
	s_delay_alu instid0(VALU_DEP_1) | instskip(SKIP_1) | instid1(VALU_DEP_1)
	v_lshlrev_b64_e32 v[32:33], 1, v[32:33]
	s_wait_kmcnt 0x0
	v_add_co_u32 v32, s3, s8, v32
	s_wait_alu 0xf1ff
	s_delay_alu instid0(VALU_DEP_2)
	v_add_co_ci_u32_e64 v33, null, s9, v33, s3
	global_store_b16 v[32:33], v31, off
	s_wait_alu 0xfffe
	s_or_b32 exec_lo, exec_lo, s4
	s_and_saveexec_b32 s4, s2
	s_cbranch_execnz .LBB150_29
	s_branch .LBB150_30
.LBB150_70:
	s_delay_alu instid0(VALU_DEP_1) | instskip(NEXT) | instid1(VALU_DEP_1)
	v_dual_mov_b32 v31, 0 :: v_dual_add_nc_u32 v30, v28, v0
	v_lshlrev_b64_e32 v[30:31], 1, v[30:31]
	s_wait_kmcnt 0x0
	s_delay_alu instid0(VALU_DEP_1) | instskip(SKIP_1) | instid1(VALU_DEP_2)
	v_add_co_u32 v30, s3, s8, v30
	s_wait_alu 0xf1ff
	v_add_co_ci_u32_e64 v31, null, s9, v31, s3
	global_store_b16 v[30:31], v29, off
	s_wait_alu 0xfffe
	s_or_b32 exec_lo, exec_lo, s4
	s_and_saveexec_b32 s4, s0
	s_cbranch_execz .LBB150_33
.LBB150_71:
	s_delay_alu instid0(VALU_DEP_1) | instskip(NEXT) | instid1(VALU_DEP_1)
	v_dual_mov_b32 v30, 0 :: v_dual_add_nc_u32 v29, v28, v12
	v_lshlrev_b64_e32 v[29:30], 1, v[29:30]
	s_wait_kmcnt 0x0
	s_delay_alu instid0(VALU_DEP_1) | instskip(SKIP_1) | instid1(VALU_DEP_2)
	v_add_co_u32 v29, s3, s8, v29
	s_wait_alu 0xf1ff
	v_add_co_ci_u32_e64 v30, null, s9, v30, s3
	global_store_b16 v[29:30], v27, off
	s_wait_alu 0xfffe
	s_or_b32 exec_lo, exec_lo, s4
	s_and_saveexec_b32 s4, s1
	s_cbranch_execz .LBB150_34
.LBB150_72:
	v_dual_mov_b32 v30, 0 :: v_dual_add_nc_u32 v29, v28, v13
	s_delay_alu instid0(VALU_DEP_1) | instskip(SKIP_1) | instid1(VALU_DEP_1)
	v_lshlrev_b64_e32 v[29:30], 1, v[29:30]
	s_wait_kmcnt 0x0
	v_add_co_u32 v29, s3, s8, v29
	s_wait_alu 0xf1ff
	s_delay_alu instid0(VALU_DEP_2)
	v_add_co_ci_u32_e64 v30, null, s9, v30, s3
	global_store_b16 v[29:30], v26, off
	s_wait_alu 0xfffe
	s_or_b32 exec_lo, exec_lo, s4
	s_and_saveexec_b32 s4, s2
	s_cbranch_execnz .LBB150_35
	s_branch .LBB150_36
.LBB150_73:
	s_delay_alu instid0(VALU_DEP_1) | instskip(NEXT) | instid1(VALU_DEP_1)
	v_dual_mov_b32 v27, 0 :: v_dual_add_nc_u32 v26, v25, v0
	v_lshlrev_b64_e32 v[26:27], 1, v[26:27]
	s_wait_kmcnt 0x0
	s_delay_alu instid0(VALU_DEP_1) | instskip(SKIP_1) | instid1(VALU_DEP_2)
	v_add_co_u32 v26, s3, s8, v26
	s_wait_alu 0xf1ff
	v_add_co_ci_u32_e64 v27, null, s9, v27, s3
	global_store_b16 v[26:27], v24, off
	s_wait_alu 0xfffe
	s_or_b32 exec_lo, exec_lo, s4
	s_and_saveexec_b32 s4, s0
	s_cbranch_execz .LBB150_39
.LBB150_74:
	s_delay_alu instid0(VALU_DEP_1) | instskip(NEXT) | instid1(VALU_DEP_1)
	v_dual_mov_b32 v27, 0 :: v_dual_add_nc_u32 v26, v25, v12
	v_lshlrev_b64_e32 v[26:27], 1, v[26:27]
	s_wait_kmcnt 0x0
	s_delay_alu instid0(VALU_DEP_1) | instskip(SKIP_1) | instid1(VALU_DEP_2)
	v_add_co_u32 v26, s3, s8, v26
	s_wait_alu 0xf1ff
	v_add_co_ci_u32_e64 v27, null, s9, v27, s3
	global_store_b16 v[26:27], v23, off
	s_wait_alu 0xfffe
	s_or_b32 exec_lo, exec_lo, s4
	s_and_saveexec_b32 s4, s1
	s_cbranch_execz .LBB150_40
.LBB150_75:
	v_dual_mov_b32 v24, 0 :: v_dual_add_nc_u32 v23, v25, v13
	s_delay_alu instid0(VALU_DEP_1) | instskip(SKIP_1) | instid1(VALU_DEP_1)
	v_lshlrev_b64_e32 v[23:24], 1, v[23:24]
	s_wait_kmcnt 0x0
	v_add_co_u32 v23, s3, s8, v23
	s_wait_alu 0xf1ff
	s_delay_alu instid0(VALU_DEP_2)
	v_add_co_ci_u32_e64 v24, null, s9, v24, s3
	global_store_b16 v[23:24], v22, off
	s_wait_alu 0xfffe
	s_or_b32 exec_lo, exec_lo, s4
	s_and_saveexec_b32 s4, s2
	s_cbranch_execnz .LBB150_41
	s_branch .LBB150_42
.LBB150_76:
	s_delay_alu instid0(VALU_DEP_1) | instskip(NEXT) | instid1(VALU_DEP_1)
	v_dual_mov_b32 v23, 0 :: v_dual_add_nc_u32 v22, v21, v0
	v_lshlrev_b64_e32 v[22:23], 1, v[22:23]
	s_wait_kmcnt 0x0
	s_delay_alu instid0(VALU_DEP_1) | instskip(SKIP_1) | instid1(VALU_DEP_2)
	v_add_co_u32 v22, s3, s8, v22
	s_wait_alu 0xf1ff
	v_add_co_ci_u32_e64 v23, null, s9, v23, s3
	global_store_b16 v[22:23], v20, off
	s_wait_alu 0xfffe
	s_or_b32 exec_lo, exec_lo, s4
	s_and_saveexec_b32 s4, s0
	s_cbranch_execz .LBB150_45
.LBB150_77:
	s_delay_alu instid0(VALU_DEP_1) | instskip(NEXT) | instid1(VALU_DEP_1)
	v_dual_mov_b32 v23, 0 :: v_dual_add_nc_u32 v22, v21, v12
	v_lshlrev_b64_e32 v[22:23], 1, v[22:23]
	s_wait_kmcnt 0x0
	s_delay_alu instid0(VALU_DEP_1) | instskip(SKIP_1) | instid1(VALU_DEP_2)
	v_add_co_u32 v22, s3, s8, v22
	s_wait_alu 0xf1ff
	v_add_co_ci_u32_e64 v23, null, s9, v23, s3
	global_store_b16 v[22:23], v19, off
	s_wait_alu 0xfffe
	s_or_b32 exec_lo, exec_lo, s4
	s_and_saveexec_b32 s4, s1
	s_cbranch_execz .LBB150_46
.LBB150_78:
	v_dual_mov_b32 v20, 0 :: v_dual_add_nc_u32 v19, v21, v13
	s_delay_alu instid0(VALU_DEP_1) | instskip(SKIP_1) | instid1(VALU_DEP_1)
	v_lshlrev_b64_e32 v[19:20], 1, v[19:20]
	s_wait_kmcnt 0x0
	v_add_co_u32 v19, s3, s8, v19
	s_wait_alu 0xf1ff
	s_delay_alu instid0(VALU_DEP_2)
	v_add_co_ci_u32_e64 v20, null, s9, v20, s3
	global_store_b16 v[19:20], v18, off
	s_wait_alu 0xfffe
	s_or_b32 exec_lo, exec_lo, s4
	s_and_saveexec_b32 s4, s2
	s_cbranch_execnz .LBB150_47
	s_branch .LBB150_48
.LBB150_79:
	s_delay_alu instid0(VALU_DEP_1) | instskip(NEXT) | instid1(VALU_DEP_1)
	v_dual_mov_b32 v19, 0 :: v_dual_add_nc_u32 v18, v17, v0
	v_lshlrev_b64_e32 v[18:19], 1, v[18:19]
	s_wait_kmcnt 0x0
	s_delay_alu instid0(VALU_DEP_1) | instskip(SKIP_1) | instid1(VALU_DEP_2)
	v_add_co_u32 v18, s3, s8, v18
	s_wait_alu 0xf1ff
	v_add_co_ci_u32_e64 v19, null, s9, v19, s3
	global_store_b16 v[18:19], v16, off
	s_wait_alu 0xfffe
	s_or_b32 exec_lo, exec_lo, s4
	s_and_saveexec_b32 s4, s0
	s_cbranch_execz .LBB150_51
.LBB150_80:
	s_delay_alu instid0(VALU_DEP_1) | instskip(NEXT) | instid1(VALU_DEP_1)
	v_dual_mov_b32 v19, 0 :: v_dual_add_nc_u32 v18, v17, v12
	v_lshlrev_b64_e32 v[18:19], 1, v[18:19]
	s_wait_kmcnt 0x0
	s_delay_alu instid0(VALU_DEP_1) | instskip(SKIP_1) | instid1(VALU_DEP_2)
	v_add_co_u32 v18, s3, s8, v18
	s_wait_alu 0xf1ff
	v_add_co_ci_u32_e64 v19, null, s9, v19, s3
	global_store_b16 v[18:19], v15, off
	s_wait_alu 0xfffe
	s_or_b32 exec_lo, exec_lo, s4
	s_and_saveexec_b32 s4, s1
	s_cbranch_execz .LBB150_52
.LBB150_81:
	v_dual_mov_b32 v16, 0 :: v_dual_add_nc_u32 v15, v17, v13
	s_delay_alu instid0(VALU_DEP_1) | instskip(SKIP_1) | instid1(VALU_DEP_1)
	v_lshlrev_b64_e32 v[15:16], 1, v[15:16]
	s_wait_kmcnt 0x0
	v_add_co_u32 v15, s3, s8, v15
	s_wait_alu 0xf1ff
	s_delay_alu instid0(VALU_DEP_2)
	v_add_co_ci_u32_e64 v16, null, s9, v16, s3
	global_store_b16 v[15:16], v11, off
	s_wait_alu 0xfffe
	s_or_b32 exec_lo, exec_lo, s4
	s_and_saveexec_b32 s4, s2
	s_cbranch_execnz .LBB150_53
	s_branch .LBB150_54
.LBB150_82:
	s_delay_alu instid0(VALU_DEP_1) | instskip(NEXT) | instid1(VALU_DEP_1)
	v_dual_mov_b32 v16, 0 :: v_dual_add_nc_u32 v15, v10, v0
	v_lshlrev_b64_e32 v[15:16], 1, v[15:16]
	s_wait_kmcnt 0x0
	s_delay_alu instid0(VALU_DEP_1) | instskip(SKIP_1) | instid1(VALU_DEP_2)
	v_add_co_u32 v15, s3, s8, v15
	s_wait_alu 0xf1ff
	v_add_co_ci_u32_e64 v16, null, s9, v16, s3
	global_store_b16 v[15:16], v9, off
	s_wait_alu 0xfffe
	s_or_b32 exec_lo, exec_lo, s4
	s_and_saveexec_b32 s4, s0
	s_cbranch_execz .LBB150_57
.LBB150_83:
	s_delay_alu instid0(VALU_DEP_1) | instskip(NEXT) | instid1(VALU_DEP_1)
	v_dual_mov_b32 v16, 0 :: v_dual_add_nc_u32 v15, v10, v12
	v_lshlrev_b64_e32 v[15:16], 1, v[15:16]
	s_wait_kmcnt 0x0
	s_delay_alu instid0(VALU_DEP_1) | instskip(SKIP_1) | instid1(VALU_DEP_2)
	v_add_co_u32 v15, s3, s8, v15
	s_wait_alu 0xf1ff
	v_add_co_ci_u32_e64 v16, null, s9, v16, s3
	global_store_b16 v[15:16], v8, off
	s_wait_alu 0xfffe
	s_or_b32 exec_lo, exec_lo, s4
	s_and_saveexec_b32 s4, s1
	s_cbranch_execz .LBB150_58
.LBB150_84:
	v_dual_mov_b32 v9, 0 :: v_dual_add_nc_u32 v8, v10, v13
	s_delay_alu instid0(VALU_DEP_1) | instskip(SKIP_1) | instid1(VALU_DEP_1)
	v_lshlrev_b64_e32 v[8:9], 1, v[8:9]
	s_wait_kmcnt 0x0
	v_add_co_u32 v8, s3, s8, v8
	s_wait_alu 0xf1ff
	s_delay_alu instid0(VALU_DEP_2)
	v_add_co_ci_u32_e64 v9, null, s9, v9, s3
	global_store_b16 v[8:9], v7, off
	s_wait_alu 0xfffe
	s_or_b32 exec_lo, exec_lo, s4
	s_and_saveexec_b32 s4, s2
	s_cbranch_execnz .LBB150_59
	s_branch .LBB150_60
.LBB150_85:
	s_delay_alu instid0(VALU_DEP_1) | instskip(NEXT) | instid1(VALU_DEP_1)
	v_dual_mov_b32 v7, 0 :: v_dual_add_nc_u32 v6, v5, v0
	v_lshlrev_b64_e32 v[6:7], 1, v[6:7]
	s_wait_kmcnt 0x0
	s_delay_alu instid0(VALU_DEP_1) | instskip(SKIP_1) | instid1(VALU_DEP_2)
	v_add_co_u32 v6, vcc_lo, s8, v6
	s_wait_alu 0xfffd
	v_add_co_ci_u32_e64 v7, null, s9, v7, vcc_lo
	global_store_b16 v[6:7], v4, off
	s_wait_alu 0xfffe
	s_or_b32 exec_lo, exec_lo, s3
	s_and_saveexec_b32 s3, s0
	s_cbranch_execz .LBB150_63
.LBB150_86:
	s_delay_alu instid0(VALU_DEP_1) | instskip(NEXT) | instid1(VALU_DEP_1)
	v_dual_mov_b32 v7, 0 :: v_dual_add_nc_u32 v6, v5, v12
	v_lshlrev_b64_e32 v[6:7], 1, v[6:7]
	s_wait_kmcnt 0x0
	s_delay_alu instid0(VALU_DEP_1) | instskip(SKIP_1) | instid1(VALU_DEP_2)
	v_add_co_u32 v6, vcc_lo, s8, v6
	s_wait_alu 0xfffd
	v_add_co_ci_u32_e64 v7, null, s9, v7, vcc_lo
	global_store_b16 v[6:7], v3, off
	s_wait_alu 0xfffe
	s_or_b32 exec_lo, exec_lo, s3
	s_and_saveexec_b32 s0, s1
	s_cbranch_execz .LBB150_64
.LBB150_87:
	v_dual_mov_b32 v4, 0 :: v_dual_add_nc_u32 v3, v5, v13
	s_delay_alu instid0(VALU_DEP_1) | instskip(SKIP_1) | instid1(VALU_DEP_1)
	v_lshlrev_b64_e32 v[3:4], 1, v[3:4]
	s_wait_kmcnt 0x0
	v_add_co_u32 v3, vcc_lo, s8, v3
	s_wait_alu 0xfffd
	s_delay_alu instid0(VALU_DEP_2) | instskip(SKIP_3) | instid1(SALU_CYCLE_1)
	v_add_co_ci_u32_e64 v4, null, s9, v4, vcc_lo
	global_store_b16 v[3:4], v2, off
	s_wait_alu 0xfffe
	s_or_b32 exec_lo, exec_lo, s0
	s_and_b32 exec_lo, exec_lo, s2
	s_cbranch_execnz .LBB150_65
	s_branch .LBB150_66
	.section	.rodata,"a",@progbits
	.p2align	6, 0x0
	.amdhsa_kernel _ZL12mul_mat_q3_KIN3c104HalfELb1EEvPKvS3_PT_iiiii
		.amdhsa_group_segment_fixed_size 39840
		.amdhsa_private_segment_fixed_size 232
		.amdhsa_kernarg_size 44
		.amdhsa_user_sgpr_count 2
		.amdhsa_user_sgpr_dispatch_ptr 0
		.amdhsa_user_sgpr_queue_ptr 0
		.amdhsa_user_sgpr_kernarg_segment_ptr 1
		.amdhsa_user_sgpr_dispatch_id 0
		.amdhsa_user_sgpr_private_segment_size 0
		.amdhsa_wavefront_size32 1
		.amdhsa_uses_dynamic_stack 0
		.amdhsa_enable_private_segment 1
		.amdhsa_system_sgpr_workgroup_id_x 1
		.amdhsa_system_sgpr_workgroup_id_y 1
		.amdhsa_system_sgpr_workgroup_id_z 0
		.amdhsa_system_sgpr_workgroup_info 0
		.amdhsa_system_vgpr_workitem_id 1
		.amdhsa_next_free_vgpr 256
		.amdhsa_next_free_sgpr 25
		.amdhsa_reserve_vcc 1
		.amdhsa_float_round_mode_32 0
		.amdhsa_float_round_mode_16_64 0
		.amdhsa_float_denorm_mode_32 3
		.amdhsa_float_denorm_mode_16_64 3
		.amdhsa_fp16_overflow 0
		.amdhsa_workgroup_processor_mode 1
		.amdhsa_memory_ordered 1
		.amdhsa_forward_progress 1
		.amdhsa_inst_pref_size 255
		.amdhsa_round_robin_scheduling 0
		.amdhsa_exception_fp_ieee_invalid_op 0
		.amdhsa_exception_fp_denorm_src 0
		.amdhsa_exception_fp_ieee_div_zero 0
		.amdhsa_exception_fp_ieee_overflow 0
		.amdhsa_exception_fp_ieee_underflow 0
		.amdhsa_exception_fp_ieee_inexact 0
		.amdhsa_exception_int_div_zero 0
	.end_amdhsa_kernel
	.section	.text._ZL12mul_mat_q3_KIN3c104HalfELb1EEvPKvS3_PT_iiiii,"axG",@progbits,_ZL12mul_mat_q3_KIN3c104HalfELb1EEvPKvS3_PT_iiiii,comdat
.Lfunc_end150:
	.size	_ZL12mul_mat_q3_KIN3c104HalfELb1EEvPKvS3_PT_iiiii, .Lfunc_end150-_ZL12mul_mat_q3_KIN3c104HalfELb1EEvPKvS3_PT_iiiii
                                        ; -- End function
	.set _ZL12mul_mat_q3_KIN3c104HalfELb1EEvPKvS3_PT_iiiii.num_vgpr, 256
	.set _ZL12mul_mat_q3_KIN3c104HalfELb1EEvPKvS3_PT_iiiii.num_agpr, 0
	.set _ZL12mul_mat_q3_KIN3c104HalfELb1EEvPKvS3_PT_iiiii.numbered_sgpr, 25
	.set _ZL12mul_mat_q3_KIN3c104HalfELb1EEvPKvS3_PT_iiiii.num_named_barrier, 0
	.set _ZL12mul_mat_q3_KIN3c104HalfELb1EEvPKvS3_PT_iiiii.private_seg_size, 232
	.set _ZL12mul_mat_q3_KIN3c104HalfELb1EEvPKvS3_PT_iiiii.uses_vcc, 1
	.set _ZL12mul_mat_q3_KIN3c104HalfELb1EEvPKvS3_PT_iiiii.uses_flat_scratch, 1
	.set _ZL12mul_mat_q3_KIN3c104HalfELb1EEvPKvS3_PT_iiiii.has_dyn_sized_stack, 0
	.set _ZL12mul_mat_q3_KIN3c104HalfELb1EEvPKvS3_PT_iiiii.has_recursion, 0
	.set _ZL12mul_mat_q3_KIN3c104HalfELb1EEvPKvS3_PT_iiiii.has_indirect_call, 0
	.section	.AMDGPU.csdata,"",@progbits
; Kernel info:
; codeLenInByte = 42652
; TotalNumSgprs: 27
; NumVgprs: 256
; ScratchSize: 232
; MemoryBound: 0
; FloatMode: 240
; IeeeMode: 1
; LDSByteSize: 39840 bytes/workgroup (compile time only)
; SGPRBlocks: 0
; VGPRBlocks: 31
; NumSGPRsForWavesPerEU: 27
; NumVGPRsForWavesPerEU: 256
; Occupancy: 5
; WaveLimiterHint : 0
; COMPUTE_PGM_RSRC2:SCRATCH_EN: 1
; COMPUTE_PGM_RSRC2:USER_SGPR: 2
; COMPUTE_PGM_RSRC2:TRAP_HANDLER: 0
; COMPUTE_PGM_RSRC2:TGID_X_EN: 1
; COMPUTE_PGM_RSRC2:TGID_Y_EN: 1
; COMPUTE_PGM_RSRC2:TGID_Z_EN: 0
; COMPUTE_PGM_RSRC2:TIDIG_COMP_CNT: 1
	.section	.text._ZL12mul_mat_q4_KIN3c104HalfELb0EEvPKvS3_PT_iiiii,"axG",@progbits,_ZL12mul_mat_q4_KIN3c104HalfELb0EEvPKvS3_PT_iiiii,comdat
	.globl	_ZL12mul_mat_q4_KIN3c104HalfELb0EEvPKvS3_PT_iiiii ; -- Begin function _ZL12mul_mat_q4_KIN3c104HalfELb0EEvPKvS3_PT_iiiii
	.p2align	8
	.type	_ZL12mul_mat_q4_KIN3c104HalfELb0EEvPKvS3_PT_iiiii,@function
_ZL12mul_mat_q4_KIN3c104HalfELb0EEvPKvS3_PT_iiiii: ; @_ZL12mul_mat_q4_KIN3c104HalfELb0EEvPKvS3_PT_iiiii
; %bb.0:
	s_clause 0x1
	s_load_b32 s2, s[0:1], 0x18
	s_load_b96 s[4:6], s[0:1], 0x20
	v_bfe_u32 v1, v0, 10, 10
	v_and_b32_e32 v33, 0x3ff, v0
	s_lshl_b32 s7, ttmp7, 6
	scratch_store_b32 off, v1, off offset:1844 ; 4-byte Folded Spill
	s_wait_kmcnt 0x0
	s_cmp_gt_i32 s2, 0xff
	s_cbranch_scc1 .LBB151_2
; %bb.1:
	v_bfe_u32 v4, v0, 10, 10
	v_and_b32_e32 v9, 0x3ff, v0
	s_mov_b32 s3, 0
	s_delay_alu instid0(VALU_DEP_2)
	v_add_nc_u32_e32 v10, s7, v4
	s_branch .LBB151_3
.LBB151_2:
	s_mov_b32 s3, -1
                                        ; implicit-def: $vgpr4
                                        ; implicit-def: $vgpr9
                                        ; implicit-def: $vgpr10
.LBB151_3:
	s_load_b64 s[8:9], s[0:1], 0x10
	s_lshl_b32 s14, ttmp9, 7
	s_and_not1_b32 vcc_lo, exec_lo, s3
	s_mov_b32 s11, 0
	s_cbranch_vccnz .LBB151_12
; %bb.4:
	s_ashr_i32 s3, s2, 31
	v_bfe_u32 v32, v0, 10, 10
	s_lshr_b32 s3, s3, 24
	s_add_co_i32 s10, s4, -1
	s_add_co_i32 s2, s2, s3
	v_cvt_f64_i32_e32 v[1:2], s10
	s_ashr_i32 s15, s2, 8
	v_add_nc_u32_e32 v16, s7, v32
	s_lshl_b32 s16, s15, 3
	v_lshlrev_b32_e32 v35, 5, v32
	v_mad_i32_i24 v8, s15, v32, s16
	s_delay_alu instid0(VALU_DEP_3) | instskip(SKIP_2) | instid1(VALU_DEP_3)
	v_dual_mov_b32 v56, 0 :: v_dual_add_nc_u32 v5, 8, v16
	v_lshlrev_b32_e32 v20, 2, v33
	v_cvt_f64_u32_e32 v[3:4], v16
	v_dual_mov_b32 v57, v56 :: v_dual_add_nc_u32 v12, s16, v8
	scratch_store_b32 off, v8, off offset:1848 ; 4-byte Folded Spill
	v_mov_b32_e32 v61, v56
	v_dual_mov_b32 v62, v56 :: v_dual_add_nc_u32 v9, 24, v16
	v_dual_mov_b32 v135, v56 :: v_dual_add_nc_u32 v18, s16, v12
	scratch_store_b32 off, v12, off offset:1852 ; 4-byte Folded Spill
	v_dual_mov_b32 v60, v56 :: v_dual_add_nc_u32 v11, 32, v16
	v_add_nc_u32_e32 v19, s16, v18
	s_clause 0x1
	scratch_store_b32 off, v18, off offset:1856
	scratch_store_b32 off, v16, off offset:1980
	v_cvt_f64_u32_e32 v[5:6], v5
	v_mov_b32_e32 v130, v56
	scratch_store_b32 off, v19, off offset:1860 ; 4-byte Folded Spill
	v_add_nc_u32_e32 v19, s16, v19
	v_dual_mov_b32 v66, v56 :: v_dual_add_nc_u32 v13, 40, v16
	v_dual_mov_b32 v250, v57 :: v_dual_add_nc_u32 v15, 48, v16
	v_mov_b32_e32 v150, v56
	scratch_store_b32 off, v19, off offset:1864 ; 4-byte Folded Spill
	v_add_nc_u32_e32 v19, s16, v19
	v_dual_mov_b32 v64, v56 :: v_dual_add_nc_u32 v17, 56, v16
	v_cvt_f64_u32_e32 v[9:10], v9
	v_cvt_f64_u32_e32 v[11:12], v11
	scratch_store_b32 off, v19, off offset:1872 ; 4-byte Folded Spill
	v_add_nc_u32_e32 v19, s16, v19
	v_cvt_f64_u32_e32 v[13:14], v13
	v_cvt_f64_u32_e32 v[17:18], v17
	v_dual_mov_b32 v249, v56 :: v_dual_lshlrev_b32 v28, 3, v32
	s_delay_alu instid0(VALU_DEP_4)
	v_add_nc_u32_e32 v29, s16, v19
	scratch_store_b32 off, v19, off offset:1876 ; 4-byte Folded Spill
	v_mov_b32_e32 v217, v57
	v_and_b32_e32 v19, 3, v0
	v_min_num_f64_e32 v[3:4], v[3:4], v[1:2]
	v_add_nc_u32_e32 v30, s16, v29
	scratch_store_b32 off, v29, off offset:1880 ; 4-byte Folded Spill
	v_bfe_u32 v29, v0, 2, 8
	v_cmp_gt_u32_e32 vcc_lo, 2, v19
	s_ashr_i32 s12, s5, 31
	scratch_store_b32 off, v30, off offset:1884 ; 4-byte Folded Spill
	v_add_nc_u32_e32 v30, s16, v30
	s_lshr_b32 s12, s12, 27
	v_bfe_u32 v34, v0, 5, 5
	s_add_co_i32 s5, s5, s12
	v_add_nc_u32_e32 v21, 8, v32
	scratch_store_b32 off, v30, off offset:1888 ; 4-byte Folded Spill
	v_add_nc_u32_e32 v31, s16, v30
	v_and_b32_e32 v30, 0x7c, v20
	v_min_num_f64_e32 v[5:6], v[5:6], v[1:2]
	s_ashr_i32 s5, s5, 5
	v_dual_mov_b32 v69, v57 :: v_dual_add_nc_u32 v26, 48, v32
	scratch_store_b32 off, v30, off offset:1896 ; 4-byte Folded Spill
	v_mad_u32_u24 v30, 0x84, v32, v20
	s_clause 0x1
	scratch_store_b32 off, v30, off offset:1900
	scratch_store_b32 off, v35, off offset:1260
	v_add_nc_u32_e32 v30, v35, v33
	v_add_nc_u32_e32 v35, s16, v31
	scratch_store_b32 off, v31, off offset:1892 ; 4-byte Folded Spill
	v_add_nc_u32_e32 v31, 0xfe, v19
	v_min_num_f64_e32 v[9:10], v[9:10], v[1:2]
	v_min_num_f64_e32 v[11:12], v[11:12], v[1:2]
	;; [unrolled: 1-line block ×3, first 2 shown]
	scratch_store_b32 off, v35, off offset:1904 ; 4-byte Folded Spill
	v_and_b32_e32 v31, 0xff, v31
	v_add_nc_u32_e32 v7, 16, v16
	v_cvt_f64_u32_e32 v[15:16], v15
	v_add_nc_u32_e32 v35, s16, v35
	v_cvt_i32_f64_e32 v3, v[3:4]
	v_dual_mov_b32 v49, v56 :: v_dual_add_nc_u32 v22, 16, v32
	v_cvt_f64_u32_e32 v[7:8], v7
	scratch_store_b32 off, v35, off offset:1908 ; 4-byte Folded Spill
	v_dual_mov_b32 v68, v56 :: v_dual_add_nc_u32 v35, s16, v35
	v_dual_mov_b32 v216, v56 :: v_dual_add_nc_u32 v23, 24, v32
	s_movk_i32 s18, 0x2100
	v_dual_mov_b32 v63, v56 :: v_dual_add_nc_u32 v24, 32, v32
	s_load_b128 s[0:3], s[0:1], 0x0
	v_add_nc_u32_e32 v25, 40, v32
	v_add_nc_u32_e32 v27, 56, v32
	v_cvt_i32_f64_e32 v5, v[5:6]
	s_movk_i32 s19, 0x3180
	s_mul_i32 s12, s15, s14
	s_movk_i32 s17, 0x1080
	s_ashr_i32 s13, s12, 31
	v_mul_u32_u24_e32 v160, 0x84, v33
	s_wait_alu 0xfffe
	v_mad_u32_u24 v218, 0x84, v33, s17
	s_mul_u64 s[12:13], s[12:13], 0x90
	s_wait_kmcnt 0x0
	s_add_nc_u64 s[0:1], s[0:1], s[12:13]
	v_min_num_f64_e32 v[15:16], v[15:16], v[1:2]
	v_min_num_f64_e32 v[7:8], v[7:8], v[1:2]
	;; [unrolled: 1-line block ×3, first 2 shown]
	v_and_b32_e32 v18, 0x7f, v30
	v_lshrrev_b32_e32 v17, 3, v30
	s_delay_alu instid0(VALU_DEP_2) | instskip(SKIP_1) | instid1(VALU_DEP_3)
	v_lshlrev_b32_e32 v30, 2, v18
	v_mul_i32_i24_e32 v18, s15, v18
	v_and_b32_e32 v17, 12, v17
	s_clause 0x1
	scratch_store_b32 off, v18, off offset:1916
	scratch_store_b32 off, v35, off offset:1912
	v_add_nc_u32_e32 v18, s16, v35
	v_add3_u32 v17, v30, v17, 0x6e40
	v_and_b32_e32 v30, 4, v20
	scratch_store_b32 off, v18, off offset:1920 ; 4-byte Folded Spill
	v_cndmask_b32_e32 v18, v31, v19, vcc_lo
	v_cmp_ne_u32_e32 vcc_lo, 0, v19
	s_wait_alu 0xfffd
	s_delay_alu instid0(VALU_DEP_2) | instskip(SKIP_1) | instid1(VALU_DEP_2)
	v_add_co_ci_u32_e64 v4, null, 0, v18, vcc_lo
	v_cmp_lt_u32_e32 vcc_lo, 1, v19
	v_lshlrev_b32_e32 v4, 2, v4
	v_cvt_i32_f64_e32 v6, v[7:8]
	s_wait_alu 0xfffd
	v_cndmask_b32_e32 v7, 0, v30, vcc_lo
	scratch_store_b32 off, v17, off offset:1924 ; 4-byte Folded Spill
	v_cvt_i32_f64_e32 v1, v[1:2]
	v_add_nc_u32_e32 v17, v29, v28
	scratch_store_b32 off, v7, off offset:1928 ; 4-byte Folded Spill
	v_cvt_i32_f64_e32 v7, v[9:10]
	v_cvt_i32_f64_e32 v9, v[11:12]
	;; [unrolled: 1-line block ×4, first 2 shown]
	v_add_nc_u16 v10, v29, v28
	v_and_b32_e32 v8, 0x7f, v17
	v_lshlrev_b32_e32 v14, 2, v19
	v_lshlrev_b32_e32 v16, 1, v18
	v_and_b32_e32 v17, 63, v17
	v_lshrrev_b16 v10, 1, v10
	v_xor_b32_e32 v15, 64, v8
	v_lshl_or_b32 v2, v8, 4, v14
	v_mul_i32_i24_e32 v8, s15, v8
	scratch_store_b32 off, v16, off offset:1932 ; 4-byte Folded Spill
	v_and_b32_e32 v10, 60, v10
	v_lshrrev_b32_e32 v16, 1, v15
	v_lshlrev_b32_e32 v18, 2, v34
	v_cndmask_b32_e64 v12, 0, 1, vcc_lo
	s_delay_alu instid0(VALU_DEP_4)
	v_add3_u32 v2, v2, v10, 0x6200
	scratch_store_b32 off, v8, off offset:1936 ; 4-byte Folded Spill
	v_lshl_or_b32 v8, v15, 4, v14
	v_and_b32_e32 v16, 60, v16
	v_lshl_or_b32 v14, v17, 4, v14
	scratch_store_b32 off, v2, off offset:1940 ; 4-byte Folded Spill
	v_or_b32_e32 v2, s7, v17
	v_mul_i32_i24_e32 v10, s15, v15
	v_add3_u32 v8, v8, v16, 0x6200
	v_add3_u32 v18, v18, v20, 0x6e40
	v_lshlrev_b32_e32 v17, 7, v27
	v_min_i32_e32 v2, s10, v2
	s_mov_b32 s10, s11
	scratch_store_b32 off, v18, off offset:1788 ; 4-byte Folded Spill
	v_mul_lo_u32 v1, s5, v1
	v_mad_co_u64_u32 v[15:16], null, v2, s5, v[19:20]
	v_add_nc_u32_e32 v2, 0x6a40, v14
	v_add_nc_u32_e32 v14, 0x60, v33
	scratch_store_b32 off, v2, off offset:1752 ; 4-byte Folded Spill
	v_mul_lo_u32 v2, s5, v3
	v_mul_lo_u32 v3, s5, v5
	;; [unrolled: 1-line block ×7, first 2 shown]
	v_add_nc_u32_e32 v13, 64, v33
	s_clause 0x1
	scratch_store_b32 off, v11, off offset:1780
	scratch_store_b64 off, v[15:16], off offset:1952
	v_add_nc_u32_e32 v11, 32, v33
	v_lshrrev_b32_e32 v16, 3, v14
	v_lshlrev_b32_e32 v15, 7, v26
	s_delay_alu instid0(VALU_DEP_3) | instskip(NEXT) | instid1(VALU_DEP_3)
	v_lshrrev_b32_e32 v30, 3, v11
	v_and_b32_e32 v29, 60, v16
	v_lshlrev_b32_e32 v169, 4, v11
	v_lshlrev_b32_e32 v11, 4, v13
	s_delay_alu instid0(VALU_DEP_4)
	v_and_b32_e32 v19, 60, v30
	scratch_store_b32 off, v11, off offset:1304 ; 4-byte Folded Spill
	v_mad_u32_u24 v11, 0x84, v33, s18
	v_add3_u32 v18, v20, v19, 0x6e40
	scratch_store_b32 off, v1, off offset:1784 ; 4-byte Folded Spill
	v_lshrrev_b32_e32 v1, 3, v13
	s_clause 0x1
	scratch_store_b32 off, v11, off offset:1308
	scratch_store_b32 off, v18, off offset:1792
	v_lshlrev_b32_e32 v11, 4, v14
	v_and_b32_e32 v28, 60, v1
	s_delay_alu instid0(VALU_DEP_1)
	v_add3_u32 v18, v20, v28, 0x6e40
	scratch_store_b32 off, v18, off offset:1796 ; 4-byte Folded Spill
	v_add3_u32 v18, v20, v29, 0x6e40
	scratch_store_b32 off, v18, off offset:1800 ; 4-byte Folded Spill
	v_lshlrev_b32_e32 v18, 5, v21
	s_clause 0x1
	scratch_store_b32 off, v18, off offset:1264
	scratch_store_b32 off, v9, off offset:1776
	v_lshlrev_b32_e32 v18, 5, v22
	v_lshlrev_b32_e32 v9, 7, v25
	s_clause 0x1
	scratch_store_b32 off, v18, off offset:1268
	scratch_store_b32 off, v34, off offset:1868
	v_lshlrev_b32_e32 v18, 5, v23
	s_clause 0x1
	scratch_store_b32 off, v10, off offset:1944
	scratch_store_b32 off, v2, off offset:1756
	v_and_b32_e32 v10, 31, v0
	v_lshlrev_b32_e32 v2, 7, v32
	scratch_store_b32 off, v18, off offset:1272 ; 4-byte Folded Spill
	v_lshlrev_b32_e32 v18, 5, v24
	s_clause 0x1
	scratch_store_b32 off, v8, off offset:1948
	scratch_store_b32 off, v3, off offset:1760
	v_and_b32_e32 v8, 28, v20
	v_lshl_or_b32 v10, v10, 2, 0x4200
	scratch_store_b32 off, v18, off offset:1276 ; 4-byte Folded Spill
	v_lshlrev_b32_e32 v18, 5, v25
	scratch_store_b32 off, v5, off offset:1764 ; 4-byte Folded Spill
	v_add_co_u32 v13, s5, s2, v8
	v_lshlrev_b32_e32 v3, 7, v21
	scratch_store_b32 off, v18, off offset:1280 ; 4-byte Folded Spill
	v_lshlrev_b32_e32 v18, 5, v26
	scratch_store_b32 off, v6, off offset:1768 ; 4-byte Folded Spill
	s_wait_alu 0xf1ff
	v_add_co_ci_u32_e64 v14, null, s3, 0, s5
	v_add_nc_u32_e32 v2, v10, v2
	scratch_store_b32 off, v18, off offset:1284 ; 4-byte Folded Spill
	v_lshlrev_b32_e32 v18, 5, v27
	scratch_store_b32 off, v7, off offset:1772 ; 4-byte Folded Spill
	v_lshlrev_b32_e32 v5, 7, v22
	v_lshlrev_b32_e32 v6, 7, v23
	;; [unrolled: 1-line block ×3, first 2 shown]
	s_clause 0x2
	scratch_store_b32 off, v18, off offset:1288
	scratch_store_b32 off, v11, off offset:1312
	;; [unrolled: 1-line block ×3, first 2 shown]
	v_mad_u32_u24 v11, 0x84, v33, s19
	s_clause 0x2
	scratch_store_b64 off, v[13:14], off offset:1804
	scratch_store_b32 off, v4, off offset:1968
	scratch_store_b32 off, v2, off offset:1812
	v_lshlrev_b32_e32 v4, 2, v12
	scratch_store_b32 off, v11, off offset:1316 ; 4-byte Folded Spill
	v_add_nc_u32_e32 v2, v10, v3
	v_bfe_u32 v0, v0, 3, 7
	s_clause 0x1
	scratch_store_b32 off, v4, off offset:1972
	scratch_store_b32 off, v2, off offset:1816
	v_add_nc_u32_e32 v2, v10, v5
	scratch_store_b32 off, v2, off offset:1820 ; 4-byte Folded Spill
	v_add_nc_u32_e32 v2, v10, v6
	scratch_store_b32 off, v2, off offset:1824 ; 4-byte Folded Spill
	;; [unrolled: 2-line block ×5, first 2 shown]
	v_add_nc_u32_e32 v2, v10, v17
	s_clause 0x1
	scratch_store_b32 off, v2, off offset:1840
	scratch_store_b32 off, v0, off offset:1964
	v_lshlrev_b32_e32 v0, 2, v0
	scratch_store_b32 off, v0, off offset:1320 ; 4-byte Folded Spill
	v_lshlrev_b32_e32 v0, 2, v20
	s_clause 0x1
	scratch_store_b32 off, v0, off offset:1324
	scratch_store_b32 off, v30, off offset:1960
	v_lshlrev_b32_e32 v0, 2, v30
	scratch_store_b32 off, v0, off offset:1328 ; 4-byte Folded Spill
	v_lshlrev_b32_e32 v0, 2, v1
	scratch_store_b32 off, v0, off offset:1332 ; 4-byte Folded Spill
	;; [unrolled: 2-line block ×3, first 2 shown]
	v_mov_b32_e32 v0, v56
	s_clause 0x10
	scratch_store_b32 off, v0, off offset:604
	scratch_store_b32 off, v0, off offset:600
	;; [unrolled: 1-line block ×11, first 2 shown]
	scratch_store_b64 off, v[56:57], off offset:628
	scratch_store_b64 off, v[56:57], off offset:612
	;; [unrolled: 1-line block ×3, first 2 shown]
	scratch_store_b32 off, v160, off offset:1292
	scratch_store_b32 off, v169, off offset:1296
	;; [unrolled: 1-line block ×3, first 2 shown]
.LBB151_5:                              ; =>This Loop Header: Depth=1
                                        ;     Child Loop BB151_6 Depth 2
                                        ;     Child Loop BB151_8 Depth 2
	scratch_store_b64 off, v[68:69], off offset:540 ; 8-byte Folded Spill
	s_wait_loadcnt 0x0
	s_clause 0x4
	scratch_store_b32 off, v66, off offset:536
	scratch_store_b32 off, v64, off offset:532
	;; [unrolled: 1-line block ×5, first 2 shown]
	s_clause 0xa
	scratch_load_b32 v0, off, off offset:1868
	scratch_load_b32 v2, off, off offset:1844
	;; [unrolled: 1-line block ×11, first 2 shown]
	s_wait_alu 0xfffe
	s_mul_u64 s[12:13], s[10:11], 0x90
	s_lshl_b32 s5, s10, 3
	s_wait_alu 0xfffe
	s_add_nc_u64 s[12:13], s[0:1], s[12:13]
	s_mov_b32 s17, 0
	s_wait_loadcnt 0xa
	s_wait_alu 0xfffe
	v_mad_co_u64_u32 v[0:1], null, 0x90, v0, s[12:13]
	s_wait_loadcnt 0x9
	v_mul_i32_i24_e32 v2, s15, v2
	s_delay_alu instid0(VALU_DEP_1)
	v_mad_co_u64_u32 v[2:3], null, 0x90, v2, v[0:1]
	s_wait_loadcnt 0x8
	v_mad_co_u64_u32 v[4:5], null, 0x90, v4, v[0:1]
	s_wait_loadcnt 0x7
	;; [unrolled: 2-line block ×4, first 2 shown]
	v_add_co_u32 v2, vcc_lo, v2, v28
	v_mad_co_u64_u32 v[10:11], null, 0x90, v10, v[0:1]
	s_wait_alu 0xfffd
	v_add_co_ci_u32_e64 v3, null, 0, v3, vcc_lo
	v_add_co_u32 v4, vcc_lo, v4, v28
	v_mad_co_u64_u32 v[12:13], null, 0x90, v12, v[0:1]
	s_wait_alu 0xfffd
	v_add_co_ci_u32_e64 v5, null, 0, v5, vcc_lo
	;; [unrolled: 4-line block ×3, first 2 shown]
	v_add_co_u32 v8, vcc_lo, v8, v28
	s_wait_loadcnt 0x1
	v_mad_co_u64_u32 v[16:17], null, 0x90, v16, v[0:1]
	s_wait_alu 0xfffd
	v_add_co_ci_u32_e64 v9, null, 0, v9, vcc_lo
	v_add_co_u32 v10, vcc_lo, v10, v28
	s_wait_alu 0xfffd
	v_add_co_ci_u32_e64 v11, null, 0, v11, vcc_lo
	v_add_co_u32 v12, vcc_lo, v12, v28
	;; [unrolled: 3-line block ×4, first 2 shown]
	s_wait_alu 0xfffd
	v_add_co_ci_u32_e64 v17, null, 0, v17, vcc_lo
	s_clause 0x7
	global_load_b32 v20, v[2:3], off offset:16
	global_load_b32 v21, v[4:5], off offset:16
	;; [unrolled: 1-line block ×8, first 2 shown]
	s_clause 0x6
	scratch_load_b32 v2, off, off offset:1884
	scratch_load_b32 v6, off, off offset:1888
	;; [unrolled: 1-line block ×7, first 2 shown]
	s_wait_loadcnt 0xf
	v_mad_co_u64_u32 v[18:19], null, 0x90, v18, v[0:1]
	s_delay_alu instid0(VALU_DEP_1) | instskip(SKIP_1) | instid1(VALU_DEP_2)
	v_add_co_u32 v4, vcc_lo, v18, v28
	s_wait_alu 0xfffd
	v_add_co_ci_u32_e64 v5, null, 0, v19, vcc_lo
	s_wait_loadcnt 0x6
	v_mad_co_u64_u32 v[2:3], null, 0x90, v2, v[0:1]
	s_wait_loadcnt 0x5
	v_mad_co_u64_u32 v[6:7], null, 0x90, v6, v[0:1]
	;; [unrolled: 2-line block ×4, first 2 shown]
	s_delay_alu instid0(VALU_DEP_4)
	v_add_co_u32 v2, vcc_lo, v2, v28
	s_wait_loadcnt 0x2
	v_mad_co_u64_u32 v[12:13], null, 0x90, v12, v[0:1]
	s_wait_alu 0xfffd
	v_add_co_ci_u32_e64 v3, null, 0, v3, vcc_lo
	v_add_co_u32 v6, vcc_lo, v6, v28
	s_wait_loadcnt 0x1
	v_mad_co_u64_u32 v[14:15], null, 0x90, v14, v[0:1]
	s_wait_alu 0xfffd
	v_add_co_ci_u32_e64 v7, null, 0, v7, vcc_lo
	;; [unrolled: 5-line block ×3, first 2 shown]
	v_add_co_u32 v10, vcc_lo, v10, v28
	s_wait_alu 0xfffd
	v_add_co_ci_u32_e64 v11, null, 0, v11, vcc_lo
	v_add_co_u32 v12, vcc_lo, v12, v28
	s_wait_alu 0xfffd
	v_add_co_ci_u32_e64 v13, null, 0, v13, vcc_lo
	v_add_co_u32 v14, vcc_lo, v14, v28
	scratch_load_b32 v16, off, off offset:1936 ; 4-byte Folded Reload
	s_wait_alu 0xfffd
	v_add_co_ci_u32_e64 v15, null, 0, v15, vcc_lo
	v_add_co_u32 v0, vcc_lo, v0, v28
	s_wait_alu 0xfffd
	v_add_co_ci_u32_e64 v1, null, 0, v1, vcc_lo
	s_clause 0x7
	global_load_b32 v28, v[4:5], off offset:16
	global_load_b32 v29, v[2:3], off offset:16
	;; [unrolled: 1-line block ×8, first 2 shown]
	s_clause 0x4
	scratch_load_b32 v0, off, off offset:1916
	scratch_load_b32 v2, off, off offset:1944
	;; [unrolled: 1-line block ×5, first 2 shown]
	s_wait_loadcnt 0xd
	v_mad_co_u64_u32 v[16:17], null, 0x90, v16, s[12:13]
	s_wait_loadcnt 0x4
	v_mad_co_u64_u32 v[0:1], null, 0x90, v0, s[12:13]
	s_wait_loadcnt 0x2
	s_delay_alu instid0(VALU_DEP_2)
	v_add_co_u32 v4, vcc_lo, v16, v8
	s_wait_loadcnt 0x0
	v_add_nc_u32_e32 v14, s5, v10
	scratch_load_b32 v10, off, off offset:1756 ; 4-byte Folded Reload
	v_mad_co_u64_u32 v[2:3], null, 0x90, v2, s[12:13]
	s_wait_alu 0xfffd
	v_add_co_ci_u32_e64 v5, null, 0, v17, vcc_lo
	v_add_co_u32 v6, vcc_lo, v16, v11
	s_wait_alu 0xfffd
	v_add_co_ci_u32_e64 v7, null, 0, v17, vcc_lo
	s_delay_alu instid0(VALU_DEP_4)
	v_add_co_u32 v8, vcc_lo, v2, v8
	s_wait_alu 0xfffd
	v_add_co_ci_u32_e64 v9, null, 0, v3, vcc_lo
	v_add_co_u32 v2, vcc_lo, v2, v11
	s_wait_alu 0xfffd
	v_add_co_ci_u32_e64 v3, null, 0, v3, vcc_lo
	s_clause 0x3
	global_load_b32 v36, v[4:5], off offset:4
	global_load_b32 v37, v[6:7], off offset:4
	;; [unrolled: 1-line block ×4, first 2 shown]
	s_clause 0x7
	scratch_load_b64 v[2:3], off, off offset:1952
	scratch_load_b64 v[40:41], off, off offset:1804
	scratch_load_b32 v9, off, off offset:1776
	scratch_load_b32 v12, off, off offset:1780
	scratch_load_b32 v17, off, off offset:1784
	scratch_load_b32 v5, off, off offset:1764
	scratch_load_b32 v7, off, off offset:1768
	scratch_load_b32 v11, off, off offset:1772
	s_mov_b32 s12, -1
	s_wait_loadcnt 0xc
	v_add_nc_u32_e32 v10, v14, v10
	s_wait_loadcnt 0x7
	v_add_nc_u32_e32 v13, s5, v2
	scratch_load_b32 v2, off, off offset:1760 ; 4-byte Folded Reload
	s_wait_loadcnt 0x5
	v_add_nc_u32_e32 v16, v14, v12
	s_wait_loadcnt 0x4
	v_add_nc_u32_e32 v18, v14, v17
	scratch_store_b32 off, v13, off offset:1692 ; 4-byte Folded Spill
	v_mad_co_u64_u32 v[12:13], null, v13, 36, s[2:3]
	v_mad_co_i64_i32 v[16:17], null, v16, 36, v[40:41]
	v_mad_co_i64_i32 v[18:19], null, v18, 36, v[40:41]
	s_wait_loadcnt 0x3
	v_add_nc_u32_e32 v6, v14, v5
	s_wait_loadcnt 0x2
	v_add_nc_u32_e32 v8, v14, v7
	;; [unrolled: 2-line block ×3, first 2 shown]
	v_mad_co_i64_i32 v[6:7], null, v6, 36, v[40:41]
	s_wait_loadcnt 0x0
	v_add_nc_u32_e32 v4, v14, v2
	v_mad_co_i64_i32 v[2:3], null, v10, 36, v[40:41]
	v_add_nc_u32_e32 v10, v14, v9
	v_mad_co_i64_i32 v[8:9], null, v8, 36, v[40:41]
	s_delay_alu instid0(VALU_DEP_4) | instskip(NEXT) | instid1(VALU_DEP_3)
	v_mad_co_i64_i32 v[4:5], null, v4, 36, v[40:41]
	v_mad_co_i64_i32 v[10:11], null, v10, 36, v[40:41]
	;; [unrolled: 1-line block ×3, first 2 shown]
	s_clause 0x2
	global_load_b32 v6, v[6:7], off offset:4
	global_load_b32 v7, v[10:11], off offset:4
	global_load_b32 v10, v[12:13], off
	global_load_b32 v0, v[0:1], off
	s_clause 0x5
	global_load_b32 v1, v[2:3], off offset:4
	global_load_b32 v2, v[8:9], off offset:4
	;; [unrolled: 1-line block ×6, first 2 shown]
	s_clause 0x2
	scratch_load_b32 v46, off, off offset:1900
	scratch_load_b32 v44, off, off offset:1928
	;; [unrolled: 1-line block ×3, first 2 shown]
	s_wait_loadcnt 0x2
	v_add_nc_u32_e32 v5, 0x420, v46
	v_add_nc_u32_e32 v11, 0x840, v46
	;; [unrolled: 1-line block ×14, first 2 shown]
	s_wait_loadcnt 0x1
	v_ashrrev_i32_e32 v36, v44, v36
	v_ashrrev_i32_e32 v38, v44, v38
	v_add_nc_u32_e32 v44, 0x3de0, v46
	ds_store_b32 v46, v20
	ds_store_b32 v5, v21
	;; [unrolled: 1-line block ×16, first 2 shown]
	scratch_load_b32 v11, off, off offset:1820 ; 4-byte Folded Reload
	s_wait_loadcnt 0x1
	v_ashrrev_i32_e32 v37, v47, v37
	v_and_b32_e32 v36, 0xf0f0f0f, v36
	v_ashrrev_i32_e32 v39, v47, v39
	v_and_b32_e32 v38, 0xf0f0f0f, v38
	s_delay_alu instid0(VALU_DEP_3)
	v_and_or_b32 v5, 0x30303030, v37, v36
	s_wait_loadcnt 0x0
	ds_store_b32 v11, v6
	scratch_load_b32 v6, off, off offset:1832 ; 4-byte Folded Reload
	s_wait_loadcnt 0x0
	ds_store_b32 v6, v7
	s_clause 0x1
	scratch_load_b32 v7, off, off offset:1924
	scratch_load_b32 v6, off, off offset:1752
	s_wait_loadcnt 0x1
	ds_store_b32 v7, v0
	scratch_load_b32 v0, off, off offset:1940 ; 4-byte Folded Reload
	s_wait_loadcnt 0x0
	ds_store_b32 v0, v5
	scratch_load_b32 v0, off, off offset:1812 ; 4-byte Folded Reload
	ds_store_b32 v6, v10
	v_and_or_b32 v6, 0x30303030, v39, v38
	s_wait_loadcnt 0x0
	ds_store_b32 v0, v1
	scratch_load_b32 v0, off, off offset:1824 ; 4-byte Folded Reload
	s_wait_loadcnt 0x0
	ds_store_b32 v0, v2
	scratch_load_b32 v0, off, off offset:1836 ; 4-byte Folded Reload
	s_wait_loadcnt 0x0
	ds_store_b32 v0, v3
	scratch_load_b32 v0, off, off offset:1948 ; 4-byte Folded Reload
	s_wait_loadcnt 0x0
	ds_store_b32 v0, v6
	scratch_load_b32 v0, off, off offset:1816 ; 4-byte Folded Reload
	s_wait_loadcnt 0x0
	ds_store_b32 v0, v4
	scratch_load_b32 v0, off, off offset:1828 ; 4-byte Folded Reload
	s_wait_loadcnt 0x0
	ds_store_b32 v0, v9
	scratch_load_b32 v0, off, off offset:1840 ; 4-byte Folded Reload
	s_wait_loadcnt 0x0
	ds_store_b32 v0, v8
	s_wait_storecnt_dscnt 0x0
	s_barrier_signal -1
	s_barrier_wait -1
	global_inv scope:SCOPE_SE
	s_clause 0x3
	scratch_load_b32 v0, off, off offset:1788
	scratch_load_b32 v1, off, off offset:1792
	;; [unrolled: 1-line block ×4, first 2 shown]
	s_wait_loadcnt 0x3
	ds_load_b32 v0, v0
	s_wait_loadcnt 0x2
	ds_load_b32 v1, v1 offset:128
	s_wait_loadcnt 0x1
	ds_load_b32 v2, v2 offset:256
	;; [unrolled: 2-line block ×3, first 2 shown]
	s_wait_dscnt 0x3
	v_cvt_f32_f16_e32 v6, v0
	s_wait_dscnt 0x2
	v_lshrrev_b32_e32 v4, 16, v1
	v_cvt_f32_f16_e32 v1, v1
	s_wait_dscnt 0x1
	v_lshrrev_b32_e32 v5, 16, v2
	v_lshrrev_b32_e32 v0, 16, v0
	scratch_store_b32 off, v1, off offset:1096 ; 4-byte Folded Spill
	v_cvt_f32_f16_e32 v1, v2
	v_cvt_f32_f16_e32 v2, v4
	;; [unrolled: 1-line block ×3, first 2 shown]
	scratch_store_b32 off, v2, off offset:1104 ; 4-byte Folded Spill
	v_cvt_f32_f16_e32 v2, v5
	scratch_store_b32 off, v2, off offset:1108 ; 4-byte Folded Spill
	s_wait_dscnt 0x0
	v_cvt_f32_f16_e32 v2, v3
	scratch_store_b32 off, v1, off offset:1100 ; 4-byte Folded Spill
	v_lshrrev_b32_e32 v1, 16, v3
	scratch_store_b32 off, v2, off offset:556 ; 4-byte Folded Spill
	v_cvt_f32_f16_e32 v1, v1
	s_clause 0x4
	scratch_store_b32 off, v1, off offset:560
	scratch_store_b32 off, v6, off offset:548
	;; [unrolled: 1-line block ×5, first 2 shown]
.LBB151_6:                              ;   Parent Loop BB151_5 Depth=1
                                        ; =>  This Inner Loop Header: Depth=2
	s_clause 0x6
	scratch_store_b64 off, v[249:250], off offset:668
	scratch_store_b64 off, v[216:217], off offset:660
	scratch_store_b32 off, v130, off offset:656
	scratch_store_b32 off, v63, off offset:652
	scratch_store_b32 off, v150, off offset:648
	scratch_store_b32 off, v49, off offset:644
	scratch_store_b32 off, v135, off offset:640
	scratch_load_b32 v0, off, off offset:1260 ; 4-byte Folded Reload
	s_wait_alu 0xfffe
	s_lshl_b32 s13, s17, 1
	s_lshr_b32 s16, s17, 2
	s_lshl_b32 s17, s17, 2
	s_wait_alu 0xfffe
	s_addk_co_i32 s16, 0x6200
	v_add_nc_u32_e32 v6, s17, v160
	s_and_b32 vcc_lo, exec_lo, s12
	s_mov_b32 s12, 0
	s_wait_loadcnt 0x0
	v_or_b32_e32 v0, s13, v0
	s_delay_alu instid0(VALU_DEP_1)
	v_lshlrev_b32_e32 v14, 2, v0
	v_lshrrev_b32_e32 v0, 1, v0
	ds_load_b64 v[75:76], v0 offset:27200
	s_clause 0x1
	scratch_load_b32 v0, off, off offset:1324
	scratch_load_b32 v1, off, off offset:1320
	s_wait_loadcnt 0x0
	s_wait_alu 0xfffe
	v_add3_u32 v8, s16, v1, v0
	ds_load_2addr_b32 v[0:1], v6 offset1:1
	s_wait_dscnt 0x0
	v_bfe_u32 v36, v1, 24, 4
	v_and_b32_e32 v17, 15, v0
	v_bfe_u32 v151, v0, 8, 4
	v_bfe_u32 v160, v0, 16, 4
	;; [unrolled: 1-line block ×3, first 2 shown]
	v_dual_mov_b32 v124, v36 :: v_dual_and_b32 v27, 15, v1
	v_mov_b32_e32 v126, v17
	v_bfe_u32 v86, v0, 20, 4
	v_bfe_u32 v198, v0, 4, 4
	v_bfe_u32 v223, v0, 12, 4
	v_mov_b32_e32 v147, v27
	ds_load_2addr_b32 v[2:3], v6 offset0:2 offset1:3
	ds_load_2addr_b32 v[4:5], v6 offset0:4 offset1:5
	;; [unrolled: 1-line block ×3, first 2 shown]
	ds_load_u16 v9, v8
	ds_load_u16 v8, v8 offset:8
	v_lshrrev_b32_e32 v206, 28, v0
	v_bfe_u32 v224, v1, 12, 4
	v_bfe_u32 v28, v1, 8, 4
	;; [unrolled: 1-line block ×5, first 2 shown]
	v_lshrrev_b32_e32 v222, 28, v1
	v_mov_b32_e32 v149, v25
	v_mov_b32_e32 v119, v28
	;; [unrolled: 1-line block ×3, first 2 shown]
	s_wait_dscnt 0x4
	v_bfe_u32 v39, v2, 16, 4
	v_and_b32_e32 v37, 15, v2
	v_bfe_u32 v38, v2, 8, 4
	s_wait_dscnt 0x1
	v_lshrrev_b16 v10, 8, v9
	v_bfe_u32 v44, v3, 16, 4
	v_dual_mov_b32 v140, v39 :: v_dual_and_b32 v41, 15, v3
	v_dual_mov_b32 v138, v37 :: v_dual_and_b32 v9, 0xff, v9
	s_delay_alu instid0(VALU_DEP_4) | instskip(NEXT) | instid1(VALU_DEP_3)
	v_dual_mov_b32 v139, v38 :: v_dual_and_b32 v0, 0xffff, v10
	v_dual_mov_b32 v144, v41 :: v_dual_add_nc_u32 v43, s17, v218
	v_mov_b32_e32 v146, v44
	s_clause 0x1
	scratch_store_b32 off, v9, off offset:184
	scratch_store_b32 off, v0, off offset:176
	s_wait_dscnt 0x0
	v_cvt_f32_ubyte0_e32 v9, v8
	v_cvt_f32_ubyte1_e32 v0, v8
	ds_load_2addr_b32 v[12:13], v43 offset1:1
	v_bfe_u32 v40, v2, 24, 4
	v_bfe_u32 v42, v3, 8, 4
	s_clause 0x1
	scratch_store_b32 off, v9, off offset:180
	scratch_store_b32 off, v0, off offset:172
	scratch_load_b32 v0, off, off offset:1328 ; 4-byte Folded Reload
	v_bfe_u32 v45, v3, 24, 4
	v_and_b32_e32 v46, 15, v4
	v_bfe_u32 v47, v4, 8, 4
	v_bfe_u32 v48, v4, 16, 4
	v_bfe_u32 v50, v4, 24, 4
	v_and_b32_e32 v68, 15, v5
	v_bfe_u32 v69, v5, 8, 4
	v_bfe_u32 v70, v5, 16, 4
	;; [unrolled: 4-line block ×3, first 2 shown]
	v_bfe_u32 v116, v6, 24, 4
	v_and_b32_e32 v79, 15, v7
	s_wait_dscnt 0x0
	v_bfe_u32 v18, v12, 24, 4
	v_bfe_u32 v102, v12, 16, 4
	;; [unrolled: 1-line block ×5, first 2 shown]
	s_delay_alu instid0(VALU_DEP_4)
	v_dual_mov_b32 v232, v18 :: v_dual_mov_b32 v233, v102
	v_bfe_u32 v242, v2, 20, 4
	v_bfe_u32 v96, v2, 4, 4
	v_bfe_u32 v211, v2, 12, 4
	v_lshrrev_b32_e32 v212, 28, v2
	v_bfe_u32 v173, v3, 20, 4
	v_bfe_u32 v229, v3, 4, 4
	v_bfe_u32 v235, v3, 12, 4
	v_lshrrev_b32_e32 v179, 28, v3
	;; [unrolled: 4-line block ×6, first 2 shown]
	v_lshrrev_b32_e32 v187, 28, v13
	v_bfe_u32 v190, v13, 20, 4
	v_mov_b32_e32 v129, v68
	v_lshrrev_b32_e32 v175, 28, v12
	v_bfe_u32 v136, v12, 20, 4
	v_bfe_u32 v135, v12, 4, 4
	;; [unrolled: 1-line block ×3, first 2 shown]
	v_mov_b32_e32 v207, v242
	v_dual_mov_b32 v141, v40 :: v_dual_mov_b32 v152, v45
	v_mov_b32_e32 v158, v50
	v_mov_b32_e32 v156, v47
	v_dual_mov_b32 v150, v69 :: v_dual_mov_b32 v145, v42
	v_mov_b32_e32 v148, v70
	v_mov_b32_e32 v188, v71
	s_delay_alu instid0(VALU_DEP_3)
	v_dual_mov_b32 v208, v96 :: v_dual_mov_b32 v143, v150
	v_mov_b32_e32 v150, v114
	s_wait_loadcnt 0x0
	v_add3_u32 v0, s16, v0, v169
	scratch_store_b32 off, v0, off offset:688 ; 4-byte Folded Spill
	v_and_b32_e32 v0, 0xf0f0f0f, v12
	s_delay_alu instid0(VALU_DEP_1)
	v_lshrrev_b16 v15, 8, v0
	ds_load_b128 v[31:34], v14 offset:16896
	ds_load_b128 v[8:11], v14 offset:16912
	;; [unrolled: 1-line block ×4, first 2 shown]
	s_clause 0x2
	scratch_store_b32 off, v163, off offset:20
	scratch_store_b32 off, v162, off offset:24
	;; [unrolled: 1-line block ×3, first 2 shown]
	v_and_b32_e32 v15, 0xffff, v15
	s_clause 0xc
	scratch_store_b32 off, v232, off offset:684
	scratch_store_b32 off, v233, off offset:980
	;; [unrolled: 1-line block ×13, first 2 shown]
	s_wait_dscnt 0x3
	v_lshrrev_b16 v14, 8, v31
	v_bfe_i32 v22, v31, 0, 8
	v_lshrrev_b16 v16, 8, v32
	v_ashrrev_i32_e32 v20, 24, v31
	v_bfe_i32 v21, v31, 16, 8
	v_bfe_i32 v19, v14, 0, 8
	v_mul_i32_i24_e32 v14, v22, v17
	v_bfe_i32 v26, v32, 0, 8
	v_mul_i32_i24_e32 v23, v20, v25
	v_mul_i32_i24_e32 v17, v21, v160
	v_bfe_i32 v25, v16, 0, 8
	v_mad_i32_i24 v14, v19, v151, v14
	v_mul_i32_i24_e32 v16, v26, v27
	v_bfe_i32 v24, v32, 16, 8
	v_mul_i32_i24_e32 v51, v15, v19
	v_and_b32_e32 v15, 0xf0f0f0f, v13
	v_add3_u32 v14, v14, v17, v23
	v_mul_i32_i24_e32 v17, v25, v28
	v_ashrrev_i32_e32 v23, 24, v32
	v_lshrrev_b16 v29, 8, v33
	v_lshrrev_b16 v15, 8, v15
	v_mul_i32_i24_e32 v27, v24, v30
	v_add3_u32 v14, v14, v17, v16
	v_bfe_u32 v16, v13, 16, 4
	v_and_b32_e32 v17, 15, v13
	v_mul_i32_i24_e32 v28, v23, v36
	v_bfe_u32 v31, v13, 24, 4
	v_and_b32_e32 v15, 0xffff, v15
	s_clause 0x1
	scratch_store_b32 off, v16, off offset:848
	scratch_store_b32 off, v17, off offset:852
	v_mul_i32_i24_e32 v52, v17, v26
	v_mul_i32_i24_e32 v54, v16, v24
	ds_load_2addr_b32 v[16:17], v43 offset0:2 offset1:3
	v_add3_u32 v14, v14, v27, v28
	v_ashrrev_i32_e32 v27, 24, v33
	v_bfe_i32 v29, v29, 0, 8
	v_bfe_i32 v30, v33, 0, 8
	v_mul_i32_i24_e32 v53, v15, v25
	v_mov_b32_e32 v213, v15
	v_mul_i32_i24_e32 v55, v31, v23
	v_bfe_i32 v28, v33, 16, 8
	v_mul_i32_i24_e32 v32, v29, v38
	v_mul_i32_i24_e32 v36, v27, v40
	v_lshrrev_b16 v35, 8, v34
	v_mad_i32_i24 v55, v18, v20, v55
	v_mul_i32_i24_e32 v33, v28, v39
	v_mad_i32_i24 v54, v102, v21, v54
	s_wait_dscnt 0x1
	v_bfe_i32 v87, v1, 0, 8
	v_bfe_i32 v91, v2, 16, 8
	v_lshrrev_b16 v82, 8, v3
	v_bfe_i32 v99, v3, 0, 8
	v_ashrrev_i32_e32 v97, 24, v3
	s_wait_dscnt 0x0
	v_and_b32_e32 v15, 0xf0f0f0f, v16
	v_bfe_u32 v40, v17, 24, 4
	s_clause 0x1
	scratch_store_b32 off, v31, off offset:368
	scratch_store_b32 off, v213, off offset:364
	v_mul_i32_i24_e32 v31, v30, v37
	v_lshrrev_b16 v15, 8, v15
	v_bfe_u32 v49, v16, 24, 4
	v_lshrrev_b32_e32 v18, 28, v16
	scratch_store_b32 off, v192, off offset:704 ; 4-byte Folded Spill
	v_add3_u32 v14, v14, v32, v31
	v_bfe_u32 v31, v16, 16, 4
	v_and_b32_e32 v32, 15, v16
	v_and_b32_e32 v104, 15, v12
	;; [unrolled: 1-line block ×3, first 2 shown]
	v_add3_u32 v14, v14, v33, v36
	v_mul_i32_i24_e32 v58, v31, v28
	v_mul_i32_i24_e32 v56, v32, v30
	v_dual_mov_b32 v216, v32 :: v_dual_mov_b32 v217, v31
	v_ashrrev_i32_e32 v31, 24, v34
	v_bfe_i32 v32, v34, 16, 8
	v_bfe_i32 v33, v35, 0, 8
	v_bfe_i32 v34, v34, 0, 8
	scratch_store_b32 off, v15, off offset:856 ; 4-byte Folded Spill
	v_mul_i32_i24_e32 v57, v15, v29
	v_and_b32_e32 v15, 0xf0f0f0f, v17
	v_mul_i32_i24_e32 v36, v33, v42
	v_mul_i32_i24_e32 v35, v34, v41
	;; [unrolled: 1-line block ×4, first 2 shown]
	v_lshrrev_b16 v15, 8, v15
	v_mov_b32_e32 v234, v104
	v_add3_u32 v14, v14, v36, v35
	v_and_b32_e32 v35, 15, v17
	v_mul_i32_i24_e32 v63, v40, v31
	v_and_b32_e32 v15, 0xffff, v15
	v_bfe_i32 v36, v8, 16, 8
	v_add3_u32 v39, v14, v37, v38
	v_bfe_u32 v14, v17, 16, 4
	v_lshrrev_b16 v37, 8, v8
	v_mul_i32_i24_e32 v61, v15, v33
	v_mov_b32_e32 v219, v15
	v_mul_i32_i24_e32 v60, v35, v34
	scratch_store_b32 off, v14, off offset:500 ; 4-byte Folded Spill
	v_mul_i32_i24_e32 v62, v14, v32
	ds_load_2addr_b32 v[14:15], v43 offset0:4 offset1:5
	v_mov_b32_e32 v220, v35
	v_bfe_i32 v37, v37, 0, 8
	v_bfe_i32 v38, v8, 0, 8
	scratch_store_b32 off, v40, off offset:372 ; 4-byte Folded Spill
	v_lshrrev_b16 v41, 8, v9
	v_mov_b32_e32 v155, v46
	v_mul_i32_i24_e32 v42, v37, v47
	v_mul_i32_i24_e32 v44, v36, v48
	v_mov_b32_e32 v157, v48
	v_bfe_i32 v41, v41, 0, 8
	v_lshrrev_b16 v45, 8, v10
	scratch_store_b32 off, v49, off offset:860 ; 4-byte Folded Spill
	v_mul_i32_i24_e32 v59, v49, v27
	v_lshrrev_b16 v49, 8, v11
	v_mov_b32_e32 v237, v79
	v_bfe_i32 v45, v45, 0, 8
	v_mad_i32_i24 v52, v104, v22, v52
	v_add3_u32 v51, v51, v53, v57
	v_bfe_i32 v49, v49, 0, 8
	s_wait_dscnt 0x0
	v_and_b32_e32 v35, 0xf0f0f0f, v14
	v_bfe_u32 v67, v14, 24, 4
	v_add3_u32 v53, v54, v58, v62
	v_add3_u32 v52, v52, v56, v60
	v_add3_u32 v54, v55, v59, v63
	v_lshrrev_b16 v40, 8, v35
	v_ashrrev_i32_e32 v35, 24, v8
	v_mul_i32_i24_e32 v8, v38, v46
	scratch_store_b32 off, v67, off offset:380 ; 4-byte Folded Spill
	v_lshrrev_b16 v56, 8, v5
	v_and_b32_e32 v40, 0xffff, v40
	v_mul_i32_i24_e32 v46, v35, v50
	v_add3_u32 v8, v39, v42, v8
	v_bfe_u32 v39, v14, 16, 4
	v_and_b32_e32 v42, 15, v14
	v_mul_i32_i24_e32 v65, v40, v37
	v_mov_b32_e32 v227, v40
	v_add3_u32 v8, v8, v44, v46
	v_mul_i32_i24_e32 v66, v39, v36
	v_mul_i32_i24_e32 v64, v42, v38
	v_mov_b32_e32 v225, v42
	scratch_store_b32 off, v39, off offset:916 ; 4-byte Folded Spill
	v_and_b32_e32 v39, 0xf0f0f0f, v15
	v_bfe_i32 v42, v9, 0, 8
	v_bfe_i32 v40, v9, 16, 8
	v_mul_i32_i24_e32 v46, v41, v69
	v_bfe_u32 v50, v15, 24, 4
	v_lshrrev_b16 v44, 8, v39
	v_ashrrev_i32_e32 v39, 24, v9
	v_mul_i32_i24_e32 v9, v42, v68
	v_mul_i32_i24_e32 v47, v40, v70
	s_clause 0x1
	scratch_store_b32 off, v227, off offset:384
	scratch_store_b32 off, v219, off offset:376
	v_mul_i32_i24_e32 v48, v39, v71
	v_add3_u32 v8, v8, v46, v9
	v_and_b32_e32 v9, 0xffff, v44
	v_and_b32_e32 v44, 15, v15
	v_bfe_i32 v46, v10, 0, 8
	v_mul_i32_i24_e32 v71, v50, v39
	v_add3_u32 v47, v8, v47, v48
	v_bfe_u32 v8, v15, 16, 4
	v_mul_i32_i24_e32 v69, v9, v41
	v_mul_i32_i24_e32 v68, v44, v42
	;; [unrolled: 1-line block ×3, first 2 shown]
	v_add3_u32 v51, v51, v61, v65
	v_mul_i32_i24_e32 v70, v8, v40
	v_mov_b32_e32 v214, v8
	s_clause 0x1
	scratch_store_b32 off, v50, off offset:388
	scratch_store_b32 off, v9, off offset:396
	ds_load_2addr_b32 v[8:9], v43 offset0:6 offset1:7
	v_mul_i32_i24_e32 v50, v45, v111
	v_mov_b32_e32 v231, v72
	v_add3_u32 v54, v54, v67, v71
	v_add3_u32 v52, v52, v64, v68
	;; [unrolled: 1-line block ×3, first 2 shown]
	v_bfe_i32 v56, v56, 0, 8
	v_lshrrev_b16 v59, 8, v6
	v_lshrrev_b16 v62, 8, v7
	v_lshrrev_b32_e32 v185, 28, v17
	v_bfe_u32 v186, v17, 20, 4
	v_mul_i32_i24_e32 v61, v56, v224
	v_bfe_i32 v59, v59, 0, 8
	v_bfe_i32 v62, v62, 0, 8
	v_mul_i32_i24_e32 v94, v91, v106
	v_bfe_i32 v82, v82, 0, 8
	v_lshrrev_b32_e32 v180, 28, v14
	v_bfe_u32 v182, v14, 4, 4
	v_lshrrev_b32_e32 v178, 28, v15
	v_bfe_u32 v177, v15, 4, 4
	s_wait_dscnt 0x0
	v_and_b32_e32 v43, 0xf0f0f0f, v8
	v_bfe_u32 v252, v8, 24, 4
	s_clause 0x1
	scratch_store_b32 off, v44, off offset:400
	scratch_store_b32 off, v214, off offset:392
	v_bfe_i32 v44, v10, 16, 8
	v_lshrrev_b16 v48, 8, v43
	v_ashrrev_i32_e32 v43, 24, v10
	v_mul_i32_i24_e32 v10, v46, v72
	v_bfe_u32 v199, v9, 24, 4
	v_mul_i32_i24_e32 v72, v44, v114
	v_and_b32_e32 v48, 0xffff, v48
	v_mul_i32_i24_e32 v73, v43, v116
	v_add3_u32 v10, v47, v50, v10
	v_bfe_u32 v47, v8, 16, 4
	v_and_b32_e32 v50, 15, v8
	s_clause 0x1
	scratch_store_b32 off, v48, off offset:412
	scratch_store_b32 off, v252, off offset:404
	v_add3_u32 v10, v10, v72, v73
	scratch_store_b32 off, v47, off offset:408 ; 4-byte Folded Spill
	v_mul_i32_i24_e32 v74, v47, v44
	v_and_b32_e32 v47, 0xf0f0f0f, v9
	v_mul_i32_i24_e32 v72, v50, v46
	v_mul_i32_i24_e32 v73, v48, v45
	v_bfe_i32 v48, v11, 16, 8
	v_and_b32_e32 v200, 15, v9
	v_lshrrev_b16 v78, 8, v47
	v_ashrrev_i32_e32 v47, 24, v11
	v_mul_i32_i24_e32 v77, v252, v43
	v_mul_i32_i24_e32 v80, v48, v241
	v_bfe_u32 v197, v9, 16, 4
	v_and_b32_e32 v196, 0xffff, v78
	s_clause 0x2
	scratch_store_b32 off, v50, off offset:416
	scratch_store_b32 off, v220, off offset:428
	;; [unrolled: 1-line block ×3, first 2 shown]
	v_bfe_i32 v50, v11, 0, 8
	v_mul_i32_i24_e32 v81, v47, v189
	v_mul_i32_i24_e32 v78, v196, v49
	v_add3_u32 v51, v51, v69, v73
	s_clause 0x1
	scratch_store_b32 off, v197, off offset:700
	scratch_store_b32 off, v199, off offset:696
	v_mul_i32_i24_e32 v11, v50, v79
	v_mul_i32_i24_e32 v79, v49, v240
	;; [unrolled: 1-line block ×3, first 2 shown]
	v_bfe_u32 v153, v9, 4, 4
	v_mov_b32_e32 v137, v129
	v_mov_b32_e32 v129, v148
	v_add3_u32 v10, v10, v79, v11
	v_mul_i32_i24_e32 v79, v197, v48
	v_bfe_u32 v11, v16, 20, 4
	scratch_store_b32 off, v18, off offset:708 ; 4-byte Folded Spill
	v_mov_b32_e32 v148, v111
	v_add3_u32 v10, v10, v80, v81
	v_mul_i32_i24_e32 v80, v199, v47
	v_add3_u32 v53, v53, v74, v79
	scratch_store_b32 off, v11, off offset:712 ; 4-byte Folded Spill
	v_lshrrev_b16 v81, 8, v2
	scratch_store_b32 off, v10, off offset:1236 ; 4-byte Folded Spill
	v_mul_i32_i24_e32 v10, v200, v50
	v_bfe_u32 v183, v14, 20, 4
	v_bfe_u32 v174, v15, 20, 4
	v_bfe_i32 v81, v81, 0, 8
	v_lshrrev_b32_e32 v168, 28, v8
	v_add3_u32 v10, v52, v72, v10
	v_add3_u32 v52, v54, v77, v80
	v_bfe_i32 v54, v4, 0, 8
	v_lshrrev_b16 v80, 8, v1
	v_mul_i32_i24_e32 v93, v81, v115
	v_bfe_u32 v167, v8, 4, 4
	v_add3_u32 v51, v51, v78, v52
	v_ashrrev_i32_e32 v52, 24, v4
	v_bfe_i32 v80, v80, 0, 8
	v_lshrrev_b32_e32 v154, 28, v9
	v_bfe_i32 v98, v3, 16, 8
	v_add3_u32 v10, v10, v53, v51
	v_lshrrev_b32_e32 v51, 4, v12
	v_bfe_i32 v53, v4, 16, 8
	v_mul_i32_i24_e32 v58, v52, v206
	v_lshrrev_b32_e32 v12, 4, v13
	v_lshrrev_b32_e32 v13, 4, v16
	v_lshrrev_b16 v51, 8, v51
	v_mul_i32_i24_e32 v57, v53, v86
	v_mul_i32_i24_e32 v88, v80, v162
	v_lshrrev_b16 v12, 8, v12
	v_lshrrev_b16 v13, 8, v13
	v_and_b32_e32 v55, 15, v51
	v_lshrrev_b16 v51, 8, v4
	v_mul_i32_i24_e32 v4, v54, v198
	v_and_b32_e32 v60, 15, v12
	v_ashrrev_i32_e32 v12, 24, v5
	v_and_b32_e32 v195, 0xffff, v55
	v_bfe_i32 v51, v51, 0, 8
	v_bfe_i32 v55, v5, 16, 8
	v_and_b32_e32 v191, 0xffff, v60
	v_mul_i32_i24_e32 v64, v12, v222
	v_bfe_i32 v60, v6, 0, 8
	v_mad_i32_i24 v4, v51, v223, v4
	v_mul_i32_i24_e32 v63, v55, v209
	v_mul_i32_i24_e32 v69, v187, v12
	;; [unrolled: 1-line block ×4, first 2 shown]
	v_add3_u32 v58, v4, v57, v58
	v_bfe_i32 v57, v5, 0, 8
	v_mad_i32_i24 v69, v175, v52, v69
	v_mul_i32_i24_e32 v3, v99, v123
	v_mad_i32_i24 v68, v136, v53, v68
	scratch_store_b32 off, v234, off offset:1224 ; 4-byte Folded Spill
	v_mul_i32_i24_e32 v5, v57, v221
	v_mul_i32_i24_e32 v66, v192, v57
	v_bfe_u32 v165, v8, 20, 4
	v_bfe_u32 v159, v9, 20, 4
	s_clause 0x1
	scratch_store_b32 off, v216, off offset:680
	scratch_store_b32 off, v217, off offset:676
	v_add3_u32 v5, v58, v5, v61
	v_and_b32_e32 v61, 15, v13
	v_ashrrev_i32_e32 v13, 24, v6
	v_bfe_i32 v58, v6, 16, 8
	v_mul_i32_i24_e32 v6, v60, v96
	v_add3_u32 v5, v5, v63, v64
	v_mul_i32_i24_e32 v63, v59, v211
	v_and_b32_e32 v61, 0xffff, v61
	v_mul_i32_i24_e32 v64, v58, v242
	v_mul_i32_i24_e32 v65, v13, v212
	;; [unrolled: 1-line block ×3, first 2 shown]
	v_add3_u32 v5, v5, v6, v63
	v_bfe_u32 v6, v16, 4, 4
	v_lshrrev_b32_e32 v16, 4, v17
	scratch_store_b32 off, v61, off         ; 4-byte Folded Spill
	v_mul_i32_i24_e32 v70, v61, v59
	v_bfe_i32 v61, v7, 16, 8
	v_add3_u32 v5, v5, v64, v65
	v_lshrrev_b16 v16, 8, v16
	v_mul_i32_i24_e32 v65, v62, v235
	v_bfe_u32 v11, v17, 4, 4
	v_lshrrev_b32_e32 v17, 4, v14
	v_mul_i32_i24_e32 v73, v61, v173
	v_and_b32_e32 v63, 15, v16
	v_ashrrev_i32_e32 v16, 24, v7
	v_bfe_i32 v7, v7, 0, 8
	v_lshrrev_b16 v17, 8, v17
	s_delay_alu instid0(VALU_DEP_4) | instskip(NEXT) | instid1(VALU_DEP_4)
	v_dual_mov_b32 v193, v86 :: v_dual_and_b32 v184, 0xffff, v63
	v_mul_i32_i24_e32 v74, v16, v179
	s_delay_alu instid0(VALU_DEP_4) | instskip(NEXT) | instid1(VALU_DEP_4)
	v_mul_i32_i24_e32 v64, v7, v229
	v_and_b32_e32 v79, 15, v17
	v_ashrrev_i32_e32 v17, 24, v0
	v_bfe_i32 v63, v0, 16, 8
	v_bfe_i32 v86, v1, 16, 8
	v_add3_u32 v5, v5, v64, v65
	v_lshrrev_b16 v64, 8, v0
	v_bfe_i32 v65, v0, 0, 8
	v_mul_i32_i24_e32 v84, v63, v170
	v_mul_i32_i24_e32 v85, v17, v92
	v_add3_u32 v5, v5, v73, v74
	v_bfe_i32 v64, v64, 0, 8
	v_mul_i32_i24_e32 v0, v65, v171
	v_mul_i32_i24_e32 v89, v86, v164
	;; [unrolled: 1-line block ×6, first 2 shown]
	v_mad_i32_i24 v66, v135, v54, v66
	v_dual_mov_b32 v194, v193 :: v_dual_mov_b32 v193, v223
	s_delay_alu instid0(VALU_DEP_4)
	v_add3_u32 v0, v5, v0, v83
	v_mov_b32_e32 v223, v221
	v_mov_b32_e32 v221, v209
	s_clause 0x1
	scratch_store_b32 off, v6, off offset:148
	scratch_store_b32 off, v153, off offset:144
	v_add3_u32 v0, v0, v84, v85
	v_lshrrev_b32_e32 v84, 4, v15
	v_ashrrev_i32_e32 v85, 24, v1
	v_mul_i32_i24_e32 v1, v87, v163
	v_mul_i32_i24_e32 v6, v6, v60
	;; [unrolled: 1-line block ×3, first 2 shown]
	v_lshrrev_b16 v84, 8, v84
	v_mov_b32_e32 v169, v92
	v_mul_i32_i24_e32 v90, v85, v161
	v_add3_u32 v0, v0, v1, v88
	v_bfe_i32 v92, v2, 0, 8
	v_lshrrev_b32_e32 v1, 4, v8
	v_and_b32_e32 v84, 15, v84
	v_mul_i32_i24_e32 v77, v186, v61
	v_add3_u32 v0, v0, v89, v90
	v_ashrrev_i32_e32 v90, 24, v2
	v_mul_i32_i24_e32 v2, v92, v112
	v_lshrrev_b16 v1, 8, v1
	v_mul_i32_i24_e32 v5, v182, v65
	v_mul_i32_i24_e32 v83, v180, v17
	;; [unrolled: 1-line block ×3, first 2 shown]
	v_add3_u32 v0, v0, v2, v93
	v_and_b32_e32 v1, 15, v1
	v_and_b32_e32 v176, 0xffff, v84
	v_mul_i32_i24_e32 v15, v177, v87
	v_mul_i32_i24_e32 v89, v178, v85
	v_add3_u32 v2, v0, v94, v95
	v_lshrrev_b32_e32 v0, 4, v9
	v_dual_mov_b32 v1, v125 :: v_dual_and_b32 v166, 0xffff, v1
	v_dual_mov_b32 v125, v126 :: v_dual_mov_b32 v126, v149
	v_mul_i32_i24_e32 v4, v195, v51
	s_delay_alu instid0(VALU_DEP_4) | instskip(SKIP_3) | instid1(VALU_DEP_4)
	v_lshrrev_b16 v0, 8, v0
	v_mov_b32_e32 v149, v147
	v_dual_mov_b32 v147, v188 :: v_dual_mov_b32 v188, v241
	v_and_b32_e32 v181, 0xffff, v79
	v_and_b32_e32 v96, 15, v0
	v_add3_u32 v4, v4, v67, v70
	v_add3_u32 v6, v66, v6, v73
	;; [unrolled: 1-line block ×3, first 2 shown]
	v_mul_i32_i24_e32 v14, v181, v64
	s_clause 0x1
	scratch_store_b32 off, v191, off offset:1228
	scratch_store_b32 off, v11, off offset:1232
	v_mul_i32_i24_e32 v79, v183, v63
	v_mul_i32_i24_e32 v88, v174, v86
	v_mov_b32_e32 v11, v106
	v_mul_i32_i24_e32 v84, v176, v80
	v_mul_i32_i24_e32 v8, v167, v92
	;; [unrolled: 1-line block ×4, first 2 shown]
	v_add3_u32 v2, v2, v3, v100
	v_and_b32_e32 v142, 0xffff, v96
	v_mul_i32_i24_e32 v3, v153, v99
	v_mul_i32_i24_e32 v100, v154, v97
	v_add3_u32 v67, v68, v71, v77
	v_add3_u32 v4, v4, v74, v14
	v_add3_u32 v14, v66, v83, v89
	v_add3_u32 v5, v6, v5, v15
	v_mul_i32_i24_e32 v94, v165, v91
	v_mul_i32_i24_e32 v9, v142, v82
	;; [unrolled: 1-line block ×3, first 2 shown]
	v_add3_u32 v6, v67, v79, v88
	v_add3_u32 v4, v4, v84, v93
	;; [unrolled: 1-line block ×4, first 2 shown]
	v_mov_b32_e32 v0, v118
	v_add3_u32 v6, v6, v94, v96
	s_clause 0x4
	scratch_store_b32 off, v225, off offset:920
	scratch_store_b32 off, v195, off offset:904
	;; [unrolled: 1-line block ×5, first 2 shown]
	v_add3_u32 v4, v4, v9, v5
	s_clause 0x3
	scratch_store_b32 off, v196, off offset:420
	scratch_store_b32 off, v11, off offset:436
	;; [unrolled: 1-line block ×4, first 2 shown]
	v_add3_u32 v3, v3, v6, v4
	s_clause 0x18
	scratch_store_b32 off, v169, off offset:988
	scratch_store_b32 off, v166, off offset:1008
	;; [unrolled: 1-line block ×25, first 2 shown]
	s_clause 0x1
	scratch_load_b32 v3, off, off offset:1332
	scratch_load_b32 v4, off, off offset:1304
	v_mul_i32_i24_e32 v228, v97, v118
	v_mul_i32_i24_e32 v215, v98, v113
	v_mov_b32_e32 v106, v116
	v_dual_mov_b32 v118, v240 :: v_dual_mov_b32 v209, v208
	v_mov_b32_e32 v208, v212
	s_wait_loadcnt 0x0
	v_add3_u32 v6, s16, v3, v4
	scratch_load_b32 v3, off, off offset:1308 ; 4-byte Folded Reload
	s_wait_loadcnt 0x0
	v_add_nc_u32_e32 v66, s17, v3
	ds_load_2addr_b32 v[3:4], v66 offset1:1
	s_wait_dscnt 0x0
	v_and_b32_e32 v5, 15, v3
	v_bfe_u32 v9, v3, 16, 4
	v_bfe_u32 v10, v3, 24, 4
	v_bfe_u32 v255, v4, 20, 4
	s_clause 0x2
	scratch_store_b32 off, v5, off offset:32
	scratch_store_b32 off, v9, off offset:36
	;; [unrolled: 1-line block ×3, first 2 shown]
	v_mul_i32_i24_e32 v8, v22, v5
	v_bfe_u32 v5, v3, 8, 4
	v_mul_i32_i24_e32 v9, v21, v9
	v_mul_i32_i24_e32 v14, v20, v10
	scratch_store_b32 off, v5, off offset:1004 ; 4-byte Folded Spill
	v_mad_i32_i24 v8, v19, v5, v8
	v_and_b32_e32 v5, 15, v4
	s_delay_alu instid0(VALU_DEP_2)
	v_add3_u32 v8, v8, v9, v14
	scratch_store_b32 off, v5, off offset:136 ; 4-byte Folded Spill
	v_mul_i32_i24_e32 v9, v26, v5
	v_bfe_u32 v5, v4, 8, 4
	scratch_store_b32 off, v5, off offset:140 ; 4-byte Folded Spill
	v_mul_i32_i24_e32 v14, v25, v5
	v_bfe_u32 v5, v4, 16, 4
	s_delay_alu instid0(VALU_DEP_2) | instskip(SKIP_3) | instid1(VALU_DEP_1)
	v_add3_u32 v8, v8, v14, v9
	scratch_store_b32 off, v5, off offset:88 ; 4-byte Folded Spill
	v_mul_i32_i24_e32 v15, v24, v5
	v_bfe_u32 v5, v4, 24, 4
	v_mul_i32_i24_e32 v67, v23, v5
	scratch_store_b32 off, v5, off offset:120 ; 4-byte Folded Spill
	v_add3_u32 v14, v8, v15, v67
	ds_load_2addr_b32 v[8:9], v66 offset0:2 offset1:3
	s_wait_dscnt 0x0
	v_and_b32_e32 v5, 15, v8
	v_and_b32_e32 v218, 15, v9
	v_bfe_u32 v203, v8, 12, 4
	v_bfe_u32 v202, v8, 20, 4
	v_lshrrev_b32_e32 v204, 28, v8
	scratch_store_b32 off, v5, off offset:124 ; 4-byte Folded Spill
	v_mul_i32_i24_e32 v15, v30, v5
	v_bfe_u32 v5, v8, 8, 4
	v_mul_i32_i24_e32 v73, v59, v203
	v_mul_i32_i24_e32 v74, v58, v202
	v_bfe_u32 v205, v9, 4, 4
	v_bfe_u32 v132, v9, 12, 4
	scratch_store_b32 off, v5, off offset:128 ; 4-byte Folded Spill
	v_mul_i32_i24_e32 v67, v29, v5
	v_bfe_u32 v5, v8, 16, 4
	v_bfe_u32 v133, v9, 20, 4
	v_mul_i32_i24_e32 v77, v7, v205
	v_mul_i32_i24_e32 v78, v62, v132
	v_add3_u32 v14, v14, v67, v15
	scratch_store_b32 off, v5, off offset:132 ; 4-byte Folded Spill
	v_mul_i32_i24_e32 v68, v28, v5
	v_bfe_u32 v5, v8, 24, 4
	v_mul_i32_i24_e32 v15, v34, v218
	v_lshrrev_b32_e32 v131, 28, v9
	v_mul_i32_i24_e32 v79, v61, v133
	scratch_store_b32 off, v5, off offset:92 ; 4-byte Folded Spill
	v_mul_i32_i24_e32 v69, v27, v5
	v_bfe_u32 v5, v9, 8, 4
	s_delay_alu instid0(VALU_DEP_2) | instskip(SKIP_3) | instid1(VALU_DEP_2)
	v_add3_u32 v14, v14, v68, v69
	scratch_store_b32 off, v5, off offset:96 ; 4-byte Folded Spill
	v_mul_i32_i24_e32 v67, v33, v5
	v_bfe_u32 v5, v9, 16, 4
	v_add3_u32 v14, v14, v67, v15
	scratch_store_b32 off, v5, off offset:100 ; 4-byte Folded Spill
	v_mul_i32_i24_e32 v68, v32, v5
	v_bfe_u32 v5, v9, 24, 4
	v_mul_i32_i24_e32 v9, v16, v131
	s_delay_alu instid0(VALU_DEP_2)
	v_mul_i32_i24_e32 v69, v31, v5
	scratch_store_b32 off, v5, off offset:104 ; 4-byte Folded Spill
	v_add3_u32 v67, v14, v68, v69
	ds_load_2addr_b32 v[14:15], v66 offset0:4 offset1:5
	s_wait_dscnt 0x0
	v_and_b32_e32 v5, 15, v14
	v_bfe_u32 v130, v14, 4, 4
	v_bfe_u32 v128, v14, 12, 4
	;; [unrolled: 1-line block ×3, first 2 shown]
	v_lshrrev_b32_e32 v122, 28, v14
	scratch_store_b32 off, v5, off offset:336 ; 4-byte Folded Spill
	v_mul_i32_i24_e32 v68, v38, v5
	v_bfe_u32 v5, v14, 8, 4
	v_mul_i32_i24_e32 v83, v65, v130
	v_mul_i32_i24_e32 v84, v64, v128
	;; [unrolled: 1-line block ×3, first 2 shown]
	v_bfe_u32 v120, v15, 4, 4
	scratch_store_b32 off, v5, off offset:340 ; 4-byte Folded Spill
	v_mul_i32_i24_e32 v69, v37, v5
	v_bfe_u32 v5, v14, 16, 4
	v_bfe_u32 v108, v15, 12, 4
	;; [unrolled: 1-line block ×3, first 2 shown]
	v_mul_i32_i24_e32 v89, v87, v120
	v_add3_u32 v67, v67, v69, v68
	scratch_store_b32 off, v5, off offset:344 ; 4-byte Folded Spill
	v_mul_i32_i24_e32 v70, v36, v5
	v_bfe_u32 v5, v14, 24, 4
	v_mul_i32_i24_e32 v14, v17, v122
	v_mul_i32_i24_e32 v93, v80, v108
	v_lshrrev_b32_e32 v107, 28, v15
	v_mul_i32_i24_e32 v94, v86, v117
	scratch_store_b32 off, v5, off offset:308 ; 4-byte Folded Spill
	v_mul_i32_i24_e32 v71, v35, v5
	v_and_b32_e32 v5, 15, v15
	s_delay_alu instid0(VALU_DEP_2)
	v_add3_u32 v67, v67, v70, v71
	scratch_store_b32 off, v5, off offset:312 ; 4-byte Folded Spill
	v_mul_i32_i24_e32 v68, v42, v5
	v_bfe_u32 v5, v15, 8, 4
	scratch_store_b32 off, v5, off offset:316 ; 4-byte Folded Spill
	v_mul_i32_i24_e32 v69, v41, v5
	v_bfe_u32 v5, v15, 16, 4
	s_delay_alu instid0(VALU_DEP_2) | instskip(SKIP_4) | instid1(VALU_DEP_2)
	v_add3_u32 v67, v67, v69, v68
	scratch_store_b32 off, v5, off offset:320 ; 4-byte Folded Spill
	v_mul_i32_i24_e32 v70, v40, v5
	v_bfe_u32 v5, v15, 24, 4
	v_mul_i32_i24_e32 v15, v85, v107
	v_mul_i32_i24_e32 v71, v39, v5
	scratch_store_b32 off, v5, off offset:1092 ; 4-byte Folded Spill
	v_add3_u32 v69, v67, v70, v71
	ds_load_2addr_b32 v[67:68], v66 offset0:6 offset1:7
	s_wait_dscnt 0x0
	v_and_b32_e32 v5, 15, v67
	v_and_b32_e32 v254, 15, v68
	v_bfe_u32 v226, v68, 8, 4
	v_bfe_u32 v210, v68, 16, 4
	;; [unrolled: 1-line block ×3, first 2 shown]
	scratch_store_b32 off, v5, off offset:328 ; 4-byte Folded Spill
	v_mul_i32_i24_e32 v66, v46, v5
	v_bfe_u32 v5, v67, 8, 4
	v_bfe_u32 v105, v67, 4, 4
	;; [unrolled: 1-line block ×4, first 2 shown]
	v_lshrrev_b32_e32 v102, 28, v67
	scratch_store_b32 off, v5, off offset:324 ; 4-byte Folded Spill
	v_mul_i32_i24_e32 v70, v45, v5
	v_bfe_u32 v5, v67, 16, 4
	v_mul_i32_i24_e32 v95, v92, v105
	v_mul_i32_i24_e32 v96, v81, v103
	;; [unrolled: 1-line block ×3, first 2 shown]
	v_add3_u32 v66, v69, v70, v66
	scratch_store_b32 off, v5, off offset:332 ; 4-byte Folded Spill
	v_mul_i32_i24_e32 v71, v44, v5
	v_bfe_u32 v5, v67, 24, 4
	v_mul_i32_i24_e32 v69, v50, v254
	v_mul_i32_i24_e32 v70, v49, v226
	;; [unrolled: 1-line block ×3, first 2 shown]
	v_bfe_u32 v18, v68, 4, 4
	v_mul_i32_i24_e32 v72, v43, v5
	scratch_store_b32 off, v5, off offset:156 ; 4-byte Folded Spill
	v_bfe_u32 v10, v68, 12, 4
	v_mul_i32_i24_e32 v101, v99, v18
	v_add3_u32 v66, v66, v71, v72
	v_mul_i32_i24_e32 v71, v48, v210
	v_mul_i32_i24_e32 v72, v47, v201
	v_mul_i32_i24_e32 v110, v82, v10
	s_delay_alu instid0(VALU_DEP_4) | instskip(NEXT) | instid1(VALU_DEP_1)
	v_add3_u32 v66, v66, v70, v69
	v_add3_u32 v5, v66, v71, v72
	v_mul_i32_i24_e32 v71, v55, v255
	scratch_store_b32 off, v5, off offset:1340 ; 4-byte Folded Spill
	ds_load_u16 v69, v6
	ds_load_u16 v5, v6 offset:8
	v_bfe_u32 v6, v3, 4, 4
	s_clause 0x10
	scratch_store_b32 off, v132, off offset:784
	scratch_store_b32 off, v133, off offset:780
	;; [unrolled: 1-line block ×17, first 2 shown]
	s_wait_dscnt 0x1
	v_and_b32_e32 v134, 0xff, v69
	s_wait_dscnt 0x0
	scratch_store_b32 off, v5, off offset:1116 ; 4-byte Folded Spill
	v_lshrrev_b16 v5, 8, v69
	v_mul_i32_i24_e32 v69, v54, v6
	v_bfe_u32 v6, v3, 12, 4
	s_clause 0x1
	scratch_store_b32 off, v134, off offset:1172
	scratch_store_b32 off, v5, off offset:1124
	v_bfe_u32 v5, v3, 20, 4
	v_lshrrev_b32_e32 v3, 28, v3
	scratch_store_b32 off, v6, off offset:1088 ; 4-byte Folded Spill
	v_mad_i32_i24 v69, v51, v6, v69
	v_bfe_u32 v6, v4, 4, 4
	s_clause 0x1
	scratch_store_b32 off, v5, off offset:112
	scratch_store_b32 off, v3, off offset:116
	v_mul_i32_i24_e32 v70, v53, v5
	v_mul_i32_i24_e32 v3, v52, v3
	scratch_store_b32 off, v6, off offset:1080 ; 4-byte Folded Spill
	v_bfe_u32 v5, v68, 20, 4
	v_add3_u32 v3, v69, v70, v3
	v_mul_i32_i24_e32 v69, v57, v6
	v_bfe_u32 v6, v4, 12, 4
	v_lshrrev_b32_e32 v4, 28, v4
	s_delay_alu instid0(VALU_DEP_2)
	v_mul_i32_i24_e32 v70, v56, v6
	s_clause 0x1
	scratch_store_b32 off, v6, off offset:300
	scratch_store_b32 off, v4, off offset:304
	v_mul_i32_i24_e32 v4, v12, v4
	v_bfe_u32 v6, v8, 4, 4
	v_add3_u32 v3, v3, v69, v70
	v_mul_i32_i24_e32 v8, v13, v204
	s_delay_alu instid0(VALU_DEP_3) | instskip(NEXT) | instid1(VALU_DEP_3)
	v_mul_i32_i24_e32 v72, v60, v6
	v_add3_u32 v3, v3, v71, v4
	scratch_store_b32 off, v6, off offset:1084 ; 4-byte Folded Spill
	v_mul_i32_i24_e32 v6, v98, v5
	v_add3_u32 v3, v3, v72, v73
	scratch_store_b32 off, v6, off offset:1344 ; 4-byte Folded Spill
	v_mov_b32_e32 v6, v5
	v_lshrrev_b32_e32 v5, 28, v68
	v_add3_u32 v3, v3, v74, v8
	s_clause 0x1
	scratch_store_b32 off, v10, off offset:828
	scratch_store_b32 off, v6, off offset:824
	v_mul_i32_i24_e32 v66, v97, v5
	v_add3_u32 v3, v3, v77, v78
	s_clause 0x1
	scratch_store_b32 off, v66, off offset:1636
	scratch_store_b32 off, v5, off offset:832
	v_add3_u32 v3, v3, v79, v9
	s_delay_alu instid0(VALU_DEP_1) | instskip(NEXT) | instid1(VALU_DEP_1)
	v_add3_u32 v3, v3, v83, v84
	v_add3_u32 v3, v3, v88, v14
	s_delay_alu instid0(VALU_DEP_1) | instskip(NEXT) | instid1(VALU_DEP_1)
	v_add3_u32 v3, v3, v89, v93
	;; [unrolled: 3-line block ×3, first 2 shown]
	v_add3_u32 v3, v3, v100, v67
	s_delay_alu instid0(VALU_DEP_1)
	v_add3_u32 v3, v3, v101, v110
	scratch_store_b32 off, v3, off offset:1640 ; 4-byte Folded Spill
	s_clause 0x1
	scratch_load_b32 v3, off, off offset:1312
	scratch_load_b32 v4, off, off offset:1336
	s_wait_loadcnt 0x0
	v_add3_u32 v3, s16, v4, v3
	scratch_load_b32 v4, off, off offset:1316 ; 4-byte Folded Reload
	s_wait_loadcnt 0x0
	v_add_nc_u32_e32 v4, s17, v4
	s_mov_b32 s17, 8
	ds_load_2addr_b32 v[8:9], v4 offset1:1
	s_wait_dscnt 0x0
	v_and_b32_e32 v14, 15, v8
	v_bfe_u32 v15, v8, 16, 4
	s_clause 0x1
	scratch_store_b32 off, v14, off offset:1064
	scratch_store_b32 off, v15, off offset:1072
	v_mul_i32_i24_e32 v14, v22, v14
	v_bfe_u32 v22, v8, 8, 4
	v_mul_i32_i24_e32 v15, v21, v15
	v_bfe_u32 v21, v8, 24, 4
	scratch_store_b32 off, v22, off offset:1068 ; 4-byte Folded Spill
	v_mad_i32_i24 v14, v19, v22, v14
	v_mul_i32_i24_e32 v20, v20, v21
	scratch_store_b32 off, v21, off offset:1076 ; 4-byte Folded Spill
	v_bfe_u32 v21, v9, 16, 4
	v_bfe_u32 v22, v9, 24, 4
	v_add3_u32 v14, v14, v15, v20
	v_and_b32_e32 v15, 15, v9
	v_bfe_u32 v20, v9, 8, 4
	s_delay_alu instid0(VALU_DEP_4)
	v_dual_mov_b32 v245, v21 :: v_dual_mov_b32 v246, v22
	scratch_store_b32 off, v15, off offset:756 ; 4-byte Folded Spill
	v_mul_i32_i24_e32 v15, v26, v15
	v_mul_i32_i24_e32 v19, v25, v20
	v_mov_b32_e32 v243, v20
	v_mul_i32_i24_e32 v20, v24, v21
	v_mul_i32_i24_e32 v21, v23, v22
	s_delay_alu instid0(VALU_DEP_4) | instskip(NEXT) | instid1(VALU_DEP_1)
	v_add3_u32 v14, v14, v19, v15
	v_add3_u32 v19, v14, v20, v21
	ds_load_2addr_b32 v[14:15], v4 offset0:2 offset1:3
	s_wait_dscnt 0x0
	v_and_b32_e32 v21, 15, v14
	v_bfe_u32 v22, v14, 8, 4
	v_bfe_u32 v23, v14, 16, 4
	;; [unrolled: 1-line block ×4, first 2 shown]
	v_mul_i32_i24_e32 v20, v30, v21
	v_mov_b32_e32 v247, v21
	v_mul_i32_i24_e32 v21, v29, v22
	v_mov_b32_e32 v248, v22
	;; [unrolled: 2-line block ×3, first 2 shown]
	v_mul_i32_i24_e32 v23, v27, v24
	v_add3_u32 v19, v19, v21, v20
	v_and_b32_e32 v20, 15, v15
	v_bfe_u32 v21, v15, 8, 4
	v_mov_b32_e32 v251, v24
	v_bfe_u32 v27, v9, 20, 4
	v_add3_u32 v19, v19, v22, v23
	scratch_store_b32 off, v20, off offset:1256 ; 4-byte Folded Spill
	v_mul_i32_i24_e32 v20, v34, v20
	scratch_store_b32 off, v21, off offset:992 ; 4-byte Folded Spill
	v_mul_i32_i24_e32 v21, v33, v21
	v_bfe_u32 v22, v15, 16, 4
	v_bfe_u32 v23, v15, 24, 4
	v_bfe_u32 v29, v14, 20, 4
	v_mul_i32_i24_e32 v7, v7, v236
	v_add3_u32 v19, v19, v21, v20
	s_clause 0x1
	scratch_store_b32 off, v22, off offset:244
	scratch_store_b32 off, v23, off offset:248
	v_mul_i32_i24_e32 v22, v32, v22
	v_mul_i32_i24_e32 v23, v31, v23
	;; [unrolled: 1-line block ×3, first 2 shown]
	s_delay_alu instid0(VALU_DEP_2)
	v_add3_u32 v21, v19, v22, v23
	ds_load_2addr_b32 v[19:20], v4 offset0:4 offset1:5
	s_wait_dscnt 0x0
	v_and_b32_e32 v22, 15, v19
	v_bfe_u32 v23, v19, 8, 4
	v_bfe_u32 v24, v19, 16, 4
	;; [unrolled: 1-line block ×4, first 2 shown]
	scratch_store_b32 off, v22, off offset:252 ; 4-byte Folded Spill
	v_mul_i32_i24_e32 v22, v38, v22
	s_clause 0x1
	scratch_store_b32 off, v23, off offset:256
	scratch_store_b32 off, v24, off offset:260
	v_mul_i32_i24_e32 v23, v37, v23
	v_mul_i32_i24_e32 v24, v36, v24
	v_bfe_u32 v31, v19, 20, 4
	v_bfe_u32 v34, v20, 20, 4
	;; [unrolled: 1-line block ×3, first 2 shown]
	v_add3_u32 v21, v21, v23, v22
	v_and_b32_e32 v22, 15, v20
	scratch_store_b32 off, v25, off offset:264 ; 4-byte Folded Spill
	v_mul_i32_i24_e32 v25, v35, v25
	v_bfe_u32 v23, v20, 8, 4
	v_mul_i32_i24_e32 v33, v86, v34
	scratch_store_b32 off, v22, off offset:268 ; 4-byte Folded Spill
	v_mul_i32_i24_e32 v22, v42, v22
	v_add3_u32 v21, v21, v24, v25
	v_bfe_u32 v24, v20, 16, 4
	scratch_store_b32 off, v23, off offset:272 ; 4-byte Folded Spill
	v_mul_i32_i24_e32 v23, v41, v23
	v_bfe_u32 v25, v20, 24, 4
	scratch_store_b32 off, v24, off offset:276 ; 4-byte Folded Spill
	v_mul_i32_i24_e32 v24, v40, v24
	v_add3_u32 v21, v21, v23, v22
	scratch_store_b32 off, v25, off offset:280 ; 4-byte Folded Spill
	v_mul_i32_i24_e32 v25, v39, v25
	s_delay_alu instid0(VALU_DEP_1)
	v_add3_u32 v23, v21, v24, v25
	ds_load_2addr_b32 v[21:22], v4 offset0:6 offset1:7
	s_wait_dscnt 0x0
	v_and_b32_e32 v4, 15, v21
	v_bfe_u32 v24, v21, 8, 4
	v_bfe_u32 v249, v21, 16, 4
	;; [unrolled: 1-line block ×3, first 2 shown]
	v_and_b32_e32 v253, 15, v22
	scratch_store_b32 off, v4, off offset:284 ; 4-byte Folded Spill
	v_mul_i32_i24_e32 v4, v46, v4
	s_clause 0x1
	scratch_store_b32 off, v24, off offset:288
	scratch_store_b32 off, v26, off offset:296
	v_mul_i32_i24_e32 v24, v45, v24
	v_mul_i32_i24_e32 v25, v44, v249
	;; [unrolled: 1-line block ×3, first 2 shown]
	v_bfe_u32 v244, v22, 8, 4
	v_bfe_u32 v239, v22, 16, 4
	v_add3_u32 v4, v23, v24, v4
	v_mul_i32_i24_e32 v23, v50, v253
	v_bfe_u32 v238, v22, 24, 4
	v_mul_i32_i24_e32 v24, v49, v244
	v_bfe_u32 v40, v22, 20, 4
	v_add3_u32 v4, v4, v25, v26
	v_mul_i32_i24_e32 v25, v48, v239
	v_mul_i32_i24_e32 v26, v47, v238
	v_bfe_u32 v37, v21, 20, 4
	v_bfe_u32 v35, v21, 12, 4
	v_add3_u32 v4, v4, v24, v23
	ds_load_u16 v23, v3
	ds_load_u16 v24, v3 offset:8
	scratch_store_b32 off, v30, off offset:748 ; 4-byte Folded Spill
	v_mul_i32_i24_e32 v30, v64, v30
	scratch_store_b32 off, v37, off offset:212 ; 4-byte Folded Spill
	v_add3_u32 v4, v4, v25, v26
	v_bfe_u32 v26, v8, 12, 4
	v_mul_i32_i24_e32 v36, v91, v37
	v_bfe_u32 v37, v22, 4, 4
	v_bfe_u32 v38, v22, 12, 4
	s_clause 0x1
	scratch_store_b32 off, v40, off offset:228
	scratch_store_b32 off, v26, off offset:232
	v_lshrrev_b32_e32 v22, 28, v22
	scratch_store_b32 off, v37, off offset:224 ; 4-byte Folded Spill
	v_mul_i32_i24_e32 v37, v99, v37
	scratch_store_b32 off, v38, off offset:512 ; 4-byte Folded Spill
	v_mul_i32_i24_e32 v38, v82, v38
	v_mul_i32_i24_e32 v39, v98, v40
	scratch_store_b32 off, v22, off offset:516 ; 4-byte Folded Spill
	v_mul_i32_i24_e32 v22, v97, v22
	s_wait_dscnt 0x1
	v_and_b32_e32 v3, 0xff, v23
	v_lshrrev_b16 v25, 8, v23
	v_bfe_u32 v23, v8, 20, 4
	s_wait_dscnt 0x0
	v_cvt_f32_ubyte1_e32 v66, v24
	scratch_store_b32 off, v3, off offset:292 ; 4-byte Folded Spill
	v_mul_lo_u32 v3, v4, v3
	v_bfe_u32 v4, v8, 4, 4
	v_lshrrev_b32_e32 v8, 28, v8
	scratch_store_b32 off, v23, off offset:236 ; 4-byte Folded Spill
	v_mul_i32_i24_e32 v23, v53, v23
	scratch_store_b32 off, v4, off offset:752 ; 4-byte Folded Spill
	v_mul_i32_i24_e32 v4, v54, v4
	scratch_store_b32 off, v8, off offset:240 ; 4-byte Folded Spill
	v_mul_i32_i24_e32 v8, v52, v8
	v_cvt_f32_i32_e32 v230, v3
	v_cvt_f32_ubyte0_e32 v3, v24
	v_mad_i32_i24 v4, v51, v26, v4
	v_mul_i32_i24_e32 v26, v55, v27
	s_delay_alu instid0(VALU_DEP_2)
	v_add3_u32 v4, v4, v23, v8
	v_bfe_u32 v8, v9, 4, 4
	v_bfe_u32 v23, v9, 12, 4
	scratch_store_b32 off, v27, off offset:504 ; 4-byte Folded Spill
	v_lshrrev_b32_e32 v9, 28, v9
	v_bfe_u32 v27, v14, 12, 4
	scratch_store_b32 off, v8, off offset:508 ; 4-byte Folded Spill
	v_mul_i32_i24_e32 v8, v57, v8
	scratch_store_b32 off, v23, off offset:348 ; 4-byte Folded Spill
	v_mul_i32_i24_e32 v23, v56, v23
	;; [unrolled: 2-line block ×3, first 2 shown]
	v_bfe_u32 v12, v14, 4, 4
	scratch_store_b32 off, v29, off offset:360 ; 4-byte Folded Spill
	v_add3_u32 v4, v4, v8, v23
	scratch_store_b32 off, v27, off offset:188 ; 4-byte Folded Spill
	v_mul_i32_i24_e32 v27, v59, v27
	scratch_store_b32 off, v12, off offset:356 ; 4-byte Folded Spill
	v_mul_i32_i24_e32 v12, v60, v12
	v_lshrrev_b32_e32 v14, 28, v14
	v_add3_u32 v4, v4, v26, v9
	v_bfe_u32 v29, v15, 20, 4
	scratch_store_b32 off, v14, off offset:192 ; 4-byte Folded Spill
	v_mul_i32_i24_e32 v13, v13, v14
	v_bfe_u32 v14, v15, 12, 4
	v_add3_u32 v4, v4, v12, v27
	v_lshrrev_b32_e32 v15, 28, v15
	s_clause 0x2
	scratch_store_b32 off, v14, off offset:728
	scratch_store_b32 off, v29, off offset:736
	;; [unrolled: 1-line block ×3, first 2 shown]
	v_mul_i32_i24_e32 v14, v62, v14
	v_add3_u32 v4, v4, v28, v13
	v_mul_i32_i24_e32 v29, v61, v29
	v_mul_i32_i24_e32 v15, v16, v15
	v_bfe_u32 v16, v19, 4, 4
	v_lshrrev_b32_e32 v19, 28, v19
	v_add3_u32 v4, v4, v7, v14
	scratch_store_b32 off, v31, off offset:196 ; 4-byte Folded Spill
	v_mul_i32_i24_e32 v31, v63, v31
	scratch_store_b32 off, v16, off offset:744 ; 4-byte Folded Spill
	v_mul_i32_i24_e32 v16, v65, v16
	v_add3_u32 v4, v4, v29, v15
	scratch_store_b32 off, v19, off offset:200 ; 4-byte Folded Spill
	v_mul_i32_i24_e32 v17, v17, v19
	v_bfe_u32 v19, v20, 4, 4
	scratch_store_b32 off, v34, off offset:208 ; 4-byte Folded Spill
	v_add3_u32 v4, v4, v16, v30
	v_lshrrev_b32_e32 v20, 28, v20
	s_clause 0x1
	scratch_store_b32 off, v32, off offset:4
	scratch_store_b32 off, v19, off offset:204
	v_mul_i32_i24_e32 v19, v87, v19
	v_mul_i32_i24_e32 v32, v80, v32
	v_add3_u32 v4, v4, v31, v17
	v_bfe_u32 v34, v21, 4, 4
	scratch_store_b32 off, v20, off offset:8 ; 4-byte Folded Spill
	v_mul_i32_i24_e32 v20, v85, v20
	v_lshrrev_b32_e32 v21, 28, v21
	v_add3_u32 v4, v4, v19, v32
	scratch_store_b32 off, v34, off offset:12 ; 4-byte Folded Spill
	v_mul_i32_i24_e32 v34, v92, v34
	s_clause 0x1
	scratch_store_b32 off, v35, off offset:216
	scratch_store_b32 off, v21, off offset:220
	v_mul_i32_i24_e32 v35, v81, v35
	v_add3_u32 v4, v4, v33, v20
	v_mul_i32_i24_e32 v21, v90, v21
	v_and_b32_e32 v7, 0xffff, v25
	s_delay_alu instid0(VALU_DEP_3) | instskip(SKIP_2) | instid1(VALU_DEP_1)
	v_add3_u32 v4, v4, v34, v35
	scratch_store_b32 off, v7, off offset:432 ; 4-byte Folded Spill
	v_add3_u32 v4, v4, v36, v21
	v_add3_u32 v4, v4, v37, v38
	s_delay_alu instid0(VALU_DEP_1) | instskip(NEXT) | instid1(VALU_DEP_1)
	v_add3_u32 v4, v4, v39, v22
	v_mul_lo_u32 v4, v4, v7
	s_delay_alu instid0(VALU_DEP_1) | instskip(SKIP_3) | instid1(VALU_DEP_1)
	v_cvt_f32_i32_e32 v7, v4
	scratch_load_b32 v4, off, off offset:1264 ; 4-byte Folded Reload
	s_wait_loadcnt 0x0
	v_or_b32_e32 v4, s13, v4
	v_lshlrev_b32_e32 v8, 2, v4
	ds_load_b128 v[12:15], v8 offset:16896
	ds_load_b128 v[19:22], v8 offset:16912
	ds_load_b128 v[23:26], v8 offset:16928
	ds_load_b128 v[27:30], v8 offset:16944
	v_lshrrev_b32_e32 v4, 1, v4
	s_clause 0x7
	scratch_store_b32 off, v160, off offset:1216
	scratch_store_b32 off, v126, off offset:1220
	;; [unrolled: 1-line block ×8, first 2 shown]
	ds_load_b64 v[79:80], v4 offset:27200
	s_clause 0x5
	scratch_store_b32 off, v149, off offset:1176
	scratch_store_b32 off, v119, off offset:1180
	;; [unrolled: 1-line block ×6, first 2 shown]
	s_wait_dscnt 0x4
	v_bfe_i32 v8, v12, 0, 8
	v_bfe_i32 v9, v12, 8, 8
	;; [unrolled: 1-line block ×3, first 2 shown]
	v_ashrrev_i32_e32 v12, 24, v12
	v_bfe_i32 v17, v13, 0, 8
	v_mul_i32_i24_e32 v4, v8, v125
	v_bfe_i32 v31, v13, 8, 8
	v_mul_i32_i24_e32 v56, v16, v160
	v_mul_i32_i24_e32 v81, v12, v126
	v_bfe_i32 v32, v13, 16, 8
	v_mad_i32_i24 v4, v9, v151, v4
	v_ashrrev_i32_e32 v13, 24, v13
	v_bfe_i32 v33, v14, 0, 8
	v_bfe_i32 v34, v14, 8, 8
	v_mul_i32_i24_e32 v82, v32, v121
	v_add3_u32 v4, v4, v56, v81
	v_mul_i32_i24_e32 v56, v17, v149
	v_mul_i32_i24_e32 v81, v31, v119
	;; [unrolled: 1-line block ×3, first 2 shown]
	v_bfe_i32 v35, v14, 16, 8
	v_ashrrev_i32_e32 v14, 24, v14
	v_mul_i32_i24_e32 v84, v33, v138
	v_add3_u32 v4, v4, v56, v81
	v_mul_i32_i24_e32 v85, v34, v139
	v_bfe_i32 v36, v15, 0, 8
	v_bfe_i32 v37, v15, 8, 8
	v_mul_i32_i24_e32 v86, v35, v140
	v_add3_u32 v4, v4, v82, v83
	v_mul_i32_i24_e32 v87, v14, v141
	v_bfe_i32 v38, v15, 16, 8
	v_ashrrev_i32_e32 v15, 24, v15
	v_mul_i32_i24_e32 v88, v36, v144
	v_add3_u32 v4, v4, v84, v85
	v_mul_i32_i24_e32 v89, v37, v145
	s_wait_dscnt 0x3
	v_bfe_i32 v39, v19, 0, 8
	v_bfe_i32 v40, v19, 8, 8
	v_mul_i32_i24_e32 v90, v38, v146
	v_add3_u32 v4, v4, v86, v87
	v_mul_i32_i24_e32 v91, v15, v152
	v_bfe_i32 v41, v19, 16, 8
	v_ashrrev_i32_e32 v19, 24, v19
	v_mul_i32_i24_e32 v92, v39, v155
	v_add3_u32 v4, v4, v88, v89
	v_mul_i32_i24_e32 v93, v40, v156
	v_bfe_i32 v42, v20, 0, 8
	v_bfe_i32 v43, v20, 8, 8
	v_mul_i32_i24_e32 v94, v41, v157
	v_add3_u32 v4, v4, v90, v91
	v_mul_i32_i24_e32 v95, v19, v158
	v_bfe_i32 v44, v20, 16, 8
	v_ashrrev_i32_e32 v20, 24, v20
	v_mul_i32_i24_e32 v96, v42, v137
	v_add3_u32 v4, v4, v92, v93
	v_mul_i32_i24_e32 v97, v43, v143
	;; [unrolled: 10-line block ×4, first 2 shown]
	s_wait_dscnt 0x1
	v_bfe_i32 v74, v30, 0, 8
	v_bfe_i32 v77, v30, 8, 8
	;; [unrolled: 1-line block ×3, first 2 shown]
	v_add3_u32 v4, v4, v110, v111
	v_ashrrev_i32_e32 v30, 24, v30
	v_mul_i32_i24_e32 v240, v50, v188
	v_mul_i32_i24_e32 v241, v22, v189
	s_clause 0x1
	scratch_store_b32 off, v146, off offset:492
	scratch_store_b32 off, v152, off offset:496
	v_add3_u32 v4, v4, v114, v116
	s_clause 0x1c
	scratch_store_b32 off, v156, off offset:968
	scratch_store_b32 off, v157, off offset:972
	;; [unrolled: 1-line block ×29, first 2 shown]
	v_add3_u32 v4, v4, v240, v241
	v_mul_i32_i24_e32 v240, v77, v1
	v_mul_i32_i24_e32 v242, v30, v0
	s_clause 0x1
	scratch_load_b32 v0, off, off offset:184
	scratch_load_b32 v1, off, off offset:1236 th:TH_LOAD_LU
	v_bfe_i32 v73, v29, 16, 8
	v_bfe_i32 v51, v23, 0, 8
	;; [unrolled: 1-line block ×4, first 2 shown]
	v_ashrrev_i32_e32 v23, 24, v23
	v_mul_i32_i24_e32 v111, v73, v11
	v_mul_i32_i24_e32 v56, v51, v198
	v_bfe_i32 v54, v24, 0, 8
	v_bfe_i32 v55, v24, 8, 8
	v_mul_i32_i24_e32 v81, v53, v194
	v_mul_i32_i24_e32 v82, v23, v206
	v_mad_i32_i24 v56, v52, v193, v56
	v_bfe_i32 v57, v24, 16, 8
	v_ashrrev_i32_e32 v24, 24, v24
	v_bfe_i32 v58, v25, 0, 8
	v_bfe_i32 v59, v25, 8, 8
	v_add3_u32 v56, v56, v81, v82
	v_mul_i32_i24_e32 v81, v54, v223
	v_mul_i32_i24_e32 v82, v55, v224
	;; [unrolled: 1-line block ×4, first 2 shown]
	v_bfe_i32 v60, v25, 16, 8
	v_ashrrev_i32_e32 v25, 24, v25
	v_add3_u32 v56, v56, v81, v82
	v_mul_i32_i24_e32 v85, v58, v209
	v_mul_i32_i24_e32 v86, v59, v211
	v_bfe_i32 v61, v26, 0, 8
	v_bfe_i32 v62, v26, 8, 8
	v_add3_u32 v56, v56, v83, v84
	v_mul_i32_i24_e32 v87, v60, v207
	v_mul_i32_i24_e32 v88, v25, v208
	v_bfe_i32 v63, v26, 16, 8
	v_ashrrev_i32_e32 v26, 24, v26
	v_add3_u32 v56, v56, v85, v86
	v_mul_i32_i24_e32 v89, v61, v229
	v_mul_i32_i24_e32 v90, v62, v235
	v_bfe_i32 v64, v27, 0, 8
	v_bfe_i32 v65, v27, 8, 8
	v_add3_u32 v56, v56, v87, v88
	v_mul_i32_i24_e32 v91, v63, v173
	v_mul_i32_i24_e32 v92, v26, v179
	;; [unrolled: 10-line block ×4, first 2 shown]
	v_ashrrev_i32_e32 v29, 24, v29
	v_mul_i32_i24_e32 v101, v71, v112
	v_add3_u32 v56, v56, v97, v98
	v_mul_i32_i24_e32 v110, v72, v115
	v_mul_i32_i24_e32 v116, v74, v123
	;; [unrolled: 1-line block ×4, first 2 shown]
	v_add3_u32 v56, v56, v99, v100
	s_clause 0x7
	scratch_load_b32 v173, off, off offset:560
	scratch_load_b32 v235, off, off offset:380
	;; [unrolled: 1-line block ×8, first 2 shown]
	v_add3_u32 v56, v56, v101, v110
	s_clause 0x5
	scratch_load_b32 v212, off, off offset:28
	scratch_load_b32 v161, off, off offset:32
	;; [unrolled: 1-line block ×6, first 2 shown]
	v_add3_u32 v56, v56, v111, v114
	v_mul_i32_i24_e32 v83, v219, v37
	scratch_load_b32 v219, off, off offset:400 ; 4-byte Folded Reload
	v_mul_i32_i24_e32 v86, v225, v39
	scratch_load_b32 v225, off, off offset:388 ; 4-byte Folded Reload
	v_add3_u32 v56, v56, v116, v240
	v_mov_b32_e32 v116, v3
	s_clause 0x1
	scratch_load_b32 v240, off, off offset:112
	scratch_load_b32 v109, off, off
	v_mul_i32_i24_e32 v92, v214, v44
	scratch_load_b32 v214, off, off offset:416 ; 4-byte Folded Reload
	v_fma_mix_f32 v3, v75, v116, 0 op_sel:[1,0,0] op_sel_hi:[1,0,0]
	v_mul_i32_i24_e32 v87, v227, v40
	scratch_load_b32 v227, off, off offset:408 ; 4-byte Folded Reload
	v_mul_i32_i24_e32 v97, v252, v21
	scratch_load_b32 v252, off, off offset:712 ; 4-byte Folded Reload
	v_fma_mix_f32 v3, v76, v66, v3 op_sel:[1,0,0] op_sel_hi:[1,0,0]
	s_clause 0x1
	scratch_load_b32 v115, off, off offset:1232
	scratch_load_b32 v163, off, off offset:1004
	v_mul_i32_i24_e32 v98, v200, v48
	v_mul_i32_i24_e32 v99, v196, v49
	;; [unrolled: 1-line block ×5, first 2 shown]
	v_mov_b32_e32 v196, v226
	s_clause 0x2
	scratch_load_b32 v226, off, off offset:116
	scratch_load_b32 v199, off, off offset:300
	;; [unrolled: 1-line block ×3, first 2 shown]
	v_mov_b32_e32 v197, v201
	scratch_load_b32 v201, off, off offset:1084 ; 4-byte Folded Reload
	v_mul_i32_i24_e32 v114, v30, v5
	s_clause 0x1
	scratch_load_b32 v5, off, off offset:1072
	scratch_load_b32 v154, off, off offset:240
	v_mul_i32_i24_e32 v111, v22, v197
	s_clause 0x12
	scratch_store_b32 off, v116, off offset:720
	scratch_store_b32 off, v66, off offset:724
	;; [unrolled: 1-line block ×19, first 2 shown]
	s_wait_loadcnt 0x1e
	v_mul_lo_u32 v4, v4, v0
	s_wait_loadcnt 0x1d
	v_mul_lo_u32 v11, v1, v0
	scratch_load_b32 v0, off, off offset:180 ; 4-byte Folded Reload
	v_add3_u32 v1, v56, v241, v242
	s_clause 0x1
	scratch_load_b32 v242, off, off offset:556
	scratch_load_b32 v241, off, off offset:324
	v_mul_i32_i24_e32 v56, v217, v35
	scratch_load_b32 v217, off, off offset:396 ; 4-byte Folded Reload
	v_cvt_f32_i32_e32 v4, v4
	v_cvt_f32_i32_e32 v11, v11
	s_wait_dscnt 0x0
	s_delay_alu instid0(VALU_DEP_2) | instskip(NEXT) | instid1(VALU_DEP_2)
	v_fma_mix_f32 v4, v79, v4, 0 op_sel_hi:[1,0,0]
	v_fma_mix_f32 v11, v75, v11, 0 op_sel_hi:[1,0,0]
	s_wait_loadcnt 0x20
	v_mul_f32_e32 v3, v3, v173
	s_wait_loadcnt 0x1f
	v_mul_i32_i24_e32 v89, v235, v19
	s_wait_loadcnt 0x12
	v_mul_i32_i24_e32 v90, v219, v42
	;; [unrolled: 2-line block ×5, first 2 shown]
	s_wait_loadcnt 0x3
	v_fma_mix_f32 v81, v0, v79, 0 op_sel:[0,1,0] op_sel_hi:[0,1,0]
	v_fma_mix_f32 v82, v0, v75, 0 op_sel:[0,1,0] op_sel_hi:[0,1,0]
	v_add3_u32 v0, v2, v215, v228
	s_clause 0x2
	scratch_load_b32 v2, off, off offset:176
	scratch_load_b32 v228, off, off offset:852
	;; [unrolled: 1-line block ×3, first 2 shown]
	s_wait_loadcnt 0x3
	v_mul_i32_i24_e32 v91, v217, v43
	s_wait_loadcnt 0x2
	v_mul_lo_u32 v1, v1, v2
	v_mul_lo_u32 v0, v0, v2
	s_delay_alu instid0(VALU_DEP_2) | instskip(NEXT) | instid1(VALU_DEP_2)
	v_cvt_f32_i32_e32 v1, v1
	v_cvt_f32_i32_e32 v0, v0
	s_delay_alu instid0(VALU_DEP_2)
	v_fma_mix_f32 v1, v80, v1, v4 op_sel_hi:[1,0,0]
	scratch_load_b32 v4, off, off offset:172 ; 4-byte Folded Reload
	v_fma_mix_f32 v0, v76, v0, v11 op_sel_hi:[1,0,0]
	scratch_load_b32 v11, off, off offset:568 ; 4-byte Folded Reload
	s_wait_loadcnt 0x1
	v_fma_mix_f32 v2, v4, v76, v82 op_sel:[0,1,0] op_sel_hi:[0,1,0]
	v_fma_mix_f32 v4, v4, v80, v81 op_sel:[0,1,0] op_sel_hi:[0,1,0]
	v_mul_i32_i24_e32 v82, v220, v36
	scratch_load_b32 v220, off, off offset:412 ; 4-byte Folded Reload
	s_wait_loadcnt 0x1
	v_mul_f32_e32 v4, v4, v11
	scratch_load_b32 v11, off, off offset:552 ; 4-byte Folded Reload
	s_wait_loadcnt 0x1
	v_mul_i32_i24_e32 v95, v220, v46
	s_wait_loadcnt 0x0
	v_mul_f32_e32 v2, v2, v11
	scratch_load_b32 v11, off, off offset:548 ; 4-byte Folded Reload
	s_wait_loadcnt 0x0
	v_fma_f32 v0, v0, v11, -v2
	scratch_load_b32 v2, off, off offset:564 ; 4-byte Folded Reload
	s_wait_loadcnt 0x0
	v_fma_f32 v1, v1, v2, -v4
	v_fma_mix_f32 v2, v75, v230, 0 op_sel_hi:[1,0,0]
	scratch_load_b32 v230, off, off offset:860 ; 4-byte Folded Reload
	v_mul_i32_i24_e32 v4, v215, v13
	v_fma_mix_f32 v2, v76, v7, v2 op_sel_hi:[1,0,0]
	v_mul_i32_i24_e32 v7, v216, v33
	scratch_load_b32 v216, off, off offset:856 ; 4-byte Folded Reload
	v_fma_f32 v2, v2, v242, -v3
	scratch_load_b32 v3, off, off offset:624 ; 4-byte Folded Reload
	s_wait_loadcnt 0x2
	v_mul_i32_i24_e32 v81, v230, v14
	s_wait_loadcnt 0x1
	v_mul_i32_i24_e32 v11, v216, v34
	s_wait_loadcnt 0x0
	v_add_f32_e32 v3, v3, v2
	scratch_store_b32 off, v3, off offset:624 ; 4-byte Folded Spill
	scratch_load_b64 v[2:3], off, off offset:628 th:TH_LOAD_LU ; 8-byte Folded Reload
	s_wait_loadcnt 0x0
	v_dual_add_f32 v3, v3, v1 :: v_dual_add_f32 v2, v2, v0
	v_mul_i32_i24_e32 v0, v234, v8
	v_mul_i32_i24_e32 v1, v233, v16
	s_clause 0x1
	scratch_load_b32 v233, off, off offset:372
	scratch_load_b32 v234, off, off offset:916
	scratch_store_b64 off, v[2:3], off offset:628 ; 8-byte Folded Spill
	v_mul_i32_i24_e32 v2, v232, v12
	v_mad_i32_i24 v0, v212, v9, v0
	scratch_load_b32 v232, off, off offset:500 ; 4-byte Folded Reload
	v_add3_u32 v0, v0, v1, v2
	v_mul_i32_i24_e32 v2, v213, v31
	scratch_load_b32 v213, off, off offset:848 ; 4-byte Folded Reload
	v_mul_i32_i24_e32 v1, v228, v17
	s_delay_alu instid0(VALU_DEP_1)
	v_add3_u32 v0, v0, v1, v2
	v_mul_i32_i24_e32 v2, v175, v23
	scratch_load_b32 v175, off, off offset:96 ; 4-byte Folded Reload
	v_mul_i32_i24_e32 v1, v136, v53
	scratch_load_b32 v136, off, off offset:192 ; 4-byte Folded Reload
	s_wait_loadcnt 0x5
	v_mul_i32_i24_e32 v85, v233, v15
	s_wait_loadcnt 0x4
	v_mul_i32_i24_e32 v88, v234, v41
	;; [unrolled: 2-line block ×4, first 2 shown]
	s_delay_alu instid0(VALU_DEP_1)
	v_add3_u32 v0, v0, v3, v4
	v_mul_i32_i24_e32 v4, v187, v24
	scratch_load_b32 v187, off, off offset:328 ; 4-byte Folded Reload
	v_mul_i32_i24_e32 v3, v190, v57
	scratch_load_b32 v190, off, off offset:1088 ; 4-byte Folded Reload
	v_add3_u32 v0, v0, v7, v11
	scratch_load_b32 v7, off, off offset:708 ; 4-byte Folded Reload
	v_mul_i32_i24_e32 v11, v112, v58
	v_add3_u32 v0, v0, v56, v81
	v_mul_i32_i24_e32 v56, v109, v59
	v_mul_i32_i24_e32 v81, v252, v60
	s_delay_alu instid0(VALU_DEP_3) | instskip(SKIP_1) | instid1(VALU_DEP_2)
	v_add3_u32 v0, v0, v82, v83
	v_mul_i32_i24_e32 v83, v115, v61
	v_add3_u32 v0, v0, v84, v85
	v_mul_i32_i24_e32 v84, v184, v62
	scratch_load_b32 v184, off, off offset:320 ; 4-byte Folded Reload
	v_mul_i32_i24_e32 v85, v186, v63
	scratch_load_b32 v186, off, off offset:108 ; 4-byte Folded Reload
	v_add3_u32 v0, v0, v86, v87
	v_mul_i32_i24_e32 v87, v182, v64
	scratch_load_b32 v182, off, off offset:312 ; 4-byte Folded Reload
	v_mul_i32_i24_e32 v86, v185, v26
	scratch_load_b32 v185, off, off offset:1092 ; 4-byte Folded Reload
	;; [unrolled: 5-line block ×6, first 2 shown]
	v_add3_u32 v0, v0, v96, v97
	v_mul_i32_i24_e32 v96, v166, v72
	v_mul_i32_i24_e32 v97, v165, v73
	s_clause 0x1
	scratch_load_b32 v165, off, off offset:136
	scratch_load_b32 v166, off, off offset:140
	v_add3_u32 v0, v0, v98, v99
	v_mul_i32_i24_e32 v98, v168, v29
	scratch_load_b32 v168, off, off offset:120 ; 4-byte Folded Reload
	v_mul_i32_i24_e32 v99, v153, v74
	scratch_load_b32 v153, off, off offset:236 ; 4-byte Folded Reload
	v_add3_u32 v0, v0, v100, v101
	v_mul_i32_i24_e32 v100, v142, v77
	v_mul_i32_i24_e32 v101, v159, v78
	scratch_load_b32 v159, off, off offset:1068 ; 4-byte Folded Reload
	v_mov_b32_e32 v142, v253
	scratch_store_b32 off, v0, off offset:1348 ; 4-byte Folded Spill
	v_mul_i32_i24_e32 v0, v135, v51
	s_clause 0x1
	scratch_load_b32 v135, off, off offset:188
	scratch_load_b32 v253, off, off offset:292
	scratch_store_b32 off, v249, off offset:760 ; 4-byte Folded Spill
	v_mad_i32_i24 v0, v195, v52, v0
	v_mov_b32_e32 v195, v254
	scratch_load_b32 v254, off, off offset:1080 ; 4-byte Folded Reload
	v_add3_u32 v0, v0, v1, v2
	v_mul_i32_i24_e32 v1, v192, v54
	v_mul_i32_i24_e32 v2, v191, v55
	s_clause 0x1
	scratch_load_b32 v191, off, off offset:332
	scratch_load_b32 v192, off, off offset:156
	scratch_store_b32 off, v195, off offset:836 ; 4-byte Folded Spill
	v_add3_u32 v0, v0, v1, v2
	v_mul_i32_i24_e32 v1, v16, v162
	v_mul_i32_i24_e32 v2, v12, v164
	s_delay_alu instid0(VALU_DEP_3)
	v_add3_u32 v0, v0, v3, v4
	scratch_load_b32 v4, off, off offset:296 ; 4-byte Folded Reload
	v_add3_u32 v0, v0, v11, v56
	v_mul_i32_i24_e32 v56, v33, v169
	s_wait_loadcnt 0x17
	v_mul_i32_i24_e32 v82, v7, v25
	s_delay_alu instid0(VALU_DEP_1) | instskip(SKIP_2) | instid1(VALU_DEP_3)
	v_add3_u32 v0, v0, v81, v82
	v_mul_i32_i24_e32 v81, v34, v170
	v_mul_i32_i24_e32 v82, v35, v171
	v_add3_u32 v0, v0, v83, v84
	v_mul_i32_i24_e32 v83, v14, v172
	v_mul_i32_i24_e32 v84, v36, v218
	s_delay_alu instid0(VALU_DEP_3) | instskip(SKIP_1) | instid1(VALU_DEP_2)
	v_add3_u32 v0, v0, v85, v86
	v_mul_i32_i24_e32 v85, v37, v175
	v_add3_u32 v0, v0, v87, v88
	s_delay_alu instid0(VALU_DEP_1) | instskip(SKIP_1) | instid1(VALU_DEP_2)
	v_add3_u32 v0, v0, v89, v90
	v_mul_i32_i24_e32 v89, v40, v179
	v_add3_u32 v0, v0, v91, v92
	s_wait_loadcnt 0x10
	v_mul_i32_i24_e32 v87, v15, v177
	v_mul_i32_i24_e32 v91, v19, v181
	s_wait_loadcnt 0xf
	v_mul_i32_i24_e32 v90, v41, v180
	v_mul_i32_i24_e32 v92, v42, v182
	v_add3_u32 v0, v0, v93, v94
	s_wait_loadcnt 0xe
	v_mul_i32_i24_e32 v86, v38, v176
	v_mul_i32_i24_e32 v93, v43, v183
	;; [unrolled: 1-line block ×4, first 2 shown]
	v_add3_u32 v0, v0, v95, v96
	s_wait_loadcnt 0xc
	v_mul_i32_i24_e32 v3, v32, v167
	v_mul_i32_i24_e32 v95, v20, v185
	s_wait_loadcnt 0xb
	v_mul_i32_i24_e32 v88, v39, v178
	v_mul_i32_i24_e32 v96, v45, v187
	v_add3_u32 v0, v0, v97, v98
	v_mul_i32_i24_e32 v97, v46, v241
	v_mul_i32_i24_e32 v20, v20, v123
	s_delay_alu instid0(VALU_DEP_3) | instskip(SKIP_3) | instid1(VALU_DEP_3)
	v_add3_u32 v0, v0, v99, v100
	s_wait_loadcnt 0x8
	v_mul_i32_i24_e32 v11, v13, v168
	v_mul_i32_i24_e32 v100, v48, v195
	v_add3_u32 v0, v0, v101, v110
	v_mul_i32_i24_e32 v101, v49, v196
	v_mul_i32_i24_e32 v110, v50, v210
	scratch_store_b32 off, v0, off offset:1644 ; 4-byte Folded Spill
	v_mul_i32_i24_e32 v0, v8, v161
	s_delay_alu instid0(VALU_DEP_1) | instskip(NEXT) | instid1(VALU_DEP_1)
	v_mad_i32_i24 v0, v9, v163, v0
	v_add3_u32 v0, v0, v1, v2
	v_mul_i32_i24_e32 v1, v17, v165
	v_mul_i32_i24_e32 v2, v31, v166
	s_wait_loadcnt 0x2
	v_mul_i32_i24_e32 v98, v47, v191
	s_wait_loadcnt 0x1
	v_mul_i32_i24_e32 v99, v21, v192
	v_add3_u32 v0, v0, v1, v2
	v_mul_i32_i24_e32 v1, v53, v240
	v_mul_i32_i24_e32 v2, v23, v226
	s_delay_alu instid0(VALU_DEP_3)
	v_add3_u32 v0, v0, v3, v11
	v_mul_i32_i24_e32 v3, v57, v255
	v_mul_i32_i24_e32 v11, v24, v200
	s_wait_loadcnt 0x0
	v_mul_i32_i24_e32 v21, v21, v4
	v_add3_u32 v0, v0, v56, v81
	v_mul_i32_i24_e32 v56, v58, v201
	v_mul_i32_i24_e32 v81, v59, v203
	s_delay_alu instid0(VALU_DEP_3) | instskip(SKIP_2) | instid1(VALU_DEP_3)
	v_add3_u32 v0, v0, v82, v83
	v_mul_i32_i24_e32 v82, v60, v202
	v_mul_i32_i24_e32 v83, v25, v204
	v_add3_u32 v0, v0, v84, v85
	v_mul_i32_i24_e32 v85, v62, v132
	scratch_load_b32 v132, off, off offset:352 ; 4-byte Folded Reload
	v_mul_i32_i24_e32 v84, v61, v205
	v_add3_u32 v0, v0, v86, v87
	v_mul_i32_i24_e32 v86, v63, v133
	v_mul_i32_i24_e32 v87, v26, v131
	v_mov_b32_e32 v131, v244
	scratch_load_b32 v244, off, off offset:232 ; 4-byte Folded Reload
	v_add3_u32 v0, v0, v88, v89
	v_mul_i32_i24_e32 v88, v64, v130
	v_mul_i32_i24_e32 v89, v65, v128
	s_clause 0x1
	scratch_load_b32 v128, off, off offset:284
	scratch_load_b32 v130, off, off offset:288
	v_add3_u32 v0, v0, v90, v91
	v_mul_i32_i24_e32 v90, v67, v127
	v_mul_i32_i24_e32 v91, v27, v122
	s_clause 0x1
	scratch_load_b32 v122, off, off offset:276
	scratch_load_b32 v127, off, off offset:348
	v_add3_u32 v0, v0, v92, v93
	v_mul_i32_i24_e32 v93, v69, v108
	scratch_load_b32 v108, off, off offset:260 ; 4-byte Folded Reload
	v_mul_i32_i24_e32 v92, v68, v120
	scratch_load_b32 v120, off, off offset:272 ; 4-byte Folded Reload
	v_add3_u32 v0, v0, v94, v95
	v_mul_i32_i24_e32 v95, v28, v107
	scratch_load_b32 v107, off, off offset:256 ; 4-byte Folded Reload
	v_mul_i32_i24_e32 v94, v70, v117
	scratch_load_b32 v117, off, off offset:268 ; 4-byte Folded Reload
	v_add3_u32 v0, v0, v96, v97
	v_mul_i32_i24_e32 v96, v71, v105
	s_clause 0x1
	scratch_load_b32 v105, off, off offset:252
	scratch_load_b32 v133, off, off offset:356
	scratch_store_b32 off, v142, off offset:764 ; 4-byte Folded Spill
	v_add3_u32 v0, v0, v98, v99
	v_mul_i32_i24_e32 v99, v73, v104
	scratch_load_b32 v104, off, off offset:1064 ; 4-byte Folded Reload
	v_mul_i32_i24_e32 v98, v72, v103
	scratch_load_b32 v103, off, off offset:992 ; 4-byte Folded Reload
	v_add3_u32 v0, v0, v100, v101
	v_mul_i32_i24_e32 v100, v29, v102
	v_mul_i32_i24_e32 v101, v74, v18
	s_clause 0x1
	scratch_load_b32 v102, off, off offset:244
	scratch_load_b32 v18, off, off offset:248
	v_add3_u32 v0, v0, v110, v111
	v_mul_i32_i24_e32 v110, v77, v10
	scratch_load_b32 v10, off, off offset:1076 ; 4-byte Folded Reload
	v_mul_i32_i24_e32 v111, v78, v6
	scratch_load_b32 v6, off, off offset:1256 ; 4-byte Folded Reload
	v_mul_lo_u32 v0, v0, v134
	scratch_load_b32 v134, off, off offset:360 ; 4-byte Folded Reload
	v_cvt_f32_i32_e32 v0, v0
	s_delay_alu instid0(VALU_DEP_1) | instskip(SKIP_2) | instid1(VALU_DEP_1)
	v_fma_mix_f32 v0, v79, v0, 0 op_sel_hi:[1,0,0]
	scratch_store_b32 off, v0, off offset:1648 ; 4-byte Folded Spill
	v_mul_i32_i24_e32 v0, v51, v186
	v_mad_i32_i24 v0, v52, v190, v0
	s_delay_alu instid0(VALU_DEP_1) | instskip(SKIP_2) | instid1(VALU_DEP_1)
	v_add3_u32 v0, v0, v1, v2
	v_mul_i32_i24_e32 v1, v54, v254
	v_mul_i32_i24_e32 v2, v55, v199
	v_add3_u32 v0, v0, v1, v2
	v_mul_i32_i24_e32 v1, v16, v5
	s_delay_alu instid0(VALU_DEP_2) | instskip(SKIP_2) | instid1(VALU_DEP_3)
	v_add3_u32 v0, v0, v3, v11
	v_mul_i32_i24_e32 v3, v32, v245
	v_mul_i32_i24_e32 v11, v34, v248
	v_add3_u32 v0, v0, v56, v81
	scratch_load_b32 v56, off, off offset:752 ; 4-byte Folded Reload
	v_add3_u32 v0, v0, v82, v83
	s_delay_alu instid0(VALU_DEP_1) | instskip(NEXT) | instid1(VALU_DEP_1)
	v_add3_u32 v0, v0, v84, v85
	v_add3_u32 v0, v0, v86, v87
	s_delay_alu instid0(VALU_DEP_1) | instskip(NEXT) | instid1(VALU_DEP_1)
	v_add3_u32 v0, v0, v88, v89
	;; [unrolled: 3-line block ×3, first 2 shown]
	v_add3_u32 v0, v0, v94, v95
	s_delay_alu instid0(VALU_DEP_1)
	v_add3_u32 v0, v0, v96, v98
	v_mov_b32_e32 v96, v239
	scratch_load_b32 v239, off, off offset:508 ; 4-byte Folded Reload
	scratch_store_b32 off, v131, off offset:768 ; 4-byte Folded Spill
	v_add3_u32 v0, v0, v99, v100
	v_mov_b32_e32 v100, v238
	scratch_load_b32 v238, off, off offset:504 ; 4-byte Folded Reload
	scratch_store_b32 off, v96, off offset:772 ; 4-byte Folded Spill
	v_add3_u32 v0, v0, v101, v110
	s_clause 0x1
	scratch_load_b32 v101, off, off offset:728
	scratch_load_b32 v110, off, off offset:736
	v_mul_i32_i24_e32 v22, v22, v100
	scratch_store_b32 off, v100, off offset:776 ; 4-byte Folded Spill
	v_add3_u32 v0, v0, v111, v114
	s_clause 0x1
	scratch_load_b32 v111, off, off offset:740
	scratch_load_b32 v114, off, off offset:744
	scratch_store_b32 off, v0, off offset:1652 ; 4-byte Folded Spill
	s_wait_loadcnt 0x11
	v_mul_i32_i24_e32 v32, v40, v107
	v_mul_i32_i24_e32 v40, v48, v142
	s_wait_loadcnt 0x10
	v_mul_i32_i24_e32 v34, v42, v117
	v_mul_i32_i24_e32 v42, v50, v96
	;; [unrolled: 3-line block ×3, first 2 shown]
	v_mul_i32_i24_e32 v13, v14, v251
	s_wait_loadcnt 0xc
	v_mul_i32_i24_e32 v16, v37, v103
	v_mul_i32_i24_e32 v37, v45, v128
	v_mad_i32_i24 v0, v9, v159, v0
	v_mul_i32_i24_e32 v9, v33, v247
	s_wait_loadcnt 0xa
	v_mul_i32_i24_e32 v15, v15, v18
	v_mul_i32_i24_e32 v33, v41, v108
	;; [unrolled: 1-line block ×3, first 2 shown]
	s_wait_loadcnt 0x9
	v_mul_i32_i24_e32 v2, v12, v10
	v_mul_i32_i24_e32 v12, v35, v250
	s_wait_loadcnt 0x8
	v_mul_i32_i24_e32 v14, v36, v6
	v_mul_i32_i24_e32 v35, v43, v120
	;; [unrolled: 1-line block ×3, first 2 shown]
	v_add3_u32 v0, v0, v1, v2
	v_mul_i32_i24_e32 v1, v17, v174
	v_mul_i32_i24_e32 v2, v31, v243
	;; [unrolled: 1-line block ×6, first 2 shown]
	v_add3_u32 v0, v0, v1, v2
	v_fma_mix_f32 v1, v79, v116, 0 op_sel:[1,0,0] op_sel_hi:[1,0,0]
	scratch_load_b32 v116, off, off offset:748 ; 4-byte Folded Reload
	v_add3_u32 v0, v0, v3, v8
	v_mul_i32_i24_e32 v8, v23, v154
	scratch_load_b32 v23, off, off offset:196 ; 4-byte Folded Reload
	v_mul_i32_i24_e32 v3, v53, v153
	v_fma_mix_f32 v1, v80, v66, v1 op_sel:[1,0,0] op_sel_hi:[1,0,0]
	v_add3_u32 v0, v0, v9, v11
	v_mul_i32_i24_e32 v11, v24, v132
	scratch_load_b32 v24, off, off offset:200 ; 4-byte Folded Reload
	v_mul_f32_e32 v1, v1, v173
	v_add3_u32 v0, v0, v12, v13
	v_mul_i32_i24_e32 v12, v58, v133
	v_mul_i32_i24_e32 v13, v59, v135
	s_delay_alu instid0(VALU_DEP_3) | instskip(SKIP_3) | instid1(VALU_DEP_3)
	v_add3_u32 v0, v0, v14, v16
	s_wait_loadcnt 0xa
	v_mul_i32_i24_e32 v14, v60, v134
	v_mul_i32_i24_e32 v16, v61, v236
	v_add3_u32 v0, v0, v17, v15
	v_mul_i32_i24_e32 v15, v25, v136
	scratch_load_b32 v25, off, off offset:204 ; 4-byte Folded Reload
	v_add3_u32 v0, v0, v31, v32
	s_clause 0x1
	scratch_load_b32 v31, off, off offset:8
	scratch_load_b32 v32, off, off offset:216
	v_add3_u32 v0, v0, v33, v19
	scratch_load_b32 v33, off, off offset:212 ; 4-byte Folded Reload
	s_wait_loadcnt 0xd
	v_mul_i32_i24_e32 v2, v51, v56
	v_add3_u32 v0, v0, v34, v35
	s_clause 0x1
	scratch_load_b32 v34, off, off offset:220
	scratch_load_b32 v35, off, off offset:512
	v_mad_i32_i24 v2, v52, v244, v2
	v_add3_u32 v0, v0, v36, v20
	scratch_load_b32 v36, off, off offset:228 ; 4-byte Folded Reload
	v_add3_u32 v2, v2, v3, v8
	v_mul_i32_i24_e32 v8, v55, v127
	v_add3_u32 v0, v0, v37, v38
	scratch_load_b32 v37, off, off offset:516 ; 4-byte Folded Reload
	v_add3_u32 v0, v0, v39, v21
	s_delay_alu instid0(VALU_DEP_1) | instskip(NEXT) | instid1(VALU_DEP_1)
	v_add3_u32 v0, v0, v40, v41
	v_add3_u32 v0, v0, v42, v22
	s_delay_alu instid0(VALU_DEP_1) | instskip(NEXT) | instid1(VALU_DEP_1)
	v_mul_lo_u32 v0, v0, v253
	v_cvt_f32_i32_e32 v0, v0
	s_wait_loadcnt 0x10
	v_mul_i32_i24_e32 v3, v54, v239
	s_delay_alu instid0(VALU_DEP_2) | instskip(NEXT) | instid1(VALU_DEP_2)
	v_fma_mix_f32 v0, v79, v0, 0 op_sel_hi:[1,0,0]
	v_add3_u32 v2, v2, v3, v8
	scratch_load_b32 v3, off, off offset:432 ; 4-byte Folded Reload
	s_wait_loadcnt 0x10
	v_mul_i32_i24_e32 v9, v57, v238
	s_wait_loadcnt 0xf
	v_mul_i32_i24_e32 v17, v62, v101
	;; [unrolled: 2-line block ×3, first 2 shown]
	v_add3_u32 v2, v2, v9, v11
	s_wait_loadcnt 0xd
	v_mul_i32_i24_e32 v20, v26, v111
	scratch_load_b32 v26, off, off offset:4 ; 4-byte Folded Reload
	s_wait_loadcnt 0xd
	v_mul_i32_i24_e32 v21, v64, v114
	v_add3_u32 v2, v2, v12, v13
	s_delay_alu instid0(VALU_DEP_1) | instskip(NEXT) | instid1(VALU_DEP_1)
	v_add3_u32 v2, v2, v14, v15
	v_add3_u32 v2, v2, v16, v17
	s_delay_alu instid0(VALU_DEP_1) | instskip(SKIP_4) | instid1(VALU_DEP_2)
	v_add3_u32 v2, v2, v19, v20
	s_wait_loadcnt 0xc
	v_mul_i32_i24_e32 v22, v65, v116
	s_wait_loadcnt 0xb
	v_mul_i32_i24_e32 v23, v67, v23
	v_add3_u32 v2, v2, v21, v22
	s_wait_loadcnt 0xa
	v_mul_i32_i24_e32 v24, v27, v24
	scratch_load_b32 v27, off, off offset:208 ; 4-byte Folded Reload
	v_add3_u32 v2, v2, v23, v24
	s_wait_loadcnt 0xa
	v_mul_i32_i24_e32 v25, v68, v25
	s_wait_loadcnt 0x9
	v_mul_i32_i24_e32 v28, v28, v31
	scratch_load_b32 v31, off, off offset:12 ; 4-byte Folded Reload
	s_wait_loadcnt 0x9
	v_mul_i32_i24_e32 v32, v72, v32
	s_wait_loadcnt 0x8
	v_mul_i32_i24_e32 v33, v73, v33
	;; [unrolled: 2-line block ×3, first 2 shown]
	scratch_load_b32 v34, off, off offset:224 ; 4-byte Folded Reload
	s_wait_loadcnt 0x7
	v_mul_i32_i24_e32 v35, v77, v35
	s_wait_loadcnt 0x6
	v_mul_i32_i24_e32 v36, v78, v36
	;; [unrolled: 2-line block ×4, first 2 shown]
	s_delay_alu instid0(VALU_DEP_1) | instskip(SKIP_2) | instid1(VALU_DEP_1)
	v_add3_u32 v2, v2, v25, v26
	s_wait_loadcnt 0x2
	v_mul_i32_i24_e32 v27, v70, v27
	v_add3_u32 v2, v2, v27, v28
	s_wait_loadcnt 0x1
	v_mul_i32_i24_e32 v31, v71, v31
	s_delay_alu instid0(VALU_DEP_1) | instskip(SKIP_2) | instid1(VALU_DEP_2)
	v_add3_u32 v2, v2, v31, v32
	s_wait_loadcnt 0x0
	v_mul_i32_i24_e32 v34, v74, v34
	v_add3_u32 v2, v2, v33, v29
	s_delay_alu instid0(VALU_DEP_1) | instskip(NEXT) | instid1(VALU_DEP_1)
	v_add3_u32 v2, v2, v34, v35
	v_add3_u32 v2, v2, v36, v30
	s_delay_alu instid0(VALU_DEP_1) | instskip(NEXT) | instid1(VALU_DEP_1)
	v_mul_lo_u32 v2, v2, v3
	v_cvt_f32_i32_e32 v2, v2
	s_delay_alu instid0(VALU_DEP_1) | instskip(NEXT) | instid1(VALU_DEP_1)
	v_fma_mix_f32 v0, v80, v2, v0 op_sel_hi:[1,0,0]
	v_fma_f32 v0, v0, v242, -v1
	scratch_load_b32 v1, off, off offset:620 ; 4-byte Folded Reload
	s_wait_loadcnt 0x0
	v_add_f32_e32 v1, v1, v0
	scratch_load_b32 v0, off, off offset:1268 ; 4-byte Folded Reload
	scratch_store_b32 off, v1, off offset:620 ; 4-byte Folded Spill
	s_wait_loadcnt 0x0
	v_or_b32_e32 v0, s13, v0
	s_delay_alu instid0(VALU_DEP_1)
	v_lshlrev_b32_e32 v8, 2, v0
	v_lshrrev_b32_e32 v9, 1, v0
	ds_load_b128 v[11:14], v8 offset:16896
	ds_load_b128 v[19:22], v8 offset:16912
	ds_load_b128 v[0:3], v8 offset:16928
	ds_load_b128 v[32:35], v8 offset:16944
	ds_load_b64 v[81:82], v9 offset:27200
	s_wait_dscnt 0x4
	v_bfe_i32 v16, v11, 0, 8
	v_bfe_i32 v17, v11, 8, 8
	;; [unrolled: 1-line block ×3, first 2 shown]
	v_ashrrev_i32_e32 v24, 24, v11
	v_bfe_i32 v25, v12, 0, 8
	v_mul_i32_i24_e32 v8, v16, v125
	v_bfe_i32 v26, v12, 8, 8
	v_mul_i32_i24_e32 v9, v23, v160
	v_mul_i32_i24_e32 v11, v24, v126
	v_bfe_i32 v27, v12, 16, 8
	v_mad_i32_i24 v8, v17, v151, v8
	v_ashrrev_i32_e32 v28, 24, v12
	v_bfe_i32 v29, v13, 0, 8
	v_bfe_i32 v30, v13, 8, 8
	;; [unrolled: 1-line block ×3, first 2 shown]
	v_add3_u32 v8, v8, v9, v11
	v_mul_i32_i24_e32 v9, v25, v149
	v_mul_i32_i24_e32 v11, v26, v119
	v_ashrrev_i32_e32 v36, 24, v13
	v_mul_i32_i24_e32 v12, v27, v121
	v_mul_i32_i24_e32 v13, v28, v124
	v_bfe_i32 v37, v14, 0, 8
	v_add3_u32 v8, v8, v9, v11
	v_bfe_i32 v38, v14, 8, 8
	v_bfe_i32 v39, v14, 16, 8
	v_ashrrev_i32_e32 v40, 24, v14
	v_mul_i32_i24_e32 v14, v29, v138
	v_mul_i32_i24_e32 v15, v30, v139
	v_add3_u32 v8, v8, v12, v13
	v_mul_i32_i24_e32 v62, v31, v140
	v_mul_i32_i24_e32 v65, v36, v141
	v_mul_i32_i24_e32 v67, v37, v144
	v_mul_i32_i24_e32 v68, v38, v145
	v_add3_u32 v8, v8, v14, v15
	s_wait_dscnt 0x3
	v_bfe_i32 v41, v19, 0, 8
	v_bfe_i32 v42, v19, 8, 8
	v_mul_i32_i24_e32 v69, v39, v146
	v_mul_i32_i24_e32 v70, v40, v152
	v_add3_u32 v8, v8, v62, v65
	v_bfe_i32 v43, v19, 16, 8
	v_ashrrev_i32_e32 v19, 24, v19
	v_mul_i32_i24_e32 v71, v41, v155
	v_mul_i32_i24_e32 v72, v42, v156
	v_add3_u32 v8, v8, v67, v68
	v_bfe_i32 v44, v20, 0, 8
	v_bfe_i32 v45, v20, 8, 8
	s_wait_dscnt 0x2
	v_bfe_i32 v57, v1, 0, 8
	v_bfe_i32 v58, v1, 8, 8
	v_add3_u32 v8, v8, v69, v70
	v_bfe_i32 v59, v1, 16, 8
	v_ashrrev_i32_e32 v1, 24, v1
	v_mul_i32_i24_e32 v73, v43, v157
	v_mul_i32_i24_e32 v74, v19, v158
	v_add3_u32 v8, v8, v71, v72
	v_bfe_i32 v46, v20, 16, 8
	v_ashrrev_i32_e32 v20, 24, v20
	v_mul_i32_i24_e32 v14, v1, v222
	v_mov_b32_e32 v222, v220
	v_mul_i32_i24_e32 v77, v44, v137
	v_add3_u32 v8, v8, v73, v74
	v_mov_b32_e32 v126, v7
	v_mul_i32_i24_e32 v78, v45, v143
	v_bfe_i32 v47, v21, 0, 8
	v_bfe_i32 v48, v21, 8, 8
	v_mul_i32_i24_e32 v83, v46, v129
	v_mul_i32_i24_e32 v84, v20, v147
	v_add3_u32 v8, v8, v77, v78
	v_bfe_i32 v49, v21, 16, 8
	v_ashrrev_i32_e32 v21, 24, v21
	v_mul_i32_i24_e32 v85, v47, v231
	v_mul_i32_i24_e32 v86, v48, v148
	v_add3_u32 v8, v8, v83, v84
	v_bfe_i32 v50, v22, 0, 8
	v_bfe_i32 v51, v22, 8, 8
	v_mul_i32_i24_e32 v87, v49, v150
	v_mul_i32_i24_e32 v88, v21, v106
	v_add3_u32 v8, v8, v85, v86
	scratch_load_b32 v152, off, off offset:1224 ; 4-byte Folded Reload
	v_bfe_i32 v52, v22, 16, 8
	v_ashrrev_i32_e32 v22, 24, v22
	v_bfe_i32 v60, v2, 0, 8
	v_bfe_i32 v61, v2, 8, 8
	;; [unrolled: 1-line block ×3, first 2 shown]
	v_ashrrev_i32_e32 v2, 24, v2
	v_mul_i32_i24_e32 v89, v50, v237
	v_mul_i32_i24_e32 v90, v51, v118
	v_add3_u32 v8, v8, v87, v88
	s_clause 0x1
	scratch_load_b32 v146, off, off offset:980
	scratch_load_b32 v145, off, off offset:684
	v_mul_i32_i24_e32 v91, v52, v188
	v_mul_i32_i24_e32 v92, v22, v189
	v_add3_u32 v8, v8, v89, v90
	v_mul_i32_i24_e32 v67, v2, v208
	scratch_load_b32 v208, off, off offset:364 ; 4-byte Folded Reload
	v_bfe_i32 v53, v0, 0, 8
	scratch_load_b32 v121, off, off offset:892 ; 4-byte Folded Reload
	v_add3_u32 v8, v8, v91, v92
	v_bfe_i32 v54, v0, 8, 8
	s_clause 0x2
	scratch_load_b32 v118, off, off offset:888
	scratch_load_b32 v106, off, off offset:868
	;; [unrolled: 1-line block ×3, first 2 shown]
	scratch_store_b32 off, v8, off offset:1676 ; 4-byte Folded Spill
	v_mul_i32_i24_e32 v8, v53, v198
	s_clause 0x1
	scratch_load_b32 v160, off, off offset:680
	scratch_load_b32 v124, off, off offset:704
	v_mul_i32_i24_e32 v62, v61, v211
	v_mov_b32_e32 v211, v215
	v_mad_i32_i24 v8, v54, v193, v8
	scratch_load_b32 v193, off, off offset:384 ; 4-byte Folded Reload
	v_mov_b32_e32 v189, v235
	s_clause 0x2
	scratch_load_b32 v235, off, off offset:1228
	scratch_load_b32 v144, off, off offset:676
	;; [unrolled: 1-line block ×3, first 2 shown]
	v_mov_b32_e32 v215, v232
	scratch_load_b32 v231, off, off offset:912 ; 4-byte Folded Reload
	v_mov_b32_e32 v232, v101
	v_mul_i32_i24_e32 v65, v63, v207
	v_mov_b32_e32 v207, v213
	v_mov_b32_e32 v213, v230
	s_clause 0x4
	scratch_load_b32 v230, off, off offset:908
	scratch_load_b32 v150, off, off offset:376
	;; [unrolled: 1-line block ×5, first 2 shown]
	v_bfe_i32 v55, v0, 16, 8
	v_mul_i32_i24_e32 v13, v59, v221
	v_mul_i32_i24_e32 v15, v60, v209
	v_mov_b32_e32 v209, v228
	v_mov_b32_e32 v221, v227
	s_clause 0x1
	scratch_load_b32 v228, off, off offset:424
	scratch_load_b32 v227, off, off offset:420
	v_mul_i32_i24_e32 v9, v55, v194
	v_mul_i32_i24_e32 v12, v58, v224
	v_mov_b32_e32 v194, v225
	s_clause 0x1
	scratch_load_b32 v225, off, off offset:700
	scratch_load_b32 v224, off, off offset:696
	v_ashrrev_i32_e32 v0, 24, v0
	v_dual_mov_b32 v173, v234 :: v_dual_mov_b32 v234, v111
	v_mul_i32_i24_e32 v83, v219, v44
	v_mul_i32_i24_e32 v84, v217, v45
	s_delay_alu instid0(VALU_DEP_4)
	v_mul_i32_i24_e32 v11, v0, v206
	v_mov_b32_e32 v206, v212
	v_mov_b32_e32 v212, v216
	;; [unrolled: 1-line block ×3, first 2 shown]
	v_mul_i32_i24_e32 v86, v194, v20
	v_add3_u32 v9, v8, v9, v11
	v_mul_i32_i24_e32 v11, v57, v223
	v_mov_b32_e32 v223, v214
	v_mul_i32_i24_e32 v72, v216, v40
	v_mul_i32_i24_e32 v88, v222, v48
	;; [unrolled: 1-line block ×3, first 2 shown]
	v_add3_u32 v9, v9, v11, v12
	v_mul_i32_i24_e32 v95, v51, v196
	v_mul_i32_i24_e32 v98, v52, v210
	v_bfe_i32 v64, v3, 0, 8
	v_mov_b32_e32 v233, v110
	v_add3_u32 v9, v9, v13, v14
	v_mul_i32_i24_e32 v14, v207, v27
	v_mov_b32_e32 v237, v114
	v_mul_i32_i24_e32 v8, v64, v229
	s_delay_alu instid0(VALU_DEP_4) | instskip(SKIP_1) | instid1(VALU_DEP_2)
	v_add3_u32 v9, v9, v15, v62
	v_mul_i32_i24_e32 v15, v211, v28
	v_add3_u32 v9, v9, v65, v67
	v_mul_i32_i24_e32 v65, v212, v30
	s_wait_loadcnt 0x17
	v_mul_i32_i24_e32 v11, v152, v16
	s_delay_alu instid0(VALU_DEP_1) | instskip(SKIP_4) | instid1(VALU_DEP_1)
	v_mad_i32_i24 v11, v206, v17, v11
	s_wait_loadcnt 0x16
	v_mul_i32_i24_e32 v12, v146, v23
	s_wait_loadcnt 0x15
	v_mul_i32_i24_e32 v13, v145, v24
	v_add3_u32 v11, v11, v12, v13
	v_mul_i32_i24_e32 v12, v209, v25
	s_wait_loadcnt 0x14
	v_mul_i32_i24_e32 v13, v208, v26
	s_delay_alu instid0(VALU_DEP_1)
	v_add3_u32 v11, v11, v12, v13
	s_wait_loadcnt 0x13
	v_mul_i32_i24_e32 v12, v121, v53
	s_wait_loadcnt 0x12
	v_mul_i32_i24_e32 v13, v118, v55
	;; [unrolled: 2-line block ×3, first 2 shown]
	v_add3_u32 v11, v11, v14, v15
	v_mul_i32_i24_e32 v14, v106, v0
	v_mad_i32_i24 v12, v155, v54, v12
	s_wait_loadcnt 0xd
	v_mul_i32_i24_e32 v74, v193, v42
	s_wait_loadcnt 0xc
	v_mul_i32_i24_e32 v15, v235, v58
	v_add3_u32 v11, v11, v62, v65
	v_add3_u32 v13, v12, v13, v14
	v_mul_i32_i24_e32 v14, v124, v57
	s_wait_loadcnt 0x9
	v_mul_i32_i24_e32 v62, v231, v59
	v_mul_i32_i24_e32 v67, v144, v31
	v_mov_b32_e32 v214, v144
	v_mul_i32_i24_e32 v68, v213, v36
	v_add3_u32 v13, v13, v14, v15
	s_wait_loadcnt 0x8
	v_mul_i32_i24_e32 v65, v230, v1
	v_mul_i32_i24_e32 v14, v16, v161
	;; [unrolled: 1-line block ×5, first 2 shown]
	v_add3_u32 v13, v13, v62, v65
	v_mul_i32_i24_e32 v62, v24, v164
	v_mul_i32_i24_e32 v24, v24, v10
	v_mad_i32_i24 v16, v17, v159, v16
	v_mad_i32_i24 v14, v17, v163, v14
	v_mul_i32_i24_e32 v17, v25, v174
	v_mul_i32_i24_e32 v69, v158, v37
	s_wait_loadcnt 0x7
	v_mul_i32_i24_e32 v70, v150, v38
	v_add3_u32 v16, v16, v23, v24
	v_mul_i32_i24_e32 v23, v26, v243
	v_add3_u32 v11, v11, v67, v68
	v_add3_u32 v14, v14, v15, v62
	v_mul_i32_i24_e32 v15, v25, v165
	v_mul_i32_i24_e32 v24, v27, v245
	;; [unrolled: 1-line block ×3, first 2 shown]
	v_add3_u32 v16, v16, v17, v23
	v_add3_u32 v11, v11, v69, v70
	v_mul_i32_i24_e32 v67, v112, v60
	v_mul_i32_i24_e32 v68, v109, v61
	;; [unrolled: 1-line block ×6, first 2 shown]
	v_add3_u32 v16, v16, v24, v25
	v_mov_b32_e32 v162, v158
	v_mul_i32_i24_e32 v71, v215, v39
	s_wait_loadcnt 0x6
	v_mul_i32_i24_e32 v73, v188, v41
	v_mul_i32_i24_e32 v69, v252, v63
	;; [unrolled: 1-line block ×3, first 2 shown]
	v_add3_u32 v13, v13, v67, v68
	v_add3_u32 v11, v11, v71, v72
	v_mul_i32_i24_e32 v67, v28, v168
	v_mul_i32_i24_e32 v68, v29, v169
	;; [unrolled: 1-line block ×4, first 2 shown]
	v_add3_u32 v16, v16, v26, v27
	v_add3_u32 v11, v11, v73, v74
	;; [unrolled: 1-line block ×3, first 2 shown]
	v_mul_i32_i24_e32 v69, v30, v170
	v_mul_i32_i24_e32 v70, v31, v171
	;; [unrolled: 1-line block ×4, first 2 shown]
	v_add3_u32 v16, v16, v28, v29
	v_mov_b32_e32 v164, v188
	v_mul_i32_i24_e32 v77, v173, v43
	v_mov_b32_e32 v166, v193
	v_mul_i32_i24_e32 v78, v189, v19
	v_mul_i32_i24_e32 v71, v36, v172
	;; [unrolled: 1-line block ×5, first 2 shown]
	v_add3_u32 v11, v11, v77, v78
	v_add3_u32 v16, v16, v30, v31
	s_wait_loadcnt 0x5
	v_mul_i32_i24_e32 v85, v198, v46
	v_mul_i32_i24_e32 v73, v38, v175
	;; [unrolled: 1-line block ×3, first 2 shown]
	v_add3_u32 v11, v11, v83, v84
	v_mul_i32_i24_e32 v38, v41, v105
	v_mul_i32_i24_e32 v39, v42, v107
	v_add3_u32 v16, v16, v36, v37
	v_mul_i32_i24_e32 v77, v40, v177
	v_add3_u32 v11, v11, v85, v86
	v_mul_i32_i24_e32 v85, v19, v181
	v_mul_i32_i24_e32 v40, v43, v108
	;; [unrolled: 1-line block ×3, first 2 shown]
	v_add3_u32 v16, v16, v38, v39
	v_mov_b32_e32 v170, v219
	v_mul_i32_i24_e32 v87, v223, v47
	s_wait_loadcnt 0x4
	v_mul_i32_i24_e32 v90, v220, v21
	v_mul_i32_i24_e32 v78, v41, v178
	;; [unrolled: 1-line block ×4, first 2 shown]
	v_add3_u32 v11, v11, v87, v88
	v_mul_i32_i24_e32 v42, v45, v120
	v_add3_u32 v16, v16, v40, v19
	v_mov_b32_e32 v168, v198
	v_mul_i32_i24_e32 v89, v221, v49
	s_wait_loadcnt 0x3
	v_mul_i32_i24_e32 v91, v228, v50
	s_wait_loadcnt 0x2
	v_mul_i32_i24_e32 v92, v227, v51
	v_mul_i32_i24_e32 v84, v43, v180
	;; [unrolled: 1-line block ×3, first 2 shown]
	v_add3_u32 v11, v11, v89, v90
	v_mul_i32_i24_e32 v89, v20, v185
	v_mul_i32_i24_e32 v20, v20, v123
	v_add3_u32 v16, v16, v41, v42
	s_wait_loadcnt 0x1
	v_mul_i32_i24_e32 v93, v225, v52
	s_wait_loadcnt 0x0
	v_mul_i32_i24_e32 v94, v224, v22
	v_add3_u32 v11, v11, v91, v92
	v_mul_i32_i24_e32 v86, v44, v182
	v_mul_i32_i24_e32 v87, v45, v183
	;; [unrolled: 1-line block ×4, first 2 shown]
	v_add3_u32 v16, v16, v43, v20
	v_add3_u32 v11, v11, v93, v94
	v_mul_i32_i24_e32 v88, v46, v184
	v_mul_i32_i24_e32 v93, v21, v192
	;; [unrolled: 1-line block ×4, first 2 shown]
	v_add3_u32 v16, v16, v44, v45
	v_mul_i32_i24_e32 v90, v47, v187
	v_mul_i32_i24_e32 v91, v48, v241
	;; [unrolled: 1-line block ×4, first 2 shown]
	v_add3_u32 v16, v16, v46, v21
	v_mul_i32_i24_e32 v92, v49, v191
	v_mul_i32_i24_e32 v49, v52, v96
	v_mul_i32_i24_e32 v22, v22, v100
	v_add3_u32 v14, v14, v15, v62
	v_add3_u32 v16, v16, v47, v48
	v_mul_i32_i24_e32 v62, v0, v226
	v_mul_i32_i24_e32 v17, v55, v153
	v_mul_i32_i24_e32 v0, v0, v154
	v_add3_u32 v14, v14, v65, v67
	;; [unrolled: 5-line block ×3, first 2 shown]
	v_mul_lo_u32 v16, v16, v253
	v_mul_i32_i24_e32 v68, v1, v200
	v_mul_i32_i24_e32 v1, v1, v132
	scratch_load_b32 v187, off, off offset:1172 ; 4-byte Folded Reload
	v_add3_u32 v14, v14, v70, v71
	v_mul_i32_i24_e32 v23, v63, v134
	v_mul_i32_i24_e32 v94, v50, v195
	;; [unrolled: 1-line block ×3, first 2 shown]
	v_cvt_f32_i32_e32 v4, v16
	v_mul_i32_i24_e32 v16, v53, v56
	v_add3_u32 v14, v14, v72, v73
	v_mul_i32_i24_e32 v72, v2, v204
	v_mul_i32_i24_e32 v2, v2, v136
	scratch_store_b32 off, v4, off offset:1684 ; 4-byte Folded Spill
	v_mad_i32_i24 v16, v54, v244, v16
	v_add3_u32 v14, v14, v74, v77
	scratch_load_b32 v5, off, off offset:688 th:TH_LOAD_LU ; 4-byte Folded Reload
	v_mul_i32_i24_e32 v69, v60, v201
	v_mul_i32_i24_e32 v70, v61, v203
	v_add3_u32 v0, v16, v17, v0
	v_mul_i32_i24_e32 v16, v57, v239
	v_mul_i32_i24_e32 v17, v58, v127
	v_add3_u32 v14, v14, v78, v83
	v_mul_i32_i24_e32 v71, v63, v202
	s_wait_dscnt 0x1
	v_bfe_i32 v24, v32, 8, 8
	v_mul_i32_i24_e32 v65, v58, v199
	v_add3_u32 v0, v0, v16, v17
	v_add3_u32 v14, v14, v84, v85
	v_mul_i32_i24_e32 v12, v115, v64
	v_mul_i32_i24_e32 v67, v59, v255
	;; [unrolled: 1-line block ×3, first 2 shown]
	v_add3_u32 v0, v0, v19, v1
	v_add3_u32 v14, v14, v86, v87
	v_dual_mov_b32 v188, v124 :: v_dual_mov_b32 v97, v112
	v_mov_b32_e32 v200, v223
	s_delay_alu instid0(VALU_DEP_4) | instskip(NEXT) | instid1(VALU_DEP_4)
	v_add3_u32 v0, v0, v21, v22
	v_add3_u32 v14, v14, v88, v89
	v_bfe_i32 v22, v3, 16, 8
	v_dual_mov_b32 v125, v115 :: v_dual_mov_b32 v172, v221
	s_delay_alu instid0(VALU_DEP_4)
	v_add3_u32 v21, v0, v23, v2
	scratch_load_b32 v0, off, off offset:1272 ; 4-byte Folded Reload
	v_add3_u32 v14, v14, v90, v91
	v_bfe_i32 v23, v32, 0, 8
	v_dual_mov_b32 v144, v228 :: v_dual_mov_b32 v161, v150
	v_dual_mov_b32 v163, v173 :: v_dual_mov_b32 v198, v97
	s_delay_alu instid0(VALU_DEP_4) | instskip(SKIP_3) | instid1(VALU_DEP_4)
	v_add3_u32 v14, v14, v92, v93
	v_mov_b32_e32 v173, v222
	v_dual_mov_b32 v171, v220 :: v_dual_mov_b32 v150, v225
	v_mov_b32_e32 v193, v252
	v_add3_u32 v14, v14, v94, v95
	v_mov_b32_e32 v158, v235
	s_delay_alu instid0(VALU_DEP_2) | instskip(SKIP_1) | instid1(VALU_DEP_1)
	v_add3_u32 v14, v14, v98, v99
	s_wait_loadcnt 0x2
	v_mul_lo_u32 v14, v14, v187
	s_delay_alu instid0(VALU_DEP_1) | instskip(SKIP_3) | instid1(VALU_DEP_1)
	v_cvt_f32_i32_e32 v7, v14
	v_mul_i32_i24_e32 v14, v53, v186
	scratch_store_b32 off, v7, off offset:1680 ; 4-byte Folded Spill
	v_mad_i32_i24 v14, v54, v190, v14
	v_add3_u32 v15, v14, v15, v62
	v_mul_i32_i24_e32 v14, v64, v205
	v_mul_i32_i24_e32 v62, v57, v254
	s_delay_alu instid0(VALU_DEP_1) | instskip(NEXT) | instid1(VALU_DEP_1)
	v_add3_u32 v15, v15, v62, v65
	v_add3_u32 v15, v15, v67, v68
	s_delay_alu instid0(VALU_DEP_1) | instskip(SKIP_2) | instid1(VALU_DEP_2)
	v_add3_u32 v15, v15, v69, v70
	s_wait_loadcnt 0x0
	v_or_b32_e32 v0, s13, v0
	v_add3_u32 v15, v15, v71, v72
	s_delay_alu instid0(VALU_DEP_2) | instskip(SKIP_4) | instid1(VALU_DEP_1)
	v_lshlrev_b32_e32 v17, 2, v0
	v_lshrrev_b32_e32 v4, 1, v0
	scratch_load_b32 v0, off, off offset:1276 ; 4-byte Folded Reload
	s_wait_loadcnt 0x0
	v_or_b32_e32 v0, s13, v0
	v_lshlrev_b32_e32 v16, 2, v0
	v_lshrrev_b32_e32 v54, 1, v0
	scratch_load_b32 v0, off, off offset:1280 ; 4-byte Folded Reload
	s_wait_loadcnt 0x0
	v_or_b32_e32 v0, s13, v0
	s_delay_alu instid0(VALU_DEP_1) | instskip(SKIP_4) | instid1(VALU_DEP_1)
	v_lshlrev_b32_e32 v52, 2, v0
	v_lshrrev_b32_e32 v53, 1, v0
	scratch_load_b32 v0, off, off offset:1284 ; 4-byte Folded Reload
	s_wait_loadcnt 0x0
	v_or_b32_e32 v0, s13, v0
	v_lshlrev_b32_e32 v1, 2, v0
	v_lshrrev_b32_e32 v55, 1, v0
	scratch_load_b32 v0, off, off offset:1288 ; 4-byte Folded Reload
	scratch_store_b32 off, v1, off offset:1628 ; 4-byte Folded Spill
	s_wait_loadcnt 0x0
	v_or_b32_e32 v0, s13, v0
	s_delay_alu instid0(VALU_DEP_1)
	v_lshlrev_b32_e32 v2, 2, v0
	v_lshrrev_b32_e32 v1, 1, v0
	scratch_load_b32 v0, off, off offset:1124 th:TH_LOAD_LU ; 4-byte Folded Reload
	s_wait_loadcnt 0x0
	v_and_b32_e32 v29, 0xffff, v0
	ds_load_u16 v0, v5
	ds_load_u8 v179, v5 offset:1
	ds_load_u16 v6, v5 offset:8
	s_clause 0x11
	scratch_load_b32 v5, off, off offset:1120 th:TH_LOAD_LU
	scratch_load_b32 v178, off, off offset:1104
	scratch_load_b32 v176, off, off offset:468
	;; [unrolled: 1-line block ×17, first 2 shown]
	s_wait_dscnt 0x2
	v_lshrrev_b16 v18, 8, v0
	v_and_b32_e32 v19, 0xff, v0
	scratch_load_b32 v0, off, off offset:1112 th:TH_LOAD_LU ; 4-byte Folded Reload
	s_wait_dscnt 0x0
	v_cvt_f32_ubyte1_e32 v174, v6
	v_dual_mov_b32 v167, v194 :: v_dual_and_b32 v18, 0xffff, v18
	v_dual_mov_b32 v132, v19 :: v_dual_mov_b32 v165, v189
	v_mov_b32_e32 v169, v217
	scratch_store_b32 off, v132, off offset:688 ; 4-byte Folded Spill
	s_wait_loadcnt 0x12
	v_mul_lo_u32 v5, v5, v18
	v_bfe_i32 v18, v3, 8, 8
	v_ashrrev_i32_e32 v3, 24, v3
	s_wait_loadcnt 0xf
	v_mul_i32_i24_e32 v25, v22, v147
	s_wait_loadcnt 0xe
	v_mul_i32_i24_e32 v27, v23, v177
	;; [unrolled: 2-line block ×3, first 2 shown]
	v_mul_i32_i24_e32 v7, v18, v176
	v_cvt_f32_i32_e32 v5, v5
	s_wait_loadcnt 0x9
	v_mul_i32_i24_e32 v26, v3, v148
	s_delay_alu instid0(VALU_DEP_3)
	v_add3_u32 v7, v9, v8, v7
	s_wait_loadcnt 0x6
	v_mov_b32_e32 v124, v197
	s_wait_loadcnt 0x4
	v_mul_i32_i24_e32 v8, v190, v22
	v_add3_u32 v7, v7, v25, v26
	v_mul_i32_i24_e32 v25, v197, v23
	s_wait_loadcnt 0x3
	v_mul_i32_i24_e32 v26, v196, v24
	s_wait_loadcnt 0x0
	v_mul_lo_u32 v0, v0, v19
	v_add3_u32 v56, v7, v27, v28
	v_mul_lo_u32 v7, v11, v132
	v_mul_i32_i24_e32 v11, v186, v3
	s_delay_alu instid0(VALU_DEP_4) | instskip(NEXT) | instid1(VALU_DEP_1)
	v_cvt_f32_i32_e32 v0, v0
	v_fma_mix_f32 v10, v75, v0, 0 op_sel_hi:[1,0,0]
	scratch_load_b32 v0, off, off offset:1348 th:TH_LOAD_LU ; 4-byte Folded Reload
	v_fma_mix_f32 v5, v76, v5, v10 op_sel_hi:[1,0,0]
	s_wait_loadcnt 0x0
	v_mul_lo_u32 v0, v0, v19
	s_delay_alu instid0(VALU_DEP_1) | instskip(NEXT) | instid1(VALU_DEP_1)
	v_cvt_f32_i32_e32 v0, v0
	v_fma_mix_f32 v87, v79, v0, 0 op_sel_hi:[1,0,0]
	v_cvt_f32_i32_e32 v0, v7
	v_mul_i32_i24_e32 v7, v191, v18
	scratch_store_b32 off, v0, off offset:1688 ; 4-byte Folded Spill
	v_add3_u32 v7, v13, v12, v7
	v_cvt_f32_ubyte0_e32 v0, v6
	v_mul_i32_i24_e32 v12, v3, v203
	v_mul_i32_i24_e32 v13, v23, v204
	v_mul_i32_i24_e32 v3, v3, v234
	v_add3_u32 v7, v7, v8, v11
	v_fma_mix_f32 v6, v75, v0, 0 op_sel:[1,0,0] op_sel_hi:[1,0,0]
	v_mul_i32_i24_e32 v11, v22, v201
	v_mov_b32_e32 v157, v0
	s_delay_alu instid0(VALU_DEP_4) | instskip(SKIP_3) | instid1(VALU_DEP_3)
	v_add3_u32 v65, v7, v25, v26
	v_mul_i32_i24_e32 v7, v18, v202
	v_fma_mix_f32 v6, v76, v174, v6 op_sel:[1,0,0] op_sel_hi:[1,0,0]
	v_mul_i32_i24_e32 v25, v24, v205
	v_add3_u32 v7, v15, v14, v7
	s_delay_alu instid0(VALU_DEP_3) | instskip(SKIP_1) | instid1(VALU_DEP_3)
	v_mul_f32_e32 v6, v6, v178
	v_mul_i32_i24_e32 v14, v24, v116
	v_add3_u32 v7, v7, v11, v12
	v_mul_i32_i24_e32 v11, v18, v232
	v_mul_i32_i24_e32 v12, v22, v233
	v_fma_f32 v5, v5, v175, -v6
	s_delay_alu instid0(VALU_DEP_4) | instskip(NEXT) | instid1(VALU_DEP_4)
	v_add3_u32 v66, v7, v13, v25
	v_add3_u32 v11, v21, v20, v11
	scratch_load_b64 v[6:7], off, off offset:588 ; 8-byte Folded Reload
	v_mul_i32_i24_e32 v13, v23, v237
	v_add3_u32 v3, v11, v12, v3
	s_delay_alu instid0(VALU_DEP_1)
	v_add3_u32 v67, v3, v13, v14
	scratch_load_b32 v3, off, off offset:1116 th:TH_LOAD_LU ; 4-byte Folded Reload
	s_wait_loadcnt 0x1
	v_add_f32_e32 v6, v6, v5
	scratch_store_b64 off, v[6:7], off offset:588 ; 8-byte Folded Spill
	s_wait_loadcnt 0x0
	v_cvt_f32_ubyte0_e32 v156, v3
	v_cvt_f32_ubyte1_e32 v159, v3
	ds_load_b128 v[48:51], v17 offset:16896
	ds_load_b128 v[44:47], v17 offset:16912
	ds_load_b128 v[40:43], v17 offset:16928
	ds_load_b128 v[20:23], v17 offset:16944
	ds_load_b64 v[77:78], v4 offset:27200
	ds_load_b128 v[114:117], v16 offset:16896
	ds_load_b128 v[109:112], v16 offset:16912
	ds_load_b128 v[68:71], v16 offset:16928
	ds_load_b128 v[61:64], v16 offset:16944
	ds_load_b64 v[134:135], v54 offset:27200
	;; [unrolled: 5-line block ×3, first 2 shown]
	ds_load_b64 v[3:4], v55 offset:27200
	s_wait_dscnt 0xc
	v_bfe_i32 v97, v23, 16, 8
	s_wait_dscnt 0x0
	scratch_store_b64 off, v[3:4], off offset:1620 ; 8-byte Folded Spill
	ds_load_b128 v[10:13], v2 offset:16896
	ds_load_b128 v[52:55], v2 offset:16912
	;; [unrolled: 1-line block ×4, first 2 shown]
	scratch_load_b32 v194, off, off         ; 4-byte Folded Reload
	ds_load_b64 v[180:181], v1 offset:27200
	scratch_load_b32 v238, off, off offset:896 ; 4-byte Folded Reload
	s_wait_dscnt 0x4
	v_bfe_i32 v2, v10, 0, 8
	v_bfe_i32 v0, v10, 8, 8
	;; [unrolled: 1-line block ×3, first 2 shown]
	v_ashrrev_i32_e32 v8, 24, v10
	s_wait_dscnt 0x3
	v_bfe_i32 v149, v55, 8, 8
	v_mul_i32_i24_e32 v1, v152, v2
	v_bfe_i32 v3, v11, 0, 8
	s_clause 0x1
	scratch_store_b32 off, v5, off offset:1468
	scratch_store_b32 off, v8, off offset:1472
	v_bfe_i32 v4, v11, 8, 8
	v_bfe_i32 v153, v55, 16, 8
	s_clause 0x1
	scratch_store_b32 off, v149, off offset:1456
	scratch_store_b32 off, v2, off offset:1464
	v_mul_i32_i24_e32 v2, v146, v5
	v_mul_i32_i24_e32 v5, v145, v8
	v_mad_i32_i24 v1, v206, v0, v1
	v_bfe_i32 v6, v11, 16, 8
	v_ashrrev_i32_e32 v7, 24, v11
	v_mul_i32_i24_e32 v16, v209, v3
	v_mul_i32_i24_e32 v9, v208, v4
	v_add3_u32 v1, v1, v2, v5
	v_bfe_i32 v11, v12, 0, 8
	v_bfe_i32 v14, v12, 8, 8
	v_bfe_i32 v15, v12, 16, 8
	v_ashrrev_i32_e32 v19, 24, v12
	v_bfe_i32 v96, v13, 0, 8
	v_ashrrev_i32_e32 v154, 24, v55
	s_clause 0x1
	scratch_store_b32 off, v0, off offset:1476
	scratch_store_b32 off, v153, off offset:1460
	v_mul_i32_i24_e32 v8, v207, v6
	v_mul_i32_i24_e32 v10, v211, v7
	v_add3_u32 v1, v1, v16, v9
	s_clause 0x7
	scratch_store_b32 off, v4, off offset:1356
	scratch_store_b32 off, v6, off offset:1360
	;; [unrolled: 1-line block ×8, first 2 shown]
	v_bfe_i32 v107, v13, 8, 8
	v_bfe_i32 v108, v13, 16, 8
	v_ashrrev_i32_e32 v113, 24, v13
	v_mul_i32_i24_e32 v11, v160, v11
	v_mul_i32_i24_e32 v12, v212, v14
	;; [unrolled: 1-line block ×4, first 2 shown]
	v_mov_b32_e32 v96, v227
	v_add3_u32 v1, v1, v8, v10
	scratch_store_b32 off, v3, off offset:1348 ; 4-byte Folded Spill
	v_mul_i32_i24_e32 v14, v213, v19
	v_bfe_i32 v119, v52, 0, 8
	v_mul_i32_i24_e32 v3, v96, v149
	v_mov_b32_e32 v149, v224
	v_add3_u32 v1, v1, v11, v12
	v_bfe_i32 v120, v52, 8, 8
	v_bfe_i32 v122, v52, 16, 8
	v_ashrrev_i32_e32 v123, 24, v52
	s_wait_dscnt 0x2
	v_bfe_i32 v17, v93, 0, 8
	scratch_store_b32 off, v154, off offset:1480 ; 4-byte Folded Spill
	v_mul_i32_i24_e32 v0, v149, v154
	v_add3_u32 v1, v1, v13, v14
	v_mov_b32_e32 v154, v156
	v_mov_b32_e32 v156, v230
	v_mul_i32_i24_e32 v52, v161, v107
	v_bfe_i32 v127, v53, 0, 8
	v_bfe_i32 v128, v53, 8, 8
	;; [unrolled: 1-line block ×3, first 2 shown]
	v_ashrrev_i32_e32 v130, 24, v53
	v_bfe_i32 v131, v54, 0, 8
	v_bfe_i32 v136, v54, 8, 8
	;; [unrolled: 1-line block ×3, first 2 shown]
	v_ashrrev_i32_e32 v138, 24, v54
	v_mul_i32_i24_e32 v53, v215, v108
	v_mul_i32_i24_e32 v54, v216, v113
	v_add3_u32 v1, v1, v15, v52
	v_bfe_i32 v143, v55, 0, 8
	s_wait_dscnt 0x1
	v_bfe_i32 v72, v57, 0, 8
	v_bfe_i32 v73, v57, 8, 8
	;; [unrolled: 1-line block ×3, first 2 shown]
	v_ashrrev_i32_e32 v83, 24, v57
	v_mul_i32_i24_e32 v55, v164, v119
	v_mul_i32_i24_e32 v57, v166, v120
	v_add3_u32 v1, v1, v53, v54
	v_bfe_i32 v84, v58, 0, 8
	v_bfe_i32 v85, v58, 8, 8
	;; [unrolled: 1-line block ×3, first 2 shown]
	v_ashrrev_i32_e32 v88, 24, v58
	v_bfe_i32 v89, v59, 0, 8
	v_bfe_i32 v90, v59, 8, 8
	;; [unrolled: 1-line block ×3, first 2 shown]
	v_ashrrev_i32_e32 v98, 24, v59
	v_mul_i32_i24_e32 v58, v163, v122
	v_mul_i32_i24_e32 v59, v165, v123
	v_add3_u32 v1, v1, v55, v57
	v_bfe_i32 v103, v92, 0, 8
	v_bfe_i32 v18, v92, 8, 8
	;; [unrolled: 1-line block ×3, first 2 shown]
	v_ashrrev_i32_e32 v105, 24, v92
	v_bfe_i32 v99, v60, 0, 8
	v_bfe_i32 v100, v60, 8, 8
	;; [unrolled: 1-line block ×3, first 2 shown]
	v_ashrrev_i32_e32 v102, 24, v60
	v_mul_i32_i24_e32 v60, v170, v127
	v_add3_u32 v1, v1, v58, v59
	v_dual_mov_b32 v189, v126 :: v_dual_mov_b32 v126, v29
	v_mul_i32_i24_e32 v92, v169, v128
	v_bfe_i32 v24, v93, 8, 8
	v_bfe_i32 v25, v93, 16, 8
	v_ashrrev_i32_e32 v26, 24, v93
	v_bfe_i32 v27, v94, 0, 8
	v_bfe_i32 v28, v94, 8, 8
	;; [unrolled: 1-line block ×3, first 2 shown]
	v_ashrrev_i32_e32 v31, 24, v94
	v_mul_i32_i24_e32 v93, v168, v129
	v_mul_i32_i24_e32 v94, v167, v130
	v_add3_u32 v1, v1, v60, v92
	v_bfe_i32 v36, v95, 0, 8
	v_bfe_i32 v37, v95, 8, 8
	;; [unrolled: 1-line block ×3, first 2 shown]
	v_ashrrev_i32_e32 v39, 24, v95
	v_mul_i32_i24_e32 v95, v200, v131
	v_mul_i32_i24_e32 v7, v173, v136
	v_add3_u32 v1, v1, v93, v94
	v_mul_i32_i24_e32 v6, v172, v137
	v_mul_i32_i24_e32 v5, v171, v138
	;; [unrolled: 1-line block ×3, first 2 shown]
	s_clause 0x7
	scratch_store_b32 off, v128, off offset:1424
	scratch_store_b32 off, v129, off offset:1428
	;; [unrolled: 1-line block ×8, first 2 shown]
	v_add3_u32 v1, v1, v95, v7
	v_mov_b32_e32 v143, v157
	v_mov_b32_e32 v157, v231
	;; [unrolled: 1-line block ×3, first 2 shown]
	v_mul_i32_i24_e32 v2, v150, v153
	v_add3_u32 v1, v1, v6, v5
	s_clause 0x7
	scratch_store_b32 off, v104, off offset:1536
	scratch_store_b32 off, v36, off offset:1540
	;; [unrolled: 1-line block ×8, first 2 shown]
	v_add3_u32 v1, v1, v4, v3
	v_mul_i32_i24_e32 v13, v231, v36
	v_mul_i32_i24_e32 v15, v190, v38
	s_clause 0x1
	scratch_load_b32 v38, off, off offset:1016
	scratch_load_b32 v36, off, off offset:1036
	v_add3_u32 v0, v1, v2, v0
	scratch_load_b32 v1, off, off offset:1340 th:TH_LOAD_LU ; 4-byte Folded Reload
	s_clause 0x7
	scratch_store_b32 off, v24, off offset:1488
	scratch_store_b32 off, v25, off offset:1492
	;; [unrolled: 1-line block ×8, first 2 shown]
	v_mul_i32_i24_e32 v11, v193, v30
	v_mul_i32_i24_e32 v12, v189, v31
	s_clause 0x1
	scratch_load_b32 v31, off, off offset:1052
	scratch_load_b32 v30, off, off offset:1048
	v_mul_i32_i24_e32 v4, v121, v103
	v_mul_i32_i24_e32 v14, v191, v37
	scratch_load_b32 v37, off, off offset:1040 ; 4-byte Folded Reload
	s_clause 0x7
	scratch_store_b32 off, v17, off offset:1484
	scratch_store_b32 off, v91, off offset:1584
	;; [unrolled: 1-line block ×8, first 2 shown]
	v_mad_i32_i24 v4, v155, v18, v4
	v_mul_i32_i24_e32 v18, v188, v17
	v_mul_i32_i24_e32 v16, v186, v39
	;; [unrolled: 1-line block ×3, first 2 shown]
	s_clause 0x1
	scratch_load_b32 v72, off, off offset:1056
	scratch_load_b32 v39, off, off offset:1008
	v_mul_i32_i24_e32 v5, v118, v104
	v_mul_i32_i24_e32 v6, v106, v105
	;; [unrolled: 1-line block ×3, first 2 shown]
	s_clause 0x1
	scratch_load_b32 v197, off, off offset:900
	scratch_load_b32 v27, off, off offset:1032
	v_mul_i32_i24_e32 v8, v156, v26
	v_add3_u32 v4, v4, v5, v6
	v_mul_i32_i24_e32 v6, v158, v24
	v_mul_i32_i24_e32 v5, v157, v25
	s_clause 0x2
	scratch_load_b32 v26, off, off offset:144
	scratch_load_b32 v25, off, off offset:1060
	;; [unrolled: 1-line block ×3, first 2 shown]
	v_add3_u32 v4, v4, v18, v6
	s_clause 0xf
	scratch_store_b32 off, v107, off offset:1392
	scratch_store_b32 off, v108, off offset:1396
	scratch_store_b32 off, v113, off offset:1400
	scratch_store_b32 off, v119, off offset:1404
	scratch_store_b32 off, v120, off offset:1408
	scratch_store_b32 off, v122, off offset:1412
	scratch_store_b32 off, v123, off offset:1416
	scratch_store_b32 off, v127, off offset:1420
	scratch_store_b32 off, v74, off offset:1552
	scratch_store_b32 off, v83, off offset:1556
	scratch_store_b32 off, v84, off offset:1560
	scratch_store_b32 off, v85, off offset:1564
	scratch_store_b32 off, v86, off offset:1568
	scratch_store_b32 off, v88, off offset:1572
	scratch_store_b32 off, v89, off offset:1576
	scratch_store_b32 off, v90, off offset:1580
	v_add3_u32 v4, v4, v5, v8
	v_mul_i32_i24_e32 v52, v196, v73
	v_fma_mix_f32 v3, v75, v154, 0 op_sel:[1,0,0] op_sel_hi:[1,0,0]
	v_mul_lo_u32 v0, v0, v132
	v_mov_b32_e32 v125, v190
	v_mov_b32_e32 v119, v196
	s_wait_dscnt 0x0
	v_fma_mix_f32 v19, v180, v143, 0 op_sel:[1,0,0] op_sel_hi:[1,0,0]
	v_mov_b32_e32 v127, v106
	v_bfe_i32 v103, v42, 8, 8
	v_bfe_i32 v108, v42, 16, 8
	;; [unrolled: 1-line block ×3, first 2 shown]
	v_cvt_f32_i32_e32 v0, v0
	v_ashrrev_i32_e32 v104, 24, v23
	v_mov_b32_e32 v132, v118
	v_bfe_i32 v118, v20, 8, 8
	s_delay_alu instid0(VALU_DEP_4)
	v_fma_mix_f32 v0, v180, v0, 0 op_sel_hi:[1,0,0]
	s_wait_loadcnt 0xe
	v_mul_i32_i24_e32 v10, v194, v28
	s_clause 0x13
	scratch_load_b32 v28, off, off offset:1044
	scratch_load_b32 v5, off, off offset:1344 th:TH_LOAD_LU
	scratch_load_b32 v6, off, off offset:1636 th:TH_LOAD_LU
	;; [unrolled: 1-line block ×3, first 2 shown]
	scratch_load_b32 v153, off, off offset:1108
	scratch_load_b32 v223, off, off offset:1148
	;; [unrolled: 1-line block ×16, first 2 shown]
	v_add3_u32 v4, v4, v9, v10
	s_clause 0x6
	scratch_load_b32 v218, off, off offset:1240
	scratch_load_b32 v221, off, off offset:1244
	;; [unrolled: 1-line block ×7, first 2 shown]
	v_add3_u32 v4, v4, v11, v12
	s_clause 0x7
	scratch_load_b32 v235, off, off offset:472
	scratch_load_b32 v239, off, off offset:484
	;; [unrolled: 1-line block ×8, first 2 shown]
	v_add3_u32 v4, v4, v13, v14
	s_clause 0x7
	scratch_load_b32 v249, off, off offset:20
	scratch_load_b32 v252, off, off offset:24
	;; [unrolled: 1-line block ×8, first 2 shown]
	v_add3_u32 v4, v4, v15, v16
	v_ashrrev_i32_e32 v9, 24, v34
	v_bfe_i32 v10, v35, 0, 8
	v_bfe_i32 v11, v35, 8, 8
	;; [unrolled: 1-line block ×3, first 2 shown]
	v_add3_u32 v4, v4, v17, v52
	v_ashrrev_i32_e32 v13, 24, v35
	v_mov_b32_e32 v133, v121
	s_clause 0x1
	scratch_store_b32 off, v179, off offset:1236
	scratch_store_b64 off, v[180:181], off offset:1612
	scratch_load_b32 v180, off, off offset:1176 ; 4-byte Folded Reload
	s_wait_loadcnt 0x38
	v_mul_i32_i24_e32 v53, v38, v74
	s_wait_loadcnt 0x37
	v_mul_i32_i24_e32 v54, v36, v83
	v_bfe_i32 v74, v44, 8, 8
	s_wait_loadcnt 0x36
	v_mul_lo_u32 v1, v1, v187
	v_bfe_i32 v83, v44, 16, 8
	v_ashrrev_i32_e32 v44, 24, v44
	v_add3_u32 v4, v4, v53, v54
	s_delay_alu instid0(VALU_DEP_4)
	v_cvt_f32_i32_e32 v1, v1
	s_wait_loadcnt 0x35
	v_mul_i32_i24_e32 v55, v31, v84
	s_wait_loadcnt 0x34
	v_mul_i32_i24_e32 v57, v30, v85
	v_fma_mix_f32 v7, v75, v1, 0 op_sel_hi:[1,0,0]
	v_mul_i32_i24_e32 v1, v238, v102
	s_wait_loadcnt 0x33
	v_mul_i32_i24_e32 v59, v37, v88
	v_ashrrev_i32_e32 v85, 24, v50
	v_add3_u32 v4, v4, v55, v57
	v_bfe_i32 v102, v42, 0, 8
	v_bfe_i32 v84, v51, 16, 8
	;; [unrolled: 1-line block ×4, first 2 shown]
	s_wait_loadcnt 0x32
	v_mul_i32_i24_e32 v60, v72, v89
	s_wait_loadcnt 0x31
	v_mul_i32_i24_e32 v75, v39, v90
	v_bfe_i32 v89, v45, 0, 8
	v_bfe_i32 v90, v49, 0, 8
	s_wait_loadcnt 0x30
	v_mul_i32_i24_e32 v92, v197, v91
	s_wait_loadcnt 0x2f
	v_mul_i32_i24_e32 v93, v27, v98
	v_bfe_i32 v91, v49, 8, 8
	v_bfe_i32 v98, v20, 16, 8
	s_wait_loadcnt 0x2e
	v_mul_i32_i24_e32 v94, v26, v99
	s_wait_loadcnt 0x2d
	v_mul_i32_i24_e32 v95, v25, v100
	;; [unrolled: 2-line block ×3, first 2 shown]
	v_mul_i32_i24_e32 v54, v24, v12
	v_ashrrev_i32_e32 v100, 24, v21
	v_ashrrev_i32_e32 v101, 24, v22
	;; [unrolled: 1-line block ×3, first 2 shown]
	s_wait_loadcnt 0x2b
	v_mul_i32_i24_e32 v58, v28, v86
	s_wait_loadcnt 0x28
	v_add3_u32 v5, v8, v5, v6
	v_bfe_i32 v6, v34, 0, 8
	v_bfe_i32 v8, v34, 16, 8
	;; [unrolled: 1-line block ×3, first 2 shown]
	v_add3_u32 v4, v4, v58, v59
	v_bfe_i32 v58, v46, 16, 8
	v_ashrrev_i32_e32 v59, 24, v46
	s_delay_alu instid0(VALU_DEP_3)
	v_add3_u32 v4, v4, v60, v75
	v_bfe_i32 v60, v47, 0, 8
	s_wait_loadcnt 0x1d
	v_mul_i32_i24_e32 v52, v10, v130
	v_bfe_i32 v75, v47, 8, 8
	v_add3_u32 v4, v4, v92, v93
	s_wait_loadcnt 0x19
	v_mul_i32_i24_e32 v57, v13, v230
	v_bfe_i32 v92, v48, 16, 8
	v_ashrrev_i32_e32 v93, 24, v48
	v_add3_u32 v4, v4, v94, v95
	v_bfe_i32 v94, v48, 8, 8
	v_bfe_i32 v95, v22, 8, 8
	s_delay_alu instid0(VALU_DEP_3)
	v_add3_u32 v1, v4, v2, v1
	v_mul_lo_u32 v2, v5, v126
	v_bfe_i32 v4, v33, 16, 8
	v_ashrrev_i32_e32 v5, 24, v33
	s_wait_loadcnt 0xe
	v_mul_i32_i24_e32 v120, v13, v123
	v_mul_lo_u32 v1, v1, v179
	v_mul_i32_i24_e32 v18, v4, v239
	v_cvt_f32_i32_e32 v2, v2
	s_wait_loadcnt 0x9
	v_mul_i32_i24_e32 v53, v11, v131
	s_delay_alu instid0(VALU_DEP_4)
	v_cvt_f32_i32_e32 v1, v1
	s_wait_loadcnt 0x3
	v_mul_i32_i24_e32 v35, v9, v122
	s_wait_loadcnt 0x2
	v_mul_i32_i24_e32 v137, v12, v107
	v_fma_mix_f32 v0, v181, v1, v0 op_sel_hi:[1,0,0]
	v_fma_mix_f32 v1, v76, v2, v7 op_sel_hi:[1,0,0]
	v_fma_mix_f32 v2, v76, v159, v3 op_sel:[1,0,0] op_sel_hi:[1,0,0]
	v_fma_mix_f32 v3, v181, v174, v19 op_sel:[1,0,0] op_sel_hi:[1,0,0]
	v_bfe_i32 v7, v34, 8, 8
	s_wait_loadcnt 0x1
	v_mul_i32_i24_e32 v19, v5, v244
	v_mul_i32_i24_e32 v34, v8, v113
	v_dual_mul_f32 v2, v2, v153 :: v_dual_mul_f32 v3, v3, v178
	scratch_load_b32 v181, off, off offset:1180 ; 4-byte Folded Reload
	v_bfe_i32 v76, v47, 16, 8
	v_fma_f32 v1, v1, v138, -v2
	v_fma_f32 v0, v0, v175, -v3
	scratch_load_b32 v2, off, off offset:1648 th:TH_LOAD_LU ; 4-byte Folded Reload
	v_bfe_i32 v3, v33, 8, 8
	s_clause 0x1
	scratch_store_b32 off, v1, off offset:1340
	scratch_store_b32 off, v0, off offset:1344
	scratch_load_b32 v1, off, off offset:1644 th:TH_LOAD_LU ; 4-byte Folded Reload
	v_fma_mix_f32 v0, v143, v79, 0 op_sel:[0,1,0] op_sel_hi:[0,1,0]
	v_mul_i32_i24_e32 v17, v3, v252
	s_delay_alu instid0(VALU_DEP_2) | instskip(NEXT) | instid1(VALU_DEP_1)
	v_fma_mix_f32 v0, v174, v80, v0 op_sel:[0,1,0] op_sel_hi:[0,1,0]
	v_mul_f32_e32 v0, v0, v178
	s_wait_loadcnt 0x0
	v_mul_lo_u32 v1, v1, v179
	s_delay_alu instid0(VALU_DEP_1) | instskip(NEXT) | instid1(VALU_DEP_1)
	v_cvt_f32_i32_e32 v1, v1
	v_fma_mix_f32 v1, v80, v1, v87 op_sel_hi:[1,0,0]
	v_ashrrev_i32_e32 v87, 24, v41
	s_delay_alu instid0(VALU_DEP_2)
	v_fma_f32 v0, v1, v175, -v0
	scratch_load_b32 v1, off, off offset:528 ; 4-byte Folded Reload
	s_wait_loadcnt 0x0
	v_add_f32_e32 v1, v1, v0
	v_fma_mix_f32 v0, v154, v79, 0 op_sel:[0,1,0] op_sel_hi:[0,1,0]
	v_ashrrev_i32_e32 v79, 24, v47
	v_bfe_i32 v47, v23, 8, 8
	scratch_store_b32 off, v1, off offset:528 ; 4-byte Folded Spill
	scratch_load_b32 v1, off, off offset:1652 th:TH_LOAD_LU ; 4-byte Folded Reload
	v_fma_mix_f32 v0, v159, v80, v0 op_sel:[0,1,0] op_sel_hi:[0,1,0]
	s_delay_alu instid0(VALU_DEP_1) | instskip(SKIP_2) | instid1(VALU_DEP_1)
	v_mul_f32_e32 v0, v0, v153
	s_wait_loadcnt 0x0
	v_mul_lo_u32 v1, v1, v126
	v_cvt_f32_i32_e32 v1, v1
	s_delay_alu instid0(VALU_DEP_1)
	v_fma_mix_f32 v1, v80, v1, v2 op_sel_hi:[1,0,0]
	v_bfe_i32 v2, v33, 0, 8
	v_mul_i32_i24_e32 v33, v7, v129
	v_bfe_i32 v80, v48, 0, 8
	v_bfe_i32 v48, v49, 16, 8
	v_fma_f32 v0, v1, v138, -v0
	scratch_load_b32 v1, off, off offset:536 ; 4-byte Folded Reload
	v_mul_i32_i24_e32 v16, v2, v249
	s_wait_loadcnt 0x0
	v_add_f32_e32 v1, v1, v0
	v_bfe_i32 v0, v32, 16, 8
	scratch_store_b32 off, v1, off offset:536 ; 4-byte Folded Spill
	v_ashrrev_i32_e32 v1, 24, v32
	v_mul_i32_i24_e32 v14, v0, v235
	v_mul_i32_i24_e32 v32, v6, v128
	s_delay_alu instid0(VALU_DEP_3) | instskip(NEXT) | instid1(VALU_DEP_1)
	v_mul_i32_i24_e32 v15, v1, v236
	v_add3_u32 v14, v56, v14, v15
	v_mul_i32_i24_e32 v15, v36, v1
	v_mul_i32_i24_e32 v56, v238, v13
	v_bfe_i32 v36, v43, 16, 8
	s_delay_alu instid0(VALU_DEP_4)
	v_add3_u32 v14, v14, v16, v17
	v_mul_i32_i24_e32 v16, v31, v2
	v_mul_i32_i24_e32 v17, v30, v3
	v_bfe_i32 v30, v40, 16, 8
	v_ashrrev_i32_e32 v31, 24, v40
	v_add3_u32 v14, v14, v18, v19
	v_mul_i32_i24_e32 v18, v28, v4
	v_mul_i32_i24_e32 v19, v37, v5
	;; [unrolled: 1-line block ×3, first 2 shown]
	v_ashrrev_i32_e32 v37, 24, v43
	v_add3_u32 v14, v14, v32, v33
	v_mul_i32_i24_e32 v32, v72, v6
	v_mul_i32_i24_e32 v33, v39, v7
	v_bfe_i32 v39, v40, 8, 8
	v_ashrrev_i32_e32 v72, 24, v51
	v_add3_u32 v14, v14, v34, v35
	v_mul_i32_i24_e32 v34, v197, v8
	v_mul_i32_i24_e32 v35, v27, v9
	v_ashrrev_i32_e32 v51, 24, v45
	v_mul_i32_i24_e32 v27, v48, v210
	v_add3_u32 v121, v14, v52, v53
	v_mul_i32_i24_e32 v14, v38, v0
	v_mul_i32_i24_e32 v52, v26, v10
	;; [unrolled: 1-line block ×4, first 2 shown]
	v_bfe_i32 v38, v20, 0, 8
	v_add3_u32 v14, v65, v14, v15
	v_mul_i32_i24_e32 v15, v1, v218
	v_bfe_i32 v65, v41, 0, 8
	v_mul_i32_i24_e32 v20, v86, v199
	s_delay_alu instid0(VALU_DEP_4) | instskip(SKIP_2) | instid1(VALU_DEP_3)
	v_add3_u32 v14, v14, v16, v17
	v_mul_i32_i24_e32 v16, v2, v219
	v_mul_i32_i24_e32 v17, v3, v221
	v_add3_u32 v14, v14, v18, v19
	v_mul_i32_i24_e32 v18, v4, v220
	v_mul_i32_i24_e32 v19, v5, v222
	s_delay_alu instid0(VALU_DEP_3) | instskip(SKIP_2) | instid1(VALU_DEP_3)
	v_add3_u32 v14, v14, v32, v33
	v_mul_i32_i24_e32 v32, v6, v223
	v_mul_i32_i24_e32 v33, v7, v225
	v_add3_u32 v14, v14, v34, v35
	v_mul_i32_i24_e32 v34, v8, v224
	v_mul_i32_i24_e32 v35, v9, v226
	s_delay_alu instid0(VALU_DEP_3) | instskip(SKIP_2) | instid1(VALU_DEP_3)
	v_add3_u32 v14, v14, v52, v53
	v_mul_i32_i24_e32 v52, v10, v227
	v_mul_i32_i24_e32 v53, v11, v229
	v_add3_u32 v14, v14, v54, v56
	v_mul_i32_i24_e32 v56, v12, v228
	v_bfe_i32 v54, v50, 8, 8
	s_delay_alu instid0(VALU_DEP_3) | instskip(SKIP_3) | instid1(VALU_DEP_1)
	v_mul_lo_u32 v14, v14, v179
	scratch_load_b32 v179, off, off offset:1220 ; 4-byte Folded Reload
	v_cvt_f32_i32_e32 v106, v14
	v_mul_i32_i24_e32 v14, v0, v217
	v_add3_u32 v14, v66, v14, v15
	v_bfe_i32 v66, v41, 8, 8
	s_delay_alu instid0(VALU_DEP_2) | instskip(NEXT) | instid1(VALU_DEP_1)
	v_add3_u32 v14, v14, v16, v17
	v_add3_u32 v14, v14, v18, v19
	v_mul_i32_i24_e32 v19, v88, v195
	s_delay_alu instid0(VALU_DEP_2)
	v_add3_u32 v14, v14, v32, v33
	v_bfe_i32 v32, v40, 0, 8
	v_ashrrev_i32_e32 v33, 24, v42
	v_bfe_i32 v40, v21, 0, 8
	v_bfe_i32 v42, v21, 16, 8
	v_add3_u32 v14, v14, v34, v35
	v_bfe_i32 v34, v43, 0, 8
	v_bfe_i32 v35, v43, 8, 8
	;; [unrolled: 1-line block ×3, first 2 shown]
	s_delay_alu instid0(VALU_DEP_4)
	v_add3_u32 v14, v14, v52, v53
	v_bfe_i32 v53, v50, 0, 8
	v_ashrrev_i32_e32 v52, 24, v49
	v_bfe_i32 v49, v45, 8, 8
	v_bfe_i32 v50, v45, 16, 8
	v_add3_u32 v14, v14, v56, v57
	v_bfe_i32 v56, v46, 0, 8
	v_bfe_i32 v57, v46, 8, 8
	v_mul_i32_i24_e32 v25, v52, v190
	v_bfe_i32 v46, v23, 0, 8
	v_mul_lo_u32 v14, v14, v126
	v_mul_i32_i24_e32 v23, v54, v196
	v_bfe_i32 v45, v22, 16, 8
	v_mul_i32_i24_e32 v22, v55, v251
	s_delay_alu instid0(VALU_DEP_4)
	v_cvt_f32_i32_e32 v105, v14
	scratch_load_b32 v14, off, off offset:196 ; 4-byte Folded Reload
	s_wait_loadcnt 0x0
	v_mul_i32_i24_e32 v0, v0, v14
	scratch_load_b32 v14, off, off offset:200 ; 4-byte Folded Reload
	s_wait_loadcnt 0x0
	v_mul_i32_i24_e32 v1, v1, v14
	scratch_load_b32 v14, off, off offset:204 ; 4-byte Folded Reload
	v_add3_u32 v0, v67, v0, v1
	scratch_load_b32 v1, off, off offset:432 ; 4-byte Folded Reload
	v_bfe_i32 v67, v41, 16, 8
	v_bfe_i32 v41, v21, 8, 8
	s_wait_loadcnt 0x1
	v_mul_i32_i24_e32 v2, v2, v14
	scratch_load_b32 v14, off, off offset:4 ; 4-byte Folded Reload
	s_wait_loadcnt 0x0
	v_mul_i32_i24_e32 v3, v3, v14
	scratch_load_b32 v14, off, off offset:208 ; 4-byte Folded Reload
	v_add3_u32 v0, v0, v2, v3
	v_mul_i32_i24_e32 v2, v80, v255
	s_delay_alu instid0(VALU_DEP_1)
	v_mad_i32_i24 v2, v94, v250, v2
	s_wait_loadcnt 0x0
	v_mul_i32_i24_e32 v4, v4, v14
	scratch_load_b32 v14, off, off offset:8 ; 4-byte Folded Reload
	s_wait_loadcnt 0x0
	v_mul_i32_i24_e32 v5, v5, v14
	scratch_load_b32 v14, off, off offset:12 ; 4-byte Folded Reload
	v_add3_u32 v0, v0, v4, v5
	s_wait_loadcnt 0x0
	v_mul_i32_i24_e32 v6, v6, v14
	scratch_load_b32 v14, off, off offset:216 ; 4-byte Folded Reload
	s_wait_loadcnt 0x0
	v_mul_i32_i24_e32 v7, v7, v14
	scratch_load_b32 v14, off, off offset:212 ; 4-byte Folded Reload
	v_add3_u32 v0, v0, v6, v7
	;; [unrolled: 7-line block ×4, first 2 shown]
	s_wait_loadcnt 0x0
	v_mul_i32_i24_e32 v12, v12, v14
	scratch_load_b32 v14, off, off offset:516 ; 4-byte Folded Reload
	s_wait_loadcnt 0x0
	v_mul_i32_i24_e32 v13, v13, v14
	s_delay_alu instid0(VALU_DEP_1) | instskip(NEXT) | instid1(VALU_DEP_1)
	v_add3_u32 v0, v0, v12, v13
	v_mul_lo_u32 v0, v0, v1
	v_mul_i32_i24_e32 v1, v92, v192
	s_delay_alu instid0(VALU_DEP_2) | instskip(SKIP_1) | instid1(VALU_DEP_1)
	v_cvt_f32_i32_e32 v136, v0
	v_mul_i32_i24_e32 v0, v93, v179
	v_add3_u32 v0, v2, v1, v0
	scratch_load_b32 v1, off, off offset:996 ; 4-byte Folded Reload
	v_add3_u32 v0, v0, v28, v26
	v_mul_i32_i24_e32 v26, v46, v130
	v_mul_i32_i24_e32 v28, v97, v107
	s_delay_alu instid0(VALU_DEP_3)
	v_add3_u32 v0, v0, v27, v25
	v_mul_i32_i24_e32 v25, v101, v122
	v_mul_i32_i24_e32 v27, v47, v131
	s_wait_loadcnt 0x0
	v_mul_i32_i24_e32 v24, v53, v1
	scratch_load_b32 v1, off, off offset:1000 ; 4-byte Folded Reload
	v_add3_u32 v0, v0, v24, v23
	v_mul_i32_i24_e32 v23, v95, v129
	v_mul_i32_i24_e32 v24, v45, v113
	v_mov_b32_e32 v113, v175
	v_mov_b32_e32 v129, v154
	s_wait_loadcnt 0x0
	v_mul_i32_i24_e32 v21, v85, v1
	scratch_load_b32 v1, off, off offset:492 ; 4-byte Folded Reload
	v_add3_u32 v0, v0, v22, v21
	v_mul_i32_i24_e32 v21, v100, v244
	v_mul_i32_i24_e32 v22, v43, v128
	s_delay_alu instid0(VALU_DEP_3)
	v_add3_u32 v0, v0, v20, v19
	v_mul_i32_i24_e32 v19, v41, v252
	v_mul_i32_i24_e32 v20, v42, v239
	v_mov_b32_e32 v252, v145
	s_wait_loadcnt 0x0
	v_mul_i32_i24_e32 v18, v84, v1
	scratch_load_b32 v1, off, off offset:496 ; 4-byte Folded Reload
	s_wait_loadcnt 0x0
	v_mul_i32_i24_e32 v17, v72, v1
	scratch_load_b32 v1, off, off offset:964 ; 4-byte Folded Reload
	v_add3_u32 v0, v0, v18, v17
	v_mul_i32_i24_e32 v17, v99, v236
	v_mul_i32_i24_e32 v18, v40, v249
	s_wait_loadcnt 0x0
	v_mul_i32_i24_e32 v16, v73, v1
	scratch_load_b32 v1, off, off offset:968 ; 4-byte Folded Reload
	s_wait_loadcnt 0x0
	v_mul_i32_i24_e32 v15, v74, v1
	scratch_load_b32 v1, off, off offset:972 ; 4-byte Folded Reload
	v_add3_u32 v0, v0, v16, v15
	v_mul_i32_i24_e32 v15, v118, v151
	v_mul_i32_i24_e32 v16, v98, v235
	v_mov_b32_e32 v151, v159
	v_mov_b32_e32 v159, v152
	s_wait_loadcnt 0x0
	v_mul_i32_i24_e32 v14, v83, v1
	scratch_load_b32 v1, off, off offset:976 ; 4-byte Folded Reload
	s_wait_loadcnt 0x0
	v_mul_i32_i24_e32 v13, v44, v1
	scratch_load_b32 v1, off, off offset:80 ; 4-byte Folded Reload
	v_add3_u32 v0, v0, v14, v13
	v_mul_i32_i24_e32 v13, v37, v148
	v_mul_i32_i24_e32 v14, v38, v177
	s_wait_loadcnt 0x0
	v_mul_i32_i24_e32 v12, v89, v1
	scratch_load_b32 v1, off, off offset:928 ; 4-byte Folded Reload
	s_wait_loadcnt 0x0
	v_mul_i32_i24_e32 v11, v49, v1
	scratch_load_b32 v1, off, off offset:76 ; 4-byte Folded Reload
	v_add3_u32 v0, v0, v12, v11
	v_mul_i32_i24_e32 v11, v35, v176
	v_mul_i32_i24_e32 v12, v36, v147
	v_mov_b32_e32 v147, v153
	s_wait_loadcnt 0x0
	v_mul_i32_i24_e32 v10, v50, v1
	scratch_load_b32 v1, off, off offset:932 ; 4-byte Folded Reload
	s_wait_loadcnt 0x0
	v_mul_i32_i24_e32 v9, v51, v1
	scratch_load_b32 v1, off, off offset:936 ; 4-byte Folded Reload
	v_add3_u32 v0, v0, v10, v9
	s_wait_loadcnt 0x0
	v_mul_i32_i24_e32 v8, v56, v1
	scratch_load_b32 v1, off, off offset:940 ; 4-byte Folded Reload
	s_wait_loadcnt 0x0
	v_mul_i32_i24_e32 v7, v57, v1
	scratch_load_b32 v1, off, off offset:944 ; 4-byte Folded Reload
	v_add3_u32 v0, v0, v8, v7
	;; [unrolled: 7-line block ×4, first 2 shown]
	s_clause 0x1
	scratch_load_b32 v3, off, off offset:924
	scratch_load_b32 v4, off, off offset:64
	s_wait_loadcnt 0x2
	v_mul_i32_i24_e32 v2, v76, v1
	scratch_load_b32 v1, off, off offset:960 ; 4-byte Folded Reload
	s_wait_loadcnt 0x2
	v_mul_i32_i24_e32 v3, v31, v3
	s_wait_loadcnt 0x0
	v_mul_i32_i24_e32 v1, v79, v1
	s_delay_alu instid0(VALU_DEP_1)
	v_add3_u32 v0, v0, v2, v1
	s_clause 0x1
	scratch_load_b32 v1, off, off offset:72
	scratch_load_b32 v2, off, off offset:68
	s_wait_loadcnt 0x1
	v_mul_i32_i24_e32 v1, v32, v1
	s_wait_loadcnt 0x0
	v_mul_i32_i24_e32 v2, v30, v2
	s_delay_alu instid0(VALU_DEP_2) | instskip(NEXT) | instid1(VALU_DEP_1)
	v_mad_i32_i24 v1, v39, v4, v1
	v_add3_u32 v1, v1, v2, v3
	scratch_load_b32 v2, off, off offset:164 ; 4-byte Folded Reload
	s_wait_loadcnt 0x0
	v_mul_i32_i24_e32 v29, v65, v2
	scratch_load_b32 v2, off, off offset:168 ; 4-byte Folded Reload
	s_wait_loadcnt 0x0
	v_mul_i32_i24_e32 v3, v66, v2
	scratch_load_b32 v2, off, off offset:152 ; 4-byte Folded Reload
	v_add3_u32 v1, v1, v29, v3
	s_wait_loadcnt 0x0
	v_mul_i32_i24_e32 v4, v67, v2
	scratch_load_b32 v2, off, off offset:160 ; 4-byte Folded Reload
	s_wait_loadcnt 0x0
	v_mul_i32_i24_e32 v5, v87, v2
	scratch_load_b32 v2, off, off offset:52 ; 4-byte Folded Reload
	v_add3_u32 v1, v1, v4, v5
	;; [unrolled: 7-line block ×3, first 2 shown]
	v_add3_u32 v6, v121, v137, v120
	v_mul_i32_i24_e32 v7, v214, v55
	s_wait_loadcnt 0x0
	v_mul_i32_i24_e32 v8, v108, v2
	scratch_load_b32 v2, off, off offset:48 ; 4-byte Folded Reload
	s_wait_loadcnt 0x0
	v_mul_i32_i24_e32 v9, v33, v2
	s_clause 0x9
	scratch_load_b32 v2, off, off offset:60
	scratch_load_b32 v4, off, off offset:184
	scratch_load_b32 v3, off, off offset:1676 th:TH_LOAD_LU
	scratch_load_b32 v5, off, off offset:180
	scratch_load_b32 v176, off, off offset:156
	;; [unrolled: 1-line block ×7, first 2 shown]
	v_add3_u32 v1, v1, v8, v9
	s_clause 0x6
	scratch_load_b32 v107, off, off offset:724
	scratch_load_b32 v122, off, off offset:1036
	scratch_load_b32 v128, off, off offset:1044
	scratch_load_b32 v148, off, off offset:1084
	scratch_load_b32 v177, off, off offset:1156
	scratch_load_b32 v130, off, off offset:560
	scratch_load_b32 v236, off, off offset:692
	v_mov_b32_e32 v121, v174
	s_clause 0x1
	scratch_load_b32 v120, off, off offset:720
	scratch_load_b32 v137, off, off offset:688
	v_mul_i32_i24_e32 v8, v213, v85
	v_mul_i32_i24_e32 v9, v162, v86
	s_clause 0x2
	scratch_load_b32 v174, off, off offset:1048
	scratch_load_b32 v175, off, off offset:1032
	;; [unrolled: 1-line block ×3, first 2 shown]
	s_clause 0x2
	scratch_store_b32 off, v121, off offset:1116
	scratch_store_b32 off, v129, off offset:1120
	;; [unrolled: 1-line block ×3, first 2 shown]
	s_clause 0x1
	scratch_load_b32 v213, off, off offset:108
	scratch_load_b32 v162, off, off offset:204
	s_wait_loadcnt 0x17
	v_mul_i32_i24_e32 v10, v34, v2
	v_mul_i32_i24_e32 v2, v104, v123
	s_wait_loadcnt 0x15
	v_mul_lo_u32 v3, v3, v4
	v_mul_lo_u32 v0, v0, v4
	s_wait_loadcnt 0x14
	v_fma_mix_f32 v4, v5, v77, 0 op_sel:[0,1,0] op_sel_hi:[0,1,0]
	v_add3_u32 v1, v1, v10, v11
	v_fma_mix_f32 v5, v5, v81, 0 op_sel:[0,1,0] op_sel_hi:[0,1,0]
	scratch_load_b32 v123, off, off offset:136 ; 4-byte Folded Reload
	v_mul_i32_i24_e32 v10, v161, v88
	v_mul_i32_i24_e32 v11, v215, v84
	v_add3_u32 v1, v1, v12, v13
	v_cvt_f32_i32_e32 v0, v0
	v_cvt_f32_i32_e32 v3, v3
	v_mul_i32_i24_e32 v12, v216, v72
	v_mul_i32_i24_e32 v13, v164, v73
	v_add3_u32 v1, v1, v14, v15
	v_fma_mix_f32 v0, v77, v0, 0 op_sel_hi:[1,0,0]
	v_fma_mix_f32 v3, v81, v3, 0 op_sel_hi:[1,0,0]
	v_mul_i32_i24_e32 v14, v166, v74
	v_mul_i32_i24_e32 v15, v163, v83
	v_add3_u32 v1, v1, v16, v17
	v_mul_i32_i24_e32 v16, v165, v44
	v_mul_i32_i24_e32 v17, v170, v89
	s_clause 0x1
	scratch_load_b32 v216, off, off offset:716
	scratch_load_b32 v215, off, off offset:116
	v_add3_u32 v1, v1, v18, v19
	v_mul_i32_i24_e32 v18, v169, v49
	v_mul_i32_i24_e32 v19, v168, v50
	s_clause 0x1
	scratch_load_b32 v161, off, off offset:200
	scratch_load_b32 v164, off, off offset:4
	;; [unrolled: 6-line block ×5, first 2 shown]
	v_add3_u32 v1, v1, v26, v27
	v_mul_i32_i24_e32 v26, v96, v75
	v_mov_b32_e32 v96, v150
	v_mul_i32_i24_e32 v27, v150, v76
	scratch_load_b32 v150, off, off offset:120 ; 4-byte Folded Reload
	v_add3_u32 v1, v1, v28, v2
	s_clause 0x6
	scratch_load_b32 v2, off, off offset:176
	scratch_load_b32 v167, off, off offset:212
	;; [unrolled: 1-line block ×7, first 2 shown]
	s_wait_loadcnt 0x6
	v_mul_lo_u32 v1, v1, v2
	v_mul_lo_u32 v2, v6, v2
	v_mul_i32_i24_e32 v6, v212, v54
	scratch_load_b32 v212, off, off offset:132 ; 4-byte Folded Reload
	v_cvt_f32_i32_e32 v1, v1
	v_cvt_f32_i32_e32 v2, v2
	s_delay_alu instid0(VALU_DEP_2) | instskip(NEXT) | instid1(VALU_DEP_2)
	v_fma_mix_f32 v0, v78, v1, v0 op_sel_hi:[1,0,0]
	v_fma_mix_f32 v1, v82, v2, v3 op_sel_hi:[1,0,0]
	scratch_load_b32 v3, off, off offset:172 ; 4-byte Folded Reload
	s_wait_loadcnt 0x0
	v_fma_mix_f32 v2, v3, v82, v5 op_sel:[0,1,0] op_sel_hi:[0,1,0]
	v_fma_mix_f32 v3, v3, v78, v4 op_sel:[0,1,0] op_sel_hi:[0,1,0]
	scratch_load_b32 v4, off, off offset:568 ; 4-byte Folded Reload
	v_mul_i32_i24_e32 v5, v160, v53
	s_wait_loadcnt 0x0
	v_mul_f32_e32 v3, v3, v4
	scratch_load_b32 v4, off, off offset:552 ; 4-byte Folded Reload
	s_wait_loadcnt 0x0
	v_mul_f32_e32 v2, v2, v4
	scratch_load_b32 v4, off, off offset:548 ; 4-byte Folded Reload
	v_mul_i32_i24_e32 v28, v149, v79
	v_mov_b32_e32 v154, v149
	scratch_load_b32 v149, off, off offset:432 ; 4-byte Folded Reload
	s_wait_loadcnt 0x1
	v_fma_f32 v1, v1, v4, -v2
	scratch_load_b32 v2, off, off offset:564 ; 4-byte Folded Reload
	v_mul_i32_i24_e32 v4, v211, v52
	scratch_load_b32 v211, off, off offset:1088 ; 4-byte Folded Reload
	s_wait_loadcnt 0x1
	v_fma_f32 v0, v0, v2, -v3
	scratch_load_b32 v2, off, off offset:1688 th:TH_LOAD_LU ; 4-byte Folded Reload
	v_fma_mix_f32 v3, v143, v81, 0 op_sel:[0,1,0] op_sel_hi:[0,1,0]
	s_delay_alu instid0(VALU_DEP_1) | instskip(NEXT) | instid1(VALU_DEP_1)
	v_fma_mix_f32 v3, v121, v82, v3 op_sel:[0,1,0] op_sel_hi:[0,1,0]
	v_mul_f32_e32 v3, v3, v178
	s_wait_loadcnt 0x0
	v_fma_mix_f32 v2, v81, v2, 0 op_sel_hi:[1,0,0]
	s_delay_alu instid0(VALU_DEP_1)
	v_fma_mix_f32 v2, v82, v106, v2 op_sel_hi:[1,0,0]
	scratch_load_b32 v106, off, off offset:636 ; 4-byte Folded Reload
	v_fma_f32 v2, v2, v113, -v3
	scratch_load_b32 v3, off, off offset:604 ; 4-byte Folded Reload
	s_wait_loadcnt 0x0
	v_add_f32_e32 v3, v3, v2
	scratch_load_b32 v2, off, off offset:1680 th:TH_LOAD_LU ; 4-byte Folded Reload
	s_wait_loadcnt 0x0
	v_fma_mix_f32 v2, v81, v2, 0 op_sel_hi:[1,0,0]
	s_delay_alu instid0(VALU_DEP_1) | instskip(SKIP_3) | instid1(VALU_DEP_1)
	v_fma_mix_f32 v2, v82, v105, v2 op_sel_hi:[1,0,0]
	scratch_load_b32 v105, off, off offset:600 ; 4-byte Folded Reload
	scratch_store_b32 off, v3, off offset:604 ; 4-byte Folded Spill
	v_fma_mix_f32 v3, v129, v81, 0 op_sel:[0,1,0] op_sel_hi:[0,1,0]
	v_fma_mix_f32 v3, v151, v82, v3 op_sel:[0,1,0] op_sel_hi:[0,1,0]
	s_delay_alu instid0(VALU_DEP_1) | instskip(NEXT) | instid1(VALU_DEP_1)
	v_mul_f32_e32 v3, v3, v147
	v_fma_f32 v2, v2, v138, -v3
	scratch_load_b32 v3, off, off offset:524 ; 4-byte Folded Reload
	s_wait_loadcnt 0x0
	v_add_f32_e32 v3, v3, v2
	scratch_load_b32 v2, off, off offset:1684 th:TH_LOAD_LU ; 4-byte Folded Reload
	scratch_store_b32 off, v3, off offset:524 ; 4-byte Folded Spill
	v_fma_mix_f32 v3, v81, v120, 0 op_sel:[1,0,0] op_sel_hi:[1,0,0]
	s_delay_alu instid0(VALU_DEP_1) | instskip(NEXT) | instid1(VALU_DEP_1)
	v_fma_mix_f32 v3, v82, v107, v3 op_sel:[1,0,0] op_sel_hi:[1,0,0]
	v_mul_f32_e32 v3, v3, v130
	s_wait_loadcnt 0x0
	v_fma_mix_f32 v2, v81, v2, 0 op_sel_hi:[1,0,0]
	v_mul_i32_i24_e32 v81, v238, v104
	scratch_load_b32 v238, off, off offset:952 ; 4-byte Folded Reload
	v_fma_mix_f32 v2, v82, v136, v2 op_sel_hi:[1,0,0]
	s_clause 0x1
	scratch_load_b32 v82, off, off offset:556
	scratch_load_b32 v136, off, off offset:1004
	s_wait_loadcnt 0x1
	v_fma_f32 v2, v2, v82, -v3
	scratch_load_b32 v3, off, off offset:532 ; 4-byte Folded Reload
	s_wait_loadcnt 0x0
	v_add_f32_e32 v3, v3, v2
	scratch_store_b32 off, v3, off offset:532 ; 4-byte Folded Spill
	scratch_load_b64 v[2:3], off, off offset:540 th:TH_LOAD_LU ; 8-byte Folded Reload
	s_wait_loadcnt 0x0
	v_dual_add_f32 v3, v3, v0 :: v_dual_add_f32 v2, v2, v1
	v_mul_i32_i24_e32 v0, v152, v80
	v_mul_i32_i24_e32 v1, v146, v92
	scratch_store_b32 off, v143, off offset:1112 ; 4-byte Folded Spill
	scratch_load_b32 v152, off, off offset:1040 ; 4-byte Folded Reload
	scratch_store_b64 off, v[2:3], off offset:540 ; 8-byte Folded Spill
	v_mul_i32_i24_e32 v2, v145, v93
	v_mad_i32_i24 v0, v206, v94, v0
	v_mul_i32_i24_e32 v3, v207, v48
	scratch_load_b32 v145, off, off offset:144 ; 4-byte Folded Reload
	v_mov_b32_e32 v146, v214
	scratch_load_b32 v214, off, off offset:112 ; 4-byte Folded Reload
	v_add3_u32 v0, v0, v1, v2
	v_mul_i32_i24_e32 v1, v209, v90
	v_mul_i32_i24_e32 v2, v208, v91
	v_mov_b32_e32 v208, v160
	s_clause 0x2
	scratch_load_b32 v207, off, off offset:1080
	scratch_load_b32 v209, off, off offset:1252
	;; [unrolled: 1-line block ×3, first 2 shown]
	v_add3_u32 v0, v0, v1, v2
	v_fma_mix_f32 v1, v143, v77, 0 op_sel:[0,1,0] op_sel_hi:[0,1,0]
	scratch_load_b32 v143, off, off offset:1052 ; 4-byte Folded Reload
	v_mul_i32_i24_e32 v2, v133, v32
	scratch_load_b32 v133, off, off offset:128 ; 4-byte Folded Reload
	v_add3_u32 v0, v0, v3, v4
	v_mul_i32_i24_e32 v3, v132, v30
	scratch_load_b32 v132, off, off offset:1056 ; 4-byte Folded Reload
	v_mul_i32_i24_e32 v4, v127, v31
	scratch_load_b32 v127, off, off offset:1236 ; 4-byte Folded Reload
	v_add3_u32 v0, v0, v5, v6
	v_mul_i32_i24_e32 v6, v156, v87
	scratch_load_b32 v156, off, off offset:1012 ; 4-byte Folded Reload
	v_mad_i32_i24 v2, v155, v39, v2
	v_mul_i32_i24_e32 v5, v157, v67
	v_add3_u32 v0, v0, v7, v8
	v_mul_i32_i24_e32 v7, v198, v102
	v_mul_i32_i24_e32 v8, v194, v103
	v_add3_u32 v2, v2, v3, v4
	v_mul_i32_i24_e32 v3, v188, v65
	v_add3_u32 v0, v0, v9, v10
	v_mul_i32_i24_e32 v4, v158, v66
	v_mul_i32_i24_e32 v9, v193, v108
	;; [unrolled: 1-line block ×3, first 2 shown]
	v_fma_mix_f32 v1, v121, v78, v1 op_sel:[0,1,0] op_sel_hi:[0,1,0]
	v_add3_u32 v0, v0, v11, v12
	v_add3_u32 v2, v2, v3, v4
	v_mul_i32_i24_e32 v11, v231, v34
	v_mul_i32_i24_e32 v12, v191, v35
	v_mul_f32_e32 v1, v1, v178
	v_add3_u32 v0, v0, v13, v14
	v_add3_u32 v2, v2, v5, v6
	v_mul_i32_i24_e32 v13, v125, v36
	v_mul_i32_i24_e32 v14, v186, v37
	scratch_load_b32 v198, off, off offset:36 ; 4-byte Folded Reload
	v_add3_u32 v0, v0, v15, v16
	v_mul_i32_i24_e32 v15, v124, v38
	scratch_load_b32 v124, off, off offset:1016 ; 4-byte Folded Reload
	v_mul_i32_i24_e32 v16, v119, v118
	scratch_load_b32 v119, off, off offset:1008 ; 4-byte Folded Reload
	v_add3_u32 v2, v2, v7, v8
	v_add3_u32 v0, v0, v17, v18
	v_mul_i32_i24_e32 v18, v122, v99
	v_mov_b32_e32 v155, v231
	scratch_load_b32 v231, off, off offset:88 ; 4-byte Folded Reload
	v_add3_u32 v2, v2, v9, v10
	v_add3_u32 v0, v0, v19, v20
	v_mul_i32_i24_e32 v20, v174, v41
	scratch_load_b32 v121, off, off offset:96 ; 4-byte Folded Reload
	v_mul_i32_i24_e32 v4, v52, v150
	v_add3_u32 v2, v2, v11, v12
	v_add3_u32 v0, v0, v21, v22
	v_mul_i32_i24_e32 v21, v128, v42
	v_mul_i32_i24_e32 v5, v53, v244
	;; [unrolled: 1-line block ×3, first 2 shown]
	v_add3_u32 v2, v2, v13, v14
	v_add3_u32 v0, v0, v23, v24
	s_clause 0x1
	scratch_load_b32 v13, off, off offset:336
	scratch_load_b32 v14, off, off offset:340
	v_mul_i32_i24_e32 v8, v85, v235
	v_add3_u32 v2, v2, v15, v16
	v_add3_u32 v0, v0, v25, v26
	v_mul_i32_i24_e32 v25, v197, v45
	v_mul_i32_i24_e32 v26, v175, v101
	s_clause 0x1
	scratch_load_b32 v15, off, off offset:344
	scratch_load_b32 v16, off, off offset:308
	v_add3_u32 v0, v0, v27, v28
	v_mul_i32_i24_e32 v28, v153, v47
	v_mul_i32_i24_e32 v9, v86, v236
	;; [unrolled: 1-line block ×4, first 2 shown]
	v_mul_lo_u32 v0, v0, v137
	v_mov_b32_e32 v197, v187
	s_clause 0x2
	scratch_load_b32 v160, off, off offset:748
	scratch_load_b32 v125, off, off offset:968
	;; [unrolled: 1-line block ×3, first 2 shown]
	v_mov_b32_e32 v157, v193
	s_clause 0x1
	scratch_load_b32 v193, off, off offset:856
	scratch_load_b32 v194, off, off offset:860
	v_cvt_f32_i32_e32 v0, v0
	s_clause 0x1
	scratch_load_b32 v191, off, off offset:920
	scratch_load_b32 v178, off, off offset:892
	v_fma_mix_f32 v0, v77, v0, 0 op_sel_hi:[1,0,0]
	s_wait_loadcnt 0x1a
	v_mul_i32_i24_e32 v22, v152, v100
	s_wait_loadcnt 0x19
	v_mul_i32_i24_e32 v27, v145, v46
	;; [unrolled: 2-line block ×8, first 2 shown]
	s_delay_alu instid0(VALU_DEP_2)
	v_add3_u32 v2, v2, v17, v18
	s_clause 0x1
	scratch_load_b32 v17, off, off offset:312
	scratch_load_b32 v18, off, off offset:316
	s_wait_loadcnt 0xe
	v_mul_i32_i24_e32 v3, v48, v231
	v_add3_u32 v2, v2, v19, v20
	scratch_load_b32 v19, off, off offset:320 ; 4-byte Folded Reload
	s_wait_loadcnt 0xe
	v_mul_i32_i24_e32 v10, v88, v121
	v_mul_i32_i24_e32 v20, v51, v144
	v_add3_u32 v2, v2, v21, v22
	s_clause 0x1
	scratch_load_b32 v21, off, off offset:328
	scratch_load_b32 v22, off, off offset:324
	v_add3_u32 v2, v2, v23, v24
	scratch_load_b32 v23, off, off offset:332 ; 4-byte Folded Reload
	s_wait_loadcnt 0x10
	v_mul_i32_i24_e32 v13, v73, v13
	s_wait_loadcnt 0xf
	v_mul_i32_i24_e32 v14, v74, v14
	v_mul_i32_i24_e32 v24, v59, v176
	v_add3_u32 v2, v2, v25, v26
	scratch_load_b32 v25, off, off offset:836 ; 4-byte Folded Reload
	s_wait_loadcnt 0xf
	v_mul_i32_i24_e32 v15, v83, v15
	s_wait_loadcnt 0xe
	v_mul_i32_i24_e32 v16, v44, v16
	v_mul_i32_i24_e32 v26, v75, v216
	v_add3_u32 v2, v2, v27, v28
	s_clause 0x1
	scratch_load_b32 v27, off, off offset:840
	scratch_load_b32 v28, off, off offset:844
	v_add3_u32 v2, v2, v29, v81
	v_mul_i32_i24_e32 v29, v97, v228
	v_mul_i32_i24_e32 v81, v104, v230
	s_clause 0x1
	scratch_load_b32 v228, off, off offset:1064
	scratch_load_b32 v230, off, off offset:1256 th:TH_LOAD_LU
	v_mul_lo_u32 v2, v2, v127
	s_delay_alu instid0(VALU_DEP_1) | instskip(NEXT) | instid1(VALU_DEP_1)
	v_cvt_f32_i32_e32 v2, v2
	v_fma_mix_f32 v0, v78, v2, v0 op_sel_hi:[1,0,0]
	s_delay_alu instid0(VALU_DEP_1)
	v_fma_f32 v0, v0, v113, -v1
	scratch_load_b32 v113, off, off offset:140 ; 4-byte Folded Reload
	v_mul_i32_i24_e32 v1, v92, v198
	v_add_f32_e32 v105, v105, v0
	v_mul_i32_i24_e32 v0, v80, v131
	scratch_store_b32 off, v105, off offset:600 ; 4-byte Folded Spill
	scratch_load_b32 v105, off, off offset:40 ; 4-byte Folded Reload
	v_mad_i32_i24 v0, v94, v136, v0
	s_wait_loadcnt 0xc
	v_mul_i32_i24_e32 v17, v89, v17
	s_wait_loadcnt 0xb
	v_mul_i32_i24_e32 v18, v49, v18
	;; [unrolled: 2-line block ×10, first 2 shown]
	s_delay_alu instid0(VALU_DEP_1) | instskip(SKIP_2) | instid1(VALU_DEP_1)
	v_add3_u32 v0, v0, v1, v2
	v_mul_i32_i24_e32 v1, v90, v123
	v_mul_i32_i24_e32 v2, v91, v113
	v_add3_u32 v0, v0, v1, v2
	v_mul_i32_i24_e32 v2, v32, v213
	v_fma_mix_f32 v1, v129, v77, 0 op_sel:[0,1,0] op_sel_hi:[0,1,0]
	scratch_load_b32 v129, off, off offset:1072 ; 4-byte Folded Reload
	v_add3_u32 v0, v0, v3, v4
	v_mul_i32_i24_e32 v3, v30, v214
	v_mul_i32_i24_e32 v4, v31, v215
	v_mad_i32_i24 v2, v39, v211, v2
	v_fma_mix_f32 v1, v151, v78, v1 op_sel:[0,1,0] op_sel_hi:[0,1,0]
	v_add3_u32 v0, v0, v5, v6
	scratch_load_b32 v6, off, off offset:304 ; 4-byte Folded Reload
	v_mul_i32_i24_e32 v5, v67, v209
	v_add3_u32 v2, v2, v3, v4
	scratch_load_b32 v4, off, off offset:300 ; 4-byte Folded Reload
	v_add3_u32 v0, v0, v7, v8
	v_mul_i32_i24_e32 v3, v65, v207
	v_mul_i32_i24_e32 v7, v102, v148
	v_mul_f32_e32 v1, v1, v147
	scratch_load_b32 v147, off, off offset:1076 ; 4-byte Folded Reload
	v_add3_u32 v0, v0, v9, v10
	v_mul_i32_i24_e32 v9, v108, v177
	v_mul_i32_i24_e32 v10, v33, v200
	scratch_load_b32 v151, off, off offset:196 ; 4-byte Folded Reload
	v_add3_u32 v0, v0, v11, v12
	v_mul_i32_i24_e32 v11, v34, v206
	v_mul_i32_i24_e32 v12, v35, v202
	scratch_load_b32 v202, off, off offset:1656 th:TH_LOAD_LU ; 4-byte Folded Reload
	v_add3_u32 v0, v0, v13, v14
	v_mul_i32_i24_e32 v13, v36, v201
	v_mul_i32_i24_e32 v14, v37, v203
	s_clause 0x1
	scratch_load_b32 v201, off, off offset:756
	scratch_load_b32 v203, off, off offset:1128
	v_add3_u32 v0, v0, v15, v16
	v_mul_i32_i24_e32 v15, v38, v204
	v_mul_i32_i24_e32 v16, v118, v205
	s_clause 0x1
	scratch_load_b32 v204, off, off offset:1132
	scratch_load_b32 v205, off, off offset:1136
	;; [unrolled: 6-line block ×5, first 2 shown]
	v_add3_u32 v0, v0, v23, v24
	v_mul_i32_i24_e32 v23, v43, v223
	v_mul_i32_i24_e32 v24, v95, v225
	scratch_load_b32 v225, off, off offset:1144 ; 4-byte Folded Reload
	v_add3_u32 v0, v0, v25, v26
	v_mul_i32_i24_e32 v25, v45, v224
	v_mul_i32_i24_e32 v26, v101, v226
	scratch_load_b32 v226, off, off offset:888 ; 4-byte Folded Reload
	v_add3_u32 v0, v0, v27, v28
	v_mul_i32_i24_e32 v27, v46, v227
	v_mul_i32_i24_e32 v28, v47, v229
	scratch_load_b32 v229, off, off offset:1672 th:TH_LOAD_LU ; 4-byte Folded Reload
	v_mul_lo_u32 v0, v0, v187
	scratch_load_b32 v187, off, off offset:1160 ; 4-byte Folded Reload
	v_cvt_f32_i32_e32 v0, v0
	s_delay_alu instid0(VALU_DEP_1) | instskip(SKIP_4) | instid1(VALU_DEP_1)
	v_fma_mix_f32 v0, v77, v0, 0 op_sel_hi:[1,0,0]
	s_wait_loadcnt 0x12
	v_mul_i32_i24_e32 v6, v87, v6
	s_wait_loadcnt 0x11
	v_mul_i32_i24_e32 v4, v66, v4
	v_add3_u32 v2, v2, v3, v4
	s_delay_alu instid0(VALU_DEP_1)
	v_add3_u32 v2, v2, v5, v6
	s_wait_loadcnt 0xc
	v_mul_i32_i24_e32 v3, v48, v203
	v_bfe_i32 v48, v71, 0, 8
	s_wait_loadcnt 0xb
	v_mul_i32_i24_e32 v4, v52, v204
	s_wait_loadcnt 0xa
	v_mul_i32_i24_e32 v5, v53, v205
	v_bfe_i32 v52, v61, 0, 8
	v_bfe_i32 v53, v61, 8, 8
	s_wait_loadcnt 0x5
	v_mul_i32_i24_e32 v6, v54, v222
	v_bfe_i32 v54, v68, 0, 8
	s_wait_loadcnt 0x0
	v_mul_i32_i24_e32 v8, v103, v187
	s_delay_alu instid0(VALU_DEP_1) | instskip(SKIP_3) | instid1(VALU_DEP_4)
	v_add3_u32 v2, v2, v7, v8
	v_mul_i32_i24_e32 v7, v55, v225
	v_mul_i32_i24_e32 v8, v85, v229
	v_bfe_i32 v55, v68, 16, 8
	v_add3_u32 v2, v2, v9, v10
	scratch_load_b32 v10, off, off offset:992 ; 4-byte Folded Reload
	v_mul_i32_i24_e32 v9, v86, v230
	v_add3_u32 v2, v2, v11, v12
	s_clause 0x1
	scratch_load_b32 v11, off, off offset:244
	scratch_load_b32 v12, off, off offset:248
	v_add3_u32 v2, v2, v13, v14
	s_clause 0x1
	scratch_load_b32 v13, off, off offset:252
	scratch_load_b32 v14, off, off offset:256
	;; [unrolled: 4-line block ×9, first 2 shown]
	v_add3_u32 v2, v2, v29, v81
	v_bfe_i32 v29, v109, 0, 8
	s_delay_alu instid0(VALU_DEP_2) | instskip(NEXT) | instid1(VALU_DEP_1)
	v_mul_lo_u32 v2, v2, v126
	v_cvt_f32_i32_e32 v2, v2
	s_delay_alu instid0(VALU_DEP_1)
	v_fma_mix_f32 v0, v78, v2, v0 op_sel_hi:[1,0,0]
	v_mul_i32_i24_e32 v2, v93, v147
	scratch_load_b32 v93, off, off offset:960 ; 4-byte Folded Reload
	v_fma_f32 v0, v0, v138, -v1
	v_mul_i32_i24_e32 v1, v92, v129
	scratch_load_b32 v138, off, off offset:868 ; 4-byte Folded Reload
	v_add_f32_e32 v106, v106, v0
	v_mul_i32_i24_e32 v0, v80, v228
	scratch_store_b32 off, v106, off offset:636 ; 4-byte Folded Spill
	scratch_load_b32 v106, off, off offset:1068 ; 4-byte Folded Reload
	s_wait_loadcnt 0x15
	v_mul_i32_i24_e32 v10, v88, v10
	s_wait_loadcnt 0x14
	v_mul_i32_i24_e32 v11, v84, v11
	;; [unrolled: 2-line block ×7, first 2 shown]
	v_bfe_i32 v44, v70, 0, 8
	scratch_load_b32 v83, off, off offset:76 ; 4-byte Folded Reload
	s_wait_loadcnt 0xf
	v_mul_i32_i24_e32 v17, v89, v17
	s_wait_loadcnt 0xe
	v_mul_i32_i24_e32 v18, v49, v18
	v_mul_i32_i24_e32 v49, v38, v237
	scratch_load_b32 v89, off, off offset:84 ; 4-byte Folded Reload
	v_ashrrev_i32_e32 v38, 24, v64
	s_wait_loadcnt 0xe
	v_mul_i32_i24_e32 v19, v50, v19
	s_wait_loadcnt 0xd
	v_mul_i32_i24_e32 v20, v51, v20
	v_mul_i32_i24_e32 v50, v36, v233
	;; [unrolled: 1-line block ×3, first 2 shown]
	v_bfe_i32 v36, v64, 8, 8
	s_wait_loadcnt 0xc
	v_mul_i32_i24_e32 v21, v56, v21
	s_wait_loadcnt 0xb
	v_mul_i32_i24_e32 v22, v57, v22
	v_bfe_i32 v37, v64, 16, 8
	s_clause 0x1
	scratch_load_b32 v233, off, off offset:356
	scratch_load_b32 v234, off, off offset:360
	s_wait_loadcnt 0xc
	v_mul_i32_i24_e32 v23, v58, v23
	s_wait_loadcnt 0xb
	v_mul_i32_i24_e32 v24, v59, v24
	v_bfe_i32 v59, v63, 0, 8
	v_bfe_i32 v58, v110, 8, 8
	scratch_load_b32 v237, off, off offset:792 ; 4-byte Folded Reload
	s_wait_loadcnt 0xb
	v_mul_i32_i24_e32 v25, v60, v25
	s_wait_loadcnt 0xa
	v_mul_i32_i24_e32 v26, v75, v26
	scratch_load_b32 v75, off, off offset:80 ; 4-byte Folded Reload
	s_wait_loadcnt 0xa
	v_mul_i32_i24_e32 v27, v76, v27
	s_wait_loadcnt 0x9
	v_mul_i32_i24_e32 v28, v79, v28
	s_wait_loadcnt 0x6
	v_mad_i32_i24 v0, v94, v106, v0
	scratch_load_b32 v94, off, off offset:872 ; 4-byte Folded Reload
	v_add3_u32 v0, v0, v1, v2
	v_mul_i32_i24_e32 v1, v90, v201
	v_mul_i32_i24_e32 v2, v91, v202
	s_delay_alu instid0(VALU_DEP_1)
	v_add3_u32 v0, v0, v1, v2
	s_clause 0x1
	scratch_load_b32 v1, off, off offset:292
	scratch_load_b32 v2, off, off offset:240
	v_add3_u32 v0, v0, v3, v4
	scratch_load_b32 v3, off, off offset:232 ; 4-byte Folded Reload
	v_add3_u32 v0, v0, v5, v6
	s_delay_alu instid0(VALU_DEP_1)
	v_add3_u32 v0, v0, v7, v8
	v_mul_i32_i24_e32 v8, v35, v232
	v_bfe_i32 v35, v64, 0, 8
	scratch_load_b32 v232, off, off offset:772 ; 4-byte Folded Reload
	v_add3_u32 v0, v0, v9, v10
	v_fma_mix_f32 v9, v77, v120, 0 op_sel:[1,0,0] op_sel_hi:[1,0,0]
	scratch_load_b32 v120, off, off offset:752 ; 4-byte Folded Reload
	v_mul_i32_i24_e32 v10, v118, v160
	scratch_load_b32 v118, off, off offset:312 ; 4-byte Folded Reload
	v_add3_u32 v0, v0, v11, v12
	v_mul_i32_i24_e32 v11, v98, v151
	v_mul_i32_i24_e32 v12, v99, v161
	s_delay_alu instid0(VALU_DEP_3)
	v_add3_u32 v0, v0, v13, v14
	v_mul_i32_i24_e32 v13, v40, v162
	v_mul_i32_i24_e32 v14, v41, v164
	v_bfe_i32 v40, v69, 0, 8
	v_bfe_i32 v41, v69, 8, 8
	v_add3_u32 v0, v0, v15, v16
	v_mul_i32_i24_e32 v15, v42, v163
	v_mul_i32_i24_e32 v16, v100, v165
	v_bfe_i32 v42, v69, 16, 8
	scratch_load_b32 v100, off, off offset:928 ; 4-byte Folded Reload
	v_add3_u32 v0, v0, v17, v18
	v_mul_i32_i24_e32 v17, v43, v166
	v_mul_i32_i24_e32 v18, v95, v168
	v_ashrrev_i32_e32 v43, 24, v69
	scratch_load_b32 v69, off, off offset:492 ; 4-byte Folded Reload
	v_add3_u32 v0, v0, v19, v20
	v_mul_i32_i24_e32 v19, v45, v167
	v_mul_i32_i24_e32 v20, v101, v169
	v_bfe_i32 v45, v70, 8, 8
	scratch_load_b32 v95, off, off offset:972 ; 4-byte Folded Reload
	v_add3_u32 v0, v0, v21, v22
	scratch_load_b32 v101, off, off offset:932 ; 4-byte Folded Reload
	v_bfe_i32 v22, v62, 0, 8
	v_add3_u32 v0, v0, v23, v24
	v_bfe_i32 v23, v62, 16, 8
	v_ashrrev_i32_e32 v24, 24, v109
	s_delay_alu instid0(VALU_DEP_3) | instskip(SKIP_2) | instid1(VALU_DEP_3)
	v_add3_u32 v0, v0, v25, v26
	v_bfe_i32 v25, v112, 8, 8
	v_bfe_i32 v26, v112, 16, 8
	v_add3_u32 v0, v0, v27, v28
	v_bfe_i32 v28, v109, 8, 8
	v_ashrrev_i32_e32 v27, 24, v112
	v_mul_i32_i24_e32 v90, v25, v238
	s_delay_alu instid0(VALU_DEP_3) | instskip(NEXT) | instid1(VALU_DEP_3)
	v_mul_i32_i24_e32 v72, v28, v125
	v_mul_i32_i24_e32 v92, v27, v93
	s_wait_loadcnt 0x9
	v_mul_lo_u32 v0, v0, v1
	scratch_load_b32 v1, off, off offset:236 ; 4-byte Folded Reload
	s_wait_loadcnt 0x9
	v_mul_i32_i24_e32 v2, v31, v2
	v_bfe_i32 v31, v112, 0, 8
	scratch_load_b32 v112, off, off offset:316 ; 4-byte Folded Reload
	v_cvt_f32_i32_e32 v0, v0
	v_mul_i32_i24_e32 v89, v31, v89
	s_delay_alu instid0(VALU_DEP_2) | instskip(SKIP_3) | instid1(VALU_DEP_2)
	v_fma_mix_f32 v5, v77, v0, 0 op_sel_hi:[1,0,0]
	s_wait_loadcnt 0x7
	v_mul_i32_i24_e32 v0, v32, v120
	v_bfe_i32 v32, v63, 8, 8
	v_mad_i32_i24 v0, v39, v3, v0
	v_mul_i32_i24_e32 v3, v47, v172
	v_ashrrev_i32_e32 v47, 24, v70
	v_bfe_i32 v39, v68, 8, 8
	s_wait_loadcnt 0x5
	v_mul_i32_i24_e32 v76, v58, v100
	s_wait_loadcnt 0x1
	v_mul_i32_i24_e32 v1, v30, v1
	v_bfe_i32 v30, v109, 16, 8
	scratch_load_b32 v109, off, off offset:320 ; 4-byte Folded Reload
	v_add3_u32 v79, v0, v1, v2
	scratch_load_b32 v0, off, off offset:508 ; 4-byte Folded Reload
	v_mul_i32_i24_e32 v2, v46, v170
	v_mul_i32_i24_e32 v1, v104, v173
	v_bfe_i32 v46, v70, 16, 8
	scratch_load_b32 v70, off, off offset:496 ; 4-byte Folded Reload
	v_mul_i32_i24_e32 v73, v30, v95
	scratch_load_b32 v104, off, off offset:328 ; 4-byte Folded Reload
	s_wait_loadcnt 0x2
	v_mul_i32_i24_e32 v81, v65, v0
	scratch_load_b32 v0, off, off offset:348 ; 4-byte Folded Reload
	s_wait_loadcnt 0x0
	v_mul_i32_i24_e32 v21, v66, v0
	s_clause 0x1
	scratch_load_b32 v0, off, off offset:504
	scratch_load_b32 v66, off, off offset:1000
	v_add3_u32 v21, v79, v81, v21
	v_bfe_i32 v79, v111, 0, 8
	v_bfe_i32 v81, v111, 16, 8
	s_wait_loadcnt 0x1
	v_mul_i32_i24_e32 v77, v67, v0
	scratch_load_b32 v0, off, off offset:352 ; 4-byte Folded Reload
	s_wait_loadcnt 0x0
	v_mul_i32_i24_e32 v80, v87, v0
	scratch_load_b32 v0, off, off offset:356 ; 4-byte Folded Reload
	v_add3_u32 v21, v21, v77, v80
	v_bfe_i32 v77, v110, 16, 8
	v_bfe_i32 v80, v111, 8, 8
	s_delay_alu instid0(VALU_DEP_2)
	v_mul_i32_i24_e32 v83, v77, v83
	s_wait_loadcnt 0x0
	v_mul_i32_i24_e32 v56, v102, v0
	s_clause 0x1
	scratch_load_b32 v0, off, off offset:188
	scratch_load_b32 v102, off, off offset:936
	s_wait_loadcnt 0x1
	v_mul_i32_i24_e32 v57, v103, v0
	s_clause 0x1
	scratch_load_b32 v0, off, off offset:360
	scratch_load_b32 v103, off, off offset:924
	s_wait_loadcnt 0x2
	v_mul_i32_i24_e32 v85, v79, v102
	v_add3_u32 v21, v21, v56, v57
	v_bfe_i32 v57, v110, 0, 8
	v_ashrrev_i32_e32 v56, 24, v68
	s_delay_alu instid0(VALU_DEP_2)
	v_mul_i32_i24_e32 v75, v57, v75
	s_wait_loadcnt 0x1
	v_mul_i32_i24_e32 v4, v108, v0
	s_clause 0x1
	scratch_load_b32 v0, off, off offset:192
	scratch_load_b32 v108, off, off offset:324
	s_wait_loadcnt 0x1
	v_mul_i32_i24_e32 v6, v33, v0
	scratch_load_b32 v0, off, off offset:732 ; 4-byte Folded Reload
	v_bfe_i32 v33, v63, 16, 8
	v_add3_u32 v4, v21, v4, v6
	v_bfe_i32 v21, v62, 8, 8
	v_bfe_i32 v6, v116, 16, 8
	s_delay_alu instid0(VALU_DEP_1)
	v_mul_i32_i24_e32 v65, v6, v251
	scratch_load_b32 v251, off, off offset:916 ; 4-byte Folded Reload
	s_wait_loadcnt 0x1
	v_mul_i32_i24_e32 v7, v34, v0
	v_mul_i32_i24_e32 v0, v97, v171
	v_ashrrev_i32_e32 v34, 24, v63
	scratch_load_b32 v63, off, off offset:996 ; 4-byte Folded Reload
	v_add3_u32 v4, v4, v7, v8
	v_ashrrev_i32_e32 v7, 24, v116
	v_bfe_i32 v8, v117, 0, 8
	s_delay_alu instid0(VALU_DEP_3) | instskip(NEXT) | instid1(VALU_DEP_3)
	v_add3_u32 v4, v4, v50, v51
	v_mul_i32_i24_e32 v66, v7, v66
	s_delay_alu instid0(VALU_DEP_3)
	v_mul_i32_i24_e32 v67, v8, v199
	v_bfe_i32 v50, v71, 16, 8
	v_ashrrev_i32_e32 v51, 24, v71
	v_add3_u32 v4, v4, v49, v10
	v_bfe_i32 v10, v117, 16, 8
	v_bfe_i32 v49, v71, 8, 8
	scratch_load_b32 v199, off, off offset:808 ; 4-byte Folded Reload
	v_add3_u32 v4, v4, v11, v12
	v_bfe_i32 v12, v115, 0, 8
	v_ashrrev_i32_e32 v11, 24, v117
	v_mul_i32_i24_e32 v69, v10, v69
	s_delay_alu instid0(VALU_DEP_4) | instskip(SKIP_3) | instid1(VALU_DEP_4)
	v_add3_u32 v4, v4, v13, v14
	v_bfe_i32 v13, v115, 8, 8
	v_bfe_i32 v14, v115, 16, 8
	v_mul_i32_i24_e32 v70, v11, v70
	v_add3_u32 v4, v4, v15, v16
	v_bfe_i32 v15, v114, 8, 8
	v_ashrrev_i32_e32 v16, 24, v61
	s_delay_alu instid0(VALU_DEP_3) | instskip(SKIP_1) | instid1(VALU_DEP_2)
	v_add3_u32 v4, v4, v17, v18
	v_ashrrev_i32_e32 v17, 24, v62
	v_add3_u32 v4, v4, v19, v20
	v_bfe_i32 v20, v61, 16, 8
	v_mul_i32_i24_e32 v61, v14, v210
	scratch_load_b32 v210, off, off offset:1244 th:TH_LOAD_LU ; 4-byte Folded Reload
	v_add3_u32 v2, v4, v2, v3
	v_ashrrev_i32_e32 v3, 24, v115
	v_bfe_i32 v4, v116, 0, 8
	scratch_load_b32 v115, off, off offset:300 ; 4-byte Folded Reload
	v_add3_u32 v0, v2, v0, v1
	v_fma_mix_f32 v1, v78, v107, v9 op_sel:[1,0,0] op_sel_hi:[1,0,0]
	v_bfe_i32 v2, v114, 0, 8
	v_mul_i32_i24_e32 v62, v3, v190
	v_bfe_i32 v9, v117, 8, 8
	v_mul_lo_u32 v0, v0, v149
	v_mul_f32_e32 v1, v1, v130
	scratch_load_b32 v130, off, off offset:964 ; 4-byte Folded Reload
	v_mul_i32_i24_e32 v18, v2, v255
	scratch_load_b32 v255, off, off offset:956 ; 4-byte Folded Reload
	v_mul_i32_i24_e32 v68, v9, v195
	s_clause 0x1
	scratch_load_b32 v117, off, off offset:336
	scratch_load_b32 v107, off, off offset:840
	v_cvt_f32_i32_e32 v0, v0
	v_mad_i32_i24 v18, v15, v250, v18
	v_mov_b32_e32 v250, v126
	scratch_load_b32 v126, off, off offset:244 ; 4-byte Folded Reload
	v_mov_b32_e32 v195, v187
	v_fma_mix_f32 v0, v78, v0, v5 op_sel_hi:[1,0,0]
	v_ashrrev_i32_e32 v78, 24, v110
	scratch_load_b32 v110, off, off offset:940 ; 4-byte Folded Reload
	v_bfe_i32 v5, v116, 8, 8
	scratch_load_b32 v116, off, off offset:304 ; 4-byte Folded Reload
	v_fma_f32 v0, v0, v82, -v1
	scratch_load_b32 v1, off, off offset:520 ; 4-byte Folded Reload
	v_ashrrev_i32_e32 v82, 24, v111
	scratch_load_b32 v111, off, off offset:944 ; 4-byte Folded Reload
	v_mul_i32_i24_e32 v64, v5, v196
	v_mul_i32_i24_e32 v84, v78, v101
	scratch_load_b32 v196, off, off offset:900 ; 4-byte Folded Reload
	v_mul_i32_i24_e32 v88, v82, v186
	v_mov_b32_e32 v190, v177
	scratch_store_b32 off, v250, off offset:1632 ; 4-byte Folded Spill
	s_wait_loadcnt 0xd
	v_mul_i32_i24_e32 v63, v4, v63
	s_wait_loadcnt 0x9
	v_mul_i32_i24_e32 v71, v29, v130
	s_wait_loadcnt 0x8
	v_mul_i32_i24_e32 v91, v26, v255
	s_wait_loadcnt 0x4
	v_mul_i32_i24_e32 v86, v80, v110
	s_wait_loadcnt 0x2
	v_add_f32_e32 v1, v1, v0
	v_bfe_i32 v0, v114, 16, 8
	s_wait_loadcnt 0x1
	v_mul_i32_i24_e32 v87, v81, v111
	scratch_store_b32 off, v1, off offset:520 ; 4-byte Folded Spill
	v_ashrrev_i32_e32 v1, 24, v114
	v_mul_i32_i24_e32 v19, v0, v192
	s_clause 0x1
	scratch_load_b32 v192, off, off offset:896
	scratch_load_b32 v114, off, off offset:844
	v_mul_i32_i24_e32 v60, v1, v179
	scratch_load_b32 v179, off, off offset:976 ; 4-byte Folded Reload
	v_add3_u32 v18, v18, v19, v60
	v_mul_i32_i24_e32 v19, v12, v180
	v_mul_i32_i24_e32 v60, v13, v181
	s_clause 0x1
	scratch_load_b32 v180, off, off offset:904
	scratch_load_b32 v181, off, off offset:908
	v_add3_u32 v18, v18, v19, v60
	scratch_load_b32 v19, off, off offset:68 ; 4-byte Folded Reload
	v_mul_i32_i24_e32 v60, v56, v103
	v_add3_u32 v18, v18, v61, v62
	s_clause 0x1
	scratch_load_b32 v61, off, off offset:64
	scratch_load_b32 v62, off, off offset:160
	v_add3_u32 v18, v18, v63, v64
	s_clause 0x1
	scratch_load_b32 v63, off, off offset:52
	scratch_load_b32 v64, off, off offset:56
	;; [unrolled: 4-line block ×6, first 2 shown]
	s_wait_loadcnt 0x11
	v_mul_i32_i24_e32 v97, v192, v38
	s_wait_loadcnt 0x10
	v_mul_i32_i24_e32 v98, v27, v114
	;; [unrolled: 2-line block ×3, first 2 shown]
	s_delay_alu instid0(VALU_DEP_1)
	v_add3_u32 v18, v18, v73, v74
	s_clause 0x1
	scratch_load_b32 v73, off, off offset:472
	scratch_load_b32 v74, off, off offset:988
	v_add3_u32 v18, v18, v75, v76
	s_clause 0x1
	scratch_load_b32 v75, off, off offset:20
	scratch_load_b32 v76, off, off offset:24
	s_wait_loadcnt 0x10
	v_mul_i32_i24_e32 v19, v55, v19
	v_add3_u32 v18, v18, v83, v84
	s_clause 0x1
	scratch_load_b32 v83, off, off offset:484
	scratch_load_b32 v84, off, off offset:16
	s_wait_loadcnt 0x10
	v_mul_i32_i24_e32 v62, v43, v62
	;; [unrolled: 6-line block ×3, first 2 shown]
	s_wait_loadcnt 0x10
	v_mul_i32_i24_e32 v64, v45, v64
	v_add3_u32 v18, v18, v87, v88
	s_clause 0x1
	scratch_load_b32 v87, off, off offset:436
	scratch_load_b32 v88, off, off offset:444
	s_wait_loadcnt 0x11
	v_mul_i32_i24_e32 v65, v46, v65
	s_wait_loadcnt 0x10
	v_mul_i32_i24_e32 v66, v47, v66
	v_add3_u32 v18, v18, v89, v90
	s_clause 0x1
	scratch_load_b32 v89, off, off offset:984
	scratch_load_b32 v90, off, off offset:456
	s_wait_loadcnt 0x11
	v_mul_i32_i24_e32 v67, v48, v67
	;; [unrolled: 8-line block ×3, first 2 shown]
	s_wait_loadcnt 0x10
	v_mul_i32_i24_e32 v70, v51, v70
	scratch_store_b32 off, v18, off offset:1636 ; 4-byte Folded Spill
	scratch_load_b32 v18, off, off offset:72 ; 4-byte Folded Reload
	s_wait_loadcnt 0x10
	v_mul_i32_i24_e32 v71, v52, v71
	s_wait_loadcnt 0xf
	v_mul_i32_i24_e32 v72, v53, v72
	;; [unrolled: 2-line block ×16, first 2 shown]
	scratch_store_b32 off, v91, off offset:1640 ; 4-byte Folded Spill
	scratch_load_b32 v91, off, off offset:488 ; 4-byte Folded Reload
	v_mad_i32_i24 v18, v39, v61, v18
	scratch_load_b32 v61, off, off offset:152 ; 4-byte Folded Reload
	v_add3_u32 v18, v18, v19, v60
	s_clause 0x1
	scratch_load_b32 v19, off, off offset:164
	scratch_load_b32 v60, off, off offset:168
	s_wait_loadcnt 0x3
	v_mul_i32_i24_e32 v91, v38, v91
	s_wait_loadcnt 0x2
	v_mul_i32_i24_e32 v61, v42, v61
	scratch_store_b32 off, v91, off offset:1644 ; 4-byte Folded Spill
	v_mul_i32_i24_e32 v91, v96, v26
	v_mul_i32_i24_e32 v96, v154, v27
	scratch_load_b32 v154, off, off offset:732 ; 4-byte Folded Reload
	s_wait_loadcnt 0x2
	v_mul_i32_i24_e32 v19, v40, v19
	s_wait_loadcnt 0x1
	v_mul_i32_i24_e32 v60, v41, v60
	s_delay_alu instid0(VALU_DEP_1)
	v_add3_u32 v18, v18, v19, v60
	scratch_load_b32 v19, off, off offset:980 ; 4-byte Folded Reload
	v_mul_i32_i24_e32 v60, v252, v1
	scratch_load_b32 v252, off, off offset:852 ; 4-byte Folded Reload
	v_add3_u32 v18, v18, v61, v62
	s_clause 0x1
	scratch_load_b32 v61, off, off offset:28
	scratch_load_b32 v62, off, off offset:368
	v_add3_u32 v18, v18, v63, v64
	v_mul_i32_i24_e32 v63, v208, v4
	v_mul_i32_i24_e32 v64, v193, v5
	scratch_load_b32 v208, off, off offset:824 ; 4-byte Folded Reload
	v_add3_u32 v18, v18, v65, v66
	v_mul_i32_i24_e32 v65, v146, v6
	scratch_load_b32 v146, off, off offset:912 ; 4-byte Folded Reload
	v_mul_i32_i24_e32 v66, v194, v7
	v_add3_u32 v18, v18, v67, v68
	s_clause 0x1
	scratch_load_b32 v67, off, off offset:428
	scratch_load_b32 v68, off, off offset:376
	v_add3_u32 v18, v18, v69, v70
	s_clause 0x1
	scratch_load_b32 v69, off, off offset:500
	scratch_load_b32 v70, off, off offset:372
	v_add3_u32 v18, v18, v71, v72
	scratch_load_b32 v72, off, off offset:384 ; 4-byte Folded Reload
	v_mul_i32_i24_e32 v71, v191, v29
	v_add3_u32 v18, v18, v73, v74
	scratch_load_b32 v74, off, off offset:380 ; 4-byte Folded Reload
	v_mul_i32_i24_e32 v73, v251, v30
	v_add3_u32 v18, v18, v75, v76
	s_clause 0x1
	scratch_load_b32 v75, off, off offset:400
	scratch_load_b32 v76, off, off offset:396
	v_add3_u32 v18, v18, v83, v84
	s_clause 0x1
	scratch_load_b32 v83, off, off offset:392
	scratch_load_b32 v84, off, off offset:388
	;; [unrolled: 4-line block ×5, first 2 shown]
	scratch_store_b32 off, v18, off offset:1648 ; 4-byte Folded Spill
	v_mul_i32_i24_e32 v18, v159, v2
	scratch_load_b32 v159, off, off offset:864 ; 4-byte Folded Reload
	s_wait_loadcnt 0x16
	v_mul_i32_i24_e32 v19, v19, v0
	s_wait_loadcnt 0x14
	v_mad_i32_i24 v18, v61, v15, v18
	v_mul_i32_i24_e32 v61, v92, v14
	s_wait_loadcnt 0x13
	v_mul_i32_i24_e32 v62, v62, v3
	s_delay_alu instid0(VALU_DEP_3)
	v_add3_u32 v18, v18, v19, v60
	scratch_load_b32 v60, off, off offset:364 ; 4-byte Folded Reload
	v_mul_i32_i24_e32 v19, v252, v12
	s_wait_loadcnt 0x11
	v_mul_i32_i24_e32 v67, v67, v8
	s_wait_loadcnt 0x10
	;; [unrolled: 2-line block ×17, first 2 shown]
	v_mul_i32_i24_e32 v60, v60, v13
	s_delay_alu instid0(VALU_DEP_1) | instskip(SKIP_2) | instid1(VALU_DEP_3)
	v_add3_u32 v18, v18, v19, v60
	v_mul_i32_i24_e32 v19, v226, v55
	v_mul_i32_i24_e32 v60, v138, v56
	v_add3_u32 v18, v18, v61, v62
	v_mul_i32_i24_e32 v61, v146, v42
	v_mul_i32_i24_e32 v62, v181, v43
	s_delay_alu instid0(VALU_DEP_3)
	v_add3_u32 v18, v18, v63, v64
	s_clause 0x1
	scratch_load_b32 v63, off, off offset:148
	scratch_load_b32 v64, off, off
	v_add3_u32 v18, v18, v65, v66
	v_mul_i32_i24_e32 v65, v157, v46
	v_mul_i32_i24_e32 v66, v189, v47
	s_clause 0x1
	scratch_load_b32 v157, off, off offset:736
	scratch_load_b32 v189, off, off offset:832
	v_add3_u32 v18, v18, v67, v68
	v_mul_i32_i24_e32 v67, v155, v48
	v_mul_i32_i24_e32 v68, v218, v49
	scratch_load_b32 v155, off, off offset:800 ; 4-byte Folded Reload
	v_add3_u32 v18, v18, v69, v70
	v_mul_i32_i24_e32 v69, v217, v50
	v_mul_i32_i24_e32 v70, v94, v51
	s_delay_alu instid0(VALU_DEP_3) | instskip(SKIP_2) | instid1(VALU_DEP_3)
	v_add3_u32 v18, v18, v71, v72
	v_mul_i32_i24_e32 v71, v219, v52
	v_mul_i32_i24_e32 v72, v159, v53
	v_add3_u32 v18, v18, v73, v74
	v_mul_i32_i24_e32 v73, v124, v20
	v_mul_i32_i24_e32 v74, v122, v16
	v_mov_b32_e32 v122, v222
	scratch_load_b32 v222, off, off offset:776 ; 4-byte Folded Reload
	v_add3_u32 v18, v18, v75, v76
	v_mul_i32_i24_e32 v75, v143, v22
	scratch_load_b32 v143, off, off offset:352 ; 4-byte Folded Reload
	v_add3_u32 v18, v18, v83, v84
	v_mul_i32_i24_e32 v83, v174, v21
	v_mul_i32_i24_e32 v84, v128, v23
	s_clause 0x1
	scratch_load_b32 v174, off, off offset:252
	scratch_load_b32 v128, off, off offset:820
	v_add3_u32 v18, v18, v85, v86
	v_mul_i32_i24_e32 v85, v152, v17
	v_mul_i32_i24_e32 v86, v132, v59
	scratch_load_b32 v152, off, off offset:232 ; 4-byte Folded Reload
	v_add3_u32 v18, v18, v87, v88
	v_mul_i32_i24_e32 v87, v119, v32
	v_mul_i32_i24_e32 v88, v196, v33
	scratch_load_b32 v119, off, off offset:816 ; 4-byte Folded Reload
	;; [unrolled: 4-line block ×3, first 2 shown]
	v_add3_u32 v18, v18, v91, v96
	v_mul_i32_i24_e32 v91, v153, v36
	v_mul_i32_i24_e32 v96, v156, v37
	v_mov_b32_e32 v153, v202
	scratch_load_b32 v202, off, off offset:296 ; 4-byte Folded Reload
	v_mul_lo_u32 v18, v18, v137
	scratch_load_b32 v156, off, off offset:1240 th:TH_LOAD_LU ; 4-byte Folded Reload
	v_cvt_f32_i32_e32 v76, v18
	v_mul_i32_i24_e32 v18, v178, v54
	s_delay_alu instid0(VALU_DEP_1) | instskip(NEXT) | instid1(VALU_DEP_1)
	v_mad_i32_i24 v18, v180, v39, v18
	v_add3_u32 v18, v18, v19, v60
	v_mul_i32_i24_e32 v19, v188, v40
	v_mul_i32_i24_e32 v60, v158, v41
	s_clause 0x1
	scratch_load_b32 v188, off, off offset:236
	scratch_load_b32 v158, off, off offset:740
	v_add3_u32 v18, v18, v19, v60
	v_mul_i32_i24_e32 v19, v0, v198
	v_mul_i32_i24_e32 v60, v1, v105
	s_clause 0x1
	scratch_load_b32 v105, off, off offset:836
	scratch_load_b32 v198, off, off offset:760
	v_add3_u32 v18, v18, v61, v62
	v_mul_i32_i24_e32 v61, v14, v231
	v_mul_i32_i24_e32 v62, v3, v150
	scratch_load_b32 v231, off, off offset:768 ; 4-byte Folded Reload
	v_mul_i32_i24_e32 v0, v0, v129
	s_clause 0x1
	scratch_load_b32 v129, off, off offset:508
	scratch_load_b32 v150, off, off offset:192
	v_mul_i32_i24_e32 v1, v1, v147
	scratch_load_b32 v147, off, off offset:728 ; 4-byte Folded Reload
	s_wait_loadcnt 0x15
	v_mul_i32_i24_e32 v63, v63, v44
	s_wait_loadcnt 0x14
	v_mul_i32_i24_e32 v64, v64, v45
	s_delay_alu instid0(VALU_DEP_1)
	v_add3_u32 v18, v18, v63, v64
	v_mul_i32_i24_e32 v63, v4, v244
	v_mul_i32_i24_e32 v64, v5, v133
	v_mov_b32_e32 v244, v200
	v_mul_i32_i24_e32 v5, v5, v122
	v_add3_u32 v18, v18, v65, v66
	v_mul_i32_i24_e32 v65, v6, v212
	scratch_load_b32 v212, off, off offset:332 ; 4-byte Folded Reload
	v_mul_i32_i24_e32 v66, v7, v235
	v_mov_b32_e32 v235, v229
	v_add3_u32 v18, v18, v67, v68
	v_mul_i32_i24_e32 v67, v8, v236
	v_mul_i32_i24_e32 v68, v9, v121
	v_mov_b32_e32 v236, v230
	scratch_load_b32 v230, off, off offset:280 ; 4-byte Folded Reload
	v_add3_u32 v18, v18, v69, v70
	v_mul_i32_i24_e32 v69, v10, v239
	v_mul_i32_i24_e32 v70, v11, v249
	scratch_load_b32 v239, off, off offset:992 th:TH_LOAD_LU ; 4-byte Folded Reload
	v_mov_b32_e32 v137, v225
	v_add3_u32 v18, v18, v71, v72
	v_mul_i32_i24_e32 v71, v29, v117
	v_mul_i32_i24_e32 v72, v28, v220
	s_clause 0x1
	scratch_load_b32 v225, off, off offset:272
	scratch_load_b32 v229, off, off offset:288
	v_add3_u32 v18, v18, v73, v74
	v_mul_i32_i24_e32 v73, v30, v221
	v_mov_b32_e32 v249, v206
	v_mul_i32_i24_e32 v6, v6, v137
	v_mul_i32_i24_e32 v7, v7, v235
	v_add3_u32 v18, v18, v75, v83
	v_mul_i32_i24_e32 v83, v57, v118
	v_mul_i32_i24_e32 v8, v8, v236
	;; [unrolled: 1-line block ×3, first 2 shown]
	s_wait_loadcnt 0x15
	v_mul_i32_i24_e32 v27, v27, v222
	v_add3_u32 v18, v18, v84, v85
	v_mul_i32_i24_e32 v84, v58, v112
	v_mul_i32_i24_e32 v85, v77, v109
	;; [unrolled: 1-line block ×3, first 2 shown]
	scratch_load_b32 v121, off, off offset:828 ; 4-byte Folded Reload
	v_add3_u32 v18, v18, v86, v87
	v_mul_i32_i24_e32 v86, v78, v144
	v_mul_i32_i24_e32 v87, v79, v104
	v_mov_b32_e32 v144, v197
	scratch_load_b32 v197, off, off offset:780 ; 4-byte Folded Reload
	v_add3_u32 v18, v18, v88, v89
	v_mul_i32_i24_e32 v88, v80, v108
	scratch_load_b64 v[132:133], off, off offset:612 th:TH_LOAD_LU ; 8-byte Folded Reload
	v_add3_u32 v18, v18, v90, v91
	v_mul_i32_i24_e32 v90, v82, v176
	scratch_load_b32 v176, off, off offset:804 ; 4-byte Folded Reload
	v_add3_u32 v18, v18, v96, v97
	v_mul_i32_i24_e32 v96, v25, v216
	v_mul_i32_i24_e32 v97, v26, v107
	scratch_load_b32 v216, off, off offset:788 ; 4-byte Folded Reload
	v_mul_i32_i24_e32 v26, v26, v232
	v_mul_lo_u32 v18, v18, v127
	scratch_load_b32 v127, off, off offset:248 ; 4-byte Folded Reload
	v_cvt_f32_i32_e32 v75, v18
	v_mul_i32_i24_e32 v18, v2, v131
	v_mul_i32_i24_e32 v2, v2, v228
	s_clause 0x1
	scratch_load_b32 v228, off, off offset:276
	scratch_load_b32 v131, off, off offset:1212 th:TH_LOAD_LU
	v_mad_i32_i24 v18, v15, v136, v18
	v_mov_b32_e32 v136, v201
	scratch_load_b32 v201, off, off offset:284 ; 4-byte Folded Reload
	v_mad_i32_i24 v2, v15, v106, v2
	scratch_load_b32 v106, off, off offset:504 ; 4-byte Folded Reload
	v_add3_u32 v18, v18, v19, v60
	v_mul_i32_i24_e32 v60, v13, v113
	scratch_load_b32 v113, off, off offset:308 ; 4-byte Folded Reload
	v_mul_i32_i24_e32 v19, v12, v123
	s_wait_loadcnt 0x15
	v_mul_i32_i24_e32 v91, v31, v105
	scratch_load_b32 v123, off, off offset:796 ; 4-byte Folded Reload
	v_add3_u32 v0, v2, v0, v1
	v_mul_i32_i24_e32 v1, v12, v136
	v_add3_u32 v18, v18, v19, v60
	v_mul_i32_i24_e32 v60, v55, v214
	scratch_load_b32 v214, off, off offset:264 ; 4-byte Folded Reload
	v_mul_i32_i24_e32 v2, v13, v153
	v_mul_i32_i24_e32 v13, v29, v174
	v_add3_u32 v18, v18, v61, v62
	v_mul_i32_i24_e32 v61, v56, v215
	scratch_load_b32 v215, off, off offset:268 ; 4-byte Folded Reload
	v_mul_i32_i24_e32 v62, v42, v209
	v_mov_b32_e32 v209, v205
	v_add3_u32 v18, v18, v63, v64
	scratch_load_b32 v205, off, off offset:764 ; 4-byte Folded Reload
	v_mul_i32_i24_e32 v64, v44, v148
	scratch_load_b32 v148, off, off offset:188 ; 4-byte Folded Reload
	v_add3_u32 v0, v0, v1, v2
	v_add3_u32 v18, v18, v65, v66
	v_mul_i32_i24_e32 v65, v45, v187
	scratch_load_b32 v187, off, off offset:292 ; 4-byte Folded Reload
	v_mul_i32_i24_e32 v66, v46, v177
	scratch_load_b32 v177, off, off offset:744 ; 4-byte Folded Reload
	v_add3_u32 v18, v18, v67, v68
	v_mul_i32_i24_e32 v67, v47, v200
	scratch_load_b32 v200, off, off offset:256 ; 4-byte Folded Reload
	v_mul_i32_i24_e32 v68, v48, v206
	v_mov_b32_e32 v206, v203
	v_add3_u32 v18, v18, v69, v70
	scratch_load_b32 v203, off, off offset:240 ; 4-byte Folded Reload
	v_mul_i32_i24_e32 v4, v4, v209
	v_mul_i32_i24_e32 v63, v43, v116
	;; [unrolled: 1-line block ×3, first 2 shown]
	v_add3_u32 v18, v18, v71, v72
	s_wait_loadcnt 0x1c
	v_mul_i32_i24_e32 v25, v25, v231
	v_mul_i32_i24_e32 v1, v55, v188
	;; [unrolled: 1-line block ×3, first 2 shown]
	v_ashrrev_i32_e32 v55, 24, v240
	s_wait_loadcnt 0x18
	v_mul_i32_i24_e32 v89, v81, v212
	s_wait_loadcnt 0x16
	v_mul_i32_i24_e32 v9, v9, v239
	;; [unrolled: 2-line block ×8, first 2 shown]
	s_delay_alu instid0(VALU_DEP_1)
	v_add3_u32 v18, v18, v73, v74
	s_wait_loadcnt 0x8
	v_mul_i32_i24_e32 v74, v20, v123
	v_mul_i32_i24_e32 v73, v53, v155
	s_wait_loadcnt 0x7
	v_mul_i32_i24_e32 v24, v24, v214
	v_add3_u32 v18, v18, v83, v84
	v_mul_i32_i24_e32 v83, v16, v156
	v_mul_i32_i24_e32 v16, v16, v161
	;; [unrolled: 1-line block ×3, first 2 shown]
	s_delay_alu instid0(VALU_DEP_4)
	v_add3_u32 v18, v18, v85, v86
	v_mul_i32_i24_e32 v85, v21, v210
	s_wait_loadcnt 0x5
	v_mul_i32_i24_e32 v31, v31, v205
	v_mul_i32_i24_e32 v21, v21, v164
	;; [unrolled: 1-line block ×3, first 2 shown]
	v_add3_u32 v18, v18, v87, v88
	v_mul_i32_i24_e32 v87, v17, v175
	v_mul_i32_i24_e32 v17, v17, v165
	;; [unrolled: 1-line block ×3, first 2 shown]
	s_delay_alu instid0(VALU_DEP_4)
	v_add3_u32 v18, v18, v89, v90
	v_mul_i32_i24_e32 v89, v32, v119
	v_mul_i32_i24_e32 v90, v33, v224
	s_wait_loadcnt 0x1
	v_mul_i32_i24_e32 v14, v28, v200
	v_mul_i32_i24_e32 v28, v57, v215
	v_add3_u32 v18, v18, v91, v96
	v_mul_i32_i24_e32 v57, v78, v230
	s_wait_loadcnt 0x0
	v_mul_i32_i24_e32 v2, v56, v203
	v_bfe_i32 v56, v241, 0, 8
	v_mul_i32_i24_e32 v91, v34, v128
	v_add3_u32 v18, v18, v97, v98
	v_mul_i32_i24_e32 v96, v35, v227
	v_mul_i32_i24_e32 v97, v36, v121
	;; [unrolled: 1-line block ×3, first 2 shown]
	s_delay_alu instid0(VALU_DEP_4) | instskip(NEXT) | instid1(VALU_DEP_1)
	v_mul_lo_u32 v18, v18, v144
	v_cvt_f32_i32_e32 v19, v18
	v_mul_i32_i24_e32 v18, v54, v213
	scratch_load_b32 v213, off, off offset:260 ; 4-byte Folded Reload
	v_fma_mix_f32 v19, v134, v19, 0 op_sel_hi:[1,0,0]
	v_mad_i32_i24 v18, v39, v211, v18
	scratch_load_b32 v211, off, off offset:784 ; 4-byte Folded Reload
	v_add3_u32 v18, v18, v60, v61
	v_mul_i32_i24_e32 v60, v40, v207
	v_dual_mov_b32 v207, v204 :: v_dual_mov_b32 v204, v120
	scratch_load_b32 v120, off, off offset:348 ; 4-byte Folded Reload
	v_mul_i32_i24_e32 v61, v41, v115
	v_mul_i32_i24_e32 v3, v3, v207
	s_delay_alu instid0(VALU_DEP_2) | instskip(SKIP_1) | instid1(VALU_DEP_3)
	v_add3_u32 v18, v18, v60, v61
	v_mul_i32_i24_e32 v60, v80, v229
	v_add3_u32 v0, v0, v12, v3
	v_mul_i32_i24_e32 v61, v81, v198
	v_mul_i32_i24_e32 v3, v42, v106
	v_add3_u32 v18, v18, v62, v63
	v_mul_i32_i24_e32 v62, v82, v202
	v_add3_u32 v0, v0, v4, v5
	v_mul_i32_i24_e32 v4, v43, v143
	v_mul_i32_i24_e32 v5, v44, v233
	;; [unrolled: 1-line block ×3, first 2 shown]
	v_bfe_i32 v42, v183, 16, 8
	v_add3_u32 v0, v0, v6, v7
	v_mul_i32_i24_e32 v6, v45, v148
	v_mul_i32_i24_e32 v7, v46, v234
	v_ashrrev_i32_e32 v43, 24, v183
	v_add3_u32 v18, v18, v64, v65
	v_add3_u32 v0, v0, v8, v9
	v_mul_i32_i24_e32 v8, v47, v150
	v_mul_i32_i24_e32 v9, v48, v154
	v_ashrrev_i32_e32 v63, 24, v242
	v_add3_u32 v18, v18, v66, v67
	v_add3_u32 v0, v0, v10, v11
	v_mul_i32_i24_e32 v10, v49, v147
	v_mul_i32_i24_e32 v11, v50, v157
	v_bfe_i32 v64, v243, 0, 8
	v_bfe_i32 v65, v243, 8, 8
	v_add3_u32 v0, v0, v13, v14
	v_mul_i32_i24_e32 v13, v52, v177
	v_mul_i32_i24_e32 v14, v53, v160
	v_bfe_i32 v52, v240, 0, 8
	v_bfe_i32 v53, v240, 8, 8
	;; [unrolled: 1-line block ×3, first 2 shown]
	v_ashrrev_i32_e32 v67, 24, v243
	s_clause 0x2
	scratch_load_b32 v243, off, off offset:1188 th:TH_LOAD_LU
	scratch_load_b32 v81, off, off offset:492
	scratch_load_b32 v82, off, off offset:496
	v_bfe_i32 v44, v184, 0, 8
	v_bfe_i32 v45, v184, 8, 8
	;; [unrolled: 1-line block ×3, first 2 shown]
	v_ashrrev_i32_e32 v47, 24, v184
	v_bfe_i32 v48, v185, 0, 8
	v_bfe_i32 v50, v185, 16, 8
	v_ashrrev_i32_e32 v51, 24, v185
	s_wait_loadcnt 0x5
	v_mul_i32_i24_e32 v15, v30, v213
	v_mul_i32_i24_e32 v30, v77, v228
	s_delay_alu instid0(VALU_DEP_2)
	v_add3_u32 v0, v0, v15, v24
	v_mul_i32_i24_e32 v15, v20, v151
	v_mul_i32_i24_e32 v20, v22, v162
	;; [unrolled: 1-line block ×4, first 2 shown]
	v_add3_u32 v0, v0, v28, v29
	v_mul_i32_i24_e32 v28, v35, v170
	v_mul_i32_i24_e32 v29, v36, v172
	v_ashrrev_i32_e32 v59, 24, v241
	s_wait_loadcnt 0x4
	v_mul_i32_i24_e32 v69, v49, v211
	v_add3_u32 v0, v0, v30, v57
	v_mul_i32_i24_e32 v30, v37, v171
	v_bfe_i32 v57, v241, 8, 8
	v_ashrrev_i32_e32 v35, 24, v142
	v_add3_u32 v18, v18, v68, v69
	v_add3_u32 v0, v0, v58, v60
	v_bfe_i32 v58, v241, 16, 8
	scratch_load_b32 v241, off, off offset:1180 th:TH_LOAD_LU ; 4-byte Folded Reload
	v_bfe_i32 v60, v242, 0, 8
	v_add3_u32 v18, v18, v70, v71
	v_add3_u32 v0, v0, v61, v62
	v_bfe_i32 v61, v242, 8, 8
	v_bfe_i32 v62, v242, 16, 8
	scratch_load_b32 v242, off, off offset:1184 th:TH_LOAD_LU ; 4-byte Folded Reload
	v_add3_u32 v18, v18, v72, v73
	v_add3_u32 v0, v0, v31, v25
	v_mul_i32_i24_e32 v25, v32, v168
	v_mul_i32_i24_e32 v31, v38, v173
	v_bfe_i32 v38, v183, 0, 8
	v_bfe_i32 v32, v142, 0, 8
	v_add3_u32 v0, v0, v26, v27
	v_mul_i32_i24_e32 v26, v33, v167
	v_mul_i32_i24_e32 v27, v34, v169
	v_bfe_i32 v33, v142, 8, 8
	v_bfe_i32 v34, v142, 16, 8
	v_mul_lo_u32 v0, v0, v187
	scratch_load_b32 v142, off, off offset:1192 th:TH_LOAD_LU ; 4-byte Folded Reload
	v_add3_u32 v18, v18, v74, v83
	v_bfe_i32 v36, v182, 0, 8
	v_bfe_i32 v37, v182, 8, 8
	v_bfe_i32 v49, v185, 8, 8
	s_delay_alu instid0(VALU_DEP_4)
	v_add3_u32 v18, v18, v84, v85
	v_cvt_f32_i32_e32 v24, v0
	v_mul_i32_i24_e32 v0, v54, v204
	v_bfe_i32 v54, v240, 16, 8
	scratch_load_b32 v240, off, off offset:1176 th:TH_LOAD_LU ; 4-byte Folded Reload
	v_add3_u32 v18, v18, v86, v87
	scratch_load_b32 v87, off, off offset:80 ; 4-byte Folded Reload
	v_mad_i32_i24 v0, v39, v152, v0
	v_bfe_i32 v39, v182, 16, 8
	v_add3_u32 v18, v18, v88, v89
	scratch_load_b32 v89, off, off offset:76 ; 4-byte Folded Reload
	v_add3_u32 v0, v0, v1, v2
	v_mul_i32_i24_e32 v1, v40, v129
	s_wait_loadcnt 0x9
	v_mul_i32_i24_e32 v2, v41, v120
	v_bfe_i32 v41, v183, 8, 8
	scratch_load_b32 v183, off, off offset:1216 th:TH_LOAD_LU ; 4-byte Folded Reload
	v_add3_u32 v18, v18, v90, v91
	v_ashrrev_i32_e32 v40, 24, v182
	v_add3_u32 v0, v0, v1, v2
	v_bfe_i32 v1, v246, 0, 8
	v_bfe_i32 v2, v246, 8, 8
	v_add3_u32 v18, v18, v96, v97
	s_delay_alu instid0(VALU_DEP_4)
	v_add3_u32 v0, v0, v3, v4
	v_bfe_i32 v3, v246, 16, 8
	v_ashrrev_i32_e32 v4, 24, v246
	scratch_load_b32 v246, off, off offset:1000 th:TH_LOAD_LU ; 4-byte Folded Reload
	v_add3_u32 v18, v18, v98, v99
	v_add3_u32 v0, v0, v5, v6
	v_bfe_i32 v5, v247, 0, 8
	v_bfe_i32 v6, v247, 8, 8
	s_wait_loadcnt 0xa
	v_mul_i32_i24_e32 v72, v4, v243
	v_mul_lo_u32 v18, v18, v250
	v_add3_u32 v0, v0, v7, v8
	v_bfe_i32 v8, v245, 0, 8
	v_bfe_i32 v7, v247, 16, 8
	s_delay_alu instid0(VALU_DEP_3)
	v_add3_u32 v0, v0, v9, v10
	v_bfe_i32 v9, v245, 16, 8
	v_ashrrev_i32_e32 v10, 24, v245
	v_mul_i32_i24_e32 v68, v8, v131
	v_cvt_f32_i32_e32 v18, v18
	v_add3_u32 v0, v0, v11, v12
	v_ashrrev_i32_e32 v11, 24, v247
	v_bfe_i32 v12, v248, 0, 8
	scratch_load_b32 v247, off, off offset:1200 th:TH_LOAD_LU ; 4-byte Folded Reload
	v_fma_mix_f32 v18, v135, v18, v19 op_sel_hi:[1,0,0]
	v_add3_u32 v0, v0, v13, v14
	v_bfe_i32 v13, v248, 8, 8
	v_bfe_i32 v14, v248, 16, 8
	s_delay_alu instid0(VALU_DEP_3)
	v_add3_u32 v0, v0, v15, v16
	v_bfe_i32 v16, v139, 0, 8
	v_ashrrev_i32_e32 v15, 24, v248
	scratch_load_b32 v248, off, off offset:1204 th:TH_LOAD_LU ; 4-byte Folded Reload
	s_wait_loadcnt 0xb
	v_mul_i32_i24_e32 v81, v14, v81
	v_add3_u32 v0, v0, v20, v21
	v_bfe_i32 v20, v139, 16, 8
	v_ashrrev_i32_e32 v21, 24, v139
	s_wait_loadcnt 0xa
	v_mul_i32_i24_e32 v82, v15, v82
	v_mul_i32_i24_e32 v83, v16, v130
	v_add3_u32 v0, v0, v22, v17
	v_bfe_i32 v17, v139, 8, 8
	v_bfe_i32 v22, v140, 0, 8
	scratch_load_b32 v139, off, off offset:1220 th:TH_LOAD_LU ; 4-byte Folded Reload
	v_mul_i32_i24_e32 v85, v20, v95
	v_add3_u32 v0, v0, v23, v25
	v_bfe_i32 v23, v140, 8, 8
	v_mul_i32_i24_e32 v84, v17, v125
	v_mul_i32_i24_e32 v86, v21, v179
	scratch_load_b32 v95, off, off offset:84 ; 4-byte Folded Reload
	v_add3_u32 v0, v0, v26, v27
	v_bfe_i32 v26, v140, 16, 8
	v_ashrrev_i32_e32 v27, 24, v140
	scratch_load_b32 v140, off, off offset:1208 th:TH_LOAD_LU ; 4-byte Folded Reload
	v_mul_i32_i24_e32 v88, v23, v100
	v_add3_u32 v0, v0, v28, v29
	v_bfe_i32 v28, v141, 0, 8
	v_bfe_i32 v29, v141, 8, 8
	v_mul_i32_i24_e32 v90, v27, v101
	v_mul_i32_i24_e32 v100, v33, v238
	v_add3_u32 v0, v0, v30, v31
	v_bfe_i32 v30, v141, 16, 8
	v_ashrrev_i32_e32 v31, 24, v141
	scratch_load_b32 v141, off, off offset:996 th:TH_LOAD_LU ; 4-byte Folded Reload
	v_mul_i32_i24_e32 v91, v28, v102
	v_mul_lo_u32 v0, v0, v149
	v_mul_i32_i24_e32 v102, v35, v93
	scratch_load_b32 v93, off, off offset:448 ; 4-byte Folded Reload
	v_mul_i32_i24_e32 v96, v29, v110
	v_mul_i32_i24_e32 v97, v30, v111
	;; [unrolled: 1-line block ×4, first 2 shown]
	scratch_load_b32 v238, off, off offset:988 th:TH_LOAD_LU ; 4-byte Folded Reload
	v_cvt_f32_i32_e32 v25, v0
	v_bfe_i32 v0, v245, 8, 8
	s_clause 0x1
	scratch_load_b32 v245, off, off offset:1196 th:TH_LOAD_LU
	scratch_load_b32 v255, off, off offset:984 th:TH_LOAD_LU
	s_wait_loadcnt 0x10
	v_mul_i32_i24_e32 v71, v3, v242
	s_wait_loadcnt 0xf
	v_mul_i32_i24_e32 v74, v6, v142
	;; [unrolled: 2-line block ×10, first 2 shown]
	s_wait_loadcnt 0x5
	v_mad_i32_i24 v68, v0, v140, v68
	s_delay_alu instid0(VALU_DEP_1) | instskip(SKIP_4) | instid1(VALU_DEP_2)
	v_add3_u32 v68, v68, v69, v70
	v_mul_i32_i24_e32 v69, v1, v240
	v_mul_i32_i24_e32 v70, v2, v241
	s_wait_loadcnt 0x4
	v_mul_i32_i24_e32 v73, v5, v141
	v_add3_u32 v68, v68, v69, v70
	s_clause 0x1
	scratch_load_b32 v69, off, off offset:72
	scratch_load_b32 v70, off, off offset:68
	v_add3_u32 v68, v68, v71, v72
	scratch_load_b32 v72, off, off offset:64 ; 4-byte Folded Reload
	v_mul_i32_i24_e32 v71, v40, v103
	s_wait_loadcnt 0x4
	v_mul_i32_i24_e32 v77, v7, v245
	v_add3_u32 v68, v68, v73, v74
	s_clause 0x1
	scratch_load_b32 v73, off, off offset:160
	scratch_load_b32 v74, off, off offset:52
	v_add3_u32 v68, v68, v77, v78
	s_clause 0x1
	scratch_load_b32 v77, off, off offset:56
	scratch_load_b32 v78, off, off offset:44
	;; [unrolled: 4-line block ×6, first 2 shown]
	v_add3_u32 v68, v68, v87, v88
	scratch_load_b32 v88, off, off offset:20 ; 4-byte Folded Reload
	v_mul_i32_i24_e32 v87, v55, v238
	v_add3_u32 v68, v68, v89, v90
	s_clause 0x1
	scratch_load_b32 v89, off, off offset:24
	scratch_load_b32 v90, off, off offset:484
	v_add3_u32 v68, v68, v91, v96
	v_mul_i32_i24_e32 v96, v60, v93
	s_clause 0x1
	scratch_load_b32 v93, off, off offset:452
	scratch_load_b32 v91, off, off offset:16
	v_add3_u32 v68, v68, v97, v98
	s_delay_alu instid0(VALU_DEP_1) | instskip(SKIP_2) | instid1(VALU_DEP_2)
	v_add3_u32 v68, v68, v99, v100
	s_wait_loadcnt 0x14
	v_mul_i32_i24_e32 v100, v64, v255
	v_add3_u32 v68, v68, v101, v102
	s_wait_loadcnt 0x13
	v_mul_i32_i24_e32 v69, v36, v69
	s_wait_loadcnt 0x12
	v_mul_i32_i24_e32 v70, v39, v70
	s_wait_loadcnt 0x11
	s_delay_alu instid0(VALU_DEP_2)
	v_mad_i32_i24 v69, v37, v72, v69
	scratch_load_b32 v72, off, off offset:152 ; 4-byte Folded Reload
	v_add3_u32 v69, v69, v70, v71
	s_clause 0x1
	scratch_load_b32 v70, off, off offset:164
	scratch_load_b32 v71, off, off offset:168
	s_wait_loadcnt 0x13
	v_mul_i32_i24_e32 v73, v43, v73
	s_wait_loadcnt 0x12
	v_mul_i32_i24_e32 v74, v44, v74
	s_wait_loadcnt 0x11
	v_mul_i32_i24_e32 v77, v45, v77
	s_wait_loadcnt 0x10
	v_mul_i32_i24_e32 v78, v46, v78
	s_wait_loadcnt 0xf
	v_mul_i32_i24_e32 v79, v47, v79
	s_wait_loadcnt 0xe
	v_mul_i32_i24_e32 v80, v48, v80
	s_wait_loadcnt 0xd
	v_mul_i32_i24_e32 v81, v49, v81
	s_wait_loadcnt 0xc
	v_mul_i32_i24_e32 v82, v50, v82
	s_wait_loadcnt 0xb
	v_mul_i32_i24_e32 v83, v51, v83
	s_wait_loadcnt 0xa
	v_mul_i32_i24_e32 v84, v52, v84
	s_wait_loadcnt 0x9
	v_mul_i32_i24_e32 v85, v53, v85
	s_wait_loadcnt 0x8
	v_mul_i32_i24_e32 v86, v54, v86
	s_wait_loadcnt 0x7
	v_mul_i32_i24_e32 v88, v56, v88
	s_wait_loadcnt 0x6
	v_mul_i32_i24_e32 v89, v57, v89
	s_wait_loadcnt 0x5
	v_mul_i32_i24_e32 v90, v58, v90
	s_wait_loadcnt 0x4
	v_mul_i32_i24_e32 v97, v61, v93
	scratch_load_b32 v93, off, off offset:436 ; 4-byte Folded Reload
	s_wait_loadcnt 0x4
	v_mul_i32_i24_e32 v91, v59, v91
	s_wait_loadcnt 0x3
	v_mul_i32_i24_e32 v72, v42, v72
	;; [unrolled: 2-line block ×4, first 2 shown]
	s_delay_alu instid0(VALU_DEP_1) | instskip(NEXT) | instid1(VALU_DEP_1)
	v_add3_u32 v69, v69, v70, v71
	v_add3_u32 v69, v69, v72, v73
	s_delay_alu instid0(VALU_DEP_1) | instskip(NEXT) | instid1(VALU_DEP_1)
	v_add3_u32 v69, v69, v74, v77
	v_add3_u32 v69, v69, v78, v79
	v_mul_i32_i24_e32 v79, v251, v20
	s_delay_alu instid0(VALU_DEP_2) | instskip(NEXT) | instid1(VALU_DEP_1)
	v_add3_u32 v69, v69, v80, v81
	v_add3_u32 v69, v69, v82, v83
	s_delay_alu instid0(VALU_DEP_1) | instskip(NEXT) | instid1(VALU_DEP_1)
	v_add3_u32 v69, v69, v84, v85
	v_add3_u32 v69, v69, v86, v87
	s_wait_loadcnt 0x0
	v_mul_i32_i24_e32 v98, v62, v93
	scratch_load_b32 v93, off, off offset:444 ; 4-byte Folded Reload
	v_add3_u32 v69, v69, v88, v89
	s_delay_alu instid0(VALU_DEP_1) | instskip(NEXT) | instid1(VALU_DEP_1)
	v_add3_u32 v69, v69, v90, v91
	v_add3_u32 v69, v69, v96, v97
	s_wait_loadcnt 0x0
	v_mul_i32_i24_e32 v99, v63, v93
	scratch_load_b32 v93, off, off offset:456 ; 4-byte Folded Reload
	v_add3_u32 v69, v69, v98, v99
	s_wait_loadcnt 0x0
	v_mul_i32_i24_e32 v101, v65, v93
	scratch_load_b32 v93, off, off offset:440 ; 4-byte Folded Reload
	v_add3_u32 v69, v69, v100, v101
	s_wait_loadcnt 0x0
	v_mul_i32_i24_e32 v102, v66, v93
	s_clause 0x1f
	scratch_load_b32 v93, off, off offset:488
	scratch_load_b32 v71, off, off offset:184
	scratch_load_b32 v70, off, off offset:1636 th:TH_LOAD_LU
	scratch_load_b32 v72, off, off offset:180
	scratch_load_b32 v73, off, off offset:1640 th:TH_LOAD_LU
	scratch_load_b32 v74, off, off offset:1644 th:TH_LOAD_LU
	;; [unrolled: 1-line block ×3, first 2 shown]
	scratch_load_b32 v97, off, off offset:1116
	scratch_load_b32 v101, off, off offset:1120
	;; [unrolled: 1-line block ×3, first 2 shown]
	scratch_load_b32 v98, off, off offset:1224 th:TH_LOAD_LU
	scratch_load_b32 v96, off, off offset:1104
	scratch_load_b32 v95, off, off offset:1096
	;; [unrolled: 1-line block ×4, first 2 shown]
	scratch_load_b32 v99, off, off offset:980 th:TH_LOAD_LU
	scratch_load_b32 v100, off, off offset:1016 th:TH_LOAD_LU
	scratch_load_b32 v186, off, off offset:1064 th:TH_LOAD_LU
	scratch_load_b32 v185, off, off offset:1068 th:TH_LOAD_LU
	scratch_load_b32 v145, off, off offset:720
	scratch_load_b32 v125, off, off offset:560
	;; [unrolled: 1-line block ×13, first 2 shown]
	s_clause 0x3
	scratch_load_b32 v87, off, off offset:408
	scratch_load_b32 v88, off, off offset:404
	;; [unrolled: 1-line block ×3, first 2 shown]
	scratch_load_b32 v251, off, off offset:1008 th:TH_LOAD_LU
	s_wait_loadcnt 0x23
	v_mul_i32_i24_e32 v103, v67, v93
	s_wait_loadcnt 0x21
	v_mul_lo_u32 v70, v70, v71
	v_mul_lo_u32 v68, v68, v71
	s_wait_loadcnt 0x1d
	v_add3_u32 v73, v77, v73, v74
	scratch_load_b32 v74, off, off offset:176 ; 4-byte Folded Reload
	v_add3_u32 v69, v69, v102, v103
	v_fma_mix_f32 v71, v72, v253, 0 op_sel:[0,1,0] op_sel_hi:[0,1,0]
	v_fma_mix_f32 v72, v72, v134, 0 op_sel:[0,1,0] op_sel_hi:[0,1,0]
	scratch_load_b32 v93, off, off offset:1112 ; 4-byte Folded Reload
	v_cvt_f32_i32_e32 v70, v70
	v_cvt_f32_i32_e32 v68, v68
	s_clause 0x1
	scratch_load_b32 v103, off, off offset:1108
	scratch_load_b32 v102, off, off offset:1032 th:TH_LOAD_LU
	v_mul_i32_i24_e32 v77, v191, v16
	v_fma_mix_f32 v70, v134, v70, 0 op_sel_hi:[1,0,0]
	v_fma_mix_f32 v68, v253, v68, 0 op_sel_hi:[1,0,0]
	scratch_load_b32 v191, off, off offset:1228 th:TH_LOAD_LU ; 4-byte Folded Reload
	s_wait_loadcnt 0x13
	v_mul_i32_i24_e32 v91, v91, v34
	s_wait_loadcnt 0x11
	v_mul_i32_i24_e32 v89, v89, v32
	;; [unrolled: 2-line block ×13, first 2 shown]
	s_wait_loadcnt 0x4
	v_mul_lo_u32 v69, v69, v74
	v_mul_lo_u32 v73, v73, v74
	scratch_load_b32 v74, off, off offset:376 ; 4-byte Folded Reload
	v_cvt_f32_i32_e32 v69, v69
	v_cvt_f32_i32_e32 v73, v73
	s_delay_alu instid0(VALU_DEP_2) | instskip(NEXT) | instid1(VALU_DEP_2)
	v_fma_mix_f32 v68, v254, v69, v68 op_sel_hi:[1,0,0]
	v_fma_mix_f32 v69, v135, v73, v70 op_sel_hi:[1,0,0]
	scratch_load_b32 v73, off, off offset:172 ; 4-byte Folded Reload
	s_wait_loadcnt 0x1
	v_mul_i32_i24_e32 v74, v74, v13
	s_wait_loadcnt 0x0
	v_fma_mix_f32 v70, v73, v135, v72 op_sel:[0,1,0] op_sel_hi:[0,1,0]
	scratch_load_b32 v72, off, off offset:568 ; 4-byte Folded Reload
	v_fma_mix_f32 v71, v73, v254, v71 op_sel:[0,1,0] op_sel_hi:[0,1,0]
	scratch_load_b32 v73, off, off offset:428 ; 4-byte Folded Reload
	s_wait_loadcnt 0x1
	v_mul_f32_e32 v71, v71, v72
	scratch_load_b32 v72, off, off offset:552 ; 4-byte Folded Reload
	s_wait_loadcnt 0x1
	v_mul_i32_i24_e32 v73, v73, v12
	s_wait_loadcnt 0x0
	v_mul_f32_e32 v70, v70, v72
	scratch_load_b32 v72, off, off offset:548 ; 4-byte Folded Reload
	s_wait_loadcnt 0x0
	v_fma_f32 v69, v69, v72, -v70
	scratch_load_b32 v70, off, off offset:564 ; 4-byte Folded Reload
	v_mul_i32_i24_e32 v72, v194, v11
	scratch_load_b32 v194, off, off offset:1048 th:TH_LOAD_LU ; 4-byte Folded Reload
	v_add_f32_e32 v132, v132, v69
	scratch_load_b32 v69, off, off offset:680 ; 4-byte Folded Reload
	s_wait_loadcnt 0x2
	v_fma_f32 v68, v68, v70, -v71
	v_fma_mix_f32 v71, v93, v134, 0 op_sel:[0,1,0] op_sel_hi:[0,1,0]
	v_fma_mix_f32 v70, v134, v76, 0 op_sel_hi:[1,0,0]
	scratch_load_b32 v76, off, off offset:372 ; 4-byte Folded Reload
	v_add_f32_e32 v133, v133, v68
	v_fma_mix_f32 v71, v97, v135, v71 op_sel:[0,1,0] op_sel_hi:[0,1,0]
	v_fma_mix_f32 v70, v135, v75, v70 op_sel_hi:[1,0,0]
	s_clause 0x1
	scratch_load_b32 v68, off, off offset:368
	scratch_load_b32 v75, off, off offset:500
	s_wait_loadcnt 0x3
	v_mul_i32_i24_e32 v69, v69, v5
	v_mul_f32_e32 v71, v71, v96
	scratch_store_b64 off, v[132:133], off offset:612 ; 8-byte Folded Spill
	scratch_load_b32 v133, off, off offset:1236 th:TH_LOAD_LU ; 4-byte Folded Reload
	v_fma_f32 v70, v70, v95, -v71
	scratch_load_b32 v71, off, off offset:576 ; 4-byte Folded Reload
	s_wait_loadcnt 0x4
	v_mul_i32_i24_e32 v76, v76, v15
	s_wait_loadcnt 0x3
	v_mul_i32_i24_e32 v68, v68, v4
	;; [unrolled: 2-line block ×3, first 2 shown]
	s_wait_loadcnt 0x0
	v_add_f32_e32 v71, v71, v70
	v_fma_mix_f32 v70, v101, v134, 0 op_sel:[0,1,0] op_sel_hi:[0,1,0]
	scratch_store_b32 off, v71, off offset:576 ; 4-byte Folded Spill
	v_fma_mix_f32 v19, v110, v135, v70 op_sel:[0,1,0] op_sel_hi:[0,1,0]
	scratch_load_b32 v71, off, off offset:676 ; 4-byte Folded Reload
	v_mul_i32_i24_e32 v70, v193, v6
	scratch_load_b32 v193, off, off offset:1044 th:TH_LOAD_LU ; 4-byte Folded Reload
	v_mul_f32_e32 v19, v19, v103
	s_delay_alu instid0(VALU_DEP_1)
	v_fma_f32 v18, v18, v111, -v19
	scratch_load_b32 v19, off, off offset:584 ; 4-byte Folded Reload
	s_wait_loadcnt 0x2
	v_mul_i32_i24_e32 v71, v71, v7
	s_wait_loadcnt 0x0
	v_add_f32_e32 v19, v19, v18
	v_fma_mix_f32 v18, v134, v24, 0 op_sel_hi:[1,0,0]
	scratch_load_b32 v24, off, off offset:684 ; 4-byte Folded Reload
	scratch_store_b32 off, v19, off offset:584 ; 4-byte Folded Spill
	v_fma_mix_f32 v19, v134, v145, 0 op_sel:[1,0,0] op_sel_hi:[1,0,0]
	v_fma_mix_f32 v18, v135, v25, v18 op_sel_hi:[1,0,0]
	s_clause 0x1
	scratch_load_b32 v25, off, off offset:28
	scratch_load_b32 v134, off, off offset:1232 th:TH_LOAD_LU
	v_fma_mix_f32 v19, v135, v124, v19 op_sel:[1,0,0] op_sel_hi:[1,0,0]
	s_delay_alu instid0(VALU_DEP_1) | instskip(NEXT) | instid1(VALU_DEP_1)
	v_mul_f32_e32 v19, v19, v125
	v_fma_f32 v18, v18, v130, -v19
	scratch_load_b32 v19, off, off offset:608 ; 4-byte Folded Reload
	s_wait_loadcnt 0x3
	v_mul_i32_i24_e32 v24, v24, v10
	s_wait_loadcnt 0x0
	v_add_f32_e32 v19, v19, v18
	v_mul_i32_i24_e32 v18, v98, v8
	scratch_store_b32 off, v19, off offset:608 ; 4-byte Folded Spill
	v_mul_i32_i24_e32 v19, v99, v9
	v_mad_i32_i24 v18, v25, v0, v18
	v_mul_i32_i24_e32 v25, v92, v3
	scratch_load_b32 v92, off, off offset:696 ; 4-byte Folded Reload
	v_add3_u32 v18, v18, v19, v24
	scratch_load_b32 v24, off, off offset:364 ; 4-byte Folded Reload
	v_mul_i32_i24_e32 v19, v252, v1
	scratch_load_b32 v252, off, off offset:1012 th:TH_LOAD_LU ; 4-byte Folded Reload
	s_wait_loadcnt 0x2
	v_mul_i32_i24_e32 v92, v92, v35
	s_wait_loadcnt 0x1
	v_mul_i32_i24_e32 v24, v24, v2
	s_delay_alu instid0(VALU_DEP_1)
	v_add3_u32 v18, v18, v19, v24
	v_mul_i32_i24_e32 v24, v178, v36
	scratch_load_b32 v19, off, off offset:688 ; 4-byte Folded Reload
	v_add3_u32 v18, v18, v25, v68
	v_mul_i32_i24_e32 v25, v226, v39
	v_mul_i32_i24_e32 v68, v138, v40
	v_mad_i32_i24 v24, v180, v37, v24
	scratch_load_b32 v138, off, off offset:1036 th:TH_LOAD_LU ; 4-byte Folded Reload
	v_add3_u32 v18, v18, v69, v70
	v_mul_i32_i24_e32 v69, v146, v42
	scratch_load_b32 v146, off, off offset:1040 th:TH_LOAD_LU ; 4-byte Folded Reload
	v_add3_u32 v24, v24, v25, v68
	scratch_load_b32 v25, off, off offset:704 ; 4-byte Folded Reload
	v_add3_u32 v18, v18, v71, v72
	s_clause 0x2
	scratch_load_b32 v71, off, off offset:148
	scratch_load_b32 v72, off, off
	scratch_load_b32 v226, off, off offset:1056 th:TH_LOAD_LU
	v_mul_i32_i24_e32 v68, v191, v41
	v_add3_u32 v18, v18, v73, v74
	s_clause 0x1
	scratch_load_b32 v73, off, off offset:712
	scratch_load_b32 v74, off, off offset:708
	v_mul_i32_i24_e32 v70, v181, v43
	v_add3_u32 v18, v18, v75, v76
	v_mul_i32_i24_e32 v75, v134, v48
	v_mul_i32_i24_e32 v76, v218, v49
	s_delay_alu instid0(VALU_DEP_3)
	v_add3_u32 v18, v18, v77, v78
	v_mul_i32_i24_e32 v77, v217, v50
	v_mul_i32_i24_e32 v78, v94, v51
	;; [unrolled: 1-line block ×3, first 2 shown]
	scratch_load_b32 v192, off, off offset:1004 th:TH_LOAD_LU ; 4-byte Folded Reload
	v_add3_u32 v18, v18, v79, v80
	v_mul_i32_i24_e32 v79, v219, v52
	scratch_load_b32 v219, off, off offset:1052 th:TH_LOAD_LU ; 4-byte Folded Reload
	v_mul_i32_i24_e32 v80, v159, v53
	v_mov_b32_e32 v159, v255
	v_add3_u32 v18, v18, v81, v82
	v_mul_i32_i24_e32 v81, v100, v54
	s_delay_alu instid0(VALU_DEP_2) | instskip(SKIP_1) | instid1(VALU_DEP_2)
	v_add3_u32 v18, v18, v83, v84
	v_mul_i32_i24_e32 v84, v194, v57
	v_add3_u32 v18, v18, v85, v86
	v_mul_i32_i24_e32 v85, v193, v58
	s_delay_alu instid0(VALU_DEP_2) | instskip(SKIP_1) | instid1(VALU_DEP_2)
	v_add3_u32 v18, v18, v87, v88
	v_mul_i32_i24_e32 v88, v251, v61
	v_add3_u32 v18, v18, v89, v90
	v_mul_i32_i24_e32 v89, v196, v62
	scratch_load_b32 v196, off, off offset:1060 th:TH_LOAD_LU ; 4-byte Folded Reload
	v_mul_i32_i24_e32 v90, v102, v63
	v_add3_u32 v18, v18, v91, v92
	scratch_load_b32 v91, off, off offset:144 ; 4-byte Folded Reload
	s_wait_loadcnt 0xc
	v_mul_lo_u32 v18, v18, v19
	v_fma_mix_f32 v19, v93, v253, 0 op_sel:[0,1,0] op_sel_hi:[0,1,0]
	v_mul_i32_i24_e32 v93, v252, v66
	s_delay_alu instid0(VALU_DEP_2)
	v_fma_mix_f32 v19, v97, v254, v19 op_sel:[0,1,0] op_sel_hi:[0,1,0]
	s_wait_loadcnt 0xb
	v_mul_i32_i24_e32 v82, v138, v55
	v_cvt_f32_i32_e32 v18, v18
	s_wait_loadcnt 0xa
	v_mul_i32_i24_e32 v86, v146, v59
	v_mul_f32_e32 v19, v19, v96
	s_wait_loadcnt 0x9
	v_mul_i32_i24_e32 v25, v25, v38
	v_fma_mix_f32 v18, v253, v18, 0 op_sel_hi:[1,0,0]
	s_wait_loadcnt 0x8
	v_mul_i32_i24_e32 v71, v71, v44
	s_wait_loadcnt 0x7
	v_mul_i32_i24_e32 v72, v72, v45
	;; [unrolled: 2-line block ×3, first 2 shown]
	v_add3_u32 v24, v24, v25, v68
	s_clause 0x1
	scratch_load_b32 v25, off, off offset:88
	scratch_load_b32 v68, off, off offset:120
	s_wait_loadcnt 0x7
	v_mul_i32_i24_e32 v73, v73, v46
	s_wait_loadcnt 0x6
	v_mul_i32_i24_e32 v74, v74, v47
	v_add3_u32 v24, v24, v69, v70
	s_clause 0x1
	scratch_load_b32 v69, off, off offset:124
	scratch_load_b32 v70, off, off offset:128
	v_add3_u32 v24, v24, v71, v72
	s_clause 0x1
	scratch_load_b32 v71, off, off offset:132
	scratch_load_b32 v72, off, off offset:92
	;; [unrolled: 4-line block ×3, first 2 shown]
	s_wait_loadcnt 0xa
	v_mul_i32_i24_e32 v83, v219, v56
	v_add3_u32 v24, v24, v75, v76
	s_clause 0x1
	scratch_load_b32 v75, off, off offset:100
	scratch_load_b32 v76, off, off offset:104
	v_add3_u32 v24, v24, v77, v78
	v_mul_i32_i24_e32 v77, v16, v117
	v_mul_i32_i24_e32 v78, v17, v220
	s_delay_alu instid0(VALU_DEP_3) | instskip(SKIP_2) | instid1(VALU_DEP_3)
	v_add3_u32 v24, v24, v79, v80
	v_mul_i32_i24_e32 v79, v20, v221
	v_mul_i32_i24_e32 v80, v21, v113
	v_add3_u32 v24, v24, v81, v82
	v_mul_i32_i24_e32 v81, v22, v118
	v_mul_i32_i24_e32 v82, v23, v112
	s_clause 0x1
	scratch_load_b32 v118, off, off offset:1252 th:TH_LOAD_LU
	scratch_load_b32 v112, off, off offset:1084 th:TH_LOAD_LU
	v_add3_u32 v24, v24, v83, v84
	v_mul_i32_i24_e32 v83, v26, v109
	scratch_load_b32 v109, off, off offset:1092 th:TH_LOAD_LU ; 4-byte Folded Reload
	s_wait_loadcnt 0xe
	v_mul_i32_i24_e32 v92, v196, v65
	v_add3_u32 v24, v24, v85, v86
	v_mul_i32_i24_e32 v85, v28, v104
	s_wait_loadcnt 0xd
	v_mul_i32_i24_e32 v91, v91, v64
	v_mul_i32_i24_e32 v86, v29, v108
	scratch_load_b32 v104, off, off offset:1088 th:TH_LOAD_LU ; 4-byte Folded Reload
	v_add3_u32 v24, v24, v87, v88
	scratch_load_b32 v88, off, off offset:156 ; 4-byte Folded Reload
	v_mul_i32_i24_e32 v87, v30, v212
	v_add3_u32 v24, v24, v89, v90
	scratch_load_b32 v90, off, off offset:716 ; 4-byte Folded Reload
	v_mul_i32_i24_e32 v89, v32, v105
	v_add3_u32 v24, v24, v91, v92
	v_mul_i32_i24_e32 v91, v34, v107
	v_mul_i32_i24_e32 v92, v35, v114
	s_delay_alu instid0(VALU_DEP_3) | instskip(SKIP_3) | instid1(VALU_DEP_4)
	v_add3_u32 v24, v24, v93, v94
	v_mul_i32_i24_e32 v93, v66, v208
	v_mul_i32_i24_e32 v94, v67, v189
	v_mov_b32_e32 v208, v129
	v_mul_lo_u32 v24, v24, v133
	s_delay_alu instid0(VALU_DEP_1) | instskip(NEXT) | instid1(VALU_DEP_1)
	v_cvt_f32_i32_e32 v24, v24
	v_fma_mix_f32 v18, v254, v24, v18 op_sel_hi:[1,0,0]
	scratch_load_b32 v24, off, off offset:40 ; 4-byte Folded Reload
	v_fma_f32 v18, v18, v95, -v19
	scratch_load_b32 v19, off, off offset:572 ; 4-byte Folded Reload
	s_wait_loadcnt 0x11
	v_mul_i32_i24_e32 v25, v3, v25
	s_wait_loadcnt 0x10
	v_mul_i32_i24_e32 v68, v4, v68
	v_mul_i32_i24_e32 v3, v3, v206
	;; [unrolled: 1-line block ×3, first 2 shown]
	v_mov_b32_e32 v206, v233
	s_wait_loadcnt 0xf
	v_mul_i32_i24_e32 v69, v5, v69
	s_wait_loadcnt 0xe
	v_mul_i32_i24_e32 v70, v6, v70
	v_mul_i32_i24_e32 v5, v5, v209
	;; [unrolled: 1-line block ×3, first 2 shown]
	v_mov_b32_e32 v209, v120
	s_wait_loadcnt 0xd
	v_mul_i32_i24_e32 v71, v7, v71
	s_wait_loadcnt 0xc
	v_mul_i32_i24_e32 v72, v11, v72
	v_mul_i32_i24_e32 v7, v7, v137
	v_mov_b32_e32 v207, v234
	s_wait_loadcnt 0xb
	v_mul_i32_i24_e32 v73, v12, v73
	s_wait_loadcnt 0xa
	v_mul_i32_i24_e32 v74, v13, v74
	;; [unrolled: 2-line block ×8, first 2 shown]
	s_wait_loadcnt 0x0
	v_add_f32_e32 v19, v19, v18
	scratch_load_b32 v18, off, off offset:32 ; 4-byte Folded Reload
	scratch_store_b32 off, v19, off offset:572 ; 4-byte Folded Spill
	scratch_load_b32 v19, off, off offset:36 ; 4-byte Folded Reload
	s_wait_loadcnt 0x1
	v_mul_i32_i24_e32 v18, v8, v18
	v_mul_i32_i24_e32 v8, v8, v186
	s_wait_loadcnt 0x0
	v_mul_i32_i24_e32 v19, v9, v19
	s_delay_alu instid0(VALU_DEP_3) | instskip(NEXT) | instid1(VALU_DEP_3)
	v_mad_i32_i24 v18, v0, v192, v18
	v_mad_i32_i24 v0, v0, v185, v8
	v_mul_i32_i24_e32 v8, v11, v235
	v_mul_i32_i24_e32 v11, v14, v126
	;; [unrolled: 1-line block ×3, first 2 shown]
	v_add3_u32 v18, v18, v19, v24
	s_clause 0x1
	scratch_load_b32 v19, off, off offset:136
	scratch_load_b32 v24, off, off offset:140
	v_mul_i32_i24_e32 v17, v22, v215
	v_mul_i32_i24_e32 v22, v29, v229
	;; [unrolled: 1-line block ×3, first 2 shown]
	s_wait_loadcnt 0x1
	v_mul_i32_i24_e32 v19, v1, v19
	s_wait_loadcnt 0x0
	v_mul_i32_i24_e32 v24, v2, v24
	v_mul_i32_i24_e32 v1, v1, v136
	;; [unrolled: 1-line block ×3, first 2 shown]
	s_delay_alu instid0(VALU_DEP_3)
	v_add3_u32 v18, v18, v19, v24
	scratch_load_b32 v24, off, off offset:108 ; 4-byte Folded Reload
	v_fma_mix_f32 v19, v101, v253, 0 op_sel:[0,1,0] op_sel_hi:[0,1,0]
	v_add3_u32 v18, v18, v25, v68
	s_clause 0x1
	scratch_load_b32 v25, off, off offset:112
	scratch_load_b32 v68, off, off offset:116
	v_fma_mix_f32 v19, v110, v254, v19 op_sel:[0,1,0] op_sel_hi:[0,1,0]
	v_add3_u32 v18, v18, v69, v70
	v_mul_i32_i24_e32 v69, v42, v118
	v_mul_i32_i24_e32 v70, v43, v116
	s_delay_alu instid0(VALU_DEP_4) | instskip(NEXT) | instid1(VALU_DEP_4)
	v_mul_f32_e32 v19, v19, v103
	v_add3_u32 v18, v18, v71, v72
	v_mul_i32_i24_e32 v71, v44, v112
	s_delay_alu instid0(VALU_DEP_2) | instskip(SKIP_3) | instid1(VALU_DEP_4)
	v_add3_u32 v18, v18, v73, v74
	v_mul_i32_i24_e32 v73, v46, v190
	v_mul_i32_i24_e32 v74, v47, v244
	v_mov_b32_e32 v244, v238
	v_add3_u32 v18, v18, v75, v76
	v_mul_i32_i24_e32 v76, v49, v211
	s_delay_alu instid0(VALU_DEP_2) | instskip(SKIP_2) | instid1(VALU_DEP_3)
	v_add3_u32 v18, v18, v77, v78
	v_mul_i32_i24_e32 v77, v50, v197
	v_mul_i32_i24_e32 v78, v51, v216
	v_add3_u32 v18, v18, v79, v80
	v_mul_i32_i24_e32 v80, v53, v155
	scratch_load_b32 v155, off, off offset:1072 th:TH_LOAD_LU ; 4-byte Folded Reload
	v_mul_i32_i24_e32 v79, v52, v237
	v_add3_u32 v18, v18, v81, v82
	v_mul_i32_i24_e32 v81, v54, v123
	v_mul_i32_i24_e32 v82, v55, v156
	v_mov_b32_e32 v123, v156
	scratch_load_b32 v156, off, off offset:1076 th:TH_LOAD_LU ; 4-byte Folded Reload
	v_add3_u32 v18, v18, v83, v84
	v_mul_i32_i24_e32 v83, v56, v176
	v_mul_i32_i24_e32 v84, v57, v210
	v_mov_b32_e32 v176, v210
	s_delay_alu instid0(VALU_DEP_4)
	v_add3_u32 v18, v18, v85, v86
	v_mul_i32_i24_e32 v85, v58, v199
	v_mul_i32_i24_e32 v86, v59, v175
	v_mov_b32_e32 v175, v140
	v_mov_b32_e32 v255, v176
	v_add3_u32 v18, v18, v87, v88
	v_mul_i32_i24_e32 v87, v60, v223
	v_mul_i32_i24_e32 v88, v61, v119
	v_mov_b32_e32 v223, v106
	s_delay_alu instid0(VALU_DEP_4) | instskip(SKIP_3) | instid1(VALU_DEP_4)
	v_add3_u32 v18, v18, v89, v90
	v_mul_i32_i24_e32 v89, v62, v224
	v_mul_i32_i24_e32 v90, v63, v128
	v_mov_b32_e32 v224, v149
	v_add3_u32 v18, v18, v91, v92
	v_mul_i32_i24_e32 v91, v64, v227
	v_mul_i32_i24_e32 v92, v65, v121
	s_delay_alu instid0(VALU_DEP_3) | instskip(SKIP_2) | instid1(VALU_DEP_1)
	v_mul_lo_u32 v18, v18, v144
	scratch_load_b32 v144, off, off offset:1080 th:TH_LOAD_LU ; 4-byte Folded Reload
	v_cvt_f32_i32_e32 v18, v18
	v_fma_mix_f32 v18, v253, v18, 0 op_sel_hi:[1,0,0]
	s_wait_loadcnt 0x5
	v_mul_i32_i24_e32 v24, v36, v24
	s_wait_loadcnt 0x4
	v_mul_i32_i24_e32 v25, v39, v25
	s_wait_loadcnt 0x3
	v_mul_i32_i24_e32 v68, v40, v68
	v_mad_i32_i24 v24, v37, v104, v24
	s_delay_alu instid0(VALU_DEP_1)
	v_add3_u32 v24, v24, v25, v68
	v_mul_i32_i24_e32 v68, v41, v115
	s_wait_loadcnt 0x2
	v_mul_i32_i24_e32 v9, v9, v155
	s_wait_loadcnt 0x1
	v_mul_i32_i24_e32 v10, v10, v156
	s_delay_alu instid0(VALU_DEP_1)
	v_add3_u32 v0, v0, v9, v10
	v_mul_i32_i24_e32 v9, v12, v236
	v_mul_i32_i24_e32 v10, v13, v239
	;; [unrolled: 1-line block ×4, first 2 shown]
	v_add3_u32 v0, v0, v1, v2
	v_mul_i32_i24_e32 v2, v36, v204
	v_mov_b32_e32 v204, v248
	v_mov_b32_e32 v248, v109
	v_mul_i32_i24_e32 v72, v45, v195
	v_add3_u32 v0, v0, v3, v4
	v_mul_i32_i24_e32 v3, v39, v188
	v_mov_b32_e32 v188, v156
	v_mul_i32_i24_e32 v75, v48, v249
	v_mul_i32_i24_e32 v4, v40, v203
	v_mad_i32_i24 v2, v37, v152, v2
	v_add3_u32 v0, v0, v5, v6
	v_mul_i32_i24_e32 v5, v42, v106
	v_mul_i32_i24_e32 v6, v43, v143
	;; [unrolled: 1-line block ×3, first 2 shown]
	v_add3_u32 v2, v2, v3, v4
	v_mul_i32_i24_e32 v3, v38, v129
	s_wait_loadcnt 0x0
	v_mul_i32_i24_e32 v25, v38, v144
	v_mul_i32_i24_e32 v4, v41, v120
	v_add3_u32 v0, v0, v7, v8
	v_mul_i32_i24_e32 v7, v44, v233
	v_mul_i32_i24_e32 v8, v45, v148
	v_add3_u32 v24, v24, v25, v68
	v_add3_u32 v2, v2, v3, v4
	v_add3_u32 v0, v0, v9, v10
	v_mul_i32_i24_e32 v9, v46, v234
	v_mul_i32_i24_e32 v10, v47, v150
	v_add3_u32 v24, v24, v69, v70
	v_add3_u32 v2, v2, v5, v6
	;; [unrolled: 5-line block ×3, first 2 shown]
	v_mul_i32_i24_e32 v16, v21, v214
	v_add3_u32 v0, v0, v13, v14
	v_mul_i32_i24_e32 v13, v50, v157
	v_add3_u32 v24, v24, v73, v74
	v_add3_u32 v2, v2, v9, v10
	v_mul_i32_i24_e32 v14, v51, v158
	v_add3_u32 v0, v0, v15, v16
	v_mul_i32_i24_e32 v15, v52, v177
	v_add3_u32 v24, v24, v75, v76
	v_add3_u32 v2, v2, v11, v12
	v_mul_i32_i24_e32 v16, v53, v160
	v_mul_i32_i24_e32 v20, v27, v230
	;; [unrolled: 1-line block ×3, first 2 shown]
	v_add3_u32 v24, v24, v77, v78
	v_add3_u32 v2, v2, v13, v14
	v_mul_i32_i24_e32 v25, v32, v205
	v_mul_i32_i24_e32 v27, v34, v232
	;; [unrolled: 1-line block ×3, first 2 shown]
	v_add3_u32 v24, v24, v79, v80
	v_add3_u32 v2, v2, v15, v16
	v_fma_mix_f32 v1, v253, v145, 0 op_sel:[1,0,0] op_sel_hi:[1,0,0]
	v_mov_b32_e32 v154, v240
	v_mov_b32_e32 v72, v139
	v_add3_u32 v24, v24, v81, v82
	v_mov_b32_e32 v43, v141
	v_fma_mix_f32 v1, v254, v124, v1 op_sel:[1,0,0] op_sel_hi:[1,0,0]
	v_mov_b32_e32 v214, v143
	v_mov_b32_e32 v44, v142
	v_add3_u32 v24, v24, v83, v84
	v_mov_b32_e32 v203, v172
	v_mul_f32_e32 v1, v1, v125
	v_mov_b32_e32 v213, v173
	v_mov_b32_e32 v41, v242
	v_add3_u32 v24, v24, v85, v86
	v_mov_b32_e32 v73, v131
	v_dual_mov_b32 v71, v183 :: v_dual_mov_b32 v40, v241
	v_mov_b32_e32 v42, v243
	s_delay_alu instid0(VALU_DEP_4) | instskip(SKIP_2) | instid1(VALU_DEP_3)
	v_add3_u32 v24, v24, v87, v88
	v_dual_mov_b32 v46, v245 :: v_dual_mov_b32 v47, v246
	v_dual_mov_b32 v177, v247 :: v_dual_mov_b32 v222, v123
	v_add3_u32 v24, v24, v89, v90
	v_dual_mov_b32 v183, v186 :: v_dual_mov_b32 v186, v155
	s_delay_alu instid0(VALU_DEP_2) | instskip(NEXT) | instid1(VALU_DEP_1)
	v_add3_u32 v24, v24, v91, v92
	v_add3_u32 v24, v24, v93, v94
	s_delay_alu instid0(VALU_DEP_1) | instskip(NEXT) | instid1(VALU_DEP_1)
	v_mul_lo_u32 v24, v24, v250
	v_cvt_f32_i32_e32 v24, v24
	s_delay_alu instid0(VALU_DEP_1) | instskip(SKIP_1) | instid1(VALU_DEP_2)
	v_fma_mix_f32 v18, v254, v24, v18 op_sel_hi:[1,0,0]
	v_mul_i32_i24_e32 v24, v31, v202
	v_fma_f32 v18, v18, v111, -v19
	scratch_load_b32 v19, off, off offset:580 ; 4-byte Folded Reload
	s_wait_loadcnt 0x0
	v_add_f32_e32 v19, v19, v18
	v_mul_i32_i24_e32 v18, v23, v225
	v_mul_i32_i24_e32 v23, v30, v198
	;; [unrolled: 1-line block ×3, first 2 shown]
	scratch_store_b32 off, v19, off offset:580 ; 4-byte Folded Spill
	v_mul_i32_i24_e32 v19, v26, v228
	v_add3_u32 v0, v0, v17, v18
	v_mul_i32_i24_e32 v17, v54, v151
	v_mul_i32_i24_e32 v18, v55, v161
	;; [unrolled: 1-line block ×3, first 2 shown]
	s_delay_alu instid0(VALU_DEP_4) | instskip(SKIP_3) | instid1(VALU_DEP_4)
	v_add3_u32 v0, v0, v19, v20
	v_mul_i32_i24_e32 v19, v56, v162
	v_mul_i32_i24_e32 v20, v57, v164
	v_add3_u32 v2, v2, v17, v18
	v_add3_u32 v0, v0, v21, v22
	v_mul_i32_i24_e32 v21, v58, v163
	v_mul_i32_i24_e32 v22, v59, v165
	s_delay_alu instid0(VALU_DEP_4)
	v_add3_u32 v2, v2, v19, v20
	v_mov_b32_e32 v163, v112
	v_add3_u32 v0, v0, v23, v24
	v_mul_i32_i24_e32 v23, v60, v166
	v_mul_i32_i24_e32 v24, v61, v168
	v_add3_u32 v2, v2, v21, v22
	s_delay_alu instid0(VALU_DEP_4) | instskip(SKIP_2) | instid1(VALU_DEP_4)
	v_add3_u32 v0, v0, v25, v26
	v_mul_i32_i24_e32 v25, v62, v167
	v_mul_i32_i24_e32 v26, v63, v169
	v_add3_u32 v2, v2, v23, v24
	s_delay_alu instid0(VALU_DEP_4) | instskip(SKIP_2) | instid1(VALU_DEP_4)
	v_add3_u32 v0, v0, v27, v28
	v_mul_i32_i24_e32 v27, v64, v170
	v_mul_i32_i24_e32 v28, v65, v172
	v_add3_u32 v2, v2, v25, v26
	s_delay_alu instid0(VALU_DEP_4) | instskip(NEXT) | instid1(VALU_DEP_2)
	v_mul_lo_u32 v0, v0, v187
	v_add3_u32 v2, v2, v27, v28
	s_delay_alu instid0(VALU_DEP_1) | instskip(NEXT) | instid1(VALU_DEP_3)
	v_add3_u32 v2, v2, v29, v30
	v_cvt_f32_i32_e32 v0, v0
	s_delay_alu instid0(VALU_DEP_2) | instskip(NEXT) | instid1(VALU_DEP_2)
	v_mul_lo_u32 v2, v2, v149
	v_fma_mix_f32 v0, v253, v0, 0 op_sel_hi:[1,0,0]
	s_delay_alu instid0(VALU_DEP_2) | instskip(NEXT) | instid1(VALU_DEP_1)
	v_cvt_f32_i32_e32 v2, v2
	v_fma_mix_f32 v0, v254, v2, v0 op_sel_hi:[1,0,0]
	s_delay_alu instid0(VALU_DEP_1)
	v_fma_f32 v0, v0, v130, -v1
	scratch_load_b32 v1, off, off offset:596 ; 4-byte Folded Reload
	s_wait_loadcnt 0x0
	v_add_f32_e32 v1, v1, v0
	scratch_load_b32 v0, off, off offset:1628 th:TH_LOAD_LU ; 4-byte Folded Reload
	scratch_store_b32 off, v1, off offset:596 ; 4-byte Folded Spill
	s_wait_loadcnt 0x0
	ds_load_b128 v[20:23], v0 offset:16896
	ds_load_b128 v[36:39], v0 offset:16912
	ds_load_b128 v[4:7], v0 offset:16928
	ds_load_b128 v[0:3], v0 offset:16944
	s_clause 0x1f
	scratch_load_b32 v107, off, off offset:492 th:TH_LOAD_LU
	scratch_load_b32 v218, off, off offset:468 th:TH_LOAD_LU
	;; [unrolled: 1-line block ×32, first 2 shown]
	s_clause 0x1f
	scratch_load_b32 v225, off, off offset:844 th:TH_LOAD_LU
	scratch_load_b32 v139, off, off offset:948 th:TH_LOAD_LU
	;; [unrolled: 1-line block ×32, first 2 shown]
	s_clause 0x5
	scratch_load_b32 v119, off, off offset:792 th:TH_LOAD_LU
	scratch_load_b32 v137, off, off offset:796 th:TH_LOAD_LU
	;; [unrolled: 1-line block ×6, first 2 shown]
	s_wait_dscnt 0x3
	v_bfe_i32 v9, v20, 0, 8
	v_bfe_i32 v52, v20, 8, 8
	;; [unrolled: 1-line block ×3, first 2 shown]
	v_ashrrev_i32_e32 v15, 24, v20
	v_bfe_i32 v10, v21, 0, 8
	v_mul_i32_i24_e32 v53, v9, v73
	v_bfe_i32 v11, v21, 8, 8
	v_mul_i32_i24_e32 v54, v13, v71
	v_mul_i32_i24_e32 v55, v15, v72
	v_bfe_i32 v12, v21, 16, 8
	v_mad_i32_i24 v53, v52, v175, v53
	v_ashrrev_i32_e32 v117, 24, v21
	v_bfe_i32 v14, v22, 0, 8
	v_bfe_i32 v16, v22, 8, 8
	v_mul_i32_i24_e32 v56, v12, v41
	v_add3_u32 v53, v53, v54, v55
	v_mul_i32_i24_e32 v54, v10, v154
	v_mul_i32_i24_e32 v55, v11, v40
	;; [unrolled: 1-line block ×3, first 2 shown]
	v_bfe_i32 v18, v22, 16, 8
	v_ashrrev_i32_e32 v17, 24, v22
	v_mul_i32_i24_e32 v58, v14, v43
	v_add3_u32 v53, v53, v54, v55
	v_mul_i32_i24_e32 v60, v16, v44
	v_bfe_i32 v20, v23, 0, 8
	v_bfe_i32 v19, v23, 8, 8
	v_mul_i32_i24_e32 v61, v18, v46
	v_add3_u32 v53, v53, v56, v57
	v_mul_i32_i24_e32 v62, v17, v47
	v_bfe_i32 v22, v23, 16, 8
	v_ashrrev_i32_e32 v21, 24, v23
	v_mul_i32_i24_e32 v63, v20, v177
	v_add3_u32 v53, v53, v58, v60
	v_mul_i32_i24_e32 v64, v19, v204
	s_wait_dscnt 0x2
	v_bfe_i32 v24, v36, 0, 8
	v_bfe_i32 v23, v36, 8, 8
	;; [unrolled: 1-line block ×3, first 2 shown]
	v_add3_u32 v53, v53, v61, v62
	v_ashrrev_i32_e32 v25, 24, v36
	v_bfe_i32 v28, v37, 0, 8
	v_bfe_i32 v27, v37, 8, 8
	;; [unrolled: 1-line block ×3, first 2 shown]
	v_add3_u32 v53, v53, v63, v64
	v_ashrrev_i32_e32 v29, 24, v37
	v_bfe_i32 v32, v38, 0, 8
	v_bfe_i32 v31, v38, 8, 8
	;; [unrolled: 1-line block ×3, first 2 shown]
	v_ashrrev_i32_e32 v33, 24, v38
	v_bfe_i32 v36, v39, 0, 8
	v_bfe_i32 v35, v39, 8, 8
	;; [unrolled: 1-line block ×3, first 2 shown]
	v_ashrrev_i32_e32 v37, 24, v39
	s_wait_dscnt 0x1
	v_bfe_i32 v150, v4, 0, 8
	v_bfe_i32 v179, v4, 8, 8
	v_bfe_i32 v8, v4, 16, 8
	v_ashrrev_i32_e32 v135, 24, v4
	v_bfe_i32 v184, v5, 0, 8
	v_bfe_i32 v182, v5, 8, 8
	v_bfe_i32 v181, v5, 16, 8
	v_ashrrev_i32_e32 v180, 24, v5
	;; [unrolled: 4-line block ×4, first 2 shown]
	s_wait_dscnt 0x0
	v_bfe_i32 v151, v0, 0, 8
	v_bfe_i32 v5, v0, 8, 8
	v_bfe_i32 v6, v0, 16, 8
	v_ashrrev_i32_e32 v4, 24, v0
	v_bfe_i32 v7, v1, 0, 8
	v_bfe_i32 v74, v1, 8, 8
	v_bfe_i32 v77, v1, 16, 8
	v_ashrrev_i32_e32 v1, 24, v1
	;; [unrolled: 4-line block ×4, first 2 shown]
	s_clause 0x1a
	scratch_load_b32 v131, off, off offset:136 th:TH_LOAD_LU
	scratch_load_b32 v129, off, off offset:88 th:TH_LOAD_LU
	;; [unrolled: 1-line block ×27, first 2 shown]
	s_wait_loadcnt 0x3e
	v_mul_i32_i24_e32 v65, v22, v107
	v_mul_i32_i24_e32 v66, v21, v240
	;; [unrolled: 1-line block ×6, first 2 shown]
	v_add3_u32 v53, v53, v65, v66
	v_mul_i32_i24_e32 v75, v28, v120
	s_delay_alu instid0(VALU_DEP_2)
	v_add3_u32 v53, v53, v67, v68
	v_mul_i32_i24_e32 v83, v30, v106
	v_mul_i32_i24_e32 v54, v8, v132
	;; [unrolled: 1-line block ×4, first 2 shown]
	v_add3_u32 v53, v53, v69, v70
	v_mul_i32_i24_e32 v63, v116, v220
	v_mul_i32_i24_e32 v76, v27, v121
	v_mul_i32_i24_e32 v84, v29, v124
	v_mul_i32_i24_e32 v85, v32, v125
	v_mul_i32_i24_e32 v86, v31, v126
	v_mul_i32_i24_e32 v87, v34, v127
	v_add3_u32 v53, v53, v75, v76
	v_mul_i32_i24_e32 v92, v37, v143
	v_mul_i32_i24_e32 v55, v135, v162
	v_mul_i32_i24_e32 v88, v33, v139
	v_mul_i32_i24_e32 v89, v36, v140
	v_add3_u32 v53, v53, v83, v84
	s_wait_loadcnt 0x3d
	v_mul_i32_i24_e32 v90, v35, v141
	s_wait_loadcnt 0x3c
	v_mul_i32_i24_e32 v91, v157, v142
	s_wait_loadcnt 0x3b
	v_mul_i32_i24_e32 v56, v184, v170
	s_wait_loadcnt 0x3a
	v_mul_i32_i24_e32 v58, v182, v171
	v_add3_u32 v53, v53, v85, v86
	s_wait_loadcnt 0x39
	v_mul_i32_i24_e32 v60, v181, v168
	v_mul_i32_i24_e32 v66, v149, v221
	;; [unrolled: 1-line block ×3, first 2 shown]
	s_wait_loadcnt 0x34
	v_mul_i32_i24_e32 v61, v180, v169
	v_add3_u32 v53, v53, v87, v88
	s_wait_loadcnt 0x33
	v_mul_i32_i24_e32 v64, v148, v172
	s_wait_loadcnt 0x32
	v_mul_i32_i24_e32 v65, v115, v173
	v_mul_i32_i24_e32 v70, v151, v233
	;; [unrolled: 1-line block ×3, first 2 shown]
	v_add3_u32 v53, v53, v89, v90
	v_mul_i32_i24_e32 v83, v4, v244
	s_wait_loadcnt 0x31
	v_mul_i32_i24_e32 v84, v7, v113
	s_wait_loadcnt 0x2b
	v_mul_i32_i24_e32 v68, v111, v216
	v_mul_i32_i24_e32 v85, v74, v59
	v_add3_u32 v110, v53, v91, v92
	v_mul_i32_i24_e32 v53, v150, v161
	v_mul_i32_i24_e32 v86, v77, v101
	;; [unrolled: 1-line block ×3, first 2 shown]
	s_wait_loadcnt 0x2a
	v_mul_i32_i24_e32 v88, v78, v254
	s_wait_loadcnt 0x29
	v_mul_i32_i24_e32 v89, v79, v147
	v_mad_i32_i24 v53, v179, v160, v53
	s_wait_loadcnt 0x23
	v_mul_i32_i24_e32 v76, v6, v242
	v_mul_i32_i24_e32 v90, v80, v122
	;; [unrolled: 1-line block ×4, first 2 shown]
	v_add3_u32 v55, v53, v54, v55
	v_mul_i32_i24_e32 v92, v81, v159
	v_mul_i32_i24_e32 v93, v82, v211
	scratch_store_b32 off, v38, off offset:1628 ; 4-byte Folded Spill
	v_add3_u32 v55, v55, v56, v58
	v_mul_i32_i24_e32 v38, v3, v249
	v_mul_i32_i24_e32 v56, v98, v9
	;; [unrolled: 1-line block ×4, first 2 shown]
	v_add3_u32 v55, v55, v60, v61
	scratch_store_b32 off, v38, off offset:1636 ; 4-byte Folded Spill
	s_wait_loadcnt 0x22
	v_mul_i32_i24_e32 v60, v49, v15
	scratch_load_b32 v49, off, off offset:28 th:TH_LOAD_LU ; 4-byte Folded Reload
	v_add3_u32 v55, v55, v62, v63
	s_delay_alu instid0(VALU_DEP_1) | instskip(NEXT) | instid1(VALU_DEP_1)
	v_add3_u32 v55, v55, v64, v65
	v_add3_u32 v55, v55, v66, v67
	s_delay_alu instid0(VALU_DEP_1) | instskip(NEXT) | instid1(VALU_DEP_1)
	v_add3_u32 v55, v55, v68, v69
	;; [unrolled: 3-line block ×5, first 2 shown]
	v_add3_u32 v38, v55, v92, v93
	scratch_store_b32 off, v38, off offset:1640 ; 4-byte Folded Spill
	scratch_load_b32 v38, off, off offset:852 th:TH_LOAD_LU ; 4-byte Folded Reload
	s_wait_loadcnt 0x4
	v_mul_i32_i24_e32 v99, v3, v176
	s_wait_loadcnt 0x1
	v_mad_i32_i24 v56, v49, v52, v56
	scratch_load_b32 v49, off, off offset:680 th:TH_LOAD_LU ; 4-byte Folded Reload
	v_add3_u32 v56, v56, v58, v60
	s_wait_loadcnt 0x1
	v_mul_i32_i24_e32 v58, v38, v10
	scratch_load_b32 v38, off, off offset:364 th:TH_LOAD_LU ; 4-byte Folded Reload
	s_wait_loadcnt 0x1
	v_mul_i32_i24_e32 v63, v49, v14
	scratch_load_b32 v49, off, off offset:676 th:TH_LOAD_LU ; 4-byte Folded Reload
	;; [unrolled: 3-line block ×3, first 2 shown]
	v_add3_u32 v56, v56, v58, v60
	s_wait_loadcnt 0x1
	v_mul_i32_i24_e32 v65, v49, v18
	scratch_load_b32 v49, off, off offset:700 th:TH_LOAD_LU ; 4-byte Folded Reload
	s_wait_loadcnt 0x1
	v_mul_i32_i24_e32 v61, v38, v12
	scratch_load_b32 v38, off, off offset:368 th:TH_LOAD_LU ; 4-byte Folded Reload
	;; [unrolled: 3-line block ×4, first 2 shown]
	v_add3_u32 v56, v56, v61, v62
	s_wait_loadcnt 0x1
	v_mul_i32_i24_e32 v96, v49, v37
	scratch_load_b32 v49, off, off offset:688 th:TH_LOAD_LU ; 4-byte Folded Reload
	s_wait_loadcnt 0x1
	v_mul_i32_i24_e32 v64, v38, v16
	scratch_load_b32 v38, off, off offset:860 th:TH_LOAD_LU ; 4-byte Folded Reload
	v_add3_u32 v56, v56, v63, v64
	s_wait_loadcnt 0x0
	v_mul_i32_i24_e32 v66, v38, v17
	scratch_load_b32 v38, off, off offset:428 th:TH_LOAD_LU ; 4-byte Folded Reload
	v_add3_u32 v56, v56, v65, v66
	s_wait_loadcnt 0x0
	v_mul_i32_i24_e32 v67, v38, v20
	scratch_load_b32 v38, off, off offset:376 th:TH_LOAD_LU ; 4-byte Folded Reload
	s_wait_loadcnt 0x0
	v_mul_i32_i24_e32 v68, v38, v19
	scratch_load_b32 v38, off, off offset:500 th:TH_LOAD_LU ; 4-byte Folded Reload
	v_add3_u32 v56, v56, v67, v68
	v_mul_i32_i24_e32 v68, v134, v149
	scratch_load_b32 v134, off, off offset:132 th:TH_LOAD_LU ; 4-byte Folded Reload
	s_wait_loadcnt 0x1
	v_mul_i32_i24_e32 v69, v38, v22
	scratch_load_b32 v38, off, off offset:372 th:TH_LOAD_LU ; 4-byte Folded Reload
	s_wait_loadcnt 0x0
	v_mul_i32_i24_e32 v70, v38, v21
	scratch_load_b32 v38, off, off offset:920 th:TH_LOAD_LU ; 4-byte Folded Reload
	v_add3_u32 v56, v56, v69, v70
	s_wait_loadcnt 0x0
	v_mul_i32_i24_e32 v75, v38, v24
	scratch_load_b32 v38, off, off offset:384 th:TH_LOAD_LU ; 4-byte Folded Reload
	s_wait_loadcnt 0x0
	v_mul_i32_i24_e32 v76, v38, v23
	scratch_load_b32 v38, off, off offset:916 th:TH_LOAD_LU ; 4-byte Folded Reload
	v_add3_u32 v56, v56, v75, v76
	;; [unrolled: 7-line block ×3, first 2 shown]
	v_mul_i32_i24_e32 v84, v100, v6
	scratch_load_b32 v100, off, off offset:140 th:TH_LOAD_LU ; 4-byte Folded Reload
	s_wait_loadcnt 0x1
	v_mul_i32_i24_e32 v85, v38, v28
	scratch_load_b32 v38, off, off offset:396 th:TH_LOAD_LU ; 4-byte Folded Reload
	s_wait_loadcnt 0x0
	v_mul_i32_i24_e32 v86, v38, v27
	scratch_load_b32 v38, off, off offset:392 th:TH_LOAD_LU ; 4-byte Folded Reload
	v_add3_u32 v56, v56, v85, v86
	v_mul_i32_i24_e32 v86, v219, v7
	scratch_load_b32 v219, off, off offset:120 th:TH_LOAD_LU ; 4-byte Folded Reload
	v_mul_i32_i24_e32 v85, v138, v4
	scratch_load_b32 v138, off, off offset:800 th:TH_LOAD_LU ; 4-byte Folded Reload
	s_wait_loadcnt 0x2
	v_mul_i32_i24_e32 v87, v38, v30
	scratch_load_b32 v38, off, off offset:388 th:TH_LOAD_LU ; 4-byte Folded Reload
	s_wait_loadcnt 0x0
	v_mul_i32_i24_e32 v88, v38, v29
	scratch_load_b32 v38, off, off offset:416 th:TH_LOAD_LU ; 4-byte Folded Reload
	v_add3_u32 v56, v56, v87, v88
	v_mul_i32_i24_e32 v87, v194, v74
	v_mul_i32_i24_e32 v88, v193, v77
	v_mov_b32_e32 v193, v144
	scratch_load_b32 v144, off, off offset:300 th:TH_LOAD_LU ; 4-byte Folded Reload
	v_mov_b32_e32 v194, v118
	scratch_load_b32 v118, off, off offset:788 th:TH_LOAD_LU ; 4-byte Folded Reload
	s_wait_loadcnt 0x2
	v_mul_i32_i24_e32 v89, v38, v32
	scratch_load_b32 v38, off, off offset:412 th:TH_LOAD_LU ; 4-byte Folded Reload
	s_wait_loadcnt 0x0
	v_mul_i32_i24_e32 v90, v38, v31
	scratch_load_b32 v38, off, off offset:408 th:TH_LOAD_LU ; 4-byte Folded Reload
	v_add3_u32 v56, v56, v89, v90
	v_mul_i32_i24_e32 v90, v226, v78
	scratch_load_b32 v226, off, off offset:124 th:TH_LOAD_LU ; 4-byte Folded Reload
	v_mul_i32_i24_e32 v89, v146, v1
	s_wait_loadcnt 0x1
	v_mul_i32_i24_e32 v91, v38, v34
	scratch_load_b32 v38, off, off offset:404 th:TH_LOAD_LU ; 4-byte Folded Reload
	s_wait_loadcnt 0x0
	v_mul_i32_i24_e32 v92, v38, v33
	scratch_load_b32 v38, off, off offset:424 th:TH_LOAD_LU ; 4-byte Folded Reload
	v_add3_u32 v56, v56, v91, v92
	v_mul_i32_i24_e32 v91, v251, v79
	scratch_load_b32 v251, off, off offset:804 th:TH_LOAD_LU ; 4-byte Folded Reload
	s_wait_loadcnt 0x1
	v_mul_i32_i24_e32 v93, v38, v36
	scratch_load_b32 v38, off, off offset:420 th:TH_LOAD_LU ; 4-byte Folded Reload
	s_wait_loadcnt 0x0
	v_mul_i32_i24_e32 v94, v38, v35
	scratch_load_b32 v38, off, off offset:892 th:TH_LOAD_LU ; 4-byte Folded Reload
	v_add3_u32 v56, v56, v93, v94
	v_mul_i32_i24_e32 v93, v102, v2
	scratch_load_b32 v102, off, off offset:328 th:TH_LOAD_LU ; 4-byte Folded Reload
	v_add3_u32 v56, v56, v95, v96
	v_mul_i32_i24_e32 v95, v196, v82
	scratch_load_b32 v196, off, off offset:692 th:TH_LOAD_LU ; 4-byte Folded Reload
	v_mul_i32_i24_e32 v96, v252, v0
	scratch_load_b32 v252, off, off offset:808 th:TH_LOAD_LU ; 4-byte Folded Reload
	v_mul_lo_u32 v56, v56, v49
	scratch_load_b32 v49, off, off offset:704 th:TH_LOAD_LU ; 4-byte Folded Reload
	v_cvt_f32_i32_e32 v250, v56
	s_wait_loadcnt 0x4
	v_mul_i32_i24_e32 v58, v38, v150
	scratch_load_b32 v38, off, off offset:888 th:TH_LOAD_LU ; 4-byte Folded Reload
	s_wait_loadcnt 0x0
	v_mul_i32_i24_e32 v60, v38, v8
	scratch_load_b32 v38, off, off offset:868 th:TH_LOAD_LU ; 4-byte Folded Reload
	;; [unrolled: 3-line block ×3, first 2 shown]
	s_wait_loadcnt 0x0
	v_mad_i32_i24 v58, v38, v179, v58
	scratch_load_b32 v38, off, off offset:912 th:TH_LOAD_LU ; 4-byte Folded Reload
	v_add3_u32 v58, v58, v60, v61
	v_mul_i32_i24_e32 v60, v49, v184
	scratch_load_b32 v49, off, off offset:148 th:TH_LOAD_LU ; 4-byte Folded Reload
	v_mul_i32_i24_e32 v61, v191, v182
	v_mov_b32_e32 v191, v104
	scratch_load_b32 v104, off, off offset:780 th:TH_LOAD_LU ; 4-byte Folded Reload
	v_add3_u32 v58, v58, v60, v61
	v_mul_i32_i24_e32 v60, v9, v145
	v_mul_i32_i24_e32 v61, v13, v253
	v_mul_i32_i24_e32 v9, v9, v183
	v_mul_i32_i24_e32 v13, v13, v186
	s_wait_loadcnt 0x2
	v_mul_i32_i24_e32 v62, v38, v181
	scratch_load_b32 v38, off, off offset:908 th:TH_LOAD_LU ; 4-byte Folded Reload
	s_wait_loadcnt 0x2
	v_mul_i32_i24_e32 v64, v49, v178
	scratch_load_b32 v49, off, off th:TH_LOAD_LU ; 4-byte Folded Reload
	s_wait_loadcnt 0x1
	v_mul_i32_i24_e32 v63, v38, v180
	scratch_load_b32 v38, off, off offset:880 th:TH_LOAD_LU ; 4-byte Folded Reload
	v_add3_u32 v58, v58, v62, v63
	s_wait_loadcnt 0x1
	v_mul_i32_i24_e32 v65, v49, v116
	scratch_load_b32 v49, off, off offset:712 th:TH_LOAD_LU ; 4-byte Folded Reload
	v_mul_i32_i24_e32 v62, v15, v136
	v_mul_i32_i24_e32 v63, v12, v129
	;; [unrolled: 1-line block ×3, first 2 shown]
	v_add3_u32 v58, v58, v64, v65
	v_mul_i32_i24_e32 v64, v117, v219
	v_mul_i32_i24_e32 v65, v14, v226
	s_wait_loadcnt 0x1
	v_mul_i32_i24_e32 v69, v38, v108
	scratch_load_b32 v38, off, off offset:876 th:TH_LOAD_LU ; 4-byte Folded Reload
	s_wait_loadcnt 0x1
	v_mul_i32_i24_e32 v66, v49, v148
	scratch_load_b32 v49, off, off offset:708 th:TH_LOAD_LU ; 4-byte Folded Reload
	;; [unrolled: 3-line block ×4, first 2 shown]
	v_add3_u32 v58, v58, v66, v67
	v_mul_i32_i24_e32 v66, v16, v227
	v_mul_i32_i24_e32 v67, v18, v134
	s_delay_alu instid0(VALU_DEP_3)
	v_add3_u32 v58, v58, v68, v69
	v_mul_i32_i24_e32 v68, v17, v195
	v_mul_i32_i24_e32 v69, v20, v196
	s_wait_loadcnt 0x1
	v_mul_i32_i24_e32 v75, v38, v105
	scratch_load_b32 v38, off, off offset:884 th:TH_LOAD_LU ; 4-byte Folded Reload
	v_add3_u32 v58, v58, v70, v75
	s_wait_loadcnt 0x1
	v_mul_i32_i24_e32 v94, v49, v81
	v_mul_i32_i24_e32 v70, v19, v197
	;; [unrolled: 1-line block ×3, first 2 shown]
	s_wait_loadcnt 0x0
	v_mul_i32_i24_e32 v76, v38, v151
	scratch_load_b32 v38, off, off offset:864 th:TH_LOAD_LU ; 4-byte Folded Reload
	s_wait_loadcnt 0x0
	v_mul_i32_i24_e32 v83, v38, v5
	scratch_load_b32 v38, off, off offset:900 th:TH_LOAD_LU ; 4-byte Folded Reload
	v_add3_u32 v58, v58, v76, v83
	v_mul_i32_i24_e32 v76, v21, v210
	s_delay_alu instid0(VALU_DEP_2) | instskip(SKIP_2) | instid1(VALU_DEP_3)
	v_add3_u32 v58, v58, v84, v85
	v_mul_i32_i24_e32 v84, v23, v39
	v_mul_i32_i24_e32 v85, v26, v48
	v_add3_u32 v58, v58, v86, v87
	v_mul_i32_i24_e32 v86, v25, v238
	v_mul_i32_i24_e32 v87, v28, v245
	s_delay_alu instid0(VALU_DEP_3) | instskip(SKIP_2) | instid1(VALU_DEP_3)
	v_add3_u32 v58, v58, v88, v89
	v_mul_i32_i24_e32 v88, v27, v246
	v_mul_i32_i24_e32 v89, v30, v247
	v_add3_u32 v58, v58, v90, v91
	v_mul_i32_i24_e32 v90, v29, v248
	v_mul_i32_i24_e32 v91, v32, v102
	s_wait_loadcnt 0x0
	v_mul_i32_i24_e32 v92, v38, v80
	scratch_load_b32 v38, off, off offset:896 th:TH_LOAD_LU ; 4-byte Folded Reload
	v_add3_u32 v58, v58, v92, v93
	v_mul_i32_i24_e32 v92, v31, v212
	v_mul_i32_i24_e32 v93, v34, v50
	s_delay_alu instid0(VALU_DEP_3)
	v_add3_u32 v58, v58, v94, v95
	v_mul_i32_i24_e32 v94, v33, v109
	v_mul_i32_i24_e32 v95, v36, v241
	v_mul_i32_i24_e32 v33, v33, v152
	s_wait_loadcnt 0x0
	v_mul_i32_i24_e32 v97, v38, v3
	scratch_load_b32 v38, off, off offset:336 th:TH_LOAD_LU ; 4-byte Folded Reload
	v_add3_u32 v58, v58, v96, v97
	v_mul_i32_i24_e32 v96, v35, v215
	v_mul_i32_i24_e32 v97, v157, v243
	;; [unrolled: 1-line block ×3, first 2 shown]
	s_delay_alu instid0(VALU_DEP_4)
	v_mul_lo_u32 v58, v58, v133
	v_mov_b32_e32 v133, v192
	scratch_load_b32 v192, off, off offset:116 th:TH_LOAD_LU ; 4-byte Folded Reload
	v_mad_i32_i24 v60, v52, v133, v60
	v_cvt_f32_i32_e32 v103, v58
	scratch_load_b32 v58, off, off offset:292 th:TH_LOAD_LU ; 4-byte Folded Reload
	v_add3_u32 v60, v60, v61, v62
	v_mul_i32_i24_e32 v61, v10, v131
	v_mul_i32_i24_e32 v62, v11, v100
	s_delay_alu instid0(VALU_DEP_1) | instskip(SKIP_1) | instid1(VALU_DEP_2)
	v_add3_u32 v60, v60, v61, v62
	v_mul_i32_i24_e32 v61, v8, v190
	v_add3_u32 v60, v60, v63, v64
	v_mul_i32_i24_e32 v63, v181, v194
	s_delay_alu instid0(VALU_DEP_2) | instskip(SKIP_2) | instid1(VALU_DEP_3)
	v_add3_u32 v60, v60, v65, v66
	v_mul_i32_i24_e32 v65, v180, v158
	v_mul_i32_i24_e32 v66, v178, v163
	v_add3_u32 v60, v60, v67, v68
	v_mul_i32_i24_e32 v67, v116, v165
	v_mul_i32_i24_e32 v68, v148, v164
	s_delay_alu instid0(VALU_DEP_3) | instskip(SKIP_2) | instid1(VALU_DEP_3)
	v_add3_u32 v60, v60, v69, v70
	v_mul_i32_i24_e32 v69, v115, v166
	v_mul_i32_i24_e32 v70, v149, v167
	v_add3_u32 v60, v60, v75, v76
	v_mul_i32_i24_e32 v75, v108, v112
	v_mul_i32_i24_e32 v76, v111, v104
	s_wait_loadcnt 0x2
	v_mul_i32_i24_e32 v83, v24, v38
	s_delay_alu instid0(VALU_DEP_1) | instskip(SKIP_2) | instid1(VALU_DEP_3)
	v_add3_u32 v60, v60, v83, v84
	v_mul_i32_i24_e32 v83, v105, v118
	v_mul_i32_i24_e32 v84, v151, v119
	v_add3_u32 v60, v60, v85, v86
	s_wait_loadcnt 0x1
	v_mul_i32_i24_e32 v62, v135, v192
	v_mul_i32_i24_e32 v85, v5, v138
	;; [unrolled: 1-line block ×3, first 2 shown]
	v_add3_u32 v60, v60, v87, v88
	v_mul_i32_i24_e32 v87, v4, v222
	v_mul_i32_i24_e32 v88, v7, v251
	s_delay_alu instid0(VALU_DEP_3) | instskip(SKIP_2) | instid1(VALU_DEP_3)
	v_add3_u32 v60, v60, v89, v90
	v_mul_i32_i24_e32 v89, v74, v255
	v_mul_i32_i24_e32 v90, v77, v252
	v_add3_u32 v60, v60, v91, v92
	v_mul_i32_i24_e32 v91, v1, v198
	v_mul_i32_i24_e32 v92, v78, v201
	s_delay_alu instid0(VALU_DEP_3) | instskip(SKIP_2) | instid1(VALU_DEP_3)
	v_add3_u32 v60, v60, v93, v94
	v_mul_i32_i24_e32 v93, v79, v228
	v_mul_i32_i24_e32 v94, v80, v202
	;; [unrolled: 7-line block ×3, first 2 shown]
	v_mul_lo_u32 v60, v60, v51
	s_delay_alu instid0(VALU_DEP_1) | instskip(SKIP_1) | instid1(VALU_DEP_1)
	v_cvt_f32_i32_e32 v64, v60
	v_mul_i32_i24_e32 v60, v150, v189
	v_mad_i32_i24 v60, v179, v191, v60
	s_delay_alu instid0(VALU_DEP_1) | instskip(SKIP_2) | instid1(VALU_DEP_1)
	v_add3_u32 v60, v60, v61, v62
	v_mul_i32_i24_e32 v61, v184, v193
	v_mul_i32_i24_e32 v62, v182, v144
	v_add3_u32 v60, v60, v61, v62
	scratch_load_b32 v61, off, off offset:752 th:TH_LOAD_LU ; 4-byte Folded Reload
	v_add3_u32 v60, v60, v63, v65
	s_delay_alu instid0(VALU_DEP_1) | instskip(NEXT) | instid1(VALU_DEP_1)
	v_add3_u32 v60, v60, v66, v67
	v_add3_u32 v60, v60, v68, v69
	v_mov_b32_e32 v68, v185
	scratch_load_b32 v69, off, off offset:756 th:TH_LOAD_LU ; 4-byte Folded Reload
	v_add3_u32 v60, v60, v70, v75
	v_mad_i32_i24 v9, v52, v68, v9
	v_mov_b32_e32 v70, v153
	s_clause 0x1
	scratch_load_b32 v52, off, off offset:760 th:TH_LOAD_LU
	scratch_load_b32 v153, off, off offset:764 th:TH_LOAD_LU
	v_add3_u32 v60, v60, v76, v83
	s_clause 0x2
	scratch_load_b32 v76, off, off offset:1132 th:TH_LOAD_LU
	scratch_load_b32 v83, off, off offset:1136 th:TH_LOAD_LU
	scratch_load_b32 v75, off, off offset:1128 th:TH_LOAD_LU
	v_add3_u32 v9, v9, v13, v15
	v_add3_u32 v60, v60, v84, v85
	s_clause 0x1
	scratch_load_b32 v84, off, off offset:1140 th:TH_LOAD_LU
	scratch_load_b32 v85, off, off offset:1144 th:TH_LOAD_LU
	v_mul_i32_i24_e32 v11, v11, v70
	v_add3_u32 v60, v60, v86, v87
	v_dual_mov_b32 v87, v236 :: v_dual_mov_b32 v86, v235
	s_delay_alu instid0(VALU_DEP_2)
	v_add3_u32 v60, v60, v88, v89
	scratch_load_b32 v89, off, off offset:244 th:TH_LOAD_LU ; 4-byte Folded Reload
	v_mul_i32_i24_e32 v17, v17, v86
	v_mov_b32_e32 v88, v239
	v_add3_u32 v60, v60, v90, v91
	s_clause 0x1
	scratch_load_b32 v90, off, off offset:248 th:TH_LOAD_LU
	scratch_load_b32 v91, off, off offset:252 th:TH_LOAD_LU
	v_mul_i32_i24_e32 v19, v19, v88
	v_add3_u32 v60, v60, v92, v93
	s_clause 0x1
	scratch_load_b32 v92, off, off offset:256 th:TH_LOAD_LU
	scratch_load_b32 v93, off, off offset:260 th:TH_LOAD_LU
	v_add3_u32 v60, v60, v94, v95
	s_clause 0x1
	scratch_load_b32 v94, off, off offset:264 th:TH_LOAD_LU
	scratch_load_b32 v95, off, off offset:268 th:TH_LOAD_LU
	;; [unrolled: 4-line block ×4, first 2 shown]
	v_mul_lo_u32 v60, v60, v229
	s_delay_alu instid0(VALU_DEP_1) | instskip(SKIP_2) | instid1(VALU_DEP_1)
	v_cvt_f32_i32_e32 v60, v60
	s_wait_loadcnt 0x12
	v_mul_i32_i24_e32 v10, v10, v69
	v_add3_u32 v9, v9, v10, v11
	v_mul_i32_i24_e32 v10, v150, v61
	s_wait_loadcnt 0xf
	v_mul_i32_i24_e32 v13, v117, v76
	scratch_load_b32 v117, off, off offset:288 th:TH_LOAD_LU ; 4-byte Folded Reload
	s_wait_loadcnt 0xe
	v_mul_i32_i24_e32 v12, v12, v75
	v_mul_i32_i24_e32 v14, v14, v83
	s_wait_loadcnt 0xd
	v_mul_i32_i24_e32 v15, v16, v84
	s_wait_loadcnt 0xc
	v_mul_i32_i24_e32 v16, v18, v85
	v_mul_i32_i24_e32 v18, v20, v87
	v_add3_u32 v9, v9, v12, v13
	s_delay_alu instid0(VALU_DEP_1) | instskip(SKIP_2) | instid1(VALU_DEP_2)
	v_add3_u32 v9, v9, v14, v15
	s_wait_loadcnt 0xb
	v_mul_i32_i24_e32 v20, v22, v89
	v_add3_u32 v9, v9, v16, v17
	s_wait_loadcnt 0xa
	v_mul_i32_i24_e32 v21, v21, v90
	s_wait_loadcnt 0x9
	v_mul_i32_i24_e32 v22, v24, v91
	v_add3_u32 v9, v9, v18, v19
	v_mul_i32_i24_e32 v19, v184, v208
	s_wait_loadcnt 0x8
	v_mul_i32_i24_e32 v23, v23, v92
	s_wait_loadcnt 0x7
	v_mul_i32_i24_e32 v24, v26, v93
	v_add3_u32 v9, v9, v20, v21
	v_mul_i32_i24_e32 v20, v182, v209
	s_wait_loadcnt 0x6
	v_mul_i32_i24_e32 v25, v25, v94
	s_wait_loadcnt 0x5
	v_mul_i32_i24_e32 v26, v28, v95
	v_mul_i32_i24_e32 v21, v181, v223
	v_add3_u32 v9, v9, v22, v23
	v_mul_i32_i24_e32 v22, v180, v214
	s_wait_loadcnt 0x4
	v_mul_i32_i24_e32 v27, v27, v96
	s_wait_loadcnt 0x3
	v_mul_i32_i24_e32 v28, v30, v97
	;; [unrolled: 7-line block ×3, first 2 shown]
	v_mul_i32_i24_e32 v32, v34, v52
	v_mul_i32_i24_e32 v34, v36, v153
	;; [unrolled: 1-line block ×3, first 2 shown]
	s_clause 0x8
	scratch_load_b32 v157, off, off offset:776 th:TH_LOAD_LU
	scratch_load_b32 v49, off, off offset:644 th:TH_LOAD_LU
	;; [unrolled: 1-line block ×9, first 2 shown]
	v_add3_u32 v9, v9, v26, v27
	s_clause 0x5
	scratch_load_b32 v65, off, off offset:208 th:TH_LOAD_LU
	scratch_load_b32 v53, off, off offset:216 th:TH_LOAD_LU
	;; [unrolled: 1-line block ×6, first 2 shown]
	v_add3_u32 v9, v9, v28, v29
	s_clause 0xe
	scratch_load_b32 v235, off, off offset:1464 th:TH_LOAD_LU
	scratch_load_b32 v236, off, off offset:1468 th:TH_LOAD_LU
	scratch_load_b32 v239, off, off offset:1472 th:TH_LOAD_LU
	scratch_load_b32 v148, off, off offset:1476 th:TH_LOAD_LU
	scratch_load_b32 v207, off, off offset:1440 th:TH_LOAD_LU
	scratch_load_b32 v184, off, off offset:1392 th:TH_LOAD_LU
	scratch_load_b32 v208, off, off offset:1444 th:TH_LOAD_LU
	scratch_load_b32 v178, off, off offset:1356 th:TH_LOAD_LU
	scratch_load_b32 v206, off, off offset:1436 th:TH_LOAD_LU
	scratch_load_b32 v180, off, off offset:1364 th:TH_LOAD_LU
	scratch_load_b32 v214, off, off offset:1456 th:TH_LOAD_LU
	scratch_load_b32 v181, off, off offset:1368 th:TH_LOAD_LU
	scratch_load_b32 v223, off, off offset:1460 th:TH_LOAD_LU
	scratch_load_b32 v182, off, off offset:1376 th:TH_LOAD_LU
	scratch_load_b32 v209, off, off offset:1448 th:TH_LOAD_LU
	s_wait_loadcnt 0x1e
	v_mul_i32_i24_e32 v31, v31, v117
	s_delay_alu instid0(VALU_DEP_1) | instskip(NEXT) | instid1(VALU_DEP_1)
	v_add3_u32 v9, v9, v30, v31
	v_add3_u32 v9, v9, v32, v33
	scratch_load_b32 v32, off, off offset:232 th:TH_LOAD_LU ; 4-byte Folded Reload
	v_add3_u32 v9, v9, v34, v35
	s_clause 0x2
	scratch_load_b32 v34, off, off offset:740 th:TH_LOAD_LU
	scratch_load_b32 v35, off, off offset:744 th:TH_LOAD_LU
	;; [unrolled: 1-line block ×3, first 2 shown]
	s_wait_loadcnt 0x21
	v_mul_i32_i24_e32 v37, v37, v157
	s_wait_loadcnt 0x1f
	v_mul_i32_i24_e32 v11, v8, v62
	;; [unrolled: 2-line block ×5, first 2 shown]
	scratch_load_b32 v111, off, off offset:200 th:TH_LOAD_LU ; 4-byte Folded Reload
	v_add3_u32 v9, v9, v36, v37
	s_clause 0x1
	scratch_load_b32 v36, off, off offset:188 th:TH_LOAD_LU
	scratch_load_b32 v37, off, off offset:192 th:TH_LOAD_LU
	s_wait_loadcnt 0x1a
	v_mul_i32_i24_e32 v8, v79, v53
	s_clause 0x1
	scratch_load_b32 v149, off, off offset:1396 th:TH_LOAD_LU
	scratch_load_b32 v135, off, off offset:640 th:TH_LOAD_LU
	s_wait_loadcnt 0x19
	v_mul_i32_i24_e32 v0, v0, v63
	scratch_load_b32 v79, off, off offset:1544 th:TH_LOAD_LU ; 4-byte Folded Reload
	v_mul_lo_u32 v9, v9, v58
	s_delay_alu instid0(VALU_DEP_1)
	v_cvt_f32_i32_e32 v9, v9
	s_wait_loadcnt 0x9
	v_mad_i32_i24 v10, v179, v32, v10
	scratch_load_b32 v179, off, off offset:1360 th:TH_LOAD_LU ; 4-byte Folded Reload
	v_add3_u32 v18, v10, v11, v12
	s_wait_loadcnt 0x9
	v_mul_i32_i24_e32 v30, v105, v34
	scratch_load_b32 v105, off, off offset:748 th:TH_LOAD_LU ; 4-byte Folded Reload
	s_wait_loadcnt 0x8
	v_mul_i32_i24_e32 v28, v108, v33
	scratch_load_b32 v108, off, off offset:196 th:TH_LOAD_LU ; 4-byte Folded Reload
	v_mul_i32_i24_e32 v16, v151, v35
	v_mul_i32_i24_e32 v10, v77, v65
	s_clause 0x1
	scratch_load_b32 v151, off, off offset:1384 th:TH_LOAD_LU
	scratch_load_b32 v77, off, off offset:1528 th:TH_LOAD_LU
	s_wait_loadcnt 0xa
	v_mul_i32_i24_e32 v15, v4, v111
	scratch_load_b32 v4, off, off offset:4  ; 4-byte Folded Reload
	s_wait_loadcnt 0xa
	v_mul_i32_i24_e32 v24, v116, v36
	scratch_load_b32 v116, off, off offset:204 th:TH_LOAD_LU ; 4-byte Folded Reload
	s_wait_loadcnt 0xa
	v_mul_i32_i24_e32 v26, v115, v37
	s_wait_loadcnt 0x5
	v_mul_i32_i24_e32 v17, v5, v105
	v_mul_i32_i24_e32 v5, v80, v56
	s_wait_loadcnt 0x4
	v_mul_i32_i24_e32 v14, v6, v108
	v_mul_i32_i24_e32 v6, v2, v54
	;; [unrolled: 1-line block ×3, first 2 shown]
	s_clause 0x1
	scratch_load_b32 v80, off, off offset:1552 th:TH_LOAD_LU
	scratch_load_b32 v81, off, off offset:1556 th:TH_LOAD_LU
	s_wait_loadcnt 0x3
	v_mul_i32_i24_e32 v13, v74, v4
	s_clause 0x1
	scratch_load_b32 v4, off, off offset:8
	scratch_load_b32 v74, off, off offset:1524 th:TH_LOAD_LU
	s_wait_loadcnt 0x4
	v_mul_i32_i24_e32 v12, v7, v116
	s_wait_loadcnt 0x1
	v_mul_i32_i24_e32 v11, v1, v4
	scratch_load_b32 v1, off, off offset:12 ; 4-byte Folded Reload
	v_mul_i32_i24_e32 v4, v82, v203
	s_clause 0x1
	scratch_load_b32 v203, off, off offset:1428 th:TH_LOAD_LU
	scratch_load_b32 v82, off, off offset:1560 th:TH_LOAD_LU
	s_wait_loadcnt 0x2
	v_mul_i32_i24_e32 v7, v78, v1
	v_mul_i32_i24_e32 v1, v3, v213
	v_add3_u32 v3, v18, v19, v20
	s_clause 0x1
	scratch_load_b32 v213, off, off offset:1452 th:TH_LOAD_LU
	scratch_load_b32 v78, off, off offset:1540 th:TH_LOAD_LU
	v_add3_u32 v3, v3, v21, v22
	s_wait_loadcnt 0x3
	v_mul_i32_i24_e32 v21, v203, v106
	scratch_load_b32 v106, off, off offset:1564 th:TH_LOAD_LU ; 4-byte Folded Reload
	v_add3_u32 v3, v3, v23, v24
	v_mul_i32_i24_e32 v24, v207, v126
	scratch_load_b32 v126, off, off offset:1588 th:TH_LOAD_LU ; 4-byte Folded Reload
	v_mul_i32_i24_e32 v23, v206, v125
	scratch_load_b32 v125, off, off offset:1584 th:TH_LOAD_LU ; 4-byte Folded Reload
	v_add3_u32 v3, v3, v25, v26
	v_mul_i32_i24_e32 v26, v209, v139
	scratch_load_b32 v139, off, off offset:1608 th:TH_LOAD_LU ; 4-byte Folded Reload
	;; [unrolled: 5-line block ×3, first 2 shown]
	v_add3_u32 v3, v3, v29, v30
	v_mul_i32_i24_e32 v29, v223, v142
	scratch_load_b32 v142, off, off offset:1548 th:TH_LOAD_LU ; 4-byte Folded Reload
	v_add3_u32 v3, v3, v16, v17
	s_delay_alu instid0(VALU_DEP_1) | instskip(NEXT) | instid1(VALU_DEP_1)
	v_add3_u32 v3, v3, v14, v15
	v_add3_u32 v3, v3, v12, v13
	v_mul_i32_i24_e32 v12, v184, v204
	scratch_load_b32 v204, off, off offset:1432 th:TH_LOAD_LU ; 4-byte Folded Reload
	v_mul_i32_i24_e32 v13, v149, v107
	scratch_load_b32 v107, off, off offset:1568 th:TH_LOAD_LU ; 4-byte Folded Reload
	v_add3_u32 v3, v3, v10, v11
	v_mul_i32_i24_e32 v10, v151, v47
	v_mul_i32_i24_e32 v11, v185, v177
	s_clause 0x1
	scratch_load_b32 v177, off, off offset:1480 th:TH_LOAD_LU
	scratch_load_b32 v47, off, off offset:1508 th:TH_LOAD_LU
	v_add3_u32 v3, v3, v7, v8
	v_mul_i32_i24_e32 v7, v182, v44
	v_mul_i32_i24_e32 v8, v67, v46
	s_clause 0x1
	scratch_load_b32 v44, off, off offset:1500 th:TH_LOAD_LU
	scratch_load_b32 v46, off, off offset:1504 th:TH_LOAD_LU
	;; [unrolled: 6-line block ×5, first 2 shown]
	v_mul_lo_u32 v0, v0, v224
	v_mad_i32_i24 v1, v148, v175, v1
	s_clause 0x1
	scratch_load_b32 v175, off, off offset:1348 th:TH_LOAD_LU
	scratch_load_b32 v224, off, off offset:1424 th:TH_LOAD_LU
	v_add3_u32 v1, v1, v2, v3
	v_mul_i32_i24_e32 v3, v178, v40
	scratch_load_b32 v40, off, off offset:1484 th:TH_LOAD_LU ; 4-byte Folded Reload
	v_cvt_f32_i32_e32 v0, v0
	s_wait_loadcnt 0x17
	v_mul_i32_i24_e32 v27, v213, v140
	scratch_load_b32 v140, off, off offset:1532 th:TH_LOAD_LU ; 4-byte Folded Reload
	s_wait_loadcnt 0xf
	v_mul_i32_i24_e32 v22, v204, v124
	scratch_load_b32 v124, off, off offset:1580 th:TH_LOAD_LU ; 4-byte Folded Reload
	s_wait_loadcnt 0xe
	v_mul_i32_i24_e32 v30, v177, v143
	s_wait_loadcnt 0x4
	v_mul_i32_i24_e32 v2, v175, v154
	scratch_load_b32 v154, off, off offset:1400 th:TH_LOAD_LU ; 4-byte Folded Reload
	s_wait_loadcnt 0x4
	v_mul_i32_i24_e32 v20, v224, v121
	scratch_load_b32 v121, off, off offset:1576 th:TH_LOAD_LU ; 4-byte Folded Reload
	v_add3_u32 v1, v1, v2, v3
	v_mul_i32_i24_e32 v3, v141, v132
	s_delay_alu instid0(VALU_DEP_2) | instskip(SKIP_2) | instid1(VALU_DEP_3)
	v_add3_u32 v1, v1, v4, v5
	v_mul_i32_i24_e32 v4, v142, v162
	v_mul_i32_i24_e32 v5, v42, v168
	v_add3_u32 v1, v1, v6, v7
	v_mul_i32_i24_e32 v6, v43, v169
	v_mul_i32_i24_e32 v7, v44, v174
	s_delay_alu instid0(VALU_DEP_3) | instskip(SKIP_2) | instid1(VALU_DEP_3)
	v_add3_u32 v1, v1, v8, v10
	v_mul_i32_i24_e32 v8, v46, v220
	v_mul_i32_i24_e32 v10, v47, v172
	v_add3_u32 v1, v1, v11, v12
	v_mul_i32_i24_e32 v11, v71, v173
	v_mul_i32_i24_e32 v12, v78, v221
	s_wait_loadcnt 0x3
	v_mul_i32_i24_e32 v2, v140, v161
	s_delay_alu instid0(VALU_DEP_1) | instskip(NEXT) | instid1(VALU_DEP_1)
	v_mad_i32_i24 v2, v139, v160, v2
	v_add3_u32 v2, v2, v3, v4
	v_mul_i32_i24_e32 v3, v40, v170
	v_mul_i32_i24_e32 v4, v41, v171
	s_delay_alu instid0(VALU_DEP_1)
	v_add3_u32 v2, v2, v3, v4
	scratch_load_b32 v4, off, off offset:184 th:TH_LOAD_LU ; 4-byte Folded Reload
	v_add3_u32 v2, v2, v5, v6
	scratch_load_b32 v5, off, off offset:180 th:TH_LOAD_LU ; 4-byte Folded Reload
	v_add3_u32 v2, v2, v7, v8
	scratch_load_b64 v[7:8], off, off offset:1620 th:TH_LOAD_LU ; 8-byte Folded Reload
	v_add3_u32 v2, v2, v10, v11
	s_wait_loadcnt 0x4
	v_mul_i32_i24_e32 v14, v154, v240
	scratch_load_b32 v240, off, off offset:1404 th:TH_LOAD_LU ; 4-byte Folded Reload
	v_add3_u32 v1, v1, v13, v14
	v_mul_i32_i24_e32 v13, v72, v218
	v_mul_i32_i24_e32 v14, v73, v216
	s_delay_alu instid0(VALU_DEP_2) | instskip(SKIP_3) | instid1(VALU_DEP_1)
	v_add3_u32 v2, v2, v12, v13
	v_mul_i32_i24_e32 v12, v154, v210
	s_wait_loadcnt 0x3
	v_mul_lo_u32 v3, v110, v4
	v_cvt_f32_i32_e32 v3, v3
	s_wait_loadcnt 0x1
	s_delay_alu instid0(VALU_DEP_1)
	v_fma_mix_f32 v3, v7, v3, 0 op_sel_hi:[1,0,0]
	s_wait_loadcnt 0x0
	v_mul_i32_i24_e32 v15, v240, v237
	scratch_load_b32 v237, off, off offset:1408 th:TH_LOAD_LU ; 4-byte Folded Reload
	v_mul_i32_i24_e32 v13, v240, v38
	s_wait_loadcnt 0x0
	v_mul_i32_i24_e32 v16, v237, v230
	scratch_load_b32 v230, off, off offset:1412 th:TH_LOAD_LU ; 4-byte Folded Reload
	v_add3_u32 v1, v1, v15, v16
	v_mul_i32_i24_e32 v15, v74, v217
	v_mul_i32_i24_e32 v16, v77, v233
	s_delay_alu instid0(VALU_DEP_2)
	v_add3_u32 v2, v2, v14, v15
	v_mul_i32_i24_e32 v14, v237, v39
	s_wait_loadcnt 0x0
	v_mul_i32_i24_e32 v17, v230, v232
	scratch_load_b32 v232, off, off offset:1416 th:TH_LOAD_LU ; 4-byte Folded Reload
	v_mul_i32_i24_e32 v15, v230, v48
	s_wait_loadcnt 0x0
	v_mul_i32_i24_e32 v18, v232, v200
	scratch_load_b32 v200, off, off offset:1420 th:TH_LOAD_LU ; 4-byte Folded Reload
	v_add3_u32 v1, v1, v17, v18
	v_mul_i32_i24_e32 v17, v79, v234
	v_mul_i32_i24_e32 v18, v80, v242
	s_delay_alu instid0(VALU_DEP_2)
	v_add3_u32 v2, v2, v16, v17
	v_mul_i32_i24_e32 v16, v232, v238
	s_wait_loadcnt 0x0
	v_mul_i32_i24_e32 v19, v200, v120
	scratch_load_b32 v120, off, off offset:1572 th:TH_LOAD_LU ; 4-byte Folded Reload
	v_mul_i32_i24_e32 v17, v200, v245
	v_add3_u32 v1, v1, v19, v20
	v_mul_i32_i24_e32 v20, v82, v113
	scratch_load_b32 v113, off, off offset:1604 th:TH_LOAD_LU ; 4-byte Folded Reload
	v_mul_i32_i24_e32 v19, v81, v244
	v_add3_u32 v1, v1, v21, v22
	v_mul_i32_i24_e32 v21, v106, v59
	v_mul_i32_i24_e32 v22, v107, v101
	s_delay_alu instid0(VALU_DEP_4)
	v_add3_u32 v2, v2, v18, v19
	v_mul_i32_i24_e32 v18, v224, v246
	v_add3_u32 v1, v1, v23, v24
	v_mul_i32_i24_e32 v24, v121, v254
	v_mul_i32_i24_e32 v19, v203, v247
	v_add3_u32 v2, v2, v20, v21
	v_mul_i32_i24_e32 v20, v204, v248
	v_add3_u32 v1, v1, v25, v26
	v_mul_i32_i24_e32 v26, v125, v122
	scratch_load_b32 v122, off, off offset:1596 th:TH_LOAD_LU ; 4-byte Folded Reload
	v_mul_i32_i24_e32 v25, v124, v147
	v_mul_i32_i24_e32 v21, v206, v102
	v_add3_u32 v1, v1, v27, v28
	v_mul_i32_i24_e32 v27, v126, v128
	scratch_load_b32 v128, off, off offset:1600 th:TH_LOAD_LU ; 4-byte Folded Reload
	v_mul_i32_i24_e32 v28, v127, v159
	v_mov_b32_e32 v102, v124
	v_add3_u32 v1, v1, v29, v30
	s_delay_alu instid0(VALU_DEP_1) | instskip(NEXT) | instid1(VALU_DEP_1)
	v_mul_lo_u32 v1, v1, v4
	v_cvt_f32_i32_e32 v1, v1
	s_wait_loadcnt 0x3
	v_mul_i32_i24_e32 v23, v120, v45
	s_delay_alu instid0(VALU_DEP_1)
	v_add3_u32 v2, v2, v22, v23
	s_wait_loadcnt 0x2
	v_mul_i32_i24_e32 v31, v113, v249
	v_mul_i32_i24_e32 v22, v207, v212
	;; [unrolled: 1-line block ×3, first 2 shown]
	v_mov_b32_e32 v110, v113
	v_add3_u32 v2, v2, v24, v25
	v_mul_i32_i24_e32 v24, v209, v109
	v_mul_i32_i24_e32 v25, v213, v241
	s_delay_alu instid0(VALU_DEP_3)
	v_add3_u32 v2, v2, v26, v27
	v_mul_i32_i24_e32 v26, v214, v215
	v_mul_i32_i24_e32 v27, v223, v243
	s_wait_loadcnt 0x1
	v_mul_i32_i24_e32 v29, v122, v211
	s_wait_loadcnt 0x0
	v_mul_i32_i24_e32 v30, v128, v114
	s_clause 0x6
	scratch_load_b64 v[114:115], off, off offset:1612 th:TH_LOAD_LU
	scratch_load_b32 v6, off, off offset:1628 th:TH_LOAD_LU
	scratch_load_b32 v10, off, off offset:1636 th:TH_LOAD_LU
	;; [unrolled: 1-line block ×3, first 2 shown]
	scratch_load_b32 v218, off, off offset:1300
	scratch_load_b32 v169, off, off offset:1296
	;; [unrolled: 1-line block ×3, first 2 shown]
	v_add3_u32 v2, v2, v28, v29
	v_mul_i32_i24_e32 v28, v177, v225
	v_mov_b32_e32 v109, v128
	s_delay_alu instid0(VALU_DEP_3)
	v_add3_u32 v2, v2, v30, v31
	v_mul_i32_i24_e32 v30, v113, v176
	v_mov_b32_e32 v31, v40
	s_wait_loadcnt 0x6
	v_fma_mix_f32 v1, v114, v1, 0 op_sel_hi:[1,0,0]
	s_wait_loadcnt 0x3
	v_add3_u32 v6, v11, v6, v10
	scratch_load_b32 v10, off, off offset:176 th:TH_LOAD_LU ; 4-byte Folded Reload
	v_fma_mix_f32 v4, v5, v114, 0 op_sel:[0,1,0] op_sel_hi:[0,1,0]
	v_fma_mix_f32 v5, v5, v7, 0 op_sel:[0,1,0] op_sel_hi:[0,1,0]
	v_mul_i32_i24_e32 v11, v149, v199
	s_wait_loadcnt 0x0
	v_mul_lo_u32 v2, v2, v10
	v_mul_lo_u32 v6, v6, v10
	v_mul_i32_i24_e32 v10, v184, v197
	s_delay_alu instid0(VALU_DEP_3) | instskip(NEXT) | instid1(VALU_DEP_3)
	v_cvt_f32_i32_e32 v2, v2
	v_cvt_f32_i32_e32 v6, v6
	s_delay_alu instid0(VALU_DEP_2) | instskip(NEXT) | instid1(VALU_DEP_2)
	v_fma_mix_f32 v1, v115, v2, v1 op_sel_hi:[1,0,0]
	v_fma_mix_f32 v2, v8, v6, v3 op_sel_hi:[1,0,0]
	scratch_load_b32 v6, off, off offset:172 th:TH_LOAD_LU ; 4-byte Folded Reload
	s_wait_loadcnt 0x0
	v_fma_mix_f32 v3, v6, v8, v5 op_sel:[0,1,0] op_sel_hi:[0,1,0]
	scratch_load_b32 v5, off, off offset:568 ; 4-byte Folded Reload
	v_fma_mix_f32 v4, v6, v115, v4 op_sel:[0,1,0] op_sel_hi:[0,1,0]
	s_wait_loadcnt 0x0
	s_delay_alu instid0(VALU_DEP_1)
	v_mul_f32_e32 v4, v4, v5
	scratch_load_b32 v5, off, off offset:552 ; 4-byte Folded Reload
	s_wait_loadcnt 0x0
	v_mul_f32_e32 v3, v3, v5
	scratch_load_b32 v5, off, off offset:548 ; 4-byte Folded Reload
	s_wait_loadcnt 0x0
	v_fma_f32 v2, v2, v5, -v3
	scratch_load_b32 v3, off, off offset:564 ; 4-byte Folded Reload
	s_wait_loadcnt 0x0
	v_fma_f32 v1, v1, v3, -v4
	s_clause 0x1
	scratch_load_b64 v[216:217], off, off offset:660 th:TH_LOAD_LU
	scratch_load_b32 v4, off, off offset:1112 th:TH_LOAD_LU
	v_fma_mix_f32 v3, v7, v250, 0 op_sel_hi:[1,0,0]
	s_clause 0x9
	scratch_load_b64 v[249:250], off, off offset:668 th:TH_LOAD_LU
	scratch_load_b32 v5, off, off offset:1116 th:TH_LOAD_LU
	scratch_load_b32 v29, off, off offset:1120 th:TH_LOAD_LU
	;; [unrolled: 1-line block ×3, first 2 shown]
	scratch_load_b32 v161, off, off offset:1108
	scratch_load_b32 v159, off, off offset:1100
	scratch_load_b32 v143, off, off offset:720 th:TH_LOAD_LU
	scratch_load_b32 v101, off, off offset:724 th:TH_LOAD_LU
	scratch_load_b32 v132, off, off offset:560
	scratch_load_b32 v45, off, off offset:556
	v_fma_mix_f32 v3, v8, v103, v3 op_sel_hi:[1,0,0]
	v_mov_b32_e32 v103, v125
	s_wait_loadcnt 0xa
	v_fma_mix_f32 v4, v4, v7, 0 op_sel:[0,1,0] op_sel_hi:[0,1,0]
	s_wait_loadcnt 0x9
	v_dual_add_f32 v250, v250, v1 :: v_dual_add_f32 v249, v249, v2
	v_mul_i32_i24_e32 v1, v236, v253
	v_mul_i32_i24_e32 v2, v239, v136
	s_wait_loadcnt 0x8
	v_fma_mix_f32 v4, v5, v8, v4 op_sel:[0,1,0] op_sel_hi:[0,1,0]
	scratch_load_b32 v5, off, off offset:1104 ; 4-byte Folded Reload
	s_wait_loadcnt 0x0
	v_mul_f32_e32 v4, v4, v5
	scratch_load_b32 v5, off, off offset:1096 ; 4-byte Folded Reload
	s_wait_loadcnt 0x0
	v_fma_f32 v3, v3, v5, -v4
	v_dual_mov_b32 v5, v7 :: v_dual_mov_b32 v6, v8
	v_mul_i32_i24_e32 v7, v67, v134
	v_mul_i32_i24_e32 v8, v151, v195
	s_delay_alu instid0(VALU_DEP_4) | instskip(NEXT) | instid1(VALU_DEP_4)
	v_add_f32_e32 v135, v135, v3
	v_fma_mix_f32 v4, v29, v5, 0 op_sel:[0,1,0] op_sel_hi:[0,1,0]
	v_fma_mix_f32 v3, v5, v64, 0 op_sel_hi:[1,0,0]
	v_mov_b32_e32 v64, v73
	s_delay_alu instid0(VALU_DEP_3) | instskip(NEXT) | instid1(VALU_DEP_3)
	v_fma_mix_f32 v4, v147, v6, v4 op_sel:[0,1,0] op_sel_hi:[0,1,0]
	v_fma_mix_f32 v3, v6, v60, v3 op_sel_hi:[1,0,0]
	v_mov_b32_e32 v60, v72
	s_delay_alu instid0(VALU_DEP_3) | instskip(NEXT) | instid1(VALU_DEP_1)
	v_mul_f32_e32 v4, v4, v161
	v_fma_f32 v3, v3, v159, -v4
	v_fma_mix_f32 v4, v5, v143, 0 op_sel:[1,0,0] op_sel_hi:[1,0,0]
	s_delay_alu instid0(VALU_DEP_2) | instskip(SKIP_3) | instid1(VALU_DEP_3)
	v_add_f32_e32 v150, v150, v3
	v_fma_mix_f32 v3, v5, v9, 0 op_sel_hi:[1,0,0]
	v_mul_i32_i24_e32 v5, v181, v226
	v_mul_i32_i24_e32 v9, v185, v196
	v_fma_mix_f32 v0, v6, v0, v3 op_sel_hi:[1,0,0]
	v_fma_mix_f32 v3, v6, v101, v4 op_sel:[1,0,0] op_sel_hi:[1,0,0]
	v_mul_i32_i24_e32 v4, v180, v219
	v_mul_i32_i24_e32 v6, v182, v227
	s_delay_alu instid0(VALU_DEP_3) | instskip(NEXT) | instid1(VALU_DEP_1)
	v_mul_f32_e32 v3, v3, v132
	v_fma_f32 v0, v0, v45, -v3
	v_mul_i32_i24_e32 v3, v179, v129
	s_delay_alu instid0(VALU_DEP_2)
	v_add_f32_e32 v130, v130, v0
	scratch_load_b32 v0, off, off offset:1344 th:TH_LOAD_LU ; 4-byte Folded Reload
	s_wait_loadcnt 0x0
	v_add_f32_e32 v217, v217, v0
	scratch_load_b32 v0, off, off offset:1340 th:TH_LOAD_LU ; 4-byte Folded Reload
	s_wait_loadcnt 0x0
	v_add_f32_e32 v216, v216, v0
	v_mul_i32_i24_e32 v0, v235, v145
	s_delay_alu instid0(VALU_DEP_1) | instskip(NEXT) | instid1(VALU_DEP_1)
	v_mad_i32_i24 v0, v148, v133, v0
	v_add3_u32 v0, v0, v1, v2
	v_mul_i32_i24_e32 v1, v175, v131
	v_mul_i32_i24_e32 v2, v178, v100
	v_mov_b32_e32 v100, v121
	s_delay_alu instid0(VALU_DEP_2) | instskip(SKIP_3) | instid1(VALU_DEP_4)
	v_add3_u32 v0, v0, v1, v2
	v_mul_i32_i24_e32 v2, v140, v189
	v_fma_mix_f32 v1, v29, v114, 0 op_sel:[0,1,0] op_sel_hi:[0,1,0]
	v_mul_i32_i24_e32 v29, v128, v205
	v_add3_u32 v0, v0, v3, v4
	v_mul_i32_i24_e32 v3, v141, v190
	v_mul_i32_i24_e32 v4, v142, v192
	v_mad_i32_i24 v2, v139, v191, v2
	v_fma_mix_f32 v1, v147, v115, v1 op_sel:[0,1,0] op_sel_hi:[0,1,0]
	v_add3_u32 v0, v0, v5, v6
	v_mul_i32_i24_e32 v5, v42, v194
	v_mul_i32_i24_e32 v6, v43, v158
	v_add3_u32 v2, v2, v3, v4
	v_mul_i32_i24_e32 v3, v40, v193
	v_mul_i32_i24_e32 v4, v41, v144
	;; [unrolled: 3-line block ×3, first 2 shown]
	v_mul_f32_e32 v1, v1, v161
	v_add3_u32 v2, v2, v3, v4
	v_add3_u32 v0, v0, v9, v10
	v_mul_i32_i24_e32 v9, v47, v164
	v_mul_i32_i24_e32 v10, v71, v166
	v_mul_i32_i24_e32 v3, v179, v75
	v_add3_u32 v2, v2, v5, v6
	v_add3_u32 v0, v0, v11, v12
	v_mul_i32_i24_e32 v11, v78, v167
	v_mul_i32_i24_e32 v12, v72, v112
	v_mul_i32_i24_e32 v4, v180, v76
	;; [unrolled: 5-line block ×10, first 2 shown]
	v_add3_u32 v2, v2, v23, v24
	v_mul_lo_u32 v0, v0, v51
	v_mul_i32_i24_e32 v13, v240, v91
	v_mul_i32_i24_e32 v14, v237, v92
	;; [unrolled: 1-line block ×3, first 2 shown]
	v_add3_u32 v2, v2, v25, v26
	v_mul_i32_i24_e32 v16, v232, v94
	v_mul_i32_i24_e32 v17, v200, v95
	;; [unrolled: 1-line block ×3, first 2 shown]
	v_cvt_f32_i32_e32 v0, v0
	v_add3_u32 v2, v2, v27, v28
	v_mul_i32_i24_e32 v19, v203, v97
	v_mul_i32_i24_e32 v20, v204, v98
	;; [unrolled: 1-line block ×3, first 2 shown]
	v_fma_mix_f32 v0, v114, v0, 0 op_sel_hi:[1,0,0]
	v_add3_u32 v2, v2, v29, v30
	v_mul_i32_i24_e32 v22, v207, v117
	v_mul_i32_i24_e32 v23, v208, v52
	;; [unrolled: 1-line block ×4, first 2 shown]
	v_mul_lo_u32 v2, v2, v229
	v_mul_i32_i24_e32 v26, v214, v155
	v_mul_i32_i24_e32 v27, v223, v156
	;; [unrolled: 1-line block ×3, first 2 shown]
	v_dual_mov_b32 v40, v41 :: v_dual_mov_b32 v41, v42
	v_dual_mov_b32 v42, v43 :: v_dual_mov_b32 v43, v44
	v_cvt_f32_i32_e32 v2, v2
	v_mov_b32_e32 v44, v46
	v_dual_mov_b32 v46, v47 :: v_dual_mov_b32 v47, v71
	v_mov_b32_e32 v71, v74
	s_delay_alu instid0(VALU_DEP_4) | instskip(SKIP_3) | instid1(VALU_DEP_4)
	v_fma_mix_f32 v0, v115, v2, v0 op_sel_hi:[1,0,0]
	v_mul_i32_i24_e32 v2, v239, v188
	v_mov_b32_e32 v74, v80
	v_dual_mov_b32 v80, v106 :: v_dual_mov_b32 v73, v79
	v_fma_f32 v0, v0, v159, -v1
	v_mul_i32_i24_e32 v1, v236, v186
	v_dual_mov_b32 v79, v82 :: v_dual_mov_b32 v82, v120
	v_mov_b32_e32 v72, v77
	s_delay_alu instid0(VALU_DEP_4) | instskip(SKIP_4) | instid1(VALU_DEP_4)
	v_add_f32_e32 v49, v49, v0
	v_mul_i32_i24_e32 v0, v235, v183
	v_mov_b32_e32 v77, v81
	v_dual_mov_b32 v81, v107 :: v_dual_mov_b32 v104, v126
	v_mov_b32_e32 v106, v127
	v_mad_i32_i24 v0, v148, v68, v0
	v_mov_b32_e32 v107, v122
	s_delay_alu instid0(VALU_DEP_2) | instskip(SKIP_2) | instid1(VALU_DEP_1)
	v_add3_u32 v0, v0, v1, v2
	v_mul_i32_i24_e32 v1, v175, v69
	v_mul_i32_i24_e32 v2, v178, v70
	v_add3_u32 v0, v0, v1, v2
	v_mul_i32_i24_e32 v2, v140, v61
	s_delay_alu instid0(VALU_DEP_2) | instskip(SKIP_2) | instid1(VALU_DEP_4)
	v_add3_u32 v0, v0, v3, v4
	v_mul_i32_i24_e32 v3, v141, v62
	v_mul_i32_i24_e32 v4, v142, v66
	v_mad_i32_i24 v2, v139, v32, v2
	s_delay_alu instid0(VALU_DEP_4) | instskip(SKIP_1) | instid1(VALU_DEP_2)
	v_add3_u32 v0, v0, v5, v6
	v_mul_i32_i24_e32 v6, v103, v56
	v_add3_u32 v0, v0, v7, v8
	v_mul_i32_i24_e32 v7, v104, v54
	s_delay_alu instid0(VALU_DEP_2) | instskip(SKIP_2) | instid1(VALU_DEP_3)
	v_add3_u32 v0, v0, v9, v10
	v_mul_i32_i24_e32 v10, v81, v65
	v_mul_i32_i24_e32 v9, v102, v53
	v_add3_u32 v0, v0, v11, v12
	v_mul_i32_i24_e32 v12, v79, v116
	s_delay_alu instid0(VALU_DEP_2) | instskip(SKIP_1) | instid1(VALU_DEP_2)
	v_add3_u32 v0, v0, v13, v14
	v_mul_i32_i24_e32 v14, v74, v108
	v_add3_u32 v0, v0, v15, v16
	v_mul_i32_i24_e32 v16, v72, v35
	v_mul_i32_i24_e32 v15, v77, v111
	s_delay_alu instid0(VALU_DEP_3) | instskip(SKIP_2) | instid1(VALU_DEP_3)
	v_add3_u32 v0, v0, v17, v18
	v_mul_i32_i24_e32 v18, v64, v57
	v_mul_i32_i24_e32 v17, v73, v105
	v_add3_u32 v0, v0, v19, v20
	v_mul_i32_i24_e32 v20, v78, v146
	v_mul_i32_i24_e32 v19, v71, v34
	s_delay_alu instid0(VALU_DEP_3) | instskip(SKIP_1) | instid1(VALU_DEP_2)
	v_add3_u32 v0, v0, v21, v22
	v_mul_i32_i24_e32 v21, v60, v33
	v_add3_u32 v0, v0, v23, v24
	v_mul_i32_i24_e32 v23, v47, v37
	s_delay_alu instid0(VALU_DEP_2) | instskip(SKIP_1) | instid1(VALU_DEP_2)
	v_add3_u32 v0, v0, v25, v26
	v_mul_i32_i24_e32 v25, v44, v36
	v_add3_u32 v0, v0, v27, v28
	v_add3_u32 v28, v2, v3, v4
	s_clause 0x1
	scratch_load_b32 v2, off, off offset:508 th:TH_LOAD_LU
	scratch_load_b32 v3, off, off offset:516 th:TH_LOAD_LU
	v_mul_i32_i24_e32 v4, v106, v55
	v_mul_lo_u32 v0, v0, v58
	s_delay_alu instid0(VALU_DEP_1) | instskip(NEXT) | instid1(VALU_DEP_1)
	v_cvt_f32_i32_e32 v0, v0
	v_fma_mix_f32 v1, v114, v0, 0 op_sel_hi:[1,0,0]
	v_fma_mix_f32 v0, v114, v143, 0 op_sel:[1,0,0] op_sel_hi:[1,0,0]
	s_delay_alu instid0(VALU_DEP_1) | instskip(NEXT) | instid1(VALU_DEP_1)
	v_fma_mix_f32 v0, v115, v101, v0 op_sel:[1,0,0] op_sel_hi:[1,0,0]
	v_mul_f32_e32 v0, v0, v132
	s_wait_loadcnt 0x1
	v_mul_i32_i24_e32 v29, v31, v2
	scratch_load_b32 v2, off, off offset:348 th:TH_LOAD_LU ; 4-byte Folded Reload
	s_wait_loadcnt 0x1
	v_mul_i32_i24_e32 v3, v110, v3
	s_wait_loadcnt 0x0
	v_mul_i32_i24_e32 v30, v40, v2
	scratch_load_b32 v2, off, off offset:504 th:TH_LOAD_LU ; 4-byte Folded Reload
	v_add3_u32 v28, v28, v29, v30
	s_wait_loadcnt 0x0
	v_mul_i32_i24_e32 v26, v41, v2
	scratch_load_b32 v2, off, off offset:352 th:TH_LOAD_LU ; 4-byte Folded Reload
	s_wait_loadcnt 0x0
	v_mul_i32_i24_e32 v27, v42, v2
	scratch_load_b32 v2, off, off offset:356 th:TH_LOAD_LU ; 4-byte Folded Reload
	v_add3_u32 v26, v28, v26, v27
	s_wait_loadcnt 0x0
	v_mul_i32_i24_e32 v24, v43, v2
	scratch_load_b32 v2, off, off offset:360 th:TH_LOAD_LU ; 4-byte Folded Reload
	v_add3_u32 v24, v26, v24, v25
	;; [unrolled: 4-line block ×3, first 2 shown]
	s_delay_alu instid0(VALU_DEP_1) | instskip(NEXT) | instid1(VALU_DEP_1)
	v_add3_u32 v20, v22, v20, v21
	v_add3_u32 v18, v20, v18, v19
	s_delay_alu instid0(VALU_DEP_1) | instskip(NEXT) | instid1(VALU_DEP_1)
	v_add3_u32 v16, v18, v16, v17
	v_add3_u32 v14, v16, v14, v15
	s_wait_loadcnt 0x0
	v_mul_i32_i24_e32 v13, v80, v2
	scratch_load_b32 v2, off, off offset:8 th:TH_LOAD_LU ; 4-byte Folded Reload
	v_add3_u32 v12, v14, v12, v13
	s_wait_loadcnt 0x0
	v_mul_i32_i24_e32 v11, v82, v2
	scratch_load_b32 v2, off, off offset:12 th:TH_LOAD_LU ; 4-byte Folded Reload
	;; [unrolled: 4-line block ×3, first 2 shown]
	v_add3_u32 v8, v10, v8, v9
	s_delay_alu instid0(VALU_DEP_1)
	v_add3_u32 v6, v8, v6, v7
	s_wait_loadcnt 0x0
	v_mul_i32_i24_e32 v5, v107, v2
	v_mul_i32_i24_e32 v2, v109, v63
	scratch_load_b32 v63, off, off offset:652 th:TH_LOAD_LU ; 4-byte Folded Reload
	v_add3_u32 v4, v6, v4, v5
	s_delay_alu instid0(VALU_DEP_1) | instskip(SKIP_3) | instid1(VALU_DEP_1)
	v_add3_u32 v2, v4, v2, v3
	scratch_load_b32 v3, off, off offset:432 th:TH_LOAD_LU ; 4-byte Folded Reload
	s_wait_loadcnt 0x0
	v_mul_lo_u32 v2, v2, v3
	v_cvt_f32_i32_e32 v2, v2
	s_delay_alu instid0(VALU_DEP_1) | instskip(NEXT) | instid1(VALU_DEP_1)
	v_fma_mix_f32 v1, v115, v2, v1 op_sel_hi:[1,0,0]
	v_fma_f32 v0, v1, v45, -v0
	s_delay_alu instid0(VALU_DEP_1)
	v_add_f32_e32 v63, v63, v0
	s_cbranch_vccnz .LBB151_6
; %bb.7:                                ;   in Loop: Header=BB151_5 Depth=1
	scratch_load_b32 v0, off, off offset:1960 ; 4-byte Folded Reload
	s_wait_loadcnt 0x0
	s_wait_storecnt 0x0
	s_barrier_signal -1
	s_barrier_wait -1
	v_add_nc_u32_e32 v10, s5, v0
	scratch_load_b32 v0, off, off offset:1756 ; 4-byte Folded Reload
	s_wait_loadcnt 0x0
	global_inv scope:SCOPE_SE
	s_clause 0x4
	scratch_load_b32 v1, off, off offset:1760
	scratch_load_b64 v[17:18], off, off offset:1804
	scratch_load_b32 v5, off, off offset:1768
	scratch_load_b32 v12, off, off offset:1776
	;; [unrolled: 1-line block ×3, first 2 shown]
	s_mov_b32 s5, 16
	s_clause 0x1
	scratch_load_b32 v7, off, off offset:1772
	scratch_load_b32 v9, off, off offset:1784
	v_add_nc_u32_e32 v0, v10, v0
	s_wait_loadcnt 0x4
	v_add_nc_u32_e32 v6, v10, v5
	s_wait_loadcnt 0x3
	;; [unrolled: 2-line block ×3, first 2 shown]
	v_add_nc_u32_e32 v14, v10, v13
	scratch_load_b32 v13, off, off offset:1692 th:TH_LOAD_LU ; 4-byte Folded Reload
	v_add_nc_u32_e32 v2, v10, v1
	scratch_load_b32 v1, off, off offset:1764 ; 4-byte Folded Reload
	s_wait_loadcnt 0x2
	v_add_nc_u32_e32 v11, v10, v9
	v_add_nc_u32_e32 v8, v10, v7
	v_mad_co_i64_i32 v[6:7], null, v6, 36, v[17:18]
	v_mad_co_i64_i32 v[2:3], null, v2, 36, v[17:18]
	;; [unrolled: 1-line block ×3, first 2 shown]
	s_delay_alu instid0(VALU_DEP_4)
	v_mad_co_i64_i32 v[8:9], null, v8, 36, v[17:18]
	s_wait_loadcnt 0x1
	v_add_nc_u32_e32 v16, 4, v13
	v_mad_co_i64_i32 v[12:13], null, v12, 36, v[17:18]
	s_wait_loadcnt 0x0
	v_add_nc_u32_e32 v4, v10, v1
	v_mad_co_i64_i32 v[10:11], null, v11, 36, v[17:18]
	v_mad_co_i64_i32 v[0:1], null, v0, 36, v[17:18]
	s_delay_alu instid0(VALU_DEP_3)
	v_mad_co_i64_i32 v[4:5], null, v4, 36, v[17:18]
	v_mad_co_u64_u32 v[16:17], null, v16, 36, s[2:3]
	s_clause 0x8
	global_load_b32 v10, v[10:11], off offset:4
	global_load_b32 v0, v[0:1], off offset:4
	;; [unrolled: 1-line block ×8, first 2 shown]
	global_load_b32 v7, v[16:17], off
	scratch_load_b32 v8, off, off offset:1840 ; 4-byte Folded Reload
	s_wait_loadcnt 0x0
	ds_store_b32 v8, v10
	scratch_load_b32 v8, off, off offset:1812 ; 4-byte Folded Reload
	s_wait_loadcnt 0x0
	ds_store_b32 v8, v0
	;; [unrolled: 3-line block ×9, first 2 shown]
	s_wait_dscnt 0x0
	s_barrier_signal -1
	s_barrier_wait -1
	global_inv scope:SCOPE_SE
	s_clause 0x3
	scratch_load_b32 v0, off, off offset:1788
	scratch_load_b32 v1, off, off offset:1792
	;; [unrolled: 1-line block ×4, first 2 shown]
	s_wait_loadcnt 0x3
	ds_load_b32 v0, v0
	s_wait_loadcnt 0x2
	ds_load_b32 v1, v1 offset:128
	s_wait_loadcnt 0x1
	ds_load_b32 v2, v2 offset:256
	;; [unrolled: 2-line block ×3, first 2 shown]
	s_wait_dscnt 0x3
	v_cvt_f32_f16_e32 v6, v0
	s_wait_dscnt 0x2
	v_lshrrev_b32_e32 v4, 16, v1
	v_cvt_f32_f16_e32 v1, v1
	s_wait_dscnt 0x1
	v_lshrrev_b32_e32 v5, 16, v2
	v_lshrrev_b32_e32 v0, 16, v0
	scratch_store_b32 off, v1, off offset:892 ; 4-byte Folded Spill
	v_cvt_f32_f16_e32 v1, v2
	v_cvt_f32_f16_e32 v2, v4
	v_cvt_f32_f16_e32 v0, v0
	scratch_store_b32 off, v2, off offset:900 ; 4-byte Folded Spill
	v_cvt_f32_f16_e32 v2, v5
	scratch_store_b32 off, v2, off offset:904 ; 4-byte Folded Spill
	s_wait_dscnt 0x0
	v_cvt_f32_f16_e32 v2, v3
	scratch_store_b32 off, v1, off offset:896 ; 4-byte Folded Spill
	v_lshrrev_b32_e32 v1, 16, v3
	scratch_store_b32 off, v2, off offset:392 ; 4-byte Folded Spill
	v_cvt_f32_f16_e32 v1, v1
	s_clause 0x4
	scratch_store_b32 off, v1, off offset:396
	scratch_store_b32 off, v6, off offset:384
	;; [unrolled: 1-line block ×5, first 2 shown]
.LBB151_8:                              ;   Parent Loop BB151_5 Depth=1
                                        ; =>  This Inner Loop Header: Depth=2
	s_clause 0x6
	scratch_store_b64 off, v[249:250], off offset:668
	scratch_store_b64 off, v[216:217], off offset:660
	scratch_store_b32 off, v130, off offset:656
	scratch_store_b32 off, v63, off offset:652
	;; [unrolled: 1-line block ×5, first 2 shown]
	scratch_load_b32 v0, off, off offset:1260 ; 4-byte Folded Reload
	s_wait_alu 0xfffe
	s_lshr_b32 s12, s5, 2
	s_lshl_b32 s16, s5, 2
	s_wait_alu 0xfffe
	s_and_b32 s13, s12, 0x3ffffffe
	s_lshl_b32 s12, s5, 1
	v_add_nc_u32_e32 v6, s16, v160
	s_wait_alu 0xfffe
	s_and_b32 s12, s12, 16
	s_addk_co_i32 s13, 0x6200
	s_wait_loadcnt 0x0
	s_wait_alu 0xfffe
	v_or_b32_e32 v0, s12, v0
	s_delay_alu instid0(VALU_DEP_1)
	v_lshlrev_b32_e32 v16, 2, v0
	v_lshrrev_b32_e32 v237, 1, v0
	s_clause 0x1
	scratch_load_b32 v0, off, off offset:1324
	scratch_load_b32 v1, off, off offset:1320
	s_wait_loadcnt 0x0
	v_add3_u32 v8, s13, v1, v0
	ds_load_2addr_b32 v[0:1], v6 offset1:1
	s_wait_dscnt 0x0
	v_bfe_u32 v32, v1, 8, 4
	v_bfe_u32 v34, v1, 16, 4
	;; [unrolled: 1-line block ×4, first 2 shown]
	v_and_b32_e32 v27, 15, v0
	v_mov_b32_e32 v171, v32
	ds_load_2addr_b32 v[2:3], v6 offset0:2 offset1:3
	ds_load_2addr_b32 v[4:5], v6 offset0:4 offset1:5
	ds_load_2addr_b32 v[6:7], v6 offset0:6 offset1:7
	ds_load_u16 v9, v8
	ds_load_u16 v8, v8 offset:8
	v_bfe_u32 v35, v0, 24, 4
	v_bfe_u32 v21, v0, 20, 4
	;; [unrolled: 1-line block ×4, first 2 shown]
	v_lshrrev_b32_e32 v117, 28, v0
	v_dual_mov_b32 v150, v35 :: v_dual_and_b32 v31, 15, v1
	v_bfe_u32 v36, v1, 24, 4
	v_bfe_u32 v82, v1, 20, 4
	;; [unrolled: 1-line block ×4, first 2 shown]
	v_lshrrev_b32_e32 v90, 28, v1
	v_dual_mov_b32 v173, v34 :: v_dual_mov_b32 v144, v30
	v_dual_mov_b32 v137, v27 :: v_dual_mov_b32 v136, v28
	s_wait_dscnt 0x4
	v_and_b32_e32 v115, 15, v3
	v_and_b32_e32 v38, 15, v2
	s_wait_dscnt 0x2
	v_bfe_u32 v0, v7, 4, 4
	v_add_nc_u32_e32 v15, s16, v218
	s_wait_dscnt 0x1
	v_lshrrev_b16 v10, 8, v9
	v_dual_mov_b32 v188, v38 :: v_dual_and_b32 v241, 0xff, v9
	scratch_store_b32 off, v0, off offset:488 ; 4-byte Folded Spill
	v_bfe_u32 v0, v7, 12, 4
	ds_load_2addr_b32 v[12:13], v15 offset1:1
	s_wait_dscnt 0x1
	v_cvt_f32_ubyte0_e32 v9, v8
	v_bfe_u32 v50, v4, 8, 4
	v_bfe_u32 v39, v2, 8, 4
	scratch_store_b32 off, v0, off offset:260 ; 4-byte Folded Spill
	v_bfe_u32 v0, v7, 20, 4
	scratch_store_b32 off, v9, off offset:348 ; 4-byte Folded Spill
	v_bfe_u32 v41, v2, 16, 4
	v_bfe_u32 v94, v2, 24, 4
	;; [unrolled: 1-line block ×3, first 2 shown]
	scratch_store_b32 off, v0, off offset:344 ; 4-byte Folded Spill
	v_lshrrev_b32_e32 v0, 28, v7
	v_bfe_u32 v116, v3, 16, 4
	v_bfe_u32 v121, v3, 24, 4
	v_dual_mov_b32 v170, v31 :: v_dual_and_b32 v123, 15, v4
	scratch_store_b32 off, v0, off offset:352 ; 4-byte Folded Spill
	v_and_b32_e32 v0, 0xffff, v10
	v_bfe_u32 v52, v4, 16, 4
	v_bfe_u32 v160, v4, 24, 4
	s_wait_dscnt 0x0
	v_bfe_u32 v133, v12, 4, 4
	v_dual_mov_b32 v187, v36 :: v_dual_and_b32 v174, 15, v5
	scratch_store_b32 off, v0, off offset:252 ; 4-byte Folded Spill
	v_cvt_f32_ubyte1_e32 v0, v8
	v_bfe_u32 v71, v5, 8, 4
	v_bfe_u32 v72, v5, 16, 4
	;; [unrolled: 1-line block ×3, first 2 shown]
	v_dual_mov_b32 v191, v41 :: v_dual_and_b32 v74, 15, v6
	scratch_store_b32 off, v0, off offset:248 ; 4-byte Folded Spill
	scratch_load_b32 v0, off, off offset:1328 ; 4-byte Folded Reload
	v_bfe_u32 v77, v6, 8, 4
	v_bfe_u32 v186, v6, 16, 4
	;; [unrolled: 1-line block ×3, first 2 shown]
	v_and_b32_e32 v179, 15, v7
	v_bfe_u32 v81, v7, 8, 4
	v_bfe_u32 v83, v7, 16, 4
	;; [unrolled: 1-line block ×6, first 2 shown]
	v_lshrrev_b32_e32 v91, 28, v2
	v_bfe_u32 v85, v3, 20, 4
	v_bfe_u32 v101, v3, 4, 4
	v_bfe_u32 v103, v3, 12, 4
	v_lshrrev_b32_e32 v92, 28, v3
	v_bfe_u32 v165, v4, 20, 4
	v_bfe_u32 v105, v4, 4, 4
	v_bfe_u32 v236, v4, 12, 4
	;; [unrolled: 4-line block ×4, first 2 shown]
	v_lshrrev_b32_e32 v245, 28, v6
	v_dual_mov_b32 v161, v52 :: v_dual_and_b32 v114, 15, v12
	v_bfe_u32 v254, v13, 16, 4
	v_bfe_u32 v120, v12, 24, 4
	;; [unrolled: 1-line block ×3, first 2 shown]
	v_lshrrev_b32_e32 v142, 28, v12
	v_bfe_u32 v135, v12, 20, 4
	v_lshrrev_b32_e32 v131, 28, v13
	v_bfe_u32 v132, v13, 20, 4
	v_bfe_u32 v126, v13, 4, 4
	v_mov_b32_e32 v231, v101
	v_mov_b32_e32 v233, v103
	;; [unrolled: 1-line block ×4, first 2 shown]
	v_dual_mov_b32 v141, v72 :: v_dual_mov_b32 v190, v39
	v_dual_mov_b32 v167, v77 :: v_dual_mov_b32 v148, v74
	;; [unrolled: 1-line block ×4, first 2 shown]
	v_mov_b32_e32 v156, v83
	v_mov_b32_e32 v222, v98
	;; [unrolled: 1-line block ×4, first 2 shown]
	v_dual_mov_b32 v226, v100 :: v_dual_mov_b32 v213, v21
	v_dual_mov_b32 v224, v91 :: v_dual_mov_b32 v215, v117
	v_mov_b32_e32 v221, v97
	s_wait_loadcnt 0x0
	v_add3_u32 v0, s13, v0, v169
	scratch_store_b32 off, v0, off offset:356 ; 4-byte Folded Spill
	v_and_b32_e32 v0, 0xf0f0f0f, v12
	s_delay_alu instid0(VALU_DEP_1)
	v_lshrrev_b16 v22, 8, v0
	ds_load_b128 v[17:20], v16 offset:16896
	ds_load_b128 v[8:11], v16 offset:16912
	;; [unrolled: 1-line block ×4, first 2 shown]
	ds_load_i8 v14, v16 offset:16959
	s_clause 0x5
	scratch_store_b32 off, v157, off offset:1224
	scratch_store_b32 off, v161, off offset:1228
	;; [unrolled: 1-line block ×6, first 2 shown]
	v_and_b32_e32 v242, 0xffff, v22
	s_clause 0x7
	scratch_store_b32 off, v160, off offset:712
	scratch_store_b32 off, v140, off offset:716
	;; [unrolled: 1-line block ×8, first 2 shown]
	s_wait_dscnt 0x4
	v_lshrrev_b16 v16, 8, v17
	v_bfe_i32 v26, v17, 0, 8
	v_ashrrev_i32_e32 v24, 24, v17
	v_bfe_i32 v25, v17, 16, 8
	v_lshrrev_b16 v29, 8, v18
	v_bfe_i32 v23, v16, 0, 8
	v_mul_i32_i24_e32 v16, v26, v27
	v_mul_i32_i24_e32 v27, v24, v35
	;; [unrolled: 1-line block ×3, first 2 shown]
	v_bfe_i32 v29, v29, 0, 8
	v_bfe_i32 v30, v18, 0, 8
	v_mad_i32_i24 v16, v23, v28, v16
	v_bfe_i32 v28, v18, 16, 8
	s_wait_dscnt 0x0
	scratch_store_b32 off, v14, off offset:1672 ; 4-byte Folded Spill
	v_lshrrev_b16 v33, 8, v19
	v_bfe_u32 v35, v13, 24, 4
	v_add3_u32 v16, v16, v17, v27
	v_and_b32_e32 v17, 0xf0f0f0f, v13
	v_ashrrev_i32_e32 v27, 24, v18
	v_mul_i32_i24_e32 v18, v30, v31
	v_mul_i32_i24_e32 v31, v29, v32
	v_mul_i32_i24_e32 v32, v28, v34
	v_lshrrev_b16 v17, 8, v17
	v_mul_i32_i24_e32 v34, v27, v36
	v_bfe_i32 v33, v33, 0, 8
	v_add3_u32 v16, v16, v31, v18
	v_and_b32_e32 v31, 15, v13
	v_and_b32_e32 v14, 0xffff, v17
	ds_load_2addr_b32 v[17:18], v15 offset0:2 offset1:3
	v_mul_i32_i24_e32 v57, v35, v27
	v_add3_u32 v16, v16, v32, v34
	v_mul_i32_i24_e32 v53, v31, v30
	v_mov_b32_e32 v176, v31
	v_bfe_i32 v34, v19, 0, 8
	v_mov_b32_e32 v178, v35
	v_bfe_i32 v32, v19, 16, 8
	v_mul_i32_i24_e32 v36, v33, v39
	v_lshrrev_b16 v37, 8, v20
	v_bfe_i32 v42, v8, 0, 8
	v_mul_i32_i24_e32 v22, v242, v23
	v_mul_i32_i24_e32 v55, v14, v29
	v_lshrrev_b16 v45, 8, v9
	v_bfe_i32 v37, v37, 0, 8
	v_lshrrev_b16 v49, 8, v10
	v_lshrrev_b16 v51, 8, v11
	v_mul_i32_i24_e32 v56, v254, v28
	v_bfe_i32 v45, v45, 0, 8
	v_mad_i32_i24 v57, v120, v24, v57
	s_wait_dscnt 0x0
	v_and_b32_e32 v31, 0xf0f0f0f, v17
	v_bfe_i32 v49, v49, 0, 8
	v_and_b32_e32 v209, 15, v18
	v_bfe_i32 v51, v51, 0, 8
	v_bfe_u32 v111, v17, 24, 4
	v_lshrrev_b16 v35, 8, v31
	v_ashrrev_i32_e32 v31, 24, v19
	v_mul_i32_i24_e32 v19, v34, v38
	v_mul_i32_i24_e32 v38, v32, v41
	v_bfe_u32 v201, v18, 24, 4
	v_and_b32_e32 v35, 0xffff, v35
	v_mul_i32_i24_e32 v39, v31, v94
	v_add3_u32 v16, v16, v36, v19
	v_bfe_u32 v19, v17, 16, 4
	v_and_b32_e32 v36, 15, v17
	v_mul_i32_i24_e32 v59, v35, v33
	v_mov_b32_e32 v211, v35
	v_add3_u32 v16, v16, v38, v39
	v_mul_i32_i24_e32 v60, v19, v32
	v_dual_mov_b32 v210, v19 :: v_dual_and_b32 v19, 0xf0f0f0f, v18
	v_bfe_i32 v38, v20, 0, 8
	v_mul_i32_i24_e32 v58, v36, v34
	v_mov_b32_e32 v212, v36
	v_ashrrev_i32_e32 v35, 24, v20
	v_lshrrev_b16 v19, 8, v19
	v_bfe_i32 v36, v20, 16, 8
	v_mul_i32_i24_e32 v20, v38, v115
	v_mul_i32_i24_e32 v39, v37, v162
	;; [unrolled: 1-line block ×3, first 2 shown]
	v_and_b32_e32 v202, 0xffff, v19
	v_mul_i32_i24_e32 v40, v36, v116
	v_add3_u32 v22, v22, v55, v59
	v_add3_u32 v16, v16, v39, v20
	ds_load_2addr_b32 v[19:20], v15 offset0:4 offset1:5
	v_bfe_i32 v59, v4, 0, 8
	v_bfe_u32 v200, v18, 16, 4
	v_mul_i32_i24_e32 v80, v51, v81
	v_add3_u32 v16, v16, v40, v41
	v_lshrrev_b16 v41, 8, v8
	v_bfe_i32 v40, v8, 16, 8
	v_mul_i32_i24_e32 v61, v111, v31
	v_mul_i32_i24_e32 v64, v200, v36
	;; [unrolled: 1-line block ×3, first 2 shown]
	v_bfe_i32 v41, v41, 0, 8
	v_mul_i32_i24_e32 v46, v40, v52
	v_mul_i32_i24_e32 v52, v49, v77
	v_mad_i32_i24 v56, v104, v25, v56
	v_mul_i32_i24_e32 v62, v209, v38
	v_mul_i32_i24_e32 v44, v41, v50
	;; [unrolled: 1-line block ×3, first 2 shown]
	v_mad_i32_i24 v53, v114, v26, v53
	v_add3_u32 v55, v56, v60, v64
	v_add3_u32 v56, v57, v61, v65
	s_wait_dscnt 0x0
	v_and_b32_e32 v39, 0xf0f0f0f, v19
	v_bfe_u32 v189, v19, 24, 4
	v_bfe_u32 v182, v20, 24, 4
	;; [unrolled: 1-line block ×3, first 2 shown]
	v_and_b32_e32 v199, 15, v19
	v_lshrrev_b16 v43, 8, v39
	v_ashrrev_i32_e32 v39, 24, v8
	v_mul_i32_i24_e32 v8, v42, v123
	v_bfe_u32 v183, v20, 16, 4
	v_and_b32_e32 v181, 15, v20
	v_and_b32_e32 v185, 0xffff, v43
	v_mul_i32_i24_e32 v47, v39, v160
	v_add3_u32 v8, v16, v44, v8
	v_and_b32_e32 v16, 0xf0f0f0f, v20
	v_ashrrev_i32_e32 v43, 24, v9
	v_bfe_i32 v44, v9, 16, 8
	v_mul_i32_i24_e32 v67, v185, v41
	v_add3_u32 v8, v8, v46, v47
	v_lshrrev_b16 v16, 8, v16
	v_bfe_i32 v46, v9, 0, 8
	v_mul_i32_i24_e32 v47, v45, v71
	v_mul_i32_i24_e32 v48, v44, v72
	;; [unrolled: 1-line block ×3, first 2 shown]
	v_and_b32_e32 v180, 0xffff, v16
	ds_load_2addr_b32 v[15:16], v15 offset0:6 offset1:7
	v_mul_i32_i24_e32 v9, v46, v174
	v_mul_i32_i24_e32 v69, v189, v39
	;; [unrolled: 1-line block ×5, first 2 shown]
	v_add3_u32 v8, v8, v47, v9
	v_ashrrev_i32_e32 v47, 24, v10
	v_mul_i32_i24_e32 v70, v181, v46
	v_mul_i32_i24_e32 v71, v180, v45
	;; [unrolled: 1-line block ×3, first 2 shown]
	v_add3_u32 v8, v8, v48, v50
	v_bfe_i32 v48, v10, 16, 8
	v_bfe_i32 v10, v10, 0, 8
	v_mul_i32_i24_e32 v75, v47, v76
	v_add3_u32 v53, v53, v58, v62
	v_add3_u32 v22, v22, v63, v67
	;; [unrolled: 1-line block ×3, first 2 shown]
	v_mul_i32_i24_e32 v50, v10, v74
	v_mul_i32_i24_e32 v74, v48, v186
	s_wait_dscnt 0x0
	v_and_b32_e32 v9, 0xf0f0f0f, v15
	v_bfe_u32 v54, v16, 24, 4
	v_bfe_u32 v81, v16, 16, 4
	v_add3_u32 v8, v8, v52, v50
	v_ashrrev_i32_e32 v52, 24, v11
	v_lshrrev_b16 v9, 8, v9
	v_bfe_i32 v50, v11, 16, 8
	v_bfe_i32 v11, v11, 0, 8
	v_add3_u32 v74, v8, v74, v75
	s_clause 0x1
	scratch_store_b32 off, v185, off offset:128
	scratch_store_b32 off, v54, off offset:132
	v_and_b32_e32 v151, 0xffff, v9
	v_mul_i32_i24_e32 v9, v11, v179
	v_bfe_u32 v169, v15, 24, 4
	v_bfe_u32 v172, v15, 16, 4
	v_and_b32_e32 v154, 15, v15
	v_mul_i32_i24_e32 v76, v151, v49
	v_add3_u32 v9, v74, v80, v9
	v_and_b32_e32 v74, 15, v16
	scratch_store_b32 off, v81, off offset:784 ; 4-byte Folded Spill
	v_mul_i32_i24_e32 v80, v81, v50
	v_mul_i32_i24_e32 v81, v54, v52
	v_ashrrev_i32_e32 v54, 24, v4
	v_and_b32_e32 v8, 0xf0f0f0f, v16
	v_mul_i32_i24_e32 v78, v169, v47
	v_mul_i32_i24_e32 v75, v154, v10
	;; [unrolled: 1-line block ×3, first 2 shown]
	scratch_store_b32 off, v74, off offset:788 ; 4-byte Folded Spill
	v_lshrrev_b16 v79, 8, v8
	v_mul_i32_i24_e32 v74, v74, v11
	v_add3_u32 v53, v53, v66, v70
	v_add3_u32 v55, v55, v68, v72
	;; [unrolled: 1-line block ×3, first 2 shown]
	v_and_b32_e32 v149, 0xffff, v79
	v_add3_u32 v56, v56, v78, v81
	v_add3_u32 v53, v53, v75, v74
	;; [unrolled: 1-line block ×3, first 2 shown]
	v_mul_i32_i24_e32 v8, v50, v83
	v_mul_i32_i24_e32 v79, v149, v51
	v_mov_b32_e32 v83, v59
	v_mul_i32_i24_e32 v60, v54, v117
	s_clause 0x3
	scratch_store_b32 off, v111, off offset:876
	scratch_store_b32 off, v200, off offset:880
	;; [unrolled: 1-line block ×4, first 2 shown]
	v_add3_u32 v22, v22, v79, v56
	v_lshrrev_b16 v56, 8, v5
	s_clause 0x6
	scratch_store_b32 off, v202, off offset:264
	scratch_store_b32 off, v14, off offset:276
	;; [unrolled: 1-line block ×7, first 2 shown]
	v_add3_u32 v22, v53, v55, v22
	v_lshrrev_b32_e32 v53, 4, v12
	v_lshrrev_b32_e32 v12, 4, v13
	v_bfe_i32 v56, v56, 0, 8
	s_clause 0x2
	scratch_store_b32 off, v183, off offset:304
	scratch_store_b32 off, v182, off offset:300
	;; [unrolled: 1-line block ×3, first 2 shown]
	v_lshrrev_b16 v53, 8, v53
	scratch_store_b32 off, v22, off offset:908 ; 4-byte Folded Spill
	v_bfe_i32 v22, v4, 16, 8
	v_lshrrev_b16 v12, 8, v12
	v_mul_i32_i24_e32 v61, v56, v98
	v_and_b32_e32 v55, 15, v53
	v_lshrrev_b16 v53, 8, v4
	v_mul_i32_i24_e32 v4, v59, v112
	v_mul_i32_i24_e32 v59, v22, v21
	v_dual_mov_b32 v117, v89 :: v_dual_and_b32 v12, 15, v12
	v_and_b32_e32 v134, 0xffff, v55
	v_bfe_i32 v53, v53, 0, 8
	v_ashrrev_i32_e32 v55, 24, v5
	s_delay_alu instid0(VALU_DEP_4) | instskip(SKIP_1) | instid1(VALU_DEP_4)
	v_dual_mov_b32 v217, v90 :: v_dual_and_b32 v124, 0xffff, v12
	v_mov_b32_e32 v69, v22
	v_mad_i32_i24 v4, v53, v89, v4
	v_mov_b32_e32 v21, v54
	v_mul_i32_i24_e32 v22, v134, v53
	v_mul_i32_i24_e32 v13, v124, v56
	s_clause 0x2
	scratch_store_b32 off, v181, off offset:312
	scratch_store_b32 off, v180, off offset:308
	;; [unrolled: 1-line block ×3, first 2 shown]
	v_add3_u32 v4, v4, v59, v60
	v_bfe_i32 v60, v5, 0, 8
	v_bfe_i32 v59, v5, 16, 8
	s_clause 0x1
	scratch_store_b32 off, v147, off offset:720
	scratch_store_b32 off, v156, off offset:728
	v_lshrrev_b16 v57, 8, v6
	v_mul_i32_i24_e32 v5, v60, v97
	v_mul_i32_i24_e32 v54, v126, v60
	;; [unrolled: 1-line block ×3, first 2 shown]
	s_clause 0x2
	scratch_store_b32 off, v117, off offset:256
	scratch_store_b32 off, v22, off offset:1340
	;; [unrolled: 1-line block ×3, first 2 shown]
	v_add3_u32 v4, v4, v5, v61
	v_mul_i32_i24_e32 v5, v131, v55
	v_mul_i32_i24_e32 v62, v59, v82
	scratch_store_b32 off, v216, off offset:1248 ; 4-byte Folded Spill
	v_mul_i32_i24_e32 v63, v55, v90
	s_clause 0x7
	scratch_store_b32 off, v54, off offset:1348
	scratch_store_b32 off, v126, off offset:164
	;; [unrolled: 1-line block ×8, first 2 shown]
	v_lshrrev_b32_e32 v5, 4, v17
	v_add3_u32 v4, v4, v62, v63
	v_bfe_i32 v57, v57, 0, 8
	v_bfe_i32 v63, v6, 0, 8
	v_ashrrev_i32_e32 v61, 24, v6
	v_lshrrev_b16 v5, 8, v5
	v_bfe_i32 v62, v6, 16, 8
	v_mul_i32_i24_e32 v12, v57, v100
	v_mul_i32_i24_e32 v6, v63, v99
	;; [unrolled: 1-line block ×3, first 2 shown]
	v_and_b32_e32 v5, 15, v5
	v_mul_i32_i24_e32 v13, v62, v84
	v_bfe_u32 v118, v17, 20, 4
	v_add3_u32 v4, v4, v6, v12
	v_bfe_u32 v122, v17, 4, 4
	v_dual_mov_b32 v96, v21 :: v_dual_and_b32 v119, 0xffff, v5
	v_lshrrev_b32_e32 v112, 28, v17
	s_delay_alu instid0(VALU_DEP_4) | instskip(NEXT) | instid1(VALU_DEP_4)
	v_add3_u32 v4, v4, v13, v64
	v_mul_i32_i24_e32 v13, v122, v63
	s_delay_alu instid0(VALU_DEP_4)
	v_mul_i32_i24_e32 v12, v119, v57
	v_mul_i32_i24_e32 v5, v118, v62
	s_clause 0x5
	scratch_store_b32 off, v13, off offset:1368
	scratch_store_b32 off, v122, off offset:180
	;; [unrolled: 1-line block ×6, first 2 shown]
	v_mul_i32_i24_e32 v5, v112, v61
	v_lshrrev_b16 v58, 8, v7
	s_clause 0x1
	scratch_store_b32 off, v5, off offset:1380
	scratch_store_b32 off, v112, off offset:168
	v_lshrrev_b32_e32 v5, 4, v18
	v_bfe_i32 v58, v58, 0, 8
	v_bfe_i32 v67, v7, 0, 8
	v_ashrrev_i32_e32 v64, 24, v7
	v_bfe_i32 v66, v7, 16, 8
	v_lshrrev_b16 v5, 8, v5
	v_mul_i32_i24_e32 v7, v58, v103
	v_mul_i32_i24_e32 v6, v67, v101
	;; [unrolled: 1-line block ×4, first 2 shown]
	v_and_b32_e32 v5, 15, v5
	v_bfe_u32 v107, v18, 20, 4
	v_add3_u32 v4, v4, v6, v7
	v_bfe_u32 v102, v18, 4, 4
	v_lshrrev_b32_e32 v17, 28, v18
	v_and_b32_e32 v101, 0xffff, v5
	v_mul_i32_i24_e32 v5, v107, v66
	v_add3_u32 v4, v4, v12, v13
	v_mul_i32_i24_e32 v12, v102, v67
	s_clause 0x1
	scratch_store_b32 off, v12, off offset:1396
	scratch_store_b32 off, v102, off offset:196
	v_mul_i32_i24_e32 v7, v101, v58
	s_clause 0x3
	scratch_store_b32 off, v7, off offset:1392
	scratch_store_b32 off, v101, off offset:192
	;; [unrolled: 1-line block ×4, first 2 shown]
	v_mul_i32_i24_e32 v5, v17, v64
	v_mov_b32_e32 v103, v17
	v_lshrrev_b16 v6, 8, v0
	s_clause 0x3
	scratch_store_b32 off, v165, off offset:932
	scratch_store_b32 off, v168, off offset:936
	scratch_store_b32 off, v5, off offset:1400
	scratch_store_b32 off, v103, off offset:184
	v_lshrrev_b32_e32 v5, 4, v19
	v_bfe_i32 v72, v6, 0, 8
	v_bfe_i32 v73, v0, 0, 8
	v_ashrrev_i32_e32 v70, 24, v0
	v_bfe_i32 v71, v0, 16, 8
	v_lshrrev_b16 v5, 8, v5
	v_mul_i32_i24_e32 v6, v72, v236
	v_mul_i32_i24_e32 v0, v73, v105
	v_lshrrev_b32_e32 v68, 28, v19
	v_mul_i32_i24_e32 v13, v71, v165
	v_and_b32_e32 v5, 15, v5
	v_mul_i32_i24_e32 v18, v70, v168
	v_add3_u32 v0, v4, v0, v6
	v_bfe_u32 v65, v19, 20, 4
	v_bfe_u32 v100, v19, 4, 4
	v_and_b32_e32 v99, 0xffff, v5
	v_mul_i32_i24_e32 v4, v68, v70
	v_add3_u32 v0, v0, v13, v18
	v_mul_i32_i24_e32 v5, v65, v71
	v_mul_i32_i24_e32 v13, v100, v73
	;; [unrolled: 1-line block ×3, first 2 shown]
	v_lshrrev_b16 v7, 8, v1
	s_clause 0x7
	scratch_store_b32 off, v13, off offset:1408
	scratch_store_b32 off, v100, off offset:204
	scratch_store_b32 off, v6, off offset:1416
	scratch_store_b32 off, v99, off offset:200
	scratch_store_b32 off, v5, off offset:1412
	scratch_store_b32 off, v65, off offset:244
	scratch_store_b32 off, v4, off offset:1420
	scratch_store_b32 off, v68, off offset:208
	v_lshrrev_b32_e32 v4, 4, v20
	v_bfe_i32 v76, v7, 0, 8
	v_bfe_i32 v77, v1, 0, 8
	v_ashrrev_i32_e32 v74, 24, v1
	v_bfe_i32 v75, v1, 16, 8
	v_lshrrev_b16 v4, 8, v4
	v_mul_i32_i24_e32 v5, v76, v109
	v_mul_i32_i24_e32 v1, v77, v244
	v_lshrrev_b32_e32 v192, 28, v20
	v_mul_i32_i24_e32 v6, v75, v175
	v_dual_mov_b32 v223, v84 :: v_dual_and_b32 v4, 15, v4
	v_mul_i32_i24_e32 v7, v74, v177
	v_add3_u32 v0, v0, v1, v5
	v_bfe_u32 v195, v20, 20, 4
	s_delay_alu instid0(VALU_DEP_4)
	v_and_b32_e32 v194, 0xffff, v4
	v_bfe_u32 v196, v20, 4, 4
	v_lshrrev_b16 v12, 8, v2
	v_add3_u32 v0, v0, v6, v7
	v_mul_i32_i24_e32 v4, v195, v75
	v_mul_i32_i24_e32 v5, v194, v76
	;; [unrolled: 1-line block ×4, first 2 shown]
	s_clause 0xb
	scratch_store_b32 off, v109, off offset:552
	scratch_store_b32 off, v175, off offset:456
	;; [unrolled: 1-line block ×12, first 2 shown]
	v_lshrrev_b32_e32 v1, 4, v15
	v_bfe_i32 v80, v12, 0, 8
	v_bfe_i32 v81, v2, 0, 8
	v_ashrrev_i32_e32 v78, 24, v2
	v_bfe_i32 v79, v2, 16, 8
	v_lshrrev_b16 v1, 8, v1
	v_mul_i32_i24_e32 v4, v80, v113
	v_mul_i32_i24_e32 v2, v81, v110
	;; [unrolled: 1-line block ×4, first 2 shown]
	v_dual_mov_b32 v166, v223 :: v_dual_and_b32 v1, 15, v1
	s_delay_alu instid0(VALU_DEP_4) | instskip(SKIP_2) | instid1(VALU_DEP_4)
	v_add3_u32 v0, v0, v2, v4
	v_bfe_u32 v208, v15, 4, 4
	v_lshrrev_b32_e32 v197, 28, v15
	v_and_b32_e32 v205, 0xffff, v1
	s_clause 0x2
	scratch_store_b32 off, v198, off offset:460
	scratch_store_b32 off, v110, off offset:556
	;; [unrolled: 1-line block ×3, first 2 shown]
	v_add3_u32 v0, v0, v5, v6
	scratch_store_b32 off, v113, off offset:560 ; 4-byte Folded Spill
	v_mul_i32_i24_e32 v4, v208, v81
	v_mul_i32_i24_e32 v2, v205, v80
	v_mov_b32_e32 v18, v83
	scratch_store_b32 off, v0, off offset:912 ; 4-byte Folded Spill
	v_bfe_u32 v0, v15, 20, 4
	s_clause 0x3
	scratch_store_b32 off, v4, off offset:1440
	scratch_store_b32 off, v208, off offset:240
	;; [unrolled: 1-line block ×4, first 2 shown]
	v_mov_b32_e32 v145, v225
	v_mul_i32_i24_e32 v1, v0, v79
	v_mov_b32_e32 v2, v0
	v_mul_i32_i24_e32 v0, v197, v78
	s_clause 0x3
	scratch_store_b32 off, v1, off offset:1452
	scratch_store_b32 off, v2, off offset:232
	;; [unrolled: 1-line block ×4, first 2 shown]
	s_clause 0x1
	scratch_load_b32 v0, off, off offset:1332
	scratch_load_b32 v1, off, off offset:1304
	scratch_store_b32 off, v18, off offset:1456 ; 4-byte Folded Spill
	s_wait_loadcnt 0x0
	v_add3_u32 v0, s13, v0, v1
	scratch_store_b32 off, v0, off offset:408 ; 4-byte Folded Spill
	scratch_load_b32 v0, off, off offset:1308 ; 4-byte Folded Reload
	s_wait_loadcnt 0x0
	v_add_nc_u32_e32 v0, s16, v0
	ds_load_2addr_b32 v[4:5], v0 offset1:1
	s_wait_dscnt 0x0
	v_and_b32_e32 v1, 15, v4
	v_bfe_u32 v12, v4, 8, 4
	v_bfe_u32 v6, v4, 16, 4
	;; [unrolled: 1-line block ×4, first 2 shown]
	scratch_store_b32 off, v1, off offset:124 ; 4-byte Folded Spill
	v_mul_i32_i24_e32 v1, v26, v1
	s_clause 0x2
	scratch_store_b32 off, v12, off offset:24
	scratch_store_b32 off, v6, off offset:20
	;; [unrolled: 1-line block ×3, first 2 shown]
	v_mul_i32_i24_e32 v6, v25, v6
	v_mul_i32_i24_e32 v7, v24, v7
	v_mad_i32_i24 v1, v23, v12, v1
	v_bfe_u32 v12, v5, 16, 4
	scratch_store_b32 off, v13, off offset:44 ; 4-byte Folded Spill
	v_mul_i32_i24_e32 v13, v27, v13
	v_bfe_u32 v21, v5, 20, 4
	v_add3_u32 v1, v1, v6, v7
	v_and_b32_e32 v6, 15, v5
	v_bfe_u32 v7, v5, 8, 4
	scratch_store_b32 off, v12, off offset:40 ; 4-byte Folded Spill
	v_mul_i32_i24_e32 v12, v28, v12
	v_bfe_u32 v22, v4, 12, 4
	s_clause 0x1
	scratch_store_b32 off, v6, off offset:32
	scratch_store_b32 off, v7, off offset:36
	v_mul_i32_i24_e32 v6, v30, v6
	v_mul_i32_i24_e32 v7, v29, v7
	v_lshrrev_b32_e32 v230, 28, v4
	v_bfe_u32 v240, v5, 4, 4
	v_bfe_u32 v249, v5, 12, 4
	v_lshrrev_b32_e32 v250, 28, v5
	v_add3_u32 v1, v1, v7, v6
	ds_load_2addr_b32 v[6:7], v0 offset0:2 offset1:3
	v_mov_b32_e32 v227, v85
	v_mov_b32_e32 v229, v92
	scratch_store_b32 off, v22, off offset:360 ; 4-byte Folded Spill
	v_add3_u32 v1, v1, v12, v13
	v_mul_i32_i24_e32 v5, v55, v250
	s_wait_dscnt 0x0
	v_and_b32_e32 v12, 15, v6
	v_bfe_u32 v13, v6, 8, 4
	v_bfe_u32 v15, v6, 16, 4
	;; [unrolled: 1-line block ×4, first 2 shown]
	s_clause 0x2
	scratch_store_b32 off, v12, off offset:48
	scratch_store_b32 off, v13, off offset:52
	;; [unrolled: 1-line block ×3, first 2 shown]
	v_mul_i32_i24_e32 v12, v34, v12
	v_mul_i32_i24_e32 v13, v33, v13
	;; [unrolled: 1-line block ×4, first 2 shown]
	v_mov_b32_e32 v248, v20
	v_bfe_u32 v218, v6, 4, 4
	v_add3_u32 v1, v1, v13, v12
	v_and_b32_e32 v12, 15, v7
	v_bfe_u32 v13, v7, 8, 4
	s_delay_alu instid0(VALU_DEP_3)
	v_add3_u32 v1, v1, v15, v19
	scratch_store_b32 off, v12, off offset:72 ; 4-byte Folded Spill
	v_mul_i32_i24_e32 v12, v38, v12
	v_bfe_u32 v15, v7, 16, 4
	scratch_store_b32 off, v13, off         ; 4-byte Folded Spill
	v_mul_i32_i24_e32 v13, v37, v13
	v_mul_i32_i24_e32 v19, v35, v17
	scratch_store_b32 off, v15, off offset:4 ; 4-byte Folded Spill
	v_mul_i32_i24_e32 v15, v36, v15
	v_add3_u32 v1, v1, v13, v12
	ds_load_2addr_b32 v[12:13], v0 offset0:4 offset1:5
	v_add3_u32 v1, v1, v15, v19
	s_wait_dscnt 0x0
	v_and_b32_e32 v15, 15, v12
	scratch_store_b32 off, v17, off offset:8 ; 4-byte Folded Spill
	v_bfe_u32 v17, v12, 8, 4
	v_bfe_u32 v246, v12, 16, 4
	;; [unrolled: 1-line block ×3, first 2 shown]
	scratch_store_b32 off, v15, off offset:12 ; 4-byte Folded Spill
	v_mul_i32_i24_e32 v15, v42, v15
	v_mul_i32_i24_e32 v19, v41, v17
	;; [unrolled: 1-line block ×4, first 2 shown]
	v_and_b32_e32 v204, 15, v13
	v_bfe_u32 v220, v13, 8, 4
	v_add3_u32 v1, v1, v19, v15
	v_bfe_u32 v251, v13, 16, 4
	v_bfe_u32 v232, v13, 24, 4
	v_mul_i32_i24_e32 v15, v46, v204
	v_mul_i32_i24_e32 v19, v45, v220
	v_add3_u32 v1, v1, v20, v82
	v_mul_i32_i24_e32 v20, v44, v251
	v_mul_i32_i24_e32 v82, v43, v232
	scratch_store_b32 off, v17, off offset:16 ; 4-byte Folded Spill
	v_bfe_u32 v98, v12, 20, 4
	v_add3_u32 v1, v1, v19, v15
	v_lshrrev_b32_e32 v97, 28, v12
	v_bfe_u32 v83, v13, 4, 4
	v_mov_b32_e32 v155, v233
	v_mul_i32_i24_e32 v91, v71, v98
	v_add3_u32 v15, v1, v20, v82
	ds_load_2addr_b32 v[0:1], v0 offset0:6 offset1:7
	v_mov_b32_e32 v235, v105
	v_mul_i32_i24_e32 v92, v77, v83
	s_clause 0x1
	scratch_store_b32 off, v98, off offset:1172
	scratch_store_b32 off, v97, off offset:1176
	s_wait_dscnt 0x0
	v_and_b32_e32 v252, 15, v0
	v_bfe_u32 v247, v0, 8, 4
	v_bfe_u32 v228, v0, 16, 4
	v_bfe_u32 v219, v0, 24, 4
	v_and_b32_e32 v17, 15, v1
	v_mul_i32_i24_e32 v19, v10, v252
	v_mul_i32_i24_e32 v20, v49, v247
	;; [unrolled: 1-line block ×4, first 2 shown]
	scratch_store_b32 off, v248, off offset:372 ; 4-byte Folded Spill
	v_bfe_u32 v95, v0, 4, 4
	v_add3_u32 v15, v15, v20, v19
	v_mul_i32_i24_e32 v19, v11, v17
	v_bfe_u32 v17, v1, 8, 4
	s_clause 0x1
	scratch_store_b32 off, v21, off offset:376
	scratch_store_b32 off, v95, off offset:380
	v_add3_u32 v15, v15, v82, v84
	v_mul_i32_i24_e32 v82, v63, v218
	v_mul_i32_i24_e32 v20, v51, v17
	v_bfe_u32 v17, v1, 16, 4
	v_bfe_u32 v206, v0, 12, 4
	;; [unrolled: 1-line block ×3, first 2 shown]
	v_mul_i32_i24_e32 v152, v81, v95
	v_add3_u32 v15, v15, v20, v19
	v_mul_i32_i24_e32 v17, v50, v17
	v_bfe_u32 v19, v4, 20, 4
	v_mul_i32_i24_e32 v20, v59, v21
	v_bfe_u32 v21, v6, 20, 4
	v_mul_i32_i24_e32 v158, v80, v206
	s_clause 0x1
	scratch_store_b32 off, v17, off offset:1640
	scratch_store_b32 off, v15, off offset:1644
	v_bfe_u32 v17, v1, 24, 4
	v_bfe_u32 v15, v4, 4, 4
	v_mul_i32_i24_e32 v4, v96, v230
	scratch_store_b32 off, v21, off offset:888 ; 4-byte Folded Spill
	v_mul_i32_i24_e32 v85, v62, v21
	s_clause 0x1
	scratch_store_b32 off, v17, off offset:60
	scratch_store_b32 off, v15, off offset:848
	v_mul_i32_i24_e32 v15, v18, v15
	v_mov_b32_e32 v17, v69
	v_bfe_u32 v21, v7, 4, 4
	scratch_store_b32 off, v19, off offset:64 ; 4-byte Folded Spill
	v_bfe_u32 v69, v13, 20, 4
	v_mad_i32_i24 v15, v53, v22, v15
	v_mul_i32_i24_e32 v19, v17, v19
	v_bfe_u32 v22, v6, 12, 4
	v_lshrrev_b32_e32 v6, 28, v6
	scratch_store_b32 off, v21, off offset:68 ; 4-byte Folded Spill
	v_mul_i32_i24_e32 v86, v67, v21
	v_add3_u32 v4, v15, v19, v4
	v_mul_i32_i24_e32 v15, v60, v240
	v_mul_i32_i24_e32 v19, v56, v249
	v_mul_i32_i24_e32 v84, v57, v22
	s_clause 0x1
	scratch_store_b32 off, v22, off offset:852
	scratch_store_b32 off, v6, off offset:856
	v_mul_i32_i24_e32 v6, v61, v6
	v_add3_u32 v4, v4, v15, v19
	v_bfe_u32 v21, v7, 12, 4
	v_bfe_u32 v22, v7, 20, 4
	v_lshrrev_b32_e32 v7, 28, v7
	v_mul_i32_i24_e32 v143, v75, v69
	v_add3_u32 v4, v4, v20, v5
	scratch_store_b32 off, v21, off offset:860 ; 4-byte Folded Spill
	v_mul_i32_i24_e32 v87, v58, v21
	v_bfe_u32 v21, v12, 4, 4
	v_mul_i32_i24_e32 v88, v66, v22
	v_add3_u32 v4, v4, v82, v84
	scratch_store_b32 off, v22, off offset:760 ; 4-byte Folded Spill
	v_bfe_u32 v22, v13, 12, 4
	s_clause 0x1
	scratch_store_b32 off, v21, off offset:1192
	scratch_store_b32 off, v7, off offset:1204
	v_add3_u32 v4, v4, v85, v6
	v_mul_i32_i24_e32 v7, v64, v7
	v_mul_i32_i24_e32 v89, v73, v21
	v_bfe_u32 v21, v12, 12, 4
	v_mul_i32_i24_e32 v12, v70, v97
	v_add3_u32 v4, v4, v86, v87
	v_mul_i32_i24_e32 v93, v76, v22
	v_lshrrev_b32_e32 v193, 28, v0
	v_mul_i32_i24_e32 v90, v72, v21
	scratch_store_b32 off, v21, off offset:864 ; 4-byte Folded Spill
	v_add3_u32 v4, v4, v88, v7
	v_lshrrev_b32_e32 v21, 28, v13
	v_mul_i32_i24_e32 v159, v79, v207
	v_mul_i32_i24_e32 v0, v78, v193
	v_bfe_u32 v54, v1, 20, 4
	v_add3_u32 v4, v4, v89, v90
	v_mul_i32_i24_e32 v13, v74, v21
	s_clause 0x4
	scratch_store_b32 off, v17, off offset:1460
	scratch_store_b32 off, v96, off offset:1464
	;; [unrolled: 1-line block ×5, first 2 shown]
	v_add3_u32 v4, v4, v91, v12
	s_clause 0x4
	scratch_store_b32 off, v21, off offset:868
	scratch_store_b32 off, v206, off offset:1052
	;; [unrolled: 1-line block ×5, first 2 shown]
	v_add3_u32 v4, v4, v92, v93
	s_delay_alu instid0(VALU_DEP_1) | instskip(NEXT) | instid1(VALU_DEP_1)
	v_add3_u32 v4, v4, v143, v13
	v_add3_u32 v4, v4, v152, v158
	s_delay_alu instid0(VALU_DEP_1)
	v_add3_u32 v0, v4, v159, v0
	scratch_store_b32 off, v0, off offset:1648 ; 4-byte Folded Spill
	s_clause 0x1
	scratch_load_b32 v0, off, off offset:1312
	scratch_load_b32 v4, off, off offset:1336
	scratch_store_b32 off, v52, off offset:1688 ; 4-byte Folded Spill
	s_wait_loadcnt 0x0
	v_add3_u32 v0, s13, v4, v0
	scratch_load_b32 v4, off, off offset:1316 ; 4-byte Folded Reload
	s_wait_loadcnt 0x0
	v_add_nc_u32_e32 v4, s16, v4
	ds_load_2addr_b32 v[5:6], v4 offset1:1
	s_wait_dscnt 0x0
	v_and_b32_e32 v12, 15, v5
	v_bfe_u32 v13, v5, 16, 4
	v_bfe_u32 v15, v5, 8, 4
	;; [unrolled: 1-line block ×3, first 2 shown]
	s_delay_alu instid0(VALU_DEP_4)
	v_mul_i32_i24_e32 v7, v26, v12
	v_mov_b32_e32 v105, v12
	v_mul_i32_i24_e32 v12, v25, v13
	v_mov_b32_e32 v106, v13
	v_bfe_u32 v13, v5, 24, 4
	v_mad_i32_i24 v7, v23, v15, v7
	scratch_store_b32 off, v19, off offset:1000 ; 4-byte Folded Spill
	v_mul_i32_i24_e32 v19, v27, v19
	scratch_store_b32 off, v13, off offset:780 ; 4-byte Folded Spill
	v_mul_i32_i24_e32 v13, v24, v13
	s_delay_alu instid0(VALU_DEP_1)
	v_add3_u32 v7, v7, v12, v13
	v_and_b32_e32 v12, 15, v6
	v_bfe_u32 v13, v6, 8, 4
	scratch_store_b32 off, v15, off offset:772 ; 4-byte Folded Spill
	v_bfe_u32 v15, v6, 16, 4
	scratch_store_b32 off, v12, off offset:992 ; 4-byte Folded Spill
	v_mul_i32_i24_e32 v12, v30, v12
	scratch_store_b32 off, v13, off offset:776 ; 4-byte Folded Spill
	v_mul_i32_i24_e32 v13, v29, v13
	;; [unrolled: 2-line block ×3, first 2 shown]
	v_add3_u32 v7, v7, v13, v12
	ds_load_2addr_b32 v[12:13], v4 offset0:2 offset1:3
	v_add3_u32 v7, v7, v15, v19
	s_wait_dscnt 0x0
	v_and_b32_e32 v15, 15, v12
	v_bfe_u32 v19, v12, 8, 4
	v_bfe_u32 v20, v12, 16, 4
	;; [unrolled: 1-line block ×3, first 2 shown]
	scratch_store_b32 off, v15, off offset:1004 ; 4-byte Folded Spill
	v_mul_i32_i24_e32 v15, v34, v15
	s_clause 0x1
	scratch_store_b32 off, v19, off offset:1008
	scratch_store_b32 off, v20, off offset:1012
	v_mul_i32_i24_e32 v19, v33, v19
	v_mul_i32_i24_e32 v20, v32, v20
	s_delay_alu instid0(VALU_DEP_2)
	v_add3_u32 v7, v7, v19, v15
	v_and_b32_e32 v15, 15, v13
	scratch_store_b32 off, v23, off offset:1096 ; 4-byte Folded Spill
	v_mul_i32_i24_e32 v23, v31, v23
	v_bfe_u32 v19, v13, 8, 4
	scratch_store_b32 off, v15, off offset:1100 ; 4-byte Folded Spill
	v_mul_i32_i24_e32 v15, v38, v15
	v_add3_u32 v7, v7, v20, v23
	v_bfe_u32 v20, v13, 16, 4
	scratch_store_b32 off, v19, off offset:1104 ; 4-byte Folded Spill
	v_mul_i32_i24_e32 v19, v37, v19
	v_bfe_u32 v23, v13, 24, 4
	scratch_store_b32 off, v20, off offset:1108 ; 4-byte Folded Spill
	v_mul_i32_i24_e32 v20, v36, v20
	v_add3_u32 v7, v7, v19, v15
	scratch_store_b32 off, v23, off offset:840 ; 4-byte Folded Spill
	v_mul_i32_i24_e32 v23, v35, v23
	s_delay_alu instid0(VALU_DEP_1)
	v_add3_u32 v7, v7, v20, v23
	ds_load_2addr_b32 v[19:20], v4 offset0:4 offset1:5
	s_wait_dscnt 0x0
	v_and_b32_e32 v15, 15, v19
	v_bfe_u32 v23, v19, 8, 4
	v_bfe_u32 v24, v19, 16, 4
	;; [unrolled: 1-line block ×4, first 2 shown]
	s_clause 0x3
	scratch_store_b32 off, v15, off offset:1112
	scratch_store_b32 off, v23, off offset:1116
	;; [unrolled: 1-line block ×4, first 2 shown]
	v_mul_i32_i24_e32 v15, v42, v15
	v_mul_i32_i24_e32 v23, v41, v23
	;; [unrolled: 1-line block ×4, first 2 shown]
	v_lshrrev_b32_e32 v34, 28, v19
	v_mul_i32_i24_e32 v33, v71, v139
	v_add3_u32 v7, v7, v23, v15
	v_and_b32_e32 v15, 15, v20
	v_bfe_u32 v23, v20, 8, 4
	v_bfe_u32 v138, v20, 4, 4
	;; [unrolled: 1-line block ×3, first 2 shown]
	v_add3_u32 v7, v7, v24, v25
	scratch_store_b32 off, v15, off offset:1128 ; 4-byte Folded Spill
	v_mul_i32_i24_e32 v15, v46, v15
	v_bfe_u32 v24, v20, 16, 4
	scratch_store_b32 off, v23, off offset:1132 ; 4-byte Folded Spill
	v_mul_i32_i24_e32 v23, v45, v23
	v_bfe_u32 v25, v20, 24, 4
	v_mov_b32_e32 v255, v34
	scratch_store_b32 off, v24, off offset:1136 ; 4-byte Folded Spill
	v_mul_i32_i24_e32 v24, v44, v24
	v_add3_u32 v7, v7, v23, v15
	scratch_store_b32 off, v25, off offset:1140 ; 4-byte Folded Spill
	v_mul_i32_i24_e32 v25, v43, v25
	v_bfe_u32 v125, v20, 20, 4
	v_mul_i32_i24_e32 v35, v76, v238
	v_lshrrev_b32_e32 v127, 28, v20
	s_delay_alu instid0(VALU_DEP_4)
	v_add3_u32 v7, v7, v24, v25
	ds_load_2addr_b32 v[23:24], v4 offset0:6 offset1:7
	v_mul_i32_i24_e32 v36, v75, v125
	v_mul_i32_i24_e32 v20, v74, v127
	s_wait_dscnt 0x0
	v_and_b32_e32 v4, 15, v23
	v_bfe_u32 v15, v23, 16, 4
	v_bfe_u32 v25, v23, 24, 4
	;; [unrolled: 1-line block ×4, first 2 shown]
	s_clause 0x2
	scratch_store_b32 off, v4, off offset:1144
	scratch_store_b32 off, v15, off offset:1152
	scratch_store_b32 off, v25, off offset:1156
	v_mul_i32_i24_e32 v4, v10, v4
	v_bfe_u32 v10, v23, 8, 4
	v_mul_i32_i24_e32 v15, v48, v15
	v_mul_i32_i24_e32 v25, v47, v25
	v_bfe_u32 v129, v23, 20, 4
	v_mul_i32_i24_e32 v37, v81, v128
	scratch_store_b32 off, v10, off offset:1148 ; 4-byte Folded Spill
	v_mul_i32_i24_e32 v10, v49, v10
	v_mul_i32_i24_e32 v38, v80, v130
	v_lshrrev_b32_e32 v243, 28, v23
	v_mul_i32_i24_e32 v39, v79, v129
	v_bfe_u32 v253, v24, 12, 4
	v_add3_u32 v4, v7, v10, v4
	v_and_b32_e32 v7, 15, v24
	v_bfe_u32 v10, v24, 8, 4
	v_mul_i32_i24_e32 v23, v78, v243
	s_delay_alu instid0(VALU_DEP_4)
	v_add3_u32 v4, v4, v15, v25
	scratch_store_b32 off, v7, off offset:1160 ; 4-byte Folded Spill
	v_mul_i32_i24_e32 v7, v11, v7
	v_bfe_u32 v11, v24, 16, 4
	v_bfe_u32 v15, v24, 24, 4
	scratch_store_b32 off, v10, off offset:1164 ; 4-byte Folded Spill
	v_mul_i32_i24_e32 v10, v51, v10
	s_clause 0x1
	scratch_store_b32 off, v11, off offset:1168
	scratch_store_b32 off, v15, off offset:844
	v_mul_i32_i24_e32 v11, v50, v11
	v_add3_u32 v4, v4, v10, v7
	ds_load_u16 v7, v0
	ds_load_u16 v10, v0 offset:8
	v_mul_i32_i24_e32 v15, v52, v15
	s_clause 0x6
	scratch_store_b32 off, v255, off offset:964
	scratch_store_b32 off, v238, off offset:968
	;; [unrolled: 1-line block ×7, first 2 shown]
	v_add3_u32 v4, v4, v11, v15
	v_bfe_u32 v15, v5, 12, 4
	s_clause 0x1
	scratch_store_b32 off, v128, off offset:748
	scratch_store_b32 off, v130, off offset:752
	s_wait_dscnt 0x1
	v_and_b32_e32 v0, 0xff, v7
	v_lshrrev_b16 v11, 8, v7
	v_bfe_u32 v7, v5, 20, 4
	s_wait_dscnt 0x0
	v_cvt_f32_ubyte0_e32 v95, v10
	v_cvt_f32_ubyte1_e32 v54, v10
	scratch_store_b32 off, v0, off offset:1092 ; 4-byte Folded Spill
	v_mul_lo_u32 v0, v4, v0
	scratch_store_b32 off, v7, off offset:836 ; 4-byte Folded Spill
	v_mul_i32_i24_e32 v7, v17, v7
	v_bfe_u32 v17, v6, 20, 4
	v_and_b32_e32 v108, 0xffff, v11
	v_cvt_f32_i32_e32 v4, v0
	v_bfe_u32 v0, v5, 4, 4
	v_lshrrev_b32_e32 v5, 28, v5
	s_clause 0x2
	scratch_store_b32 off, v15, off offset:1064
	scratch_store_b32 off, v108, off offset:436
	;; [unrolled: 1-line block ×3, first 2 shown]
	v_mul_i32_i24_e32 v0, v18, v0
	scratch_store_b32 off, v5, off offset:1068 ; 4-byte Folded Spill
	v_mul_i32_i24_e32 v5, v96, v5
	v_bfe_u32 v18, v12, 20, 4
	v_mov_b32_e32 v96, v115
	v_mad_i32_i24 v0, v53, v15, v0
	v_mul_i32_i24_e32 v15, v59, v17
	v_mov_b32_e32 v115, v162
	v_mul_i32_i24_e32 v27, v62, v18
	s_delay_alu instid0(VALU_DEP_4)
	v_add3_u32 v0, v0, v7, v5
	v_bfe_u32 v5, v6, 4, 4
	v_bfe_u32 v7, v6, 12, 4
	scratch_store_b32 off, v17, off offset:1076 ; 4-byte Folded Spill
	v_lshrrev_b32_e32 v6, 28, v6
	v_bfe_u32 v17, v12, 4, 4
	scratch_store_b32 off, v5, off offset:1072 ; 4-byte Folded Spill
	v_mul_i32_i24_e32 v5, v60, v5
	s_clause 0x2
	scratch_store_b32 off, v7, off offset:804
	scratch_store_b32 off, v18, off offset:800
	;; [unrolled: 1-line block ×3, first 2 shown]
	v_mul_i32_i24_e32 v7, v56, v7
	scratch_store_b32 off, v6, off offset:792 ; 4-byte Folded Spill
	v_mul_i32_i24_e32 v6, v55, v6
	v_mul_i32_i24_e32 v25, v63, v17
	v_bfe_u32 v17, v12, 12, 4
	v_add3_u32 v0, v0, v5, v7
	v_lshrrev_b32_e32 v12, 28, v12
	v_bfe_u32 v18, v13, 20, 4
	scratch_store_b32 off, v17, off offset:808 ; 4-byte Folded Spill
	v_mul_i32_i24_e32 v26, v57, v17
	v_bfe_u32 v17, v13, 4, 4
	v_add3_u32 v0, v0, v15, v6
	scratch_store_b32 off, v18, off offset:1084 ; 4-byte Folded Spill
	v_mul_i32_i24_e32 v30, v66, v18
	scratch_store_b32 off, v17, off offset:1080 ; 4-byte Folded Spill
	v_mul_i32_i24_e32 v28, v67, v17
	v_bfe_u32 v17, v13, 12, 4
	scratch_store_b32 off, v12, off offset:812 ; 4-byte Folded Spill
	v_mul_i32_i24_e32 v12, v61, v12
	v_add3_u32 v0, v0, v25, v26
	v_lshrrev_b32_e32 v13, 28, v13
	scratch_store_b32 off, v17, off offset:816 ; 4-byte Folded Spill
	v_mul_i32_i24_e32 v29, v58, v17
	v_bfe_u32 v17, v19, 4, 4
	v_add3_u32 v0, v0, v27, v12
	scratch_store_b32 off, v13, off offset:1088 ; 4-byte Folded Spill
	v_mul_i32_i24_e32 v13, v64, v13
	scratch_store_b32 off, v17, off offset:1056 ; 4-byte Folded Spill
	v_mul_i32_i24_e32 v31, v73, v17
	v_bfe_u32 v17, v19, 12, 4
	v_add3_u32 v0, v0, v28, v29
	v_mul_i32_i24_e32 v19, v70, v34
	v_mul_i32_i24_e32 v34, v77, v138
	s_delay_alu instid0(VALU_DEP_4) | instskip(NEXT) | instid1(VALU_DEP_4)
	v_mul_i32_i24_e32 v32, v72, v17
	v_add3_u32 v0, v0, v30, v13
	scratch_store_b32 off, v17, off offset:820 ; 4-byte Folded Spill
	v_bfe_u32 v17, v24, 20, 4
	v_add3_u32 v0, v0, v31, v32
	scratch_store_b32 off, v17, off offset:1252 ; 4-byte Folded Spill
	v_bfe_u32 v17, v24, 4, 4
	scratch_store_b32 off, v125, off offset:828 ; 4-byte Folded Spill
	v_add3_u32 v0, v0, v33, v19
	scratch_store_b32 off, v17, off offset:832 ; 4-byte Folded Spill
	v_lshrrev_b32_e32 v17, 28, v24
	v_add3_u32 v0, v0, v34, v35
	scratch_store_b32 off, v17, off offset:444 ; 4-byte Folded Spill
	v_add3_u32 v0, v0, v36, v20
	s_delay_alu instid0(VALU_DEP_1) | instskip(NEXT) | instid1(VALU_DEP_1)
	v_add3_u32 v0, v0, v37, v38
	v_add3_u32 v0, v0, v39, v23
	scratch_store_b32 off, v0, off offset:916 ; 4-byte Folded Spill
	scratch_load_b32 v0, off, off offset:1264 ; 4-byte Folded Reload
	s_wait_loadcnt 0x0
	v_or_b32_e32 v5, s12, v0
	s_delay_alu instid0(VALU_DEP_1)
	v_lshlrev_b32_e32 v6, 2, v5
	ds_load_b128 v[10:13], v6 offset:16896
	ds_load_b128 v[23:26], v6 offset:16912
	;; [unrolled: 1-line block ×4, first 2 shown]
	v_lshrrev_b32_e32 v33, 1, v5
	s_clause 0x11
	scratch_store_b32 off, v144, off offset:704
	scratch_store_b32 off, v150, off offset:708
	;; [unrolled: 1-line block ×18, first 2 shown]
	s_wait_dscnt 0x3
	v_bfe_i32 v51, v10, 0, 8
	v_bfe_i32 v38, v10, 8, 8
	v_bfe_i32 v87, v10, 16, 8
	v_ashrrev_i32_e32 v88, 24, v10
	s_wait_dscnt 0x2
	v_bfe_i32 v82, v26, 0, 8
	v_bfe_i32 v84, v26, 8, 8
	v_bfe_i32 v85, v26, 16, 8
	v_ashrrev_i32_e32 v86, 24, v26
	s_wait_dscnt 0x1
	v_bfe_i32 v26, v29, 0, 8
	v_bfe_i32 v5, v29, 8, 8
	v_bfe_i32 v28, v29, 16, 8
	v_ashrrev_i32_e32 v36, 24, v29
	v_mul_i32_i24_e32 v29, v51, v137
	v_bfe_i32 v39, v11, 0, 8
	v_bfe_i32 v40, v11, 8, 8
	v_bfe_i32 v41, v11, 16, 8
	v_ashrrev_i32_e32 v42, 24, v11
	v_bfe_i32 v43, v12, 0, 8
	v_bfe_i32 v44, v12, 8, 8
	v_bfe_i32 v45, v12, 16, 8
	v_ashrrev_i32_e32 v46, 24, v12
	v_bfe_i32 v47, v13, 0, 8
	v_bfe_i32 v48, v13, 8, 8
	v_bfe_i32 v49, v13, 16, 8
	v_ashrrev_i32_e32 v50, 24, v13
	v_bfe_i32 v6, v30, 0, 8
	v_bfe_i32 v7, v30, 8, 8
	v_bfe_i32 v10, v30, 16, 8
	v_ashrrev_i32_e32 v11, 24, v30
	v_bfe_i32 v12, v31, 0, 8
	v_bfe_i32 v13, v31, 8, 8
	v_bfe_i32 v15, v31, 16, 8
	v_ashrrev_i32_e32 v19, 24, v31
	v_mul_i32_i24_e32 v30, v87, v144
	v_mul_i32_i24_e32 v31, v88, v150
	v_mad_i32_i24 v29, v38, v136, v29
	v_bfe_i32 v63, v23, 0, 8
	v_bfe_i32 v64, v23, 8, 8
	;; [unrolled: 1-line block ×3, first 2 shown]
	v_ashrrev_i32_e32 v67, 24, v23
	v_add3_u32 v29, v29, v30, v31
	v_mul_i32_i24_e32 v30, v39, v170
	v_mul_i32_i24_e32 v31, v40, v171
	v_bfe_i32 v70, v24, 0, 8
	v_bfe_i32 v71, v24, 8, 8
	v_bfe_i32 v72, v24, 16, 8
	v_ashrrev_i32_e32 v77, 24, v24
	v_bfe_i32 v78, v25, 0, 8
	v_bfe_i32 v79, v25, 8, 8
	v_bfe_i32 v80, v25, 16, 8
	v_ashrrev_i32_e32 v81, 24, v25
	;; [unrolled: 4-line block ×3, first 2 shown]
	v_mul_i32_i24_e32 v32, v41, v173
	v_mul_i32_i24_e32 v34, v42, v187
	v_add3_u32 v29, v29, v30, v31
	v_mul_i32_i24_e32 v35, v43, v188
	v_mul_i32_i24_e32 v37, v44, v190
	v_mul_i32_i24_e32 v53, v45, v191
	v_mul_i32_i24_e32 v59, v46, v94
	v_add3_u32 v29, v29, v32, v34
	v_mul_i32_i24_e32 v60, v47, v96
	v_mul_i32_i24_e32 v61, v48, v115
	;; [unrolled: 5-line block ×3, first 2 shown]
	v_mul_i32_i24_e32 v32, v36, v215
	v_mad_i32_i24 v30, v5, v117, v30
	v_add3_u32 v29, v29, v53, v59
	v_mul_i32_i24_e32 v74, v63, v123
	v_mul_i32_i24_e32 v75, v64, v157
	;; [unrolled: 1-line block ×3, first 2 shown]
	v_add3_u32 v30, v30, v31, v32
	v_add3_u32 v29, v29, v60, v61
	v_mul_i32_i24_e32 v31, v6, v221
	v_mul_i32_i24_e32 v32, v7, v222
	;; [unrolled: 1-line block ×4, first 2 shown]
	v_add3_u32 v29, v29, v62, v73
	v_mul_i32_i24_e32 v35, v11, v217
	v_add3_u32 v30, v30, v31, v32
	v_mul_i32_i24_e32 v90, v70, v174
	v_mul_i32_i24_e32 v91, v71, v140
	v_add3_u32 v29, v29, v74, v75
	v_mul_i32_i24_e32 v37, v12, v225
	;; [unrolled: 3-line block ×3, first 2 shown]
	v_add3_u32 v29, v29, v76, v89
	v_mul_i32_i24_e32 v93, v77, v146
	v_mul_i32_i24_e32 v59, v15, v223
	;; [unrolled: 1-line block ×3, first 2 shown]
	v_add3_u32 v30, v30, v37, v53
	v_add3_u32 v29, v29, v90, v91
	v_mul_i32_i24_e32 v143, v78, v148
	v_mul_i32_i24_e32 v152, v79, v167
	;; [unrolled: 1-line block ×4, first 2 shown]
	v_add3_u32 v29, v29, v92, v93
	v_add3_u32 v30, v30, v59, v60
	s_wait_dscnt 0x0
	v_bfe_i32 v27, v55, 0, 8
	v_mul_i32_i24_e32 v158, v80, v186
	v_mul_i32_i24_e32 v159, v81, v147
	v_add3_u32 v29, v29, v143, v152
	v_mul_i32_i24_e32 v73, v24, v227
	v_mul_i32_i24_e32 v74, v25, v229
	v_add3_u32 v30, v30, v61, v62
	v_bfe_i32 v14, v55, 8, 8
	v_mul_i32_i24_e32 v160, v82, v179
	v_mul_i32_i24_e32 v162, v84, v153
	v_add3_u32 v29, v29, v158, v159
	v_mul_i32_i24_e32 v89, v27, v235
	v_add3_u32 v32, v30, v73, v74
	v_bfe_i32 v90, v55, 16, 8
	v_ashrrev_i32_e32 v55, 24, v55
	v_mul_i32_i24_e32 v35, v14, v236
	v_add3_u32 v29, v29, v160, v162
	v_bfe_i32 v91, v56, 0, 8
	v_bfe_i32 v143, v56, 8, 8
	v_bfe_i32 v162, v58, 0, 8
	v_bfe_i32 v164, v58, 8, 8
	v_bfe_i32 v31, v58, 16, 8
	v_ashrrev_i32_e32 v234, 24, v58
	v_mul_i32_i24_e32 v37, v90, v165
	v_mul_i32_i24_e32 v58, v55, v168
	v_add3_u32 v32, v32, v89, v35
	v_bfe_i32 v152, v56, 16, 8
	v_ashrrev_i32_e32 v56, 24, v56
	v_mul_i32_i24_e32 v59, v91, v244
	v_mul_i32_i24_e32 v60, v143, v109
	v_add3_u32 v32, v32, v37, v58
	v_bfe_i32 v158, v57, 0, 8
	v_bfe_i32 v159, v57, 8, 8
	v_mul_i32_i24_e32 v61, v152, v175
	v_mul_i32_i24_e32 v62, v56, v177
	v_add3_u32 v32, v32, v59, v60
	v_mul_i32_i24_e32 v163, v85, v156
	v_mov_b32_e32 v141, v215
	v_dual_mov_b32 v157, v221 :: v_dual_mov_b32 v140, v222
	v_dual_mov_b32 v161, v217 :: v_dual_mov_b32 v146, v226
	v_mov_b32_e32 v167, v224
	v_mov_b32_e32 v153, v231
	v_dual_mov_b32 v147, v227 :: v_dual_mov_b32 v148, v229
	v_mov_b32_e32 v156, v235
	v_mul_i32_i24_e32 v92, v158, v110
	v_mul_i32_i24_e32 v93, v159, v113
	v_add3_u32 v32, v32, v61, v62
	s_clause 0xa
	scratch_store_b32 off, v116, off offset:1724
	scratch_store_b32 off, v174, off offset:1720
	;; [unrolled: 1-line block ×11, first 2 shown]
	v_add3_u32 v32, v32, v92, v93
	v_mov_b32_e32 v177, v176
	v_dual_mov_b32 v117, v254 :: v_dual_mov_b32 v254, v211
	s_clause 0x1
	scratch_store_b32 off, v157, off offset:492
	scratch_store_b32 off, v145, off offset:496
	v_and_b32_e32 v92, 15, v16
	s_clause 0x1
	scratch_store_b32 off, v146, off offset:500
	scratch_store_b32 off, v153, off offset:504
	ds_load_b64 v[75:76], v237 offset:27200
	ds_load_b64 v[73:74], v33 offset:27200
	s_clause 0x3
	scratch_load_b32 v0, off, off offset:348
	scratch_load_b32 v18, off, off offset:488
	;; [unrolled: 1-line block ×4, first 2 shown]
	v_mul_i32_i24_e32 v30, v52, v239
	v_mul_i32_i24_e32 v33, v86, v239
	v_bfe_i32 v160, v57, 16, 8
	v_ashrrev_i32_e32 v57, 24, v57
	scratch_load_b32 v176, off, off offset:276 ; 4-byte Folded Reload
	v_add3_u32 v8, v9, v8, v30
	v_add3_u32 v29, v29, v163, v33
	v_mul_i32_i24_e32 v163, v160, v198
	v_mul_i32_i24_e32 v165, v57, v245
	v_mov_b32_e32 v52, v95
	v_mul_lo_u32 v8, v8, v241
	v_mul_lo_u32 v9, v29, v241
	v_mov_b32_e32 v175, v114
	v_add3_u32 v37, v32, v163, v165
	v_mov_b32_e32 v114, v104
	v_mov_b32_e32 v104, v120
	;; [unrolled: 1-line block ×3, first 2 shown]
	v_mul_i32_i24_e32 v58, v117, v41
	v_cvt_f32_i32_e32 v8, v8
	v_cvt_f32_i32_e32 v9, v9
	v_mul_i32_i24_e32 v59, v178, v42
	v_mov_b32_e32 v168, v212
	v_mul_i32_i24_e32 v61, v254, v44
	s_wait_dscnt 0x1
	v_fma_mix_f32 v29, v75, v8, 0 op_sel_hi:[1,0,0]
	s_wait_dscnt 0x0
	v_fma_mix_f32 v30, v73, v9, 0 op_sel_hi:[1,0,0]
	v_mul_i32_i24_e32 v89, v111, v46
	v_mul_i32_i24_e32 v60, v168, v43
	v_mov_b32_e32 v111, v209
	v_mul_i32_i24_e32 v165, v202, v48
	v_mul_i32_i24_e32 v209, v200, v49
	;; [unrolled: 1-line block ×13, first 2 shown]
	s_clause 0x2
	scratch_store_b32 off, v239, off offset:740
	scratch_store_b32 off, v241, off offset:744
	;; [unrolled: 1-line block ×3, first 2 shown]
	v_mul_i32_i24_e32 v226, v172, v80
	v_mul_i32_i24_e32 v227, v169, v81
	;; [unrolled: 1-line block ×3, first 2 shown]
	v_bfe_u32 v92, v16, 16, 4
	v_mul_i32_i24_e32 v242, v149, v84
	s_clause 0x2
	scratch_load_b32 v109, off, off offset:72
	scratch_load_b32 v198, off, off
	scratch_load_b32 v199, off, off offset:12
	v_mul_i32_i24_e32 v244, v92, v85
	v_bfe_u32 v92, v16, 24, 4
	v_bfe_u32 v235, v16, 12, 4
	;; [unrolled: 1-line block ×3, first 2 shown]
	v_mov_b32_e32 v202, v246
	scratch_load_b32 v184, off, off offset:852 ; 4-byte Folded Reload
	v_mul_i32_i24_e32 v245, v92, v86
	s_clause 0x2
	scratch_load_b32 v92, off, off offset:56
	scratch_load_b32 v95, off, off offset:888
	;; [unrolled: 1-line block ×3, first 2 shown]
	v_bfe_u32 v229, v1, 8, 4
	v_bfe_u32 v151, v1, 4, 4
	v_and_b32_e32 v221, 15, v1
	v_bfe_u32 v231, v1, 16, 4
	v_bfe_u32 v180, v1, 12, 4
	v_mul_i32_i24_e32 v246, v84, v229
	s_clause 0x5
	scratch_store_b32 off, v236, off offset:516
	scratch_store_b32 off, v52, off offset:440
	;; [unrolled: 1-line block ×6, first 2 shown]
	v_mov_b32_e32 v222, v228
	scratch_load_b32 v228, off, off offset:360 ; 4-byte Folded Reload
	s_clause 0xd
	scratch_store_b32 off, v168, off offset:296
	scratch_store_b32 off, v254, off offset:292
	;; [unrolled: 1-line block ×14, first 2 shown]
	s_wait_loadcnt 0xc
	v_fma_mix_f32 v8, v0, v73, 0 op_sel:[0,1,0] op_sel_hi:[0,1,0]
	v_fma_mix_f32 v9, v0, v75, 0 op_sel:[0,1,0] op_sel_hi:[0,1,0]
	scratch_load_b32 v0, off, off offset:248 ; 4-byte Folded Reload
	s_wait_loadcnt 0xc
	v_mul_i32_i24_e32 v33, v162, v18
	s_wait_loadcnt 0xb
	v_mul_i32_i24_e32 v34, v164, v237
	s_delay_alu instid0(VALU_DEP_1)
	v_add3_u32 v33, v37, v33, v34
	s_wait_loadcnt 0x0
	v_fma_mix_f32 v9, v0, v76, v9 op_sel:[0,1,0] op_sel_hi:[0,1,0]
	v_fma_mix_f32 v8, v0, v74, v8 op_sel:[0,1,0] op_sel_hi:[0,1,0]
	scratch_load_b32 v0, off, off offset:404 ; 4-byte Folded Reload
	s_wait_loadcnt 0x0
	v_mul_f32_e32 v32, v8, v0
	s_clause 0x1
	scratch_load_b32 v0, off, off offset:388
	scratch_load_b32 v8, off, off offset:396
	s_wait_loadcnt 0x1
	v_mul_f32_e32 v35, v9, v0
	v_fma_mix_f32 v0, v75, v4, 0 op_sel_hi:[1,0,0]
	v_fma_mix_f32 v4, v75, v52, 0 op_sel:[1,0,0] op_sel_hi:[1,0,0]
	s_wait_loadcnt 0x0
	v_mov_b32_e32 v53, v8
	v_mul_i32_i24_e32 v9, v104, v88
	scratch_store_b32 off, v0, off offset:1676 ; 4-byte Folded Spill
	v_fma_mix_f32 v4, v76, v54, v4 op_sel:[1,0,0] op_sel_hi:[1,0,0]
	s_delay_alu instid0(VALU_DEP_1)
	v_mul_f32_e32 v0, v4, v8
	v_mul_i32_i24_e32 v4, v175, v51
	v_mul_i32_i24_e32 v8, v114, v87
	scratch_store_b32 off, v0, off offset:1680 ; 4-byte Folded Spill
	v_mad_i32_i24 v4, v120, v38, v4
	v_mov_b32_e32 v0, v210
	v_mul_i32_i24_e32 v210, v201, v50
	scratch_load_b32 v201, off, off offset:16 ; 4-byte Folded Reload
	scratch_store_b32 off, v117, off offset:284 ; 4-byte Folded Spill
	v_add3_u32 v4, v4, v8, v9
	v_mul_i32_i24_e32 v8, v177, v39
	v_mul_i32_i24_e32 v9, v176, v40
	;; [unrolled: 1-line block ×3, first 2 shown]
	scratch_store_b32 off, v0, off offset:288 ; 4-byte Folded Spill
	v_add3_u32 v4, v4, v8, v9
	v_mul_i32_i24_e32 v8, v135, v28
	v_mul_i32_i24_e32 v9, v142, v36
	s_delay_alu instid0(VALU_DEP_3)
	v_add3_u32 v4, v4, v58, v59
	v_mul_i32_i24_e32 v59, v131, v11
	scratch_load_b32 v131, off, off offset:36 ; 4-byte Folded Reload
	v_mul_i32_i24_e32 v58, v132, v10
	scratch_load_b32 v132, off, off offset:40 ; 4-byte Folded Reload
	v_add3_u32 v4, v4, v60, v61
	v_mul_i32_i24_e32 v60, v122, v12
	v_mul_i32_i24_e32 v61, v119, v13
	s_clause 0x1
	scratch_load_b32 v119, off, off offset:20
	scratch_load_b32 v122, off, off offset:24
	v_add3_u32 v4, v4, v62, v89
	v_mul_i32_i24_e32 v62, v118, v15
	scratch_load_b32 v118, off, off offset:124 ; 4-byte Folded Reload
	v_mul_i32_i24_e32 v89, v112, v19
	v_add3_u32 v4, v4, v163, v165
	v_mul_i32_i24_e32 v163, v102, v20
	scratch_load_b32 v102, off, off offset:52 ; 4-byte Folded Reload
	v_mul_i32_i24_e32 v165, v101, v23
	v_add3_u32 v4, v4, v209, v210
	v_mul_i32_i24_e32 v209, v107, v24
	v_mul_i32_i24_e32 v210, v103, v25
	s_delay_alu instid0(VALU_DEP_3) | instskip(SKIP_2) | instid1(VALU_DEP_3)
	v_add3_u32 v4, v4, v211, v212
	v_mul_i32_i24_e32 v211, v100, v27
	v_mul_i32_i24_e32 v212, v99, v14
	v_add3_u32 v4, v4, v213, v214
	v_mul_i32_i24_e32 v213, v65, v90
	v_mul_i32_i24_e32 v214, v68, v55
	;; [unrolled: 1-line block ×3, first 2 shown]
	scratch_load_b32 v68, off, off offset:376 ; 4-byte Folded Reload
	v_add3_u32 v4, v4, v215, v216
	v_mul_i32_i24_e32 v215, v196, v91
	v_mov_b32_e32 v216, v247
	scratch_load_b32 v196, off, off offset:1204 ; 4-byte Folded Reload
	v_mul_i32_i24_e32 v247, v85, v231
	v_add3_u32 v4, v4, v217, v223
	scratch_load_b32 v217, off, off offset:8 ; 4-byte Folded Reload
	v_mul_i32_i24_e32 v223, v194, v143
	scratch_load_b32 v194, off, off offset:760 ; 4-byte Folded Reload
	s_clause 0x1
	scratch_store_b32 off, v232, off offset:96
	scratch_store_b32 off, v216, off offset:100
	v_add3_u32 v4, v4, v224, v225
	v_mul_i32_i24_e32 v224, v195, v152
	v_mul_i32_i24_e32 v225, v192, v56
	s_clause 0x1
	scratch_load_b32 v192, off, off offset:68
	scratch_load_b32 v195, off, off offset:860
	v_add3_u32 v4, v4, v226, v227
	v_mul_i32_i24_e32 v226, v208, v158
	v_mul_i32_i24_e32 v227, v205, v159
	scratch_load_b32 v205, off, off offset:848 ; 4-byte Folded Reload
	v_add3_u32 v4, v4, v241, v242
	v_mul_i32_i24_e32 v241, v2, v160
	v_mul_i32_i24_e32 v242, v197, v57
	v_bfe_u32 v2, v16, 4, 4
	v_mov_b32_e32 v197, v219
	v_add3_u32 v4, v4, v244, v245
	v_mul_i32_i24_e32 v245, v164, v235
	scratch_load_b32 v219, off, off offset:64 ; 4-byte Folded Reload
	v_mul_i32_i24_e32 v244, v162, v2
	s_clause 0x2
	scratch_store_b32 off, v222, off offset:104
	scratch_store_b32 off, v197, off offset:108
	;; [unrolled: 1-line block ×3, first 2 shown]
	v_mul_i32_i24_e32 v4, v133, v26
	scratch_load_b32 v133, off, off offset:44 ; 4-byte Folded Reload
	v_mad_i32_i24 v4, v134, v5, v4
	scratch_load_b32 v134, off, off offset:48 ; 4-byte Folded Reload
	v_add3_u32 v4, v4, v8, v9
	v_mul_i32_i24_e32 v9, v124, v7
	scratch_load_b32 v124, off, off offset:28 ; 4-byte Folded Reload
	v_mul_i32_i24_e32 v8, v126, v6
	scratch_load_b32 v126, off, off offset:32 ; 4-byte Folded Reload
	v_add3_u32 v4, v4, v8, v9
	s_delay_alu instid0(VALU_DEP_1) | instskip(SKIP_1) | instid1(VALU_DEP_2)
	v_add3_u32 v4, v4, v58, v59
	v_bfe_u32 v59, v1, 24, 4
	v_add3_u32 v4, v4, v60, v61
	s_delay_alu instid0(VALU_DEP_1) | instskip(SKIP_1) | instid1(VALU_DEP_2)
	v_add3_u32 v4, v4, v62, v89
	v_mul_i32_i24_e32 v89, v45, v92
	v_add3_u32 v4, v4, v163, v165
	v_mul_i32_i24_e32 v163, v46, v248
	v_mul_i32_i24_e32 v165, v47, v109
	;; [unrolled: 1-line block ×3, first 2 shown]
	scratch_load_b32 v59, off, off offset:1192 ; 4-byte Folded Reload
	v_add3_u32 v4, v4, v209, v210
	v_mul_i32_i24_e32 v209, v48, v198
	v_mul_i32_i24_e32 v210, v49, v233
	s_delay_alu instid0(VALU_DEP_3) | instskip(SKIP_1) | instid1(VALU_DEP_2)
	v_add3_u32 v4, v4, v211, v212
	v_mul_i32_i24_e32 v212, v63, v199
	v_add3_u32 v4, v4, v213, v214
	v_mul_i32_i24_e32 v214, v66, v202
	s_delay_alu instid0(VALU_DEP_2) | instskip(SKIP_2) | instid1(VALU_DEP_3)
	v_add3_u32 v4, v4, v215, v223
	v_mul_i32_i24_e32 v215, v67, v203
	v_mul_i32_i24_e32 v223, v70, v204
	v_add3_u32 v4, v4, v224, v225
	v_mul_i32_i24_e32 v224, v71, v220
	v_mul_i32_i24_e32 v225, v72, v251
	s_delay_alu instid0(VALU_DEP_3) | instskip(SKIP_2) | instid1(VALU_DEP_3)
	v_add3_u32 v4, v4, v226, v227
	v_mul_i32_i24_e32 v226, v77, v232
	v_mul_i32_i24_e32 v227, v78, v252
	v_add3_u32 v4, v4, v241, v242
	v_mul_i32_i24_e32 v241, v79, v216
	v_mul_i32_i24_e32 v242, v80, v222
	s_delay_alu instid0(VALU_DEP_3)
	v_add3_u32 v4, v4, v244, v245
	scratch_store_b32 off, v65, off offset:1692 ; 4-byte Folded Spill
	scratch_load_b32 v65, off, off offset:864 ; 4-byte Folded Reload
	v_mul_i32_i24_e32 v244, v81, v197
	v_mul_i32_i24_e32 v245, v82, v221
	scratch_store_b32 off, v4, off offset:1696 ; 4-byte Folded Spill
	s_wait_loadcnt 0x14
	v_mul_i32_i24_e32 v213, v64, v201
	s_wait_loadcnt 0x12
	v_mul_i32_i24_e32 v58, v41, v132
	;; [unrolled: 2-line block ×4, first 2 shown]
	s_delay_alu instid0(VALU_DEP_1)
	v_mad_i32_i24 v4, v38, v122, v4
	s_wait_loadcnt 0xe
	v_mul_i32_i24_e32 v62, v44, v102
	s_wait_loadcnt 0xb
	v_mul_i32_i24_e32 v211, v50, v217
	;; [unrolled: 2-line block ×5, first 2 shown]
	s_delay_alu instid0(VALU_DEP_1) | instskip(SKIP_3) | instid1(VALU_DEP_1)
	v_add3_u32 v4, v4, v8, v9
	s_wait_loadcnt 0x2
	v_mul_i32_i24_e32 v8, v39, v126
	v_mul_i32_i24_e32 v9, v40, v131
	v_add3_u32 v4, v4, v8, v9
	v_mul_i32_i24_e32 v8, v28, v219
	v_mul_i32_i24_e32 v9, v36, v230
	s_delay_alu instid0(VALU_DEP_3) | instskip(SKIP_1) | instid1(VALU_DEP_2)
	v_add3_u32 v4, v4, v58, v60
	v_mul_i32_i24_e32 v58, v10, v68
	v_add3_u32 v4, v4, v61, v62
	v_mul_i32_i24_e32 v62, v11, v250
	s_delay_alu instid0(VALU_DEP_2) | instskip(SKIP_2) | instid1(VALU_DEP_3)
	v_add3_u32 v4, v4, v89, v163
	v_mul_i32_i24_e32 v89, v12, v218
	v_mul_i32_i24_e32 v163, v13, v184
	v_add3_u32 v4, v4, v165, v209
	v_mul_i32_i24_e32 v165, v15, v95
	v_mul_i32_i24_e32 v209, v19, v185
	s_delay_alu instid0(VALU_DEP_3) | instskip(SKIP_2) | instid1(VALU_DEP_3)
	v_add3_u32 v4, v4, v210, v211
	v_mul_i32_i24_e32 v210, v20, v192
	v_mul_i32_i24_e32 v211, v23, v195
	v_add3_u32 v4, v4, v212, v213
	v_mul_i32_i24_e32 v212, v24, v194
	v_mul_i32_i24_e32 v213, v25, v196
	s_delay_alu instid0(VALU_DEP_3) | instskip(SKIP_2) | instid1(VALU_DEP_2)
	v_add3_u32 v4, v4, v214, v215
	s_wait_loadcnt 0x1
	v_mul_i32_i24_e32 v214, v27, v59
	v_add3_u32 v4, v4, v223, v224
	v_mul_i32_i24_e32 v223, v90, v98
	v_mul_i32_i24_e32 v224, v55, v97
	s_delay_alu instid0(VALU_DEP_3) | instskip(SKIP_2) | instid1(VALU_DEP_3)
	v_add3_u32 v4, v4, v225, v226
	v_mul_i32_i24_e32 v225, v91, v83
	v_mul_i32_i24_e32 v226, v143, v22
	v_add3_u32 v4, v4, v227, v241
	v_mul_i32_i24_e32 v241, v56, v21
	scratch_load_b32 v21, off, off offset:380 ; 4-byte Folded Reload
	v_mul_i32_i24_e32 v227, v152, v69
	v_add3_u32 v4, v4, v242, v244
	s_wait_loadcnt 0x1
	v_mul_i32_i24_e32 v215, v14, v65
	v_mul_i32_i24_e32 v244, v159, v206
	s_delay_alu instid0(VALU_DEP_3) | instskip(SKIP_2) | instid1(VALU_DEP_3)
	v_add3_u32 v4, v4, v245, v246
	v_mul_i32_i24_e32 v245, v160, v207
	v_mul_i32_i24_e32 v246, v57, v193
	v_add3_u32 v4, v4, v247, v248
	v_mul_i32_i24_e32 v247, v162, v151
	v_mul_i32_i24_e32 v248, v164, v180
	s_wait_loadcnt 0x0
	v_mul_i32_i24_e32 v242, v158, v21
	v_bfe_u32 v21, v1, 20, 4
	s_delay_alu instid0(VALU_DEP_1) | instskip(SKIP_4) | instid1(VALU_DEP_1)
	v_mul_i32_i24_e32 v21, v31, v21
	scratch_store_b32 off, v4, off offset:1700 ; 4-byte Folded Spill
	v_mul_i32_i24_e32 v4, v26, v205
	scratch_store_b32 off, v21, off offset:1704 ; 4-byte Folded Spill
	v_mad_i32_i24 v4, v5, v228, v4
	v_add3_u32 v4, v4, v8, v9
	v_mul_i32_i24_e32 v8, v6, v240
	v_mul_i32_i24_e32 v9, v7, v249
	s_delay_alu instid0(VALU_DEP_1) | instskip(SKIP_1) | instid1(VALU_DEP_2)
	v_add3_u32 v4, v4, v8, v9
	v_mul_i32_i24_e32 v8, v87, v106
	v_add3_u32 v4, v4, v58, v62
	s_delay_alu instid0(VALU_DEP_1) | instskip(NEXT) | instid1(VALU_DEP_1)
	v_add3_u32 v4, v4, v89, v163
	v_add3_u32 v4, v4, v165, v209
	s_delay_alu instid0(VALU_DEP_1) | instskip(NEXT) | instid1(VALU_DEP_1)
	v_add3_u32 v4, v4, v210, v211
	v_add3_u32 v4, v4, v212, v213
	s_delay_alu instid0(VALU_DEP_1) | instskip(SKIP_1) | instid1(VALU_DEP_2)
	v_add3_u32 v4, v4, v214, v215
	v_bfe_i32 v215, v3, 16, 8
	v_add3_u32 v4, v4, v223, v224
	s_delay_alu instid0(VALU_DEP_1) | instskip(NEXT) | instid1(VALU_DEP_1)
	v_add3_u32 v4, v4, v225, v226
	v_add3_u32 v4, v4, v227, v241
	s_delay_alu instid0(VALU_DEP_1) | instskip(NEXT) | instid1(VALU_DEP_1)
	v_add3_u32 v4, v4, v242, v244
	v_add3_u32 v4, v4, v245, v246
	s_delay_alu instid0(VALU_DEP_1)
	v_add3_u32 v4, v4, v247, v248
	s_clause 0x1
	scratch_store_b32 off, v4, off offset:1708
	scratch_store_b32 off, v105, off offset:988
	s_clause 0x1f
	scratch_load_b32 v89, off, off offset:780
	scratch_load_b32 v227, off, off offset:836
	;; [unrolled: 1-line block ×32, first 2 shown]
	s_clause 0x3
	scratch_load_b32 v241, off, off offset:1156
	scratch_load_b32 v154, off, off offset:1160
	;; [unrolled: 1-line block ×4, first 2 shown]
	v_mul_i32_i24_e32 v4, v51, v105
	s_clause 0x7
	scratch_load_b32 v110, off, off offset:1060
	scratch_load_b32 v142, off, off offset:1092
	;; [unrolled: 1-line block ×8, first 2 shown]
	s_wait_loadcnt 0x2b
	v_mul_i32_i24_e32 v9, v88, v89
	scratch_load_b32 v88, off, off offset:996 ; 4-byte Folded Reload
	s_wait_loadcnt 0x25
	v_mad_i32_i24 v4, v38, v60, v4
	s_delay_alu instid0(VALU_DEP_1)
	v_add3_u32 v4, v4, v8, v9
	s_wait_loadcnt 0x24
	v_mul_i32_i24_e32 v8, v39, v61
	s_wait_loadcnt 0x23
	v_mul_i32_i24_e32 v39, v42, v99
	;; [unrolled: 2-line block ×4, first 2 shown]
	v_mul_i32_i24_e32 v40, v43, v100
	s_wait_loadcnt 0x1b
	v_mul_i32_i24_e32 v43, v46, v69
	s_wait_loadcnt 0x19
	;; [unrolled: 2-line block ×3, first 2 shown]
	v_mul_i32_i24_e32 v46, v49, v93
	v_add3_u32 v4, v4, v8, v9
	s_wait_loadcnt 0x17
	v_mul_i32_i24_e32 v48, v63, v98
	s_wait_loadcnt 0x16
	v_mul_i32_i24_e32 v49, v64, v107
	;; [unrolled: 2-line block ×6, first 2 shown]
	v_fma_mix_f32 v8, v73, v52, 0 op_sel:[1,0,0] op_sel_hi:[1,0,0]
	s_wait_loadcnt 0xf
	v_mul_i32_i24_e32 v67, v78, v224
	s_wait_loadcnt 0xe
	v_mul_i32_i24_e32 v70, v79, v225
	;; [unrolled: 2-line block ×4, first 2 shown]
	v_mul_i32_i24_e32 v80, v86, v21
	s_wait_loadcnt 0xa
	v_mul_i32_i24_e32 v78, v84, v207
	s_wait_loadcnt 0x9
	v_mul_i32_i24_e32 v79, v85, v209
	scratch_load_b32 v52, off, off offset:820 ; 4-byte Folded Reload
	s_wait_loadcnt 0x9
	v_mul_i32_i24_e32 v9, v26, v110
	v_mul_i32_i24_e32 v26, v28, v227
	s_wait_loadcnt 0x7
	v_mul_i32_i24_e32 v28, v36, v247
	s_wait_loadcnt 0x6
	v_mul_i32_i24_e32 v6, v6, v212
	v_mul_i32_i24_e32 v36, v143, v238
	s_wait_loadcnt 0x2
	v_mad_i32_i24 v5, v5, v149, v9
	v_mul_i32_i24_e32 v9, v10, v193
	v_mul_i32_i24_e32 v10, v11, v206
	;; [unrolled: 1-line block ×3, first 2 shown]
	s_delay_alu instid0(VALU_DEP_4)
	v_add3_u32 v5, v5, v26, v28
	v_mul_i32_i24_e32 v26, v90, v139
	v_mul_i32_i24_e32 v28, v91, v138
	s_wait_loadcnt 0x1
	v_mul_i32_i24_e32 v38, v41, v88
	v_mul_i32_i24_e32 v41, v44, v101
	;; [unrolled: 1-line block ×5, first 2 shown]
	v_add3_u32 v4, v4, v38, v39
	v_mul_i32_i24_e32 v66, v77, v223
	v_mul_i32_i24_e32 v77, v82, v154
	;; [unrolled: 1-line block ×4, first 2 shown]
	v_add3_u32 v4, v4, v40, v41
	v_mul_i32_i24_e32 v40, v158, v128
	v_mul_i32_i24_e32 v41, v159, v130
	s_delay_alu instid0(VALU_DEP_3) | instskip(SKIP_2) | instid1(VALU_DEP_3)
	v_add3_u32 v4, v4, v42, v43
	v_mul_i32_i24_e32 v42, v160, v129
	v_mul_i32_i24_e32 v43, v57, v243
	v_add3_u32 v4, v4, v44, v45
	v_mul_i32_i24_e32 v44, v162, v248
	v_mul_i32_i24_e32 v45, v164, v253
	s_delay_alu instid0(VALU_DEP_3) | instskip(SKIP_2) | instid1(VALU_DEP_3)
	v_add3_u32 v4, v4, v46, v47
	v_mul_i32_i24_e32 v47, v234, v17
	v_bfe_i32 v17, v3, 0, 8
	v_add3_u32 v4, v4, v48, v49
	s_delay_alu instid0(VALU_DEP_1) | instskip(SKIP_2) | instid1(VALU_DEP_2)
	v_add3_u32 v4, v4, v50, v51
	s_wait_loadcnt 0x0
	v_mul_i32_i24_e32 v14, v14, v52
	v_add3_u32 v4, v4, v58, v63
	s_clause 0x1
	scratch_load_b32 v63, off, off offset:804
	scratch_load_b32 v58, off, off offset:1252
	v_add3_u32 v4, v4, v64, v66
	s_delay_alu instid0(VALU_DEP_1) | instskip(SKIP_4) | instid1(VALU_DEP_1)
	v_add3_u32 v4, v4, v67, v70
	s_clause 0x1
	scratch_load_b32 v67, off, off offset:808
	scratch_load_b32 v70, off, off offset:812
	v_add3_u32 v4, v4, v71, v72
	v_add3_u32 v4, v4, v77, v78
	s_delay_alu instid0(VALU_DEP_1) | instskip(SKIP_2) | instid1(VALU_DEP_1)
	v_add3_u32 v4, v4, v79, v80
	scratch_load_b32 v79, off, off offset:1080 ; 4-byte Folded Reload
	v_mul_lo_u32 v4, v4, v142
	v_cvt_f32_i32_e32 v4, v4
	s_delay_alu instid0(VALU_DEP_1) | instskip(SKIP_4) | instid1(VALU_DEP_2)
	v_fma_mix_f32 v4, v73, v4, 0 op_sel_hi:[1,0,0]
	s_wait_loadcnt 0x4
	v_mul_i32_i24_e32 v7, v7, v63
	s_wait_loadcnt 0x3
	v_mul_i32_i24_e32 v46, v31, v58
	v_add3_u32 v5, v5, v6, v7
	scratch_load_b32 v6, off, off offset:392 ; 4-byte Folded Reload
	s_wait_loadcnt 0x3
	v_mul_i32_i24_e32 v12, v13, v67
	v_add3_u32 v5, v5, v9, v10
	v_mul_i32_i24_e32 v13, v15, v172
	s_wait_loadcnt 0x2
	v_mul_i32_i24_e32 v15, v19, v70
	s_delay_alu instid0(VALU_DEP_3) | instskip(NEXT) | instid1(VALU_DEP_1)
	v_add3_u32 v5, v5, v11, v12
	v_add3_u32 v5, v5, v13, v15
	s_wait_loadcnt 0x1
	v_mul_i32_i24_e32 v19, v20, v79
	v_mul_i32_i24_e32 v20, v23, v181
	;; [unrolled: 1-line block ×6, first 2 shown]
	v_add3_u32 v5, v5, v19, v20
	v_mov_b32_e32 v255, v235
	s_delay_alu instid0(VALU_DEP_2) | instskip(NEXT) | instid1(VALU_DEP_1)
	v_add3_u32 v5, v5, v23, v24
	v_add3_u32 v5, v5, v25, v14
	s_delay_alu instid0(VALU_DEP_1) | instskip(SKIP_1) | instid1(VALU_DEP_2)
	v_add3_u32 v5, v5, v26, v27
	v_mul_i32_i24_e32 v26, v239, v215
	v_add3_u32 v5, v5, v28, v36
	s_delay_alu instid0(VALU_DEP_1) | instskip(NEXT) | instid1(VALU_DEP_1)
	v_add3_u32 v5, v5, v38, v39
	v_add3_u32 v5, v5, v40, v41
	s_delay_alu instid0(VALU_DEP_1) | instskip(NEXT) | instid1(VALU_DEP_1)
	v_add3_u32 v5, v5, v42, v43
	;; [unrolled: 3-line block ×3, first 2 shown]
	v_mul_lo_u32 v5, v5, v108
	v_mul_i32_i24_e32 v108, v2, v17
	s_delay_alu instid0(VALU_DEP_2) | instskip(NEXT) | instid1(VALU_DEP_1)
	v_cvt_f32_i32_e32 v5, v5
	v_fma_mix_f32 v4, v74, v5, v4 op_sel_hi:[1,0,0]
	v_fma_mix_f32 v5, v74, v54, v8 op_sel:[1,0,0] op_sel_hi:[1,0,0]
	s_delay_alu instid0(VALU_DEP_1) | instskip(SKIP_1) | instid1(VALU_DEP_1)
	v_mul_f32_e32 v5, v5, v53
	s_wait_loadcnt 0x0
	v_fma_f32 v4, v4, v6, -v5
	scratch_load_b32 v5, off, off offset:620 ; 4-byte Folded Reload
	s_wait_loadcnt 0x0
	v_add_f32_e32 v5, v5, v4
	scratch_load_b32 v4, off, off offset:1268 ; 4-byte Folded Reload
	s_clause 0x1
	scratch_store_b32 off, v106, off offset:1652
	scratch_store_b32 off, v5, off offset:620
	s_wait_loadcnt 0x0
	v_or_b32_e32 v4, s12, v4
	s_delay_alu instid0(VALU_DEP_1)
	v_lshlrev_b32_e32 v20, 2, v4
	v_lshrrev_b32_e32 v19, 1, v4
	ds_load_b128 v[12:15], v20 offset:16896
	ds_load_b128 v[8:11], v20 offset:16912
	;; [unrolled: 1-line block ×4, first 2 shown]
	s_clause 0xc
	scratch_load_b32 v24, off, off offset:1280
	scratch_load_b32 v200, off, off offset:1236
	;; [unrolled: 1-line block ×13, first 2 shown]
	scratch_store_b32 off, v253, off offset:1032 ; 4-byte Folded Spill
	s_wait_dscnt 0x3
	v_bfe_i32 v20, v12, 0, 8
	v_bfe_i32 v23, v12, 8, 8
	;; [unrolled: 1-line block ×3, first 2 shown]
	v_ashrrev_i32_e32 v12, 24, v12
	v_bfe_i32 v43, v13, 0, 8
	v_mul_i32_i24_e32 v36, v20, v137
	v_bfe_i32 v44, v13, 8, 8
	v_mul_i32_i24_e32 v38, v28, v144
	v_mul_i32_i24_e32 v39, v12, v150
	v_bfe_i32 v45, v13, 16, 8
	v_mad_i32_i24 v36, v23, v136, v36
	v_ashrrev_i32_e32 v13, 24, v13
	v_bfe_i32 v46, v14, 0, 8
	v_bfe_i32 v47, v14, 8, 8
	v_mul_i32_i24_e32 v40, v45, v173
	v_add3_u32 v36, v36, v38, v39
	v_mul_i32_i24_e32 v38, v43, v170
	v_mul_i32_i24_e32 v39, v44, v171
	v_mul_i32_i24_e32 v42, v13, v187
	v_mul_i32_i24_e32 v49, v46, v188
	v_mul_i32_i24_e32 v50, v47, v190
	v_mov_b32_e32 v188, v120
	v_add3_u32 v36, v36, v38, v39
	v_mul_i32_i24_e32 v38, v114, v28
	v_mul_i32_i24_e32 v39, v104, v12
	;; [unrolled: 1-line block ×4, first 2 shown]
	v_add3_u32 v36, v36, v40, v42
	v_mul_i32_i24_e32 v40, v176, v44
	v_bfe_i32 v48, v14, 16, 8
	v_mov_b32_e32 v114, v180
	scratch_load_b32 v144, off, off offset:1224 ; 4-byte Folded Reload
	v_add3_u32 v42, v36, v49, v50
	v_mul_i32_i24_e32 v36, v175, v20
	v_mul_i32_i24_e32 v49, v117, v45
	;; [unrolled: 1-line block ×3, first 2 shown]
	s_clause 0x1
	scratch_load_b32 v180, off, off offset:1232
	scratch_load_b32 v137, off, off offset:948
	v_mad_i32_i24 v36, v120, v23, v36
	v_ashrrev_i32_e32 v14, 24, v14
	v_mul_i32_i24_e32 v41, v48, v191
	v_mul_i32_i24_e32 v56, v46, v134
	;; [unrolled: 1-line block ×3, first 2 shown]
	v_add3_u32 v36, v36, v38, v39
	v_mul_i32_i24_e32 v38, v177, v43
	v_mul_i32_i24_e32 v39, v0, v48
	s_wait_dscnt 0x2
	v_ashrrev_i32_e32 v136, 24, v11
	s_wait_dscnt 0x1
	v_bfe_i32 v71, v6, 16, 8
	v_ashrrev_i32_e32 v72, 24, v6
	v_add3_u32 v36, v36, v38, v40
	v_mul_i32_i24_e32 v38, v28, v119
	v_mul_i32_i24_e32 v28, v28, v106
	v_bfe_i32 v77, v7, 0, 8
	v_bfe_i32 v78, v7, 8, 8
	v_add3_u32 v36, v36, v49, v50
	v_mul_i32_i24_e32 v49, v12, v124
	v_mul_i32_i24_e32 v12, v12, v89
	;; [unrolled: 1-line block ×3, first 2 shown]
	v_bfe_i32 v81, v7, 16, 8
	v_add3_u32 v40, v36, v51, v55
	v_mul_i32_i24_e32 v36, v20, v118
	v_mul_i32_i24_e32 v20, v20, v105
	;; [unrolled: 1-line block ×5, first 2 shown]
	v_mad_i32_i24 v36, v23, v122, v36
	v_mad_i32_i24 v20, v23, v60, v20
	v_mul_i32_i24_e32 v23, v48, v103
	scratch_load_b32 v103, off, off offset:1672 th:TH_LOAD_LU ; 4-byte Folded Reload
	v_ashrrev_i32_e32 v82, 24, v7
	v_add3_u32 v38, v36, v38, v49
	v_add3_u32 v12, v20, v28, v12
	v_mul_i32_i24_e32 v20, v43, v61
	v_mul_i32_i24_e32 v28, v44, v87
	;; [unrolled: 1-line block ×6, first 2 shown]
	v_add3_u32 v12, v12, v20, v28
	v_mul_i32_i24_e32 v36, v48, v92
	v_mov_b32_e32 v92, v151
	scratch_load_b32 v151, off, off offset:716 ; 4-byte Folded Reload
	v_add3_u32 v38, v38, v49, v50
	v_add3_u32 v12, v12, v43, v13
	v_bfe_i32 v46, v11, 16, 8
	v_bfe_i32 v47, v4, 8, 8
	;; [unrolled: 1-line block ×3, first 2 shown]
	v_add3_u32 v38, v38, v51, v55
	v_add3_u32 v28, v12, v44, v45
	scratch_load_b32 v12, off, off offset:1272 ; 4-byte Folded Reload
	v_ashrrev_i32_e32 v49, 24, v4
	v_bfe_i32 v50, v5, 0, 8
	v_add3_u32 v38, v38, v56, v57
	v_bfe_i32 v51, v5, 8, 8
	v_bfe_i32 v55, v5, 16, 8
	v_ashrrev_i32_e32 v56, 24, v5
	v_bfe_i32 v57, v6, 0, 8
	v_bfe_i32 v34, v9, 16, 8
	;; [unrolled: 1-line block ×3, first 2 shown]
	s_wait_dscnt 0x0
	v_bfe_i32 v84, v127, 0, 8
	v_bfe_i32 v85, v127, 8, 8
	s_clause 0x8
	scratch_load_b32 v254, off, off offset:876
	scratch_load_b32 v61, off, off offset:144
	;; [unrolled: 1-line block ×9, first 2 shown]
	scratch_store_b32 off, v114, off offset:1256 ; 4-byte Folded Spill
	v_bfe_i32 v53, v129, 0, 8
	s_wait_loadcnt 0xd
	v_mul_i32_i24_e32 v152, v34, v180
	s_wait_loadcnt 0xc
	v_mul_i32_i24_e32 v160, v37, v137
	s_wait_loadcnt 0x9
	v_or_b32_e32 v12, s12, v12
	s_delay_alu instid0(VALU_DEP_1)
	v_lshlrev_b32_e32 v20, 2, v12
	v_lshrrev_b32_e32 v13, 1, v12
	scratch_load_b32 v12, off, off offset:1276 ; 4-byte Folded Reload
	v_mov_b32_e32 v190, v177
	s_wait_loadcnt 0x0
	v_or_b32_e32 v43, s12, v12
	s_delay_alu instid0(VALU_DEP_1)
	v_lshlrev_b32_e32 v12, 2, v43
	v_lshrrev_b32_e32 v0, 1, v43
	v_or_b32_e32 v43, s12, v24
	scratch_load_b32 v24, off, off offset:1284 ; 4-byte Folded Reload
	v_dual_mov_b32 v191, v176 :: v_dual_mov_b32 v80, v111
	scratch_store_b32 off, v0, off offset:1632 ; 4-byte Folded Spill
	v_lshlrev_b32_e32 v64, 2, v43
	v_lshrrev_b32_e32 v0, 1, v43
	scratch_store_b32 off, v0, off offset:1636 ; 4-byte Folded Spill
	s_wait_loadcnt 0x0
	v_or_b32_e32 v43, s12, v24
	scratch_load_b32 v24, off, off offset:1288 ; 4-byte Folded Reload
	v_lshlrev_b32_e32 v0, 2, v43
	v_lshrrev_b32_e32 v132, 1, v43
	scratch_store_b32 off, v0, off offset:1376 ; 4-byte Folded Spill
	v_lshrrev_b32_e32 v0, 28, v1
	v_ashrrev_i32_e32 v1, 24, v3
	s_wait_loadcnt 0x0
	v_or_b32_e32 v43, s12, v24
	v_lshrrev_b32_e32 v24, 28, v16
	scratch_store_b32 off, v0, off offset:432 ; 4-byte Folded Spill
	v_lshrrev_b16 v0, 8, v3
	s_add_co_i32 s12, s5, 8
	v_lshlrev_b32_e32 v27, 2, v43
	v_lshrrev_b32_e32 v143, 1, v43
	v_mul_i32_i24_e32 v43, v17, v18
	v_bfe_i32 v16, v0, 0, 8
	v_mul_i32_i24_e32 v0, v17, v92
	v_mul_i32_i24_e32 v17, v17, v248
	;; [unrolled: 1-line block ×3, first 2 shown]
	scratch_store_b32 off, v24, off offset:428 ; 4-byte Folded Spill
	v_mul_i32_i24_e32 v44, v16, v237
	scratch_store_b32 off, v0, off offset:1728 ; 4-byte Folded Spill
	v_mul_i32_i24_e32 v0, v16, v114
	v_mul_i32_i24_e32 v3, v235, v16
	;; [unrolled: 1-line block ×3, first 2 shown]
	scratch_load_b32 v237, off, off offset:720 ; 4-byte Folded Reload
	v_mov_b32_e32 v235, v239
	scratch_store_b32 off, v0, off offset:1732 ; 4-byte Folded Spill
	v_mul_i32_i24_e32 v0, v215, v58
	scratch_load_b32 v239, off, off offset:728 ; 4-byte Folded Reload
	v_bfe_i32 v58, v6, 8, 8
	scratch_load_b32 v24, off, off offset:136 ; 4-byte Folded Reload
	s_cmp_lt_u32 s5, 24
	scratch_store_b32 off, v0, off offset:1736 ; 4-byte Folded Spill
	scratch_load_b32 v0, off, off offset:916 th:TH_LOAD_LU ; 4-byte Folded Reload
	s_wait_alu 0xfffe
	s_mov_b32 s5, s12
	s_wait_loadcnt 0x0
	v_add3_u32 v0, v0, v17, v16
	scratch_store_b32 off, v0, off offset:1740 ; 4-byte Folded Spill
	scratch_load_b32 v0, off, off offset:344 ; 4-byte Folded Reload
	s_wait_loadcnt 0x0
	v_mul_i32_i24_e32 v16, v31, v0
	v_mul_i32_i24_e32 v17, v215, v0
	scratch_load_b32 v0, off, off offset:352 ; 4-byte Folded Reload
	s_wait_loadcnt 0x0
	v_mul_i32_i24_e32 v31, v0, v234
	v_mul_i32_i24_e32 v45, v0, v103
	scratch_load_b32 v0, off, off offset:912 th:TH_LOAD_LU ; 4-byte Folded Reload
	v_add3_u32 v16, v33, v16, v31
	v_bfe_i32 v31, v8, 16, 8
	v_bfe_i32 v33, v9, 8, 8
	s_delay_alu instid0(VALU_DEP_2) | instskip(NEXT) | instid1(VALU_DEP_2)
	v_mul_i32_i24_e32 v88, v31, v242
	v_mul_i32_i24_e32 v91, v33, v151
	s_wait_loadcnt 0x0
	v_add3_u32 v18, v0, v43, v44
	scratch_load_b32 v0, off, off offset:252 ; 4-byte Folded Reload
	v_bfe_i32 v44, v11, 0, 8
	v_bfe_i32 v43, v10, 16, 8
	v_add3_u32 v17, v18, v17, v45
	v_bfe_i32 v45, v11, 8, 8
	v_bfe_i32 v11, v4, 0, 8
	v_mul_i32_i24_e32 v4, v14, v94
	v_bfe_i32 v18, v15, 16, 8
	v_mul_i32_i24_e32 v162, v43, v186
	v_mul_i32_i24_e32 v164, v44, v179
	;; [unrolled: 1-line block ×3, first 2 shown]
	v_add3_u32 v4, v42, v41, v4
	v_mul_i32_i24_e32 v7, v18, v116
	v_mul_i32_i24_e32 v41, v56, v161
	v_mul_i32_i24_e32 v42, v57, v145
	s_clause 0x5
	scratch_load_b32 v161, off, off offset:164
	scratch_load_b32 v186, off, off offset:308
	;; [unrolled: 1-line block ×6, first 2 shown]
	s_wait_loadcnt 0x6
	v_mul_lo_u32 v16, v16, v0
	v_mul_lo_u32 v17, v17, v0
	scratch_load_b32 v0, off, off offset:384 ; 4-byte Folded Reload
	v_cvt_f32_i32_e32 v16, v16
	v_cvt_f32_i32_e32 v17, v17
	s_delay_alu instid0(VALU_DEP_2) | instskip(NEXT) | instid1(VALU_DEP_2)
	v_fma_mix_f32 v16, v74, v16, v30 op_sel_hi:[1,0,0]
	v_fma_mix_f32 v17, v76, v17, v29 op_sel_hi:[1,0,0]
	v_bfe_i32 v29, v8, 0, 8
	v_bfe_i32 v30, v8, 8, 8
	v_ashrrev_i32_e32 v8, 24, v8
	s_delay_alu instid0(VALU_DEP_3) | instskip(NEXT) | instid1(VALU_DEP_3)
	v_mul_i32_i24_e32 v86, v29, v123
	v_mul_i32_i24_e32 v87, v30, v144
	s_delay_alu instid0(VALU_DEP_3)
	v_mul_i32_i24_e32 v89, v8, v243
	scratch_load_b32 v123, off, off offset:332 ; 4-byte Folded Reload
	s_wait_loadcnt 0x2
	v_mul_i32_i24_e32 v213, v145, v136
	s_wait_loadcnt 0x1
	v_fma_f32 v17, v17, v0, -v35
	scratch_load_b32 v0, off, off offset:400 ; 4-byte Folded Reload
	v_bfe_i32 v35, v10, 0, 8
	v_ashrrev_i32_e32 v10, 24, v10
	s_delay_alu instid0(VALU_DEP_2) | instskip(NEXT) | instid1(VALU_DEP_2)
	v_mul_i32_i24_e32 v159, v35, v211
	v_mul_i32_i24_e32 v163, v10, v237
	s_wait_loadcnt 0x0
	v_fma_f32 v16, v16, v0, -v32
	scratch_load_b64 v[0:1], off, off offset:628 th:TH_LOAD_LU ; 8-byte Folded Reload
	v_mov_b32_e32 v187, v175
	v_bfe_i32 v32, v9, 0, 8
	v_ashrrev_i32_e32 v9, 24, v9
	s_delay_alu instid0(VALU_DEP_2) | instskip(NEXT) | instid1(VALU_DEP_2)
	v_mul_i32_i24_e32 v90, v32, v174
	v_mul_i32_i24_e32 v158, v9, v200
	scratch_load_b32 v174, off, off offset:184 ; 4-byte Folded Reload
	s_wait_loadcnt 0x1
	v_dual_add_f32 v1, v1, v16 :: v_dual_add_f32 v0, v0, v17
	v_bfe_i32 v16, v15, 0, 8
	v_bfe_i32 v17, v15, 8, 8
	v_ashrrev_i32_e32 v15, 24, v15
	scratch_store_b64 off, v[0:1], off offset:628 ; 8-byte Folded Spill
	v_mul_i32_i24_e32 v5, v16, v96
	v_mul_i32_i24_e32 v6, v17, v115
	;; [unrolled: 1-line block ×4, first 2 shown]
	s_clause 0x1
	scratch_load_b32 v121, off, off offset:264
	scratch_load_b32 v1, off, off offset:140
	v_add3_u32 v4, v4, v5, v6
	v_mul_i32_i24_e32 v5, v48, v246
	scratch_store_b32 off, v0, off offset:1712 ; 4-byte Folded Spill
	v_mul_i32_i24_e32 v6, v49, v141
	scratch_load_b32 v115, off, off offset:884 ; 4-byte Folded Reload
	v_add3_u32 v4, v4, v7, v66
	v_mul_i32_i24_e32 v7, v55, v245
	v_mul_i32_i24_e32 v66, v58, v146
	s_clause 0x1
	scratch_load_b32 v96, off, off offset:196
	scratch_load_b32 v141, off, off offset:328
	v_add3_u32 v4, v4, v86, v87
	v_mul_i32_i24_e32 v86, v71, v166
	v_mul_i32_i24_e32 v87, v72, v167
	s_clause 0x1
	scratch_load_b32 v167, off, off offset:172
	scratch_load_b32 v166, off, off offset:168
	;; [unrolled: 6-line block ×5, first 2 shown]
	v_add3_u32 v4, v4, v159, v160
	v_mul_i32_i24_e32 v160, v139, v43
	s_delay_alu instid0(VALU_DEP_2) | instskip(SKIP_1) | instid1(VALU_DEP_2)
	v_add3_u32 v4, v4, v162, v163
	v_mul_i32_i24_e32 v162, v138, v10
	v_add3_u32 v0, v4, v164, v165
	v_mul_i32_i24_e32 v4, v11, v244
	scratch_store_b32 off, v0, off offset:1716 ; 4-byte Folded Spill
	scratch_load_b32 v0, off, off offset:256 ; 4-byte Folded Reload
	s_wait_loadcnt 0x4
	v_mul_i32_i24_e32 v163, v148, v44
	s_wait_loadcnt 0x3
	v_mul_i32_i24_e32 v164, v147, v45
	;; [unrolled: 2-line block ×3, first 2 shown]
	s_wait_loadcnt 0x0
	v_mad_i32_i24 v4, v47, v0, v4
	s_delay_alu instid0(VALU_DEP_1)
	v_add3_u32 v4, v4, v5, v6
	v_mul_i32_i24_e32 v5, v50, v157
	v_mul_i32_i24_e32 v6, v51, v140
	s_clause 0x1
	scratch_load_b32 v157, off, off offset:176
	scratch_load_b32 v140, off, off offset:324
	v_add3_u32 v4, v4, v5, v6
	v_mul_i32_i24_e32 v5, v254, v14
	v_mul_i32_i24_e32 v6, v80, v16
	s_delay_alu instid0(VALU_DEP_3) | instskip(SKIP_1) | instid1(VALU_DEP_4)
	v_add3_u32 v4, v4, v7, v41
	v_mul_i32_i24_e32 v7, v121, v17
	v_add3_u32 v5, v40, v39, v5
	v_mul_i32_i24_e32 v39, v24, v49
	v_mul_i32_i24_e32 v41, v170, v18
	v_add3_u32 v4, v4, v42, v66
	v_mul_i32_i24_e32 v42, v115, v15
	v_add3_u32 v5, v5, v6, v7
	v_mul_i32_i24_e32 v7, v1, v48
	v_mul_i32_i24_e32 v40, v156, v55
	;; [unrolled: 5-line block ×3, first 2 shown]
	v_add3_u32 v4, v4, v88, v89
	v_mul_i32_i24_e32 v87, v189, v31
	v_mul_i32_i24_e32 v88, v125, v8
	;; [unrolled: 1-line block ×3, first 2 shown]
	v_add3_u32 v5, v5, v66, v86
	v_add3_u32 v4, v4, v90, v91
	v_mul_i32_i24_e32 v89, v60, v32
	v_mul_i32_i24_e32 v90, v186, v33
	;; [unrolled: 1-line block ×3, first 2 shown]
	v_add3_u32 v5, v5, v87, v88
	v_add3_u32 v0, v4, v152, v158
	scratch_load_b32 v4, off, off offset:148 ; 4-byte Folded Reload
	v_mul_i32_i24_e32 v87, v166, v72
	v_mul_i32_i24_e32 v91, v116, v34
	;; [unrolled: 1-line block ×3, first 2 shown]
	scratch_store_b32 off, v0, off offset:1748 ; 4-byte Folded Spill
	scratch_load_b32 v0, off, off offset:372 ; 4-byte Folded Reload
	v_add3_u32 v5, v5, v89, v90
	v_mul_i32_i24_e32 v88, v96, v77
	v_mul_i32_i24_e32 v89, v171, v78
	;; [unrolled: 1-line block ×4, first 2 shown]
	v_add3_u32 v5, v5, v91, v152
	v_mul_i32_i24_e32 v91, v174, v82
	v_mul_i32_i24_e32 v152, v102, v84
	s_wait_loadcnt 0x3
	v_mul_i32_i24_e32 v66, v157, v58
	s_wait_loadcnt 0x2
	v_mul_i32_i24_e32 v159, v140, v37
	s_delay_alu instid0(VALU_DEP_1) | instskip(SKIP_2) | instid1(VALU_DEP_3)
	v_add3_u32 v5, v5, v158, v159
	v_mul_i32_i24_e32 v158, v101, v85
	v_mul_i32_i24_e32 v159, v37, v216
	v_add3_u32 v5, v5, v160, v162
	v_mul_i32_i24_e32 v162, v10, v197
	v_mul_i32_i24_e32 v10, v10, v241
	;; [unrolled: 1-line block ×3, first 2 shown]
	v_mov_b32_e32 v222, v205
	v_add3_u32 v5, v5, v163, v164
	v_mul_i32_i24_e32 v163, v44, v221
	scratch_load_b32 v221, off, off offset:60 ; 4-byte Folded Reload
	v_mul_i32_i24_e32 v164, v45, v229
	v_add3_u32 v150, v5, v165, v213
	v_mul_i32_i24_e32 v165, v46, v231
	s_wait_loadcnt 0x2
	v_mul_i32_i24_e32 v6, v4, v11
	s_delay_alu instid0(VALU_DEP_1) | instskip(NEXT) | instid1(VALU_DEP_1)
	v_mad_i32_i24 v6, v61, v47, v6
	v_add3_u32 v6, v6, v7, v39
	v_mul_i32_i24_e32 v7, v161, v50
	v_mul_i32_i24_e32 v39, v153, v51
	s_delay_alu instid0(VALU_DEP_1)
	v_add3_u32 v6, v6, v7, v39
	s_wait_loadcnt 0x1
	v_mul_i32_i24_e32 v7, v14, v0
	scratch_load_b32 v0, off, off offset:356 th:TH_LOAD_LU ; 4-byte Folded Reload
	v_mul_i32_i24_e32 v39, v16, v109
	v_mul_i32_i24_e32 v14, v14, v69
	v_add3_u32 v6, v6, v40, v41
	v_mul_i32_i24_e32 v40, v17, v198
	v_add3_u32 v7, v38, v36, v7
	v_mul_i32_i24_e32 v36, v11, v205
	v_mul_i32_i24_e32 v38, v48, v219
	v_add3_u32 v6, v6, v42, v66
	v_mul_i32_i24_e32 v41, v18, v233
	v_add3_u32 v7, v7, v39, v40
	v_mul_i32_i24_e32 v39, v49, v230
	v_mad_i32_i24 v36, v47, v228, v36
	v_mul_i32_i24_e32 v42, v15, v217
	v_add3_u32 v6, v6, v86, v87
	v_mul_i32_i24_e32 v66, v29, v199
	v_mul_i32_i24_e32 v86, v30, v201
	v_add3_u32 v36, v36, v38, v39
	v_mul_i32_i24_e32 v38, v50, v240
	v_mul_i32_i24_e32 v39, v51, v249
	v_add3_u32 v7, v7, v41, v42
	v_mul_i32_i24_e32 v40, v55, v68
	v_mul_i32_i24_e32 v41, v56, v250
	v_mul_i32_i24_e32 v16, v16, v83
	v_add3_u32 v36, v36, v38, v39
	v_mul_i32_i24_e32 v17, v17, v62
	v_add3_u32 v14, v28, v23, v14
	v_add3_u32 v6, v6, v88, v89
	v_mul_i32_i24_e32 v87, v31, v202
	v_mul_i32_i24_e32 v88, v8, v203
	v_add3_u32 v7, v7, v66, v86
	v_mul_i32_i24_e32 v42, v57, v218
	v_mul_i32_i24_e32 v66, v58, v184
	v_add3_u32 v36, v36, v40, v41
	v_mul_i32_i24_e32 v18, v18, v93
	v_mul_i32_i24_e32 v15, v15, v97
	v_add3_u32 v14, v14, v16, v17
	v_add3_u32 v6, v6, v90, v91
	v_mul_i32_i24_e32 v89, v32, v204
	v_mul_i32_i24_e32 v90, v33, v220
	v_add3_u32 v7, v7, v87, v88
	v_mul_i32_i24_e32 v86, v71, v95
	v_mul_i32_i24_e32 v87, v72, v185
	v_add3_u32 v36, v36, v42, v66
	v_mul_i32_i24_e32 v29, v29, v98
	v_mul_i32_i24_e32 v30, v30, v107
	v_add3_u32 v14, v14, v18, v15
	v_add3_u32 v214, v6, v152, v158
	v_mul_i32_i24_e32 v91, v34, v251
	v_mul_i32_i24_e32 v152, v9, v232
	v_add3_u32 v7, v7, v89, v90
	v_mul_i32_i24_e32 v88, v77, v192
	v_mul_i32_i24_e32 v89, v78, v195
	v_add3_u32 v36, v36, v86, v87
	v_mul_i32_i24_e32 v31, v31, v112
	v_mul_i32_i24_e32 v8, v8, v113
	v_add3_u32 v14, v14, v29, v30
	v_mul_i32_i24_e32 v158, v35, v252
	v_add3_u32 v7, v7, v91, v152
	v_mul_i32_i24_e32 v90, v81, v194
	v_mul_i32_i24_e32 v91, v82, v196
	v_add3_u32 v36, v36, v88, v89
	v_mul_i32_i24_e32 v32, v32, v208
	v_mul_i32_i24_e32 v33, v33, v135
	v_add3_u32 v8, v14, v31, v8
	v_add3_u32 v7, v7, v158, v159
	v_mul_i32_i24_e32 v152, v84, v59
	v_mul_i32_i24_e32 v158, v85, v65
	v_add3_u32 v36, v36, v90, v91
	v_mul_i32_i24_e32 v34, v34, v210
	v_mul_i32_i24_e32 v9, v9, v223
	v_add3_u32 v8, v8, v32, v33
	v_mul_i32_i24_e32 v35, v35, v224
	v_add3_u32 v216, v36, v152, v158
	v_mul_i32_i24_e32 v36, v37, v225
	v_mul_i32_i24_e32 v37, v43, v226
	v_add3_u32 v8, v8, v34, v9
	v_mul_i32_i24_e32 v38, v44, v154
	v_mul_i32_i24_e32 v39, v45, v207
	v_mul_i32_i24_e32 v40, v46, v209
	v_mul_i32_i24_e32 v41, v136, v21
	v_add3_u32 v8, v8, v35, v36
	v_mul_i32_i24_e32 v9, v48, v227
	v_mul_i32_i24_e32 v14, v56, v206
	;; [unrolled: 5-line block ×4, first 2 shown]
	v_mul_i32_i24_e32 v30, v82, v183
	v_mul_i32_i24_e32 v31, v84, v22
	v_add3_u32 v8, v8, v40, v41
	v_mul_i32_i24_e32 v32, v85, v52
	v_mov_b32_e32 v22, v1
	v_add3_u32 v7, v7, v160, v162
	v_mov_b32_e32 v154, v4
	v_mul_lo_u32 v8, v8, v142
	v_mov_b32_e32 v247, v80
	v_mov_b32_e32 v135, v60
	v_add3_u32 v7, v7, v163, v164
	v_mov_b32_e32 v81, v187
	v_cvt_f32_i32_e32 v251, v8
	v_mul_i32_i24_e32 v8, v11, v110
	v_mul_i32_i24_e32 v11, v55, v193
	s_delay_alu instid0(VALU_DEP_2) | instskip(NEXT) | instid1(VALU_DEP_1)
	v_mad_i32_i24 v8, v47, v149, v8
	v_add3_u32 v8, v8, v9, v10
	v_mul_i32_i24_e32 v9, v50, v212
	v_mul_i32_i24_e32 v10, v51, v63
	s_delay_alu instid0(VALU_DEP_1) | instskip(NEXT) | instid1(VALU_DEP_1)
	v_add3_u32 v8, v8, v9, v10
	v_add3_u32 v8, v8, v11, v14
	s_delay_alu instid0(VALU_DEP_1) | instskip(NEXT) | instid1(VALU_DEP_1)
	v_add3_u32 v8, v8, v15, v16
	v_add3_u32 v8, v8, v17, v18
	;; [unrolled: 3-line block ×3, first 2 shown]
	s_delay_alu instid0(VALU_DEP_1)
	v_add3_u32 v106, v8, v31, v32
	s_wait_loadcnt 0x0
	ds_load_u16 v8, v0
	ds_load_u16 v9, v0 offset:8
	scratch_load_b32 v0, off, off offset:408 th:TH_LOAD_LU ; 4-byte Folded Reload
	v_mul_i32_i24_e32 v213, v136, v221
	s_delay_alu instid0(VALU_DEP_1)
	v_add3_u32 v217, v7, v165, v213
	s_wait_dscnt 0x1
	v_lshrrev_b16 v10, 8, v8
	v_mov_b32_e32 v25, v2
	s_wait_loadcnt 0x0
	ds_load_u16 v11, v0
	ds_load_u16 v2, v0 offset:8
	scratch_load_b32 v5, off, off offset:908 th:TH_LOAD_LU ; 4-byte Folded Reload
	v_and_b32_e32 v59, 0xff, v8
	s_wait_dscnt 0x2
	v_cvt_f32_ubyte0_e32 v0, v9
	v_cvt_f32_ubyte1_e32 v54, v9
	v_and_b32_e32 v208, 0xffff, v10
	s_delay_alu instid0(VALU_DEP_3)
	v_fma_mix_f32 v82, v75, v0, 0 op_sel:[1,0,0] op_sel_hi:[1,0,0]
	v_mov_b32_e32 v18, v0
	s_wait_dscnt 0x1
	v_lshrrev_b16 v14, 8, v11
	s_wait_dscnt 0x0
	v_cvt_f32_ubyte0_e32 v210, v2
	v_cvt_f32_ubyte1_e32 v231, v2
	v_and_b32_e32 v62, 0xff, v11
	v_mov_b32_e32 v172, v255
	s_wait_loadcnt 0x0
	v_mul_lo_u32 v8, v5, v59
	s_delay_alu instid0(VALU_DEP_1) | instskip(NEXT) | instid1(VALU_DEP_1)
	v_cvt_f32_i32_e32 v8, v8
	v_fma_mix_f32 v2, v75, v8, 0 op_sel_hi:[1,0,0]
	ds_load_b128 v[48:51], v20 offset:16896
	ds_load_b128 v[44:47], v20 offset:16912
	;; [unrolled: 1-line block ×4, first 2 shown]
	ds_load_b64 v[77:78], v19 offset:27200
	ds_load_b64 v[71:72], v13 offset:27200
	ds_load_b128 v[32:35], v12 offset:16896
	ds_load_b128 v[97:100], v12 offset:16912
	;; [unrolled: 1-line block ×4, first 2 shown]
	s_wait_dscnt 0x7
	v_bfe_i32 v104, v43, 0, 8
	v_bfe_i32 v93, v43, 8, 8
	s_wait_dscnt 0x0
	scratch_store_b128 off, v[5:8], off offset:1016 ; 16-byte Folded Spill
	ds_load_b128 v[117:120], v64 offset:16896
	ds_load_b128 v[175:178], v64 offset:16912
	;; [unrolled: 1-line block ×4, first 2 shown]
	s_wait_dscnt 0x0
	scratch_store_b128 off, v[5:8], off offset:1656 ; 16-byte Folded Spill
	ds_load_b128 v[84:87], v27 offset:16896
	ds_load_b128 v[88:91], v27 offset:16912
	;; [unrolled: 1-line block ×4, first 2 shown]
	s_wait_dscnt 0x3
	v_bfe_i32 v67, v85, 8, 8
	s_wait_dscnt 0x2
	v_ashrrev_i32_e32 v15, 24, v91
	v_bfe_i32 v10, v91, 8, 8
	s_wait_dscnt 0x0
	v_ashrrev_i32_e32 v27, 24, v58
	v_bfe_i32 v227, v58, 16, 8
	v_bfe_i32 v11, v91, 16, 8
	;; [unrolled: 1-line block ×4, first 2 shown]
	scratch_store_b32 off, v27, off offset:1364 ; 4-byte Folded Spill
	s_clause 0x1
	scratch_load_b32 v0, off, off offset:1360 th:TH_LOAD_LU
	scratch_load_b32 v5, off, off offset:1464 th:TH_LOAD_LU
	v_bfe_i32 v126, v55, 16, 8
	v_ashrrev_i32_e32 v134, 24, v55
	v_bfe_i32 v152, v56, 0, 8
	v_bfe_i32 v158, v56, 8, 8
	v_bfe_i32 v159, v56, 16, 8
	v_ashrrev_i32_e32 v160, 24, v56
	v_bfe_i32 v70, v86, 0, 8
	v_bfe_i32 v79, v86, 8, 8
	;; [unrolled: 1-line block ×8, first 2 shown]
	v_ashrrev_i32_e32 v165, 24, v57
	v_bfe_i32 v213, v58, 0, 8
	v_bfe_i32 v13, v89, 0, 8
	;; [unrolled: 1-line block ×7, first 2 shown]
	v_ashrrev_i32_e32 v169, 24, v223
	v_bfe_i32 v12, v224, 0, 8
	v_ashrrev_i32_e32 v17, 24, v224
	v_bfe_i32 v19, v225, 0, 8
	v_bfe_i32 v20, v225, 8, 8
	;; [unrolled: 1-line block ×3, first 2 shown]
	v_ashrrev_i32_e32 v23, 24, v225
	v_mul_i32_i24_e32 v225, v145, v15
	s_wait_loadcnt 0x0
	v_mad_i32_i24 v64, v24, v5, v0
	s_clause 0x1
	scratch_load_b32 v0, off, off offset:1348 th:TH_LOAD_LU
	scratch_load_b32 v4, off, off offset:1456 th:TH_LOAD_LU
	v_bfe_i32 v5, v90, 0, 8
	s_wait_loadcnt 0x0
	v_mad_i32_i24 v68, v154, v4, v0
	s_clause 0x1
	scratch_load_b32 v0, off, off offset:1356 th:TH_LOAD_LU
	scratch_load_b32 v1, off, off offset:1460 th:TH_LOAD_LU
	s_wait_loadcnt 0x0
	v_mad_i32_i24 v69, v22, v1, v0
	s_clause 0x2
	scratch_load_b32 v0, off, off offset:1340 th:TH_LOAD_LU
	scratch_load_b32 v1, off, off offset:1344 th:TH_LOAD_LU
	;; [unrolled: 1-line block ×3, first 2 shown]
	s_wait_loadcnt 0x0
	v_add3_u32 v83, v0, v1, v4
	s_clause 0x1
	scratch_load_b32 v0, off, off offset:1388 th:TH_LOAD_LU
	scratch_load_b32 v1, off, off offset:1404 th:TH_LOAD_LU
	v_bfe_i32 v4, v89, 16, 8
	s_wait_loadcnt 0x0
	v_add3_u32 v69, v69, v0, v1
	s_clause 0x1
	scratch_load_b32 v0, off, off offset:1368 th:TH_LOAD_LU
	scratch_load_b32 v1, off, off offset:1396 th:TH_LOAD_LU
	s_wait_loadcnt 0x0
	v_add3_u32 v68, v68, v0, v1
	s_clause 0x1
	scratch_load_b32 v0, off, off offset:1380 th:TH_LOAD_LU
	scratch_load_b32 v1, off, off offset:1400 th:TH_LOAD_LU
	;; [unrolled: 5-line block ×7, first 2 shown]
	scratch_load_b32 v28, off, off offset:900
	scratch_load_b32 v232, off, off offset:892
	scratch_load_b64 v[8:9], off, off offset:588
	scratch_load_b32 v95, off, off offset:268
	scratch_load_b32 v194, off, off offset:284
	;; [unrolled: 1-line block ×4, first 2 shown]
	ds_load_b64 v[29:30], v132 offset:27200
	scratch_load_b32 v187, off, off offset:272 ; 4-byte Folded Reload
	s_clause 0x4
	scratch_store_b32 off, v15, off offset:1356
	scratch_store_b32 off, v227, off offset:1360
	;; [unrolled: 1-line block ×5, first 2 shown]
	s_wait_loadcnt 0x5
	v_bfe_i32 v9, v91, 0, 8
	v_bfe_i32 v91, v224, 16, 8
	scratch_store_b32 off, v4, off offset:1456 ; 4-byte Folded Spill
	ds_load_b64 v[132:133], v143 offset:27200
	s_clause 0xa
	scratch_store_b32 off, v5, off offset:1464
	scratch_store_b32 off, v6, off offset:1468
	;; [unrolled: 1-line block ×11, first 2 shown]
	s_wait_dscnt 0x1
	scratch_store_b64 off, v[29:30], off offset:1348 ; 8-byte Folded Spill
	s_clause 0x1
	scratch_load_b32 v30, off, off offset:296
	scratch_load_b32 v29, off, off offset:292
	s_clause 0xd
	scratch_store_b32 off, v122, off offset:1552
	scratch_store_b32 off, v124, off offset:1556
	;; [unrolled: 1-line block ×14, first 2 shown]
	v_mul_i32_i24_e32 v209, v148, v9
	v_mov_b32_e32 v149, v235
	v_add3_u32 v65, v83, v0, v1
	scratch_load_b32 v0, off, off offset:1452 th:TH_LOAD_LU ; 4-byte Folded Reload
	v_ashrrev_i32_e32 v83, 24, v86
	s_wait_loadcnt 0x2
	v_mul_i32_i24_e32 v63, v30, v70
	s_wait_loadcnt 0x0
	v_add3_u32 v69, v69, v0, v26
	scratch_load_b32 v0, off, off offset:1440 th:TH_LOAD_LU ; 4-byte Folded Reload
	v_bfe_i32 v26, v226, 0, 8
	s_clause 0x2
	scratch_store_b32 off, v70, off offset:1436
	scratch_store_b32 off, v23, off offset:1532
	;; [unrolled: 1-line block ×3, first 2 shown]
	s_wait_loadcnt 0x0
	v_add3_u32 v68, v68, v0, v108
	scratch_load_b32 v0, off, off offset:1444 th:TH_LOAD_LU ; 4-byte Folded Reload
	v_ashrrev_i32_e32 v108, 24, v226
	scratch_store_b32 off, v108, off offset:1548 ; 4-byte Folded Spill
	s_wait_loadcnt 0x0
	v_add3_u32 v64, v64, v0, v105
	v_mov_b32_e32 v0, v8
	v_bfe_i32 v105, v226, 16, 8
	v_bfe_i32 v226, v58, 8, 8
	v_ashrrev_i32_e32 v8, 24, v90
	v_add3_u32 v64, v65, v3, v64
	v_bfe_i32 v65, v85, 0, 8
	v_bfe_i32 v3, v88, 16, 8
	scratch_store_b32 off, v199, off offset:1404 ; 4-byte Folded Spill
	v_ashrrev_i32_e32 v88, 24, v88
	v_add3_u32 v64, v68, v69, v64
	v_bfe_i32 v68, v85, 16, 8
	v_ashrrev_i32_e32 v69, 24, v85
	s_clause 0x4
	scratch_store_b32 off, v3, off offset:1408
	scratch_store_b32 off, v65, off offset:1420
	;; [unrolled: 1-line block ×5, first 2 shown]
	v_mul_lo_u32 v64, v64, v208
	v_mul_i32_i24_e32 v57, v194, v68
	v_mul_i32_i24_e32 v58, v193, v69
	v_bfe_i32 v85, v87, 8, 8
	scratch_store_b32 off, v69, off offset:1432 ; 4-byte Folded Spill
	v_bfe_i32 v90, v224, 8, 8
	v_mul_i32_i24_e32 v143, v138, v8
	s_clause 0x1
	scratch_store_b32 off, v7, off offset:1472
	scratch_store_b32 off, v8, off offset:1476
	v_cvt_f32_i32_e32 v64, v64
	v_mul_i32_i24_e32 v69, v121, v85
	s_clause 0x3
	scratch_store_b32 off, v12, off offset:1504
	scratch_store_b32 off, v90, off offset:1508
	;; [unrolled: 1-line block ×4, first 2 shown]
	v_fma_mix_f32 v2, v76, v64, v2 op_sel_hi:[1,0,0]
	v_fma_mix_f32 v64, v76, v54, v82 op_sel:[1,0,0] op_sel_hi:[1,0,0]
	v_and_b32_e32 v185, 0xffff, v14
	v_bfe_i32 v82, v86, 16, 8
	v_bfe_i32 v86, v87, 16, 8
	scratch_store_b32 off, v79, off offset:1440 ; 4-byte Folded Spill
	v_mul_f32_e32 v64, v64, v28
	v_bfe_i32 v14, v89, 8, 8
	s_clause 0x1
	scratch_store_b32 off, v82, off offset:1444
	scratch_store_b32 off, v13, off offset:1448
	v_mul_i32_i24_e32 v70, v170, v86
	v_fma_f32 v2, v2, v232, -v64
	v_bfe_i32 v64, v84, 8, 8
	scratch_store_b32 off, v85, off offset:1388 ; 4-byte Folded Spill
	v_ashrrev_i32_e32 v89, 24, v89
	v_mul_i32_i24_e32 v85, v60, v13
	v_add_f32_e32 v0, v0, v2
	v_bfe_i32 v2, v84, 0, 8
	s_clause 0x3
	scratch_store_b32 off, v64, off offset:1416
	scratch_store_b32 off, v89, off offset:1460
	;; [unrolled: 1-line block ×3, first 2 shown]
	scratch_store_b64 off, v[0:1], off offset:588
	v_bfe_i32 v0, v84, 16, 8
	scratch_store_b32 off, v2, off offset:1492 ; 4-byte Folded Spill
	v_ashrrev_i32_e32 v1, 24, v84
	v_mul_i32_i24_e32 v2, v81, v2
	v_bfe_i32 v84, v87, 0, 8
	v_mul_i32_i24_e32 v55, v187, v0
	v_ashrrev_i32_e32 v87, 24, v87
	v_mul_i32_i24_e32 v56, v95, v1
	v_mad_i32_i24 v2, v188, v64, v2
	v_mul_i32_i24_e32 v64, v29, v79
	v_mul_i32_i24_e32 v68, v80, v84
	;; [unrolled: 1-line block ×4, first 2 shown]
	v_add3_u32 v2, v2, v55, v56
	v_mul_i32_i24_e32 v55, v190, v65
	v_mul_i32_i24_e32 v56, v191, v67
	;; [unrolled: 1-line block ×5, first 2 shown]
	s_clause 0x3
	scratch_store_b32 off, v83, off offset:1380
	scratch_store_b32 off, v84, off offset:1384
	;; [unrolled: 1-line block ×4, first 2 shown]
	v_add3_u32 v2, v2, v55, v56
	v_mul_i32_i24_e32 v83, v189, v3
	v_mul_i32_i24_e32 v84, v125, v88
	;; [unrolled: 1-line block ×4, first 2 shown]
	v_add3_u32 v2, v2, v57, v58
	v_mul_i32_i24_e32 v88, v94, v89
	s_clause 0x1
	scratch_store_b32 off, v0, off offset:1496
	scratch_store_b32 off, v1, off offset:1500
	v_mul_i32_i24_e32 v89, v141, v5
	v_add3_u32 v2, v2, v63, v64
	v_mul_i32_i24_e32 v0, v140, v6
	v_mul_i32_i24_e32 v1, v139, v7
	scratch_load_b32 v4, off, off offset:1688 th:TH_LOAD_LU ; 4-byte Folded Reload
	s_clause 0x2
	scratch_store_b32 off, v213, off offset:1600
	scratch_store_b32 off, v202, off offset:1608
	;; [unrolled: 1-line block ×3, first 2 shown]
	v_add3_u32 v2, v2, v65, v67
	v_mov_b32_e32 v142, v123
	s_clause 0x1
	scratch_store_b32 off, v81, off offset:1200
	scratch_store_b32 off, v247, off offset:1196
	v_mul_i32_i24_e32 v57, v154, v107
	v_add3_u32 v2, v2, v68, v69
	v_mul_i32_i24_e32 v3, v147, v10
	v_dual_mov_b32 v107, v154 :: v_dual_mov_b32 v6, v25
	s_delay_alu instid0(VALU_DEP_4) | instskip(NEXT) | instid1(VALU_DEP_4)
	v_mad_i32_i24 v57, v61, v202, v57
	v_add3_u32 v2, v2, v70, v79
	v_mul_i32_i24_e32 v58, v22, v168
	v_mul_i32_i24_e32 v63, v24, v169
	v_mul_i32_i24_e32 v64, v156, v91
	v_mul_i32_i24_e32 v65, v155, v17
	v_add3_u32 v2, v2, v80, v82
	v_mul_i32_i24_e32 v67, v173, v19
	v_add3_u32 v57, v57, v58, v63
	v_mul_i32_i24_e32 v58, v161, v12
	v_mul_i32_i24_e32 v63, v153, v90
	v_add3_u32 v2, v2, v83, v84
	v_mul_i32_i24_e32 v68, v157, v20
	v_mul_i32_i24_e32 v69, v167, v21
	;; [unrolled: 1-line block ×3, first 2 shown]
	v_add3_u32 v57, v57, v58, v63
	v_add3_u32 v2, v2, v85, v86
	v_fma_mix_f32 v56, v75, v210, 0 op_sel:[1,0,0] op_sel_hi:[1,0,0]
	v_mul_i32_i24_e32 v79, v171, v66
	v_mul_i32_i24_e32 v80, v179, v105
	v_add3_u32 v57, v57, v64, v65
	v_add3_u32 v2, v2, v87, v88
	v_mul_i32_i24_e32 v82, v174, v108
	v_mul_i32_i24_e32 v83, v102, v122
	;; [unrolled: 1-line block ×3, first 2 shown]
	v_add3_u32 v57, v57, v67, v68
	v_add3_u32 v2, v2, v89, v0
	v_mul_i32_i24_e32 v224, v146, v11
	v_mov_b32_e32 v169, v61
	v_mov_b32_e32 v7, v103
	v_add3_u32 v57, v57, v69, v70
	v_add3_u32 v2, v2, v1, v143
	s_clause 0xc
	scratch_load_b32 v0, off, off offset:1640 th:TH_LOAD_LU
	scratch_load_b32 v1, off, off offset:1644 th:TH_LOAD_LU
	scratch_load_b32 v199, off, off offset:224
	scratch_load_b32 v204, off, off offset:240
	scratch_load_b32 v203, off, off offset:236
	scratch_load_b32 v201, off, off offset:228
	scratch_load_b32 v240, off, off offset:208
	scratch_load_b32 v198, off, off offset:220
	scratch_load_b32 v197, off, off offset:216
	scratch_load_b32 v196, off, off offset:212
	scratch_load_b32 v5, off, off offset:244
	scratch_load_b32 v8, off, off offset:768
	scratch_load_b32 v202, off, off offset:232
	v_add3_u32 v2, v2, v209, v3
	scratch_load_b32 v25, off, off offset:428 ; 4-byte Folded Reload
	s_wait_dscnt 0x0
	v_fma_mix_f32 v55, v132, v18, 0 op_sel:[1,0,0] op_sel_hi:[1,0,0]
	v_mov_b32_e32 v15, v62
	v_mov_b32_e32 v123, v189
	v_add3_u32 v2, v2, v224, v225
	v_mul_i32_i24_e32 v224, v213, v6
	v_mul_i32_i24_e32 v225, v226, v172
	;; [unrolled: 1-line block ×3, first 2 shown]
	v_mov_b32_e32 v213, v54
	v_mul_lo_u32 v2, v2, v59
	v_mov_b32_e32 v189, v125
	v_dual_mov_b32 v125, v116 :: v_dual_mov_b32 v154, v24
	v_bfe_i32 v24, v128, 8, 8
	v_mov_b32_e32 v109, v96
	v_bfe_i32 v54, v129, 8, 8
	v_mov_b32_e32 v116, v94
	v_cvt_f32_i32_e32 v2, v2
	v_bfe_i32 v69, v48, 8, 8
	v_dual_mov_b32 v168, v22 :: v_dual_mov_b32 v31, v15
	v_bfe_i32 v66, v130, 16, 8
	s_delay_alu instid0(VALU_DEP_4) | instskip(SKIP_4) | instid1(VALU_DEP_1)
	v_fma_mix_f32 v2, v132, v2, 0 op_sel_hi:[1,0,0]
	v_ashrrev_i32_e32 v70, 24, v40
	s_wait_loadcnt 0xe
	v_mul_i32_i24_e32 v52, v221, v4
	s_wait_loadcnt 0xc
	v_add3_u32 v52, v1, v0, v52
	s_wait_loadcnt 0xb
	v_mul_i32_i24_e32 v87, v199, v152
	s_wait_loadcnt 0xa
	v_mul_i32_i24_e32 v91, v204, v162
	;; [unrolled: 2-line block ×4, first 2 shown]
	s_clause 0x6
	scratch_load_b32 v165, off, off offset:432
	scratch_load_b32 v1, off, off offset:1648 th:TH_LOAD_LU
	scratch_load_b32 v3, off, off offset:1728 th:TH_LOAD_LU
	;; [unrolled: 1-line block ×3, first 2 shown]
	scratch_load_b32 v218, off, off offset:904
	scratch_load_b32 v241, off, off offset:896
	;; [unrolled: 1-line block ×3, first 2 shown]
	v_mul_lo_u32 v52, v52, v62
	s_wait_loadcnt 0xa
	v_mul_i32_i24_e32 v85, v5, v126
	v_mul_i32_i24_e32 v86, v240, v134
	;; [unrolled: 1-line block ×5, first 2 shown]
	s_wait_loadcnt 0x8
	v_mul_i32_i24_e32 v209, v202, v164
	v_mul_i32_i24_e32 v215, v8, v215
	v_cvt_f32_i32_e32 v52, v52
	s_wait_loadcnt 0x7
	v_mul_i32_i24_e32 v0, v25, v27
	v_mov_b32_e32 v152, v6
	scratch_store_b64 off, v[132:133], off offset:1368 ; 8-byte Folded Spill
	v_mov_b32_e32 v132, v25
	v_fma_mix_f32 v52, v75, v52, 0 op_sel_hi:[1,0,0]
	v_mul_i32_i24_e32 v75, v96, v26
	v_ashrrev_i32_e32 v26, 24, v129
	v_bfe_i32 v158, v45, 16, 8
	v_ashrrev_i32_e32 v159, 24, v45
	s_delay_alu instid0(VALU_DEP_4) | instskip(SKIP_2) | instid1(VALU_DEP_3)
	v_add3_u32 v57, v57, v75, v79
	v_bfe_i32 v75, v44, 0, 8
	v_bfe_i32 v79, v40, 16, 8
	v_add3_u32 v57, v57, v80, v82
	v_bfe_i32 v80, v40, 0, 8
	v_ashrrev_i32_e32 v82, 24, v42
	s_delay_alu instid0(VALU_DEP_3) | instskip(NEXT) | instid1(VALU_DEP_1)
	v_add3_u32 v57, v57, v83, v84
	v_add3_u32 v57, v57, v85, v86
	v_bfe_i32 v86, v43, 16, 8
	v_ashrrev_i32_e32 v85, 24, v43
	v_ashrrev_i32_e32 v43, 24, v36
	s_delay_alu instid0(VALU_DEP_4) | instskip(SKIP_2) | instid1(VALU_DEP_3)
	v_add3_u32 v57, v57, v87, v88
	v_bfe_i32 v87, v41, 0, 8
	v_bfe_i32 v88, v41, 8, 8
	v_add3_u32 v57, v57, v89, v90
	v_bfe_i32 v89, v42, 0, 8
	v_bfe_i32 v90, v42, 8, 8
	s_delay_alu instid0(VALU_DEP_3) | instskip(SKIP_3) | instid1(VALU_DEP_4)
	v_add3_u32 v57, v57, v91, v143
	v_bfe_i32 v143, v44, 16, 8
	v_bfe_i32 v91, v42, 16, 8
	;; [unrolled: 1-line block ×3, first 2 shown]
	v_add3_u32 v57, v57, v209, v223
	v_bfe_i32 v223, v46, 0, 8
	v_ashrrev_i32_e32 v209, 24, v44
	s_delay_alu instid0(VALU_DEP_3) | instskip(SKIP_1) | instid1(VALU_DEP_3)
	v_add3_u32 v57, v57, v224, v225
	v_bfe_i32 v224, v46, 8, 8
	v_mul_i32_i24_e32 v11, v209, v243
	v_bfe_i32 v225, v46, 16, 8
	s_delay_alu instid0(VALU_DEP_4) | instskip(SKIP_3) | instid1(VALU_DEP_4)
	v_add3_u32 v0, v57, v226, v0
	v_bfe_i32 v57, v130, 8, 8
	v_ashrrev_i32_e32 v226, 24, v46
	v_bfe_i32 v46, v39, 16, 8
	v_mul_lo_u32 v0, v0, v208
	s_delay_alu instid0(VALU_DEP_1) | instskip(NEXT) | instid1(VALU_DEP_1)
	v_cvt_f32_i32_e32 v0, v0
	v_fma_mix_f32 v0, v133, v0, v2 op_sel_hi:[1,0,0]
	s_wait_loadcnt 0x6
	v_mul_i32_i24_e32 v227, v165, v7
	s_wait_loadcnt 0x3
	v_add3_u32 v3, v1, v3, v4
	s_delay_alu instid0(VALU_DEP_1) | instskip(SKIP_2) | instid1(VALU_DEP_3)
	v_add3_u32 v3, v3, v215, v227
	v_bfe_i32 v215, v45, 8, 8
	v_bfe_i32 v227, v47, 0, 8
	v_mul_lo_u32 v3, v3, v185
	s_delay_alu instid0(VALU_DEP_1) | instskip(NEXT) | instid1(VALU_DEP_1)
	v_cvt_f32_i32_e32 v3, v3
	v_fma_mix_f32 v2, v76, v3, v52 op_sel_hi:[1,0,0]
	v_fma_mix_f32 v3, v76, v231, v56 op_sel:[1,0,0] op_sel_hi:[1,0,0]
	v_fma_mix_f32 v52, v133, v213, v55 op_sel:[1,0,0] op_sel_hi:[1,0,0]
	v_bfe_i32 v55, v129, 16, 8
	v_bfe_i32 v56, v130, 0, 8
	s_delay_alu instid0(VALU_DEP_3) | instskip(SKIP_2) | instid1(VALU_DEP_2)
	v_dual_mov_b32 v133, v18 :: v_dual_mul_f32 v52, v52, v28
	s_wait_loadcnt 0x2
	v_mul_f32_e32 v3, v3, v218
	v_fma_f32 v0, v0, v232, -v52
	s_wait_loadcnt 0x1
	s_delay_alu instid0(VALU_DEP_2)
	v_fma_f32 v2, v2, v241, -v3
	v_bfe_i32 v3, v128, 0, 8
	v_bfe_i32 v52, v128, 16, 8
	s_clause 0x1
	scratch_store_b32 off, v0, off offset:1344
	scratch_store_b32 off, v2, off offset:1340
	s_clause 0x2
	scratch_load_b32 v1, off, off offset:1736 th:TH_LOAD_LU
	scratch_load_b32 v2, off, off offset:1740 th:TH_LOAD_LU
	scratch_load_b32 v230, off, off offset:436
	s_wait_loadcnt 0x3
	v_mul_i32_i24_e32 v0, v103, v7
	v_mov_b32_e32 v7, v59
	s_delay_alu instid0(VALU_DEP_1) | instskip(SKIP_1) | instid1(VALU_DEP_3)
	v_mov_b32_e32 v164, v7
	s_wait_loadcnt 0x1
	v_add3_u32 v0, v2, v1, v0
	scratch_load_b32 v1, off, off offset:1676 th:TH_LOAD_LU ; 4-byte Folded Reload
	v_mul_i32_i24_e32 v2, v25, v234
	v_ashrrev_i32_e32 v25, 24, v128
	s_wait_loadcnt 0x1
	v_mul_lo_u32 v0, v0, v230
	s_delay_alu instid0(VALU_DEP_1) | instskip(SKIP_1) | instid1(VALU_DEP_1)
	v_cvt_f32_i32_e32 v0, v0
	s_wait_loadcnt 0x0
	v_fma_mix_f32 v0, v76, v0, v1 op_sel_hi:[1,0,0]
	s_clause 0x1
	scratch_load_b32 v212, off, off offset:392
	scratch_load_b32 v1, off, off offset:1680 th:TH_LOAD_LU
	v_mov_b32_e32 v163, v5
	v_bfe_i32 v76, v44, 8, 8
	v_bfe_i32 v44, v37, 0, 8
	s_delay_alu instid0(VALU_DEP_2)
	v_mul_i32_i24_e32 v13, v76, v144
	s_wait_loadcnt 0x0
	v_fma_f32 v0, v0, v212, -v1
	scratch_load_b32 v1, off, off offset:624 ; 4-byte Folded Reload
	s_wait_loadcnt 0x0
	v_add_f32_e32 v1, v1, v0
	scratch_load_b32 v0, off, off offset:1684 th:TH_LOAD_LU ; 4-byte Folded Reload
	scratch_store_b32 off, v1, off offset:624 ; 4-byte Folded Spill
	s_clause 0x1
	scratch_load_b32 v9, off, off offset:1692 th:TH_LOAD_LU
	scratch_load_b32 v12, off, off offset:1696 th:TH_LOAD_LU
	v_fma_mix_f32 v1, v18, v73, 0 op_sel:[0,1,0] op_sel_hi:[0,1,0]
	s_delay_alu instid0(VALU_DEP_1) | instskip(NEXT) | instid1(VALU_DEP_1)
	v_fma_mix_f32 v1, v213, v74, v1 op_sel:[0,1,0] op_sel_hi:[0,1,0]
	v_mul_f32_e32 v1, v1, v28
	s_wait_loadcnt 0x2
	v_mul_lo_u32 v0, v0, v7
	s_wait_loadcnt 0x0
	v_add3_u32 v2, v12, v9, v2
	s_delay_alu instid0(VALU_DEP_2) | instskip(NEXT) | instid1(VALU_DEP_2)
	v_cvt_f32_i32_e32 v0, v0
	v_mul_lo_u32 v2, v2, v208
	s_delay_alu instid0(VALU_DEP_2) | instskip(NEXT) | instid1(VALU_DEP_2)
	v_fma_mix_f32 v0, v73, v0, 0 op_sel_hi:[1,0,0]
	v_cvt_f32_i32_e32 v2, v2
	s_delay_alu instid0(VALU_DEP_1) | instskip(SKIP_1) | instid1(VALU_DEP_2)
	v_fma_mix_f32 v0, v74, v2, v0 op_sel_hi:[1,0,0]
	v_mul_i32_i24_e32 v2, v165, v234
	v_fma_f32 v0, v0, v232, -v1
	scratch_load_b32 v1, off, off offset:528 ; 4-byte Folded Reload
	s_wait_loadcnt 0x0
	v_add_f32_e32 v1, v1, v0
	scratch_load_b32 v0, off, off offset:1700 th:TH_LOAD_LU ; 4-byte Folded Reload
	scratch_store_b32 off, v1, off offset:528 ; 4-byte Folded Spill
	s_clause 0x1
	scratch_load_b32 v9, off, off offset:1704 th:TH_LOAD_LU
	scratch_load_b32 v12, off, off offset:1708 th:TH_LOAD_LU
	v_fma_mix_f32 v1, v210, v73, 0 op_sel:[0,1,0] op_sel_hi:[0,1,0]
	s_clause 0x7
	scratch_load_b32 v219, off, off offset:932
	scratch_load_b32 v255, off, off offset:936
	;; [unrolled: 1-line block ×8, first 2 shown]
	v_fma_mix_f32 v1, v231, v74, v1 op_sel:[0,1,0] op_sel_hi:[0,1,0]
	s_clause 0x7
	scratch_load_b32 v207, off, off offset:548
	scratch_load_b32 v220, off, off offset:552
	;; [unrolled: 1-line block ×8, first 2 shown]
	v_mul_f32_e32 v1, v1, v218
	s_clause 0x3
	scratch_load_b32 v206, off, off offset:1180
	scratch_load_b32 v124, off, off offset:1188
	;; [unrolled: 1-line block ×3, first 2 shown]
	scratch_load_b32 v144, off, off offset:1720 th:TH_LOAD_LU
	s_clause 0x1
	scratch_store_b32 off, v31, off offset:356
	scratch_store_b32 off, v172, off offset:420
	s_wait_loadcnt 0x16
	v_mul_lo_u32 v0, v0, v15
	s_wait_loadcnt 0x14
	v_add3_u32 v2, v12, v9, v2
	v_mul_i32_i24_e32 v12, v143, v242
	v_mov_b32_e32 v242, v137
	s_delay_alu instid0(VALU_DEP_4) | instskip(SKIP_3) | instid1(VALU_DEP_3)
	v_cvt_f32_i32_e32 v0, v0
	s_wait_loadcnt 0x11
	v_mul_i32_i24_e32 v64, v53, v235
	v_mul_lo_u32 v2, v2, v185
	v_fma_mix_f32 v0, v73, v0, 0 op_sel_hi:[1,0,0]
	s_wait_loadcnt 0xc
	v_mul_i32_i24_e32 v65, v54, v236
	v_bfe_i32 v73, v51, 16, 8
	s_wait_loadcnt 0xb
	v_mul_i32_i24_e32 v60, v3, v207
	s_wait_loadcnt 0xa
	v_mul_i32_i24_e32 v61, v24, v220
	v_cvt_f32_i32_e32 v2, v2
	s_wait_loadcnt 0x9
	v_mul_i32_i24_e32 v62, v52, v195
	s_wait_loadcnt 0x8
	v_mul_i32_i24_e32 v63, v25, v205
	;; [unrolled: 2-line block ×4, first 2 shown]
	v_fma_mix_f32 v0, v74, v2, v0 op_sel_hi:[1,0,0]
	v_ashrrev_i32_e32 v2, 24, v127
	v_mul_i32_i24_e32 v108, v56, v250
	s_wait_loadcnt 0x4
	v_mul_i32_i24_e32 v96, v57, v228
	v_ashrrev_i32_e32 v74, 24, v51
	v_fma_f32 v0, v0, v241, -v1
	scratch_load_b32 v1, off, off offset:536 ; 4-byte Folded Reload
	v_mul_i32_i24_e32 v59, v2, v255
	s_wait_loadcnt 0x0
	v_add_f32_e32 v1, v1, v0
	scratch_load_b32 v0, off, off offset:1748 th:TH_LOAD_LU ; 4-byte Folded Reload
	scratch_store_b32 off, v1, off offset:536 ; 4-byte Folded Spill
	v_bfe_i32 v1, v127, 16, 8
	v_mul_i32_i24_e32 v127, v66, v149
	s_delay_alu instid0(VALU_DEP_2) | instskip(SKIP_1) | instid1(VALU_DEP_1)
	v_mul_i32_i24_e32 v58, v1, v219
	s_wait_loadcnt 0x0
	v_add3_u32 v4, v0, v58, v59
	scratch_load_b32 v0, off, off offset:868 ; 4-byte Folded Reload
	v_mul_i32_i24_e32 v58, v199, v3
	v_mul_i32_i24_e32 v59, v198, v24
	v_add3_u32 v4, v4, v60, v61
	v_mul_i32_i24_e32 v60, v197, v52
	v_mul_i32_i24_e32 v61, v196, v25
	s_delay_alu instid0(VALU_DEP_3) | instskip(SKIP_2) | instid1(VALU_DEP_3)
	v_add3_u32 v4, v4, v62, v63
	v_mul_i32_i24_e32 v62, v204, v53
	v_mul_i32_i24_e32 v63, v203, v54
	v_add3_u32 v4, v4, v64, v65
	v_mul_i32_i24_e32 v64, v202, v55
	v_mul_i32_i24_e32 v65, v201, v26
	s_delay_alu instid0(VALU_DEP_3)
	v_add3_u32 v129, v4, v67, v68
	v_mul_lo_u32 v4, v150, v7
	v_mul_i32_i24_e32 v67, v56, v6
	v_mul_i32_i24_e32 v68, v57, v172
	;; [unrolled: 1-line block ×4, first 2 shown]
	v_mov_b32_e32 v150, v149
	v_bfe_i32 v149, v40, 8, 8
	s_clause 0x1
	scratch_store_b32 off, v164, off offset:408
	scratch_store_b32 off, v152, off offset:416
	v_cvt_f32_i32_e32 v105, v4
	v_mul_i32_i24_e32 v4, v5, v1
	v_mul_i32_i24_e32 v5, v240, v2
	scratch_store_b32 off, v150, off offset:412 ; 4-byte Folded Spill
	v_bfe_i32 v40, v36, 8, 8
	v_add3_u32 v4, v214, v4, v5
	v_mul_i32_i24_e32 v5, v2, v134
	v_bfe_i32 v214, v45, 0, 8
	v_bfe_i32 v45, v37, 8, 8
	s_delay_alu instid0(VALU_DEP_4) | instskip(SKIP_1) | instid1(VALU_DEP_2)
	v_add3_u32 v4, v4, v58, v59
	v_mul_i32_i24_e32 v58, v52, v122
	v_add3_u32 v4, v4, v60, v61
	v_mul_i32_i24_e32 v61, v54, v249
	s_delay_alu instid0(VALU_DEP_2) | instskip(SKIP_1) | instid1(VALU_DEP_2)
	v_add3_u32 v4, v4, v62, v63
	v_mul_i32_i24_e32 v62, v55, v229
	v_add3_u32 v4, v4, v64, v65
	v_mul_i32_i24_e32 v64, v56, v92
	v_mul_i32_i24_e32 v65, v57, v114
	;; [unrolled: 1-line block ×4, first 2 shown]
	v_add3_u32 v126, v4, v67, v68
	v_mul_lo_u32 v4, v217, v15
	v_bfe_i32 v68, v48, 16, 8
	v_mov_b32_e32 v217, v92
	v_bfe_i32 v92, v41, 16, 8
	v_ashrrev_i32_e32 v67, 24, v47
	scratch_store_b32 off, v217, off offset:1744 ; 4-byte Folded Spill
	v_cvt_f32_i32_e32 v160, v4
	v_mul_i32_i24_e32 v4, v1, v162
	s_delay_alu instid0(VALU_DEP_1)
	v_add3_u32 v4, v216, v4, v5
	scratch_load_b32 v216, off, off offset:1724 th:TH_LOAD_LU ; 4-byte Folded Reload
	v_add3_u32 v4, v4, v6, v7
	s_wait_loadcnt 0x1
	v_mul_i32_i24_e32 v59, v25, v0
	scratch_load_b32 v0, off, off offset:380 ; 4-byte Folded Reload
	v_add3_u32 v4, v4, v58, v59
	v_bfe_i32 v58, v50, 0, 8
	v_bfe_i32 v59, v50, 8, 8
	s_wait_loadcnt 0x1
	v_mul_i32_i24_e32 v16, v73, v216
	s_wait_loadcnt 0x0
	v_mul_i32_i24_e32 v60, v53, v0
	scratch_load_b32 v0, off, off offset:764 ; 4-byte Folded Reload
	v_add3_u32 v4, v4, v60, v61
	v_bfe_i32 v60, v50, 16, 8
	v_ashrrev_i32_e32 v61, 24, v50
	v_bfe_i32 v50, v39, 0, 8
	s_wait_loadcnt 0x0
	v_mul_i32_i24_e32 v63, v26, v0
	scratch_load_b32 v0, off, off offset:984 ; 4-byte Folded Reload
	v_add3_u32 v4, v4, v62, v63
	v_bfe_i32 v62, v51, 0, 8
	v_bfe_i32 v63, v51, 8, 8
	v_bfe_i32 v51, v39, 8, 8
	v_ashrrev_i32_e32 v39, 24, v39
	v_add3_u32 v128, v4, v64, v65
	v_bfe_i32 v65, v47, 8, 8
	v_bfe_i32 v64, v47, 16, 8
	;; [unrolled: 1-line block ×3, first 2 shown]
	s_delay_alu instid0(VALU_DEP_2)
	v_mul_i32_i24_e32 v27, v64, v239
	s_wait_loadcnt 0x0
	v_mul_i32_i24_e32 v1, v1, v0
	scratch_load_b32 v0, off, off offset:964 ; 4-byte Folded Reload
	s_wait_loadcnt 0x0
	v_mul_i32_i24_e32 v2, v2, v0
	scratch_load_b32 v0, off, off offset:824 ; 4-byte Folded Reload
	v_add3_u32 v1, v106, v1, v2
	v_ashrrev_i32_e32 v106, 24, v41
	v_bfe_i32 v41, v36, 0, 8
	v_bfe_i32 v36, v37, 16, 8
	v_ashrrev_i32_e32 v37, 24, v37
	s_wait_loadcnt 0x0
	v_mul_i32_i24_e32 v3, v3, v0
	scratch_load_b32 v0, off, off offset:968 ; 4-byte Folded Reload
	s_wait_loadcnt 0x0
	v_mul_i32_i24_e32 v4, v24, v0
	scratch_load_b32 v0, off, off offset:828 ; 4-byte Folded Reload
	v_add3_u32 v1, v1, v3, v4
	v_mul_i32_i24_e32 v3, v226, v237
	s_wait_loadcnt 0x0
	v_mul_i32_i24_e32 v5, v52, v0
	scratch_load_b32 v0, off, off offset:972 ; 4-byte Folded Reload
	v_mul_i32_i24_e32 v52, v56, v248
	v_bfe_i32 v56, v49, 16, 8
	scratch_load_b32 v248, off, off offset:940 ; 4-byte Folded Reload
	s_wait_loadcnt 0x1
	v_mul_i32_i24_e32 v6, v25, v0
	scratch_load_b32 v0, off, off offset:748 ; 4-byte Folded Reload
	v_add3_u32 v1, v1, v5, v6
	v_mul_i32_i24_e32 v6, v223, v211
	scratch_load_b32 v211, off, off offset:952 ; 4-byte Folded Reload
	v_mul_i32_i24_e32 v5, v224, v137
	s_wait_loadcnt 0x1
	v_mul_i32_i24_e32 v7, v53, v0
	scratch_load_b32 v0, off, off offset:752 ; 4-byte Folded Reload
	v_mul_i32_i24_e32 v53, v57, v253
	v_ashrrev_i32_e32 v57, 24, v49
	scratch_load_b32 v253, off, off offset:1252 th:TH_LOAD_LU ; 4-byte Folded Reload
	s_wait_loadcnt 0x2
	v_mul_i32_i24_e32 v4, v225, v211
	s_wait_loadcnt 0x1
	v_mul_i32_i24_e32 v24, v54, v0
	scratch_load_b32 v0, off, off offset:976 ; 4-byte Folded Reload
	v_bfe_i32 v54, v49, 0, 8
	s_wait_loadcnt 0x1
	v_mul_i32_i24_e32 v84, v66, v253
	v_add3_u32 v1, v1, v7, v24
	v_mul_i32_i24_e32 v7, v159, v200
	s_wait_loadcnt 0x0
	v_mul_i32_i24_e32 v25, v55, v0
	scratch_load_b32 v0, off, off offset:980 ; 4-byte Folded Reload
	v_bfe_i32 v55, v49, 8, 8
	v_bfe_i32 v49, v38, 16, 8
	s_wait_loadcnt 0x0
	v_mul_i32_i24_e32 v26, v26, v0
	scratch_load_b32 v0, off, off offset:684 ; 4-byte Folded Reload
	v_add3_u32 v1, v1, v25, v26
	s_delay_alu instid0(VALU_DEP_1)
	v_add3_u32 v83, v1, v52, v53
	scratch_load_b32 v1, off, off offset:708 ; 4-byte Folded Reload
	v_ashrrev_i32_e32 v52, 24, v48
	v_bfe_i32 v53, v48, 0, 8
	v_bfe_i32 v48, v38, 8, 8
	v_ashrrev_i32_e32 v38, 24, v38
	s_wait_loadcnt 0x1
	s_delay_alu instid0(VALU_DEP_3)
	v_mul_i32_i24_e32 v94, v53, v0
	scratch_load_b32 v0, off, off offset:704 ; 4-byte Folded Reload
	s_wait_loadcnt 0x1
	v_mul_i32_i24_e32 v9, v52, v1
	scratch_load_b32 v1, off, off offset:956 ; 4-byte Folded Reload
	s_wait_loadcnt 0x1
	v_mul_i32_i24_e32 v0, v68, v0
	s_wait_loadcnt 0x0
	v_mad_i32_i24 v10, v69, v1, v94
	scratch_load_b32 v1, off, off offset:960 ; 4-byte Folded Reload
	v_add3_u32 v0, v10, v0, v9
	v_mul_i32_i24_e32 v10, v214, v144
	v_mul_i32_i24_e32 v9, v215, v151
	s_wait_loadcnt 0x0
	v_mul_i32_i24_e32 v25, v54, v1
	scratch_load_b32 v1, off, off offset:568 ; 4-byte Folded Reload
	s_wait_loadcnt 0x0
	v_mul_i32_i24_e32 v24, v55, v1
	scratch_load_b32 v1, off, off offset:676 ; 4-byte Folded Reload
	v_add3_u32 v0, v0, v25, v24
	v_mul_i32_i24_e32 v24, v49, v233
	v_mul_i32_i24_e32 v25, v38, v234
	s_wait_loadcnt 0x0
	v_mul_i32_i24_e32 v23, v56, v1
	scratch_load_b32 v1, off, off offset:680 ; 4-byte Folded Reload
	s_wait_loadcnt 0x0
	v_mul_i32_i24_e32 v94, v57, v1
	scratch_load_b32 v1, off, off offset:688 ; 4-byte Folded Reload
	v_add3_u32 v0, v0, v23, v94
	v_mul_i32_i24_e32 v23, v48, v236
	v_mul_i32_i24_e32 v94, v50, v250
	s_wait_loadcnt 0x0
	v_mul_i32_i24_e32 v22, v58, v1
	scratch_load_b32 v1, off, off offset:692 ; 4-byte Folded Reload
	s_wait_loadcnt 0x0
	v_mul_i32_i24_e32 v21, v59, v1
	scratch_load_b32 v1, off, off offset:696 ; 4-byte Folded Reload
	v_add3_u32 v0, v0, v22, v21
	v_mul_i32_i24_e32 v21, v37, v205
	v_mul_i32_i24_e32 v22, v47, v235
	s_wait_loadcnt 0x0
	v_mul_i32_i24_e32 v20, v60, v1
	scratch_load_b32 v1, off, off offset:700 ; 4-byte Folded Reload
	s_wait_loadcnt 0x0
	v_mul_i32_i24_e32 v19, v61, v1
	scratch_load_b32 v1, off, off offset:1208 ; 4-byte Folded Reload
	v_add3_u32 v0, v0, v20, v19
	v_mul_i32_i24_e32 v19, v45, v220
	v_mul_i32_i24_e32 v20, v36, v195
	s_wait_loadcnt 0x0
	v_mul_i32_i24_e32 v18, v62, v1
	scratch_load_b32 v1, off, off offset:1212 ; 4-byte Folded Reload
	s_wait_loadcnt 0x0
	v_mul_i32_i24_e32 v17, v63, v1
	scratch_load_b32 v1, off, off offset:1216 ; 4-byte Folded Reload
	v_add3_u32 v0, v0, v18, v17
	v_mul_i32_i24_e32 v17, v43, v255
	v_mul_i32_i24_e32 v18, v44, v207
	s_wait_loadcnt 0x0
	v_mul_i32_i24_e32 v15, v74, v1
	scratch_load_b32 v1, off, off offset:1220 ; 4-byte Folded Reload
	v_add3_u32 v0, v0, v16, v15
	v_mul_i32_i24_e32 v16, v42, v219
	s_wait_loadcnt 0x0
	v_mul_i32_i24_e32 v14, v75, v1
	scratch_load_b32 v1, off, off offset:724 ; 4-byte Folded Reload
	v_add3_u32 v0, v0, v14, v13
	s_delay_alu instid0(VALU_DEP_1) | instskip(NEXT) | instid1(VALU_DEP_1)
	v_add3_u32 v0, v0, v12, v11
	v_add3_u32 v0, v0, v10, v9
	s_delay_alu instid0(VALU_DEP_1) | instskip(NEXT) | instid1(VALU_DEP_1)
	v_add3_u32 v0, v0, v8, v7
	v_add3_u32 v0, v0, v6, v5
	s_delay_alu instid0(VALU_DEP_1) | instskip(SKIP_3) | instid1(VALU_DEP_1)
	v_add3_u32 v0, v0, v4, v3
	s_wait_loadcnt 0x0
	v_mul_i32_i24_e32 v2, v227, v1
	v_mul_i32_i24_e32 v1, v65, v238
	v_add3_u32 v4, v0, v2, v1
	scratch_load_b32 v0, off, off offset:256 ; 4-byte Folded Reload
	v_mul_i32_i24_e32 v1, v80, v244
	scratch_load_b32 v244, off, off offset:944 ; 4-byte Folded Reload
	v_mul_i32_i24_e32 v2, v79, v246
	s_wait_loadcnt 0x1
	v_mad_i32_i24 v1, v149, v0, v1
	scratch_load_b32 v0, off, off offset:492 ; 4-byte Folded Reload
	s_wait_loadcnt 0x1
	v_mul_i32_i24_e32 v3, v70, v244
	s_delay_alu instid0(VALU_DEP_1)
	v_add3_u32 v1, v1, v2, v3
	v_mul_i32_i24_e32 v3, v88, v248
	v_mul_i32_i24_e32 v2, v92, v245
	s_wait_loadcnt 0x0
	v_mul_i32_i24_e32 v26, v87, v0
	scratch_load_b32 v0, off, off offset:468 ; 4-byte Folded Reload
	v_add3_u32 v1, v1, v26, v3
	v_mul_i32_i24_e32 v26, v147, v65
	s_wait_loadcnt 0x0
	v_mul_i32_i24_e32 v5, v106, v0
	scratch_load_b32 v0, off, off offset:496 ; 4-byte Folded Reload
	v_add3_u32 v1, v1, v2, v5
	scratch_load_b32 v5, off, off offset:740 ; 4-byte Folded Reload
	v_ashrrev_i32_e32 v2, 24, v130
	v_mov_b32_e32 v130, v231
	s_wait_loadcnt 0x1
	v_mul_i32_i24_e32 v6, v89, v0
	scratch_load_b32 v0, off, off offset:500 ; 4-byte Folded Reload
	s_wait_loadcnt 0x1
	v_mul_i32_i24_e32 v3, v136, v5
	v_mul_i32_i24_e32 v5, v67, v5
	s_delay_alu instid0(VALU_DEP_1)
	v_add3_u32 v4, v4, v27, v5
	v_mul_i32_i24_e32 v27, v146, v64
	s_wait_loadcnt 0x0
	v_mul_i32_i24_e32 v7, v90, v0
	scratch_load_b32 v0, off, off offset:448 ; 4-byte Folded Reload
	v_add3_u32 v1, v1, v6, v7
	s_wait_loadcnt 0x0
	v_mul_i32_i24_e32 v8, v91, v0
	scratch_load_b32 v0, off, off offset:472 ; 4-byte Folded Reload
	s_wait_loadcnt 0x0
	v_mul_i32_i24_e32 v9, v82, v0
	scratch_load_b32 v0, off, off offset:504 ; 4-byte Folded Reload
	v_add3_u32 v1, v1, v8, v9
	s_wait_loadcnt 0x0
	v_mul_i32_i24_e32 v10, v104, v0
	scratch_load_b32 v0, off, off offset:508 ; 4-byte Folded Reload
	;; [unrolled: 7-line block ×3, first 2 shown]
	s_wait_loadcnt 0x0
	v_mul_i32_i24_e32 v13, v85, v0
	scratch_load_b32 v0, off, off offset:512 ; 4-byte Folded Reload
	v_add3_u32 v1, v1, v12, v13
	v_mul_i32_i24_e32 v12, v115, v74
	v_mul_i32_i24_e32 v13, v142, v75
	s_wait_loadcnt 0x0
	v_mul_i32_i24_e32 v14, v41, v0
	s_clause 0x4
	scratch_load_b32 v0, off, off offset:516
	scratch_load_b32 v5, off, off offset:1712 th:TH_LOAD_LU
	scratch_load_b32 v6, off, off offset:1716 th:TH_LOAD_LU
	scratch_load_b32 v8, off, off offset:344
	scratch_load_b32 v10, off, off offset:352
	s_wait_loadcnt 0x4
	v_mul_i32_i24_e32 v15, v40, v0
	v_mul_i32_i24_e32 v0, v51, v228
	s_wait_loadcnt 0x2
	v_add3_u32 v3, v6, v5, v3
	s_clause 0x1
	scratch_load_b32 v5, off, off offset:744
	scratch_load_b32 v6, off, off offset:348
	v_add3_u32 v1, v1, v14, v15
	s_wait_loadcnt 0x3
	v_mul_i32_i24_e32 v7, v46, v8
	s_wait_loadcnt 0x2
	v_mul_i32_i24_e32 v9, v10, v39
	v_mul_i32_i24_e32 v8, v66, v8
	;; [unrolled: 1-line block ×3, first 2 shown]
	v_add3_u32 v1, v1, v16, v17
	v_mul_i32_i24_e32 v14, v131, v76
	v_mul_i32_i24_e32 v15, v123, v143
	;; [unrolled: 1-line block ×4, first 2 shown]
	v_add3_u32 v1, v1, v18, v19
	v_mul_i32_i24_e32 v18, v186, v215
	v_mul_i32_i24_e32 v19, v125, v158
	;; [unrolled: 1-line block ×3, first 2 shown]
	s_delay_alu instid0(VALU_DEP_4) | instskip(SKIP_2) | instid1(VALU_DEP_3)
	v_add3_u32 v1, v1, v20, v21
	v_mul_i32_i24_e32 v20, v116, v159
	v_mul_i32_i24_e32 v21, v141, v223
	v_add3_u32 v1, v1, v22, v23
	v_mul_i32_i24_e32 v22, v140, v224
	v_mul_i32_i24_e32 v23, v139, v225
	s_delay_alu instid0(VALU_DEP_3) | instskip(SKIP_2) | instid1(VALU_DEP_3)
	v_add3_u32 v1, v1, v24, v25
	v_mul_i32_i24_e32 v24, v138, v226
	v_mul_i32_i24_e32 v25, v148, v227
	v_add3_u32 v0, v1, v94, v0
	v_add3_u32 v1, v129, v108, v96
	s_clause 0x1
	scratch_load_b32 v96, off, off offset:636
	scratch_load_b32 v11, off, off offset:604
	v_dual_mov_b32 v129, v132 :: v_dual_mov_b32 v132, v185
	v_add3_u32 v0, v0, v7, v9
	scratch_load_b32 v7, off, off offset:252 ; 4-byte Folded Reload
	v_add3_u32 v1, v1, v8, v10
	s_clause 0x7
	scratch_load_b32 v94, off, off offset:600
	scratch_load_b32 v245, off, off offset:756
	;; [unrolled: 1-line block ×8, first 2 shown]
	v_mul_i32_i24_e32 v8, v254, v61
	v_mul_i32_i24_e32 v9, v247, v62
	;; [unrolled: 1-line block ×3, first 2 shown]
	s_clause 0xf
	scratch_load_b32 v231, off, off offset:360
	scratch_load_b32 v243, off, off offset:1036
	scratch_load_b32 v220, off, off offset:1044
	scratch_load_b32 v228, off, off offset:1192 th:TH_LOAD_LU
	scratch_load_b32 v195, off, off offset:1128 th:TH_LOAD_LU
	;; [unrolled: 1-line block ×4, first 2 shown]
	scratch_load_b32 v246, off, off offset:856
	scratch_load_b32 v200, off, off offset:988
	scratch_load_b32 v205, off, off offset:1004 th:TH_LOAD_LU
	scratch_load_b32 v207, off, off offset:1012 th:TH_LOAD_LU
	;; [unrolled: 1-line block ×5, first 2 shown]
	scratch_load_b32 v180, off, off offset:836
	scratch_load_b32 v247, off, off offset:860
	scratch_store_b32 off, v252, off offset:368 ; 4-byte Folded Spill
	v_mov_b32_e32 v185, v249
	s_clause 0x1
	scratch_load_b32 v249, off, off offset:780
	scratch_load_b32 v140, off, off offset:772
	s_clause 0x4
	scratch_store_b32 off, v208, off offset:916
	scratch_store_b32 off, v210, off offset:928
	;; [unrolled: 1-line block ×5, first 2 shown]
	s_clause 0x10
	scratch_load_b32 v186, off, off offset:1096 th:TH_LOAD_LU
	scratch_load_b32 v189, off, off offset:1108 th:TH_LOAD_LU
	;; [unrolled: 1-line block ×5, first 2 shown]
	scratch_load_b32 v135, off, off offset:684
	scratch_load_b32 v131, off, off offset:960 th:TH_LOAD_LU
	scratch_load_b32 v138, off, off offset:696
	scratch_load_b32 v139, off, off offset:700
	scratch_load_b32 v141, off, off offset:1208 th:TH_LOAD_LU
	scratch_load_b32 v145, off, off offset:716
	scratch_load_b32 v146, off, off offset:1232 th:TH_LOAD_LU
	scratch_load_b32 v147, off, off offset:1236 th:TH_LOAD_LU
	scratch_load_b32 v116, off, off offset:564
	scratch_load_b32 v123, off, off offset:496
	;; [unrolled: 1-line block ×4, first 2 shown]
	s_wait_loadcnt 0x2f
	v_mul_lo_u32 v4, v4, v5
	v_mul_lo_u32 v3, v3, v5
	s_wait_loadcnt 0x2e
	v_fma_mix_f32 v5, v6, v71, 0 op_sel:[0,1,0] op_sel_hi:[0,1,0]
	v_fma_mix_f32 v6, v6, v77, 0 op_sel:[0,1,0] op_sel_hi:[0,1,0]
	s_delay_alu instid0(VALU_DEP_4) | instskip(NEXT) | instid1(VALU_DEP_4)
	v_cvt_f32_i32_e32 v4, v4
	v_cvt_f32_i32_e32 v3, v3
	s_delay_alu instid0(VALU_DEP_2) | instskip(NEXT) | instid1(VALU_DEP_2)
	v_fma_mix_f32 v4, v71, v4, 0 op_sel_hi:[1,0,0]
	v_fma_mix_f32 v3, v77, v3, 0 op_sel_hi:[1,0,0]
	s_wait_loadcnt 0x2b
	v_mul_lo_u32 v0, v0, v7
	v_mul_lo_u32 v1, v1, v7
	v_mul_i32_i24_e32 v7, v192, v60
	scratch_load_b32 v192, off, off offset:1116 th:TH_LOAD_LU ; 4-byte Folded Reload
	v_cvt_f32_i32_e32 v0, v0
	v_cvt_f32_i32_e32 v1, v1
	s_delay_alu instid0(VALU_DEP_2)
	v_fma_mix_f32 v0, v72, v0, v4 op_sel_hi:[1,0,0]
	scratch_load_b32 v4, off, off offset:248 ; 4-byte Folded Reload
	v_fma_mix_f32 v1, v78, v1, v3 op_sel_hi:[1,0,0]
	s_wait_loadcnt 0x0
	v_fma_mix_f32 v3, v4, v78, v6 op_sel:[0,1,0] op_sel_hi:[0,1,0]
	v_fma_mix_f32 v4, v4, v72, v5 op_sel:[0,1,0] op_sel_hi:[0,1,0]
	scratch_load_b32 v5, off, off offset:404 ; 4-byte Folded Reload
	v_mul_i32_i24_e32 v6, v29, v59
	v_bfe_i32 v29, v100, 8, 8
	s_wait_loadcnt 0x0
	v_mul_f32_e32 v4, v4, v5
	scratch_load_b32 v5, off, off offset:388 ; 4-byte Folded Reload
	s_wait_loadcnt 0x0
	v_mul_f32_e32 v3, v3, v5
	scratch_load_b32 v5, off, off offset:384 ; 4-byte Folded Reload
	s_wait_loadcnt 0x0
	v_fma_f32 v1, v1, v5, -v3
	scratch_load_b32 v3, off, off offset:400 ; 4-byte Folded Reload
	v_mul_i32_i24_e32 v5, v129, v2
	s_delay_alu instid0(VALU_DEP_1) | instskip(SKIP_4) | instid1(VALU_DEP_1)
	v_add3_u32 v5, v126, v127, v5
	s_clause 0x1
	scratch_load_b32 v126, off, off offset:1156 th:TH_LOAD_LU
	scratch_load_b32 v127, off, off offset:1160 th:TH_LOAD_LU
	v_mul_lo_u32 v5, v5, v208
	v_cvt_f32_i32_e32 v5, v5
	s_wait_loadcnt 0x2
	v_fma_f32 v0, v0, v3, -v4
	v_fma_mix_f32 v3, v77, v105, 0 op_sel_hi:[1,0,0]
	v_fma_mix_f32 v4, v133, v77, 0 op_sel:[0,1,0] op_sel_hi:[0,1,0]
	scratch_load_b32 v105, off, off offset:424 ; 4-byte Folded Reload
	v_fma_mix_f32 v3, v78, v5, v3 op_sel_hi:[1,0,0]
	v_mul_i32_i24_e32 v5, v165, v2
	v_fma_mix_f32 v4, v213, v78, v4 op_sel:[0,1,0] op_sel_hi:[0,1,0]
	v_mul_i32_i24_e32 v2, v2, v103
	s_delay_alu instid0(VALU_DEP_3) | instskip(NEXT) | instid1(VALU_DEP_3)
	v_add3_u32 v5, v128, v114, v5
	v_mul_f32_e32 v4, v4, v28
	s_delay_alu instid0(VALU_DEP_3)
	v_add3_u32 v2, v83, v84, v2
	v_mul_i32_i24_e32 v83, v153, v88
	v_mul_i32_i24_e32 v84, v156, v92
	v_mul_lo_u32 v5, v5, v132
	v_fma_f32 v3, v3, v232, -v4
	v_fma_mix_f32 v4, v210, v77, 0 op_sel:[0,1,0] op_sel_hi:[0,1,0]
	v_mul_lo_u32 v2, v2, v230
	v_mov_b32_e32 v114, v212
	scratch_store_b32 off, v133, off offset:908 ; 4-byte Folded Spill
	v_add_f32_e32 v11, v11, v3
	v_fma_mix_f32 v3, v77, v160, 0 op_sel_hi:[1,0,0]
	v_cvt_f32_i32_e32 v5, v5
	v_fma_mix_f32 v4, v130, v78, v4 op_sel:[0,1,0] op_sel_hi:[0,1,0]
	scratch_load_b32 v160, off, off offset:380 ; 4-byte Folded Reload
	v_cvt_f32_i32_e32 v2, v2
	scratch_store_b32 off, v11, off offset:604 ; 4-byte Folded Spill
	v_fma_mix_f32 v3, v78, v5, v3 op_sel_hi:[1,0,0]
	v_mul_f32_e32 v4, v4, v218
	v_mul_i32_i24_e32 v5, v30, v58
	v_mul_i32_i24_e32 v11, v170, v73
	v_mov_b32_e32 v128, v230
	scratch_load_b32 v230, off, off offset:984 th:TH_LOAD_LU ; 4-byte Folded Reload
	v_fma_f32 v3, v3, v241, -v4
	s_clause 0x1
	scratch_load_b32 v4, off, off offset:524
	scratch_load_b32 v156, off, off offset:1216 th:TH_LOAD_LU
	v_bfe_i32 v30, v100, 16, 8
	v_mov_b32_e32 v170, v211
	scratch_load_b32 v211, off, off offset:448 ; 4-byte Folded Reload
	s_wait_loadcnt 0x2
	v_add_f32_e32 v4, v4, v3
	v_fma_mix_f32 v3, v77, v251, 0 op_sel_hi:[1,0,0]
	scratch_load_b32 v251, off, off offset:852 ; 4-byte Folded Reload
	scratch_store_b32 off, v4, off offset:524 ; 4-byte Folded Spill
	v_fma_mix_f32 v4, v77, v136, 0 op_sel:[1,0,0] op_sel_hi:[1,0,0]
	v_fma_mix_f32 v2, v78, v2, v3 op_sel_hi:[1,0,0]
	s_delay_alu instid0(VALU_DEP_2)
	v_fma_mix_f32 v3, v78, v105, v4 op_sel:[1,0,0] op_sel_hi:[1,0,0]
	v_mul_i32_i24_e32 v4, v193, v57
	v_mul_i32_i24_e32 v78, v161, v87
	s_clause 0x1
	scratch_load_b32 v193, off, off offset:1120 th:TH_LOAD_LU
	scratch_load_b32 v161, off, off offset:704
	v_mul_f32_e32 v3, v3, v137
	s_delay_alu instid0(VALU_DEP_1)
	v_fma_f32 v2, v2, v212, -v3
	s_clause 0x1
	scratch_load_b32 v3, off, off offset:532
	scratch_load_b32 v212, off, off offset:1040
	s_wait_loadcnt 0x1
	v_add_f32_e32 v3, v3, v2
	scratch_store_b32 off, v3, off offset:532 ; 4-byte Folded Spill
	scratch_load_b64 v[2:3], off, off offset:540 th:TH_LOAD_LU ; 8-byte Folded Reload
	s_wait_loadcnt 0x0
	v_dual_add_f32 v3, v3, v0 :: v_dual_add_f32 v2, v2, v1
	v_mul_i32_i24_e32 v0, v81, v53
	v_mul_i32_i24_e32 v1, v187, v68
	scratch_load_b32 v187, off, off offset:1100 th:TH_LOAD_LU ; 4-byte Folded Reload
	scratch_store_b64 off, v[2:3], off offset:540 ; 8-byte Folded Spill
	v_mul_i32_i24_e32 v2, v95, v52
	v_mad_i32_i24 v0, v188, v69, v0
	v_mul_i32_i24_e32 v3, v194, v56
	s_clause 0x2
	scratch_load_b32 v188, off, off offset:1104 th:TH_LOAD_LU
	scratch_load_b32 v194, off, off offset:1124 th:TH_LOAD_LU
	scratch_load_b32 v95, off, off offset:1032
	v_add3_u32 v0, v0, v1, v2
	v_mul_i32_i24_e32 v1, v190, v54
	v_mul_i32_i24_e32 v2, v191, v55
	s_clause 0x1
	scratch_load_b32 v190, off, off offset:840
	scratch_load_b32 v191, off, off offset:1112 th:TH_LOAD_LU
	v_add3_u32 v0, v0, v1, v2
	v_mul_i32_i24_e32 v1, v107, v80
	v_mul_i32_i24_e32 v2, v168, v79
	s_clause 0x1
	scratch_load_b32 v107, off, off offset:792
	scratch_load_b32 v168, off, off offset:1084 th:TH_LOAD_LU
	v_add3_u32 v0, v0, v3, v4
	v_mul_i32_i24_e32 v3, v154, v70
	v_mad_i32_i24 v1, v169, v149, v1
	v_mul_i32_i24_e32 v4, v167, v91
	scratch_load_b32 v154, off, off offset:868 ; 4-byte Folded Reload
	v_add3_u32 v0, v0, v5, v6
	v_mul_i32_i24_e32 v5, v166, v82
	v_add3_u32 v77, v1, v2, v3
	v_mul_i32_i24_e32 v1, v155, v106
	v_mul_i32_i24_e32 v2, v173, v89
	v_add3_u32 v0, v0, v7, v8
	v_mul_i32_i24_e32 v3, v157, v90
	v_mul_i32_i24_e32 v6, v109, v104
	;; [unrolled: 1-line block ×4, first 2 shown]
	v_add3_u32 v0, v0, v9, v10
	v_mul_i32_i24_e32 v9, v174, v85
	v_mul_i32_i24_e32 v10, v102, v41
	s_clause 0x1
	scratch_load_b32 v155, off, off offset:864
	scratch_load_b32 v179, off, off offset:1060 th:TH_LOAD_LU
	v_add3_u32 v0, v0, v11, v12
	v_mul_i32_i24_e32 v11, v101, v40
	v_mul_i32_i24_e32 v12, v163, v42
	s_clause 0x1
	scratch_load_b32 v101, off, off offset:1144 th:TH_LOAD_LU
	scratch_load_b32 v102, off, off offset:1148 th:TH_LOAD_LU
	v_add3_u32 v0, v0, v13, v14
	v_mul_i32_i24_e32 v13, v240, v43
	v_mul_i32_i24_e32 v14, v199, v44
	s_clause 0x1
	scratch_load_b32 v199, off, off offset:764
	scratch_load_b32 v109, off, off offset:796
	v_add3_u32 v0, v0, v15, v16
	v_mul_i32_i24_e32 v15, v198, v45
	v_mul_i32_i24_e32 v16, v197, v36
	s_clause 0x1
	scratch_load_b32 v197, off, off offset:1136 th:TH_LOAD_LU
	scratch_load_b32 v198, off, off offset:1140 th:TH_LOAD_LU
	v_add3_u32 v0, v0, v17, v18
	v_mul_i32_i24_e32 v17, v196, v37
	v_mul_i32_i24_e32 v18, v204, v47
	s_clause 0x1
	scratch_load_b32 v204, off, off offset:1000 th:TH_LOAD_LU
	scratch_load_b32 v196, off, off offset:1132 th:TH_LOAD_LU
	v_add3_u32 v0, v0, v19, v20
	v_mul_i32_i24_e32 v19, v203, v48
	v_mul_i32_i24_e32 v20, v202, v49
	s_clause 0x1
	scratch_load_b32 v202, off, off offset:776
	scratch_load_b32 v203, off, off offset:996 th:TH_LOAD_LU
	v_add3_u32 v0, v0, v21, v22
	v_mul_i32_i24_e32 v21, v201, v38
	v_mul_i32_i24_e32 v22, v50, v152
	s_clause 0x1
	scratch_load_b32 v201, off, off offset:992 th:TH_LOAD_LU
	scratch_load_b32 v240, off, off offset:980 th:TH_LOAD_LU
	v_add3_u32 v0, v0, v23, v24
	v_mul_i32_i24_e32 v23, v51, v172
	v_mul_i32_i24_e32 v24, v46, v150
	v_mov_b32_e32 v150, v242
	scratch_load_b32 v163, off, off offset:708 ; 4-byte Folded Reload
	v_add3_u32 v0, v0, v25, v26
	v_add3_u32 v26, v77, v78, v83
	v_mul_i32_i24_e32 v25, v129, v39
	v_mul_i32_i24_e32 v78, v165, v39
	scratch_load_b32 v129, off, off offset:956 th:TH_LOAD_LU ; 4-byte Folded Reload
	v_add3_u32 v0, v0, v27, v66
	v_add3_u32 v1, v26, v84, v1
	v_fma_mix_f32 v27, v133, v71, 0 op_sel:[0,1,0] op_sel_hi:[0,1,0]
	scratch_load_b32 v26, off, off offset:116 ; 4-byte Folded Reload
	v_mul_i32_i24_e32 v66, v67, v221
	v_mul_lo_u32 v0, v0, v164
	v_add3_u32 v1, v1, v2, v3
	s_clause 0x3
	scratch_load_b32 v2, off, off offset:28
	scratch_load_b32 v3, off, off offset:24
	scratch_load_b32 v221, off, off offset:1652 th:TH_LOAD_LU
	scratch_load_b32 v133, off, off offset:676
	v_add3_u32 v1, v1, v4, v5
	s_clause 0x1
	scratch_load_b32 v4, off, off offset:44
	scratch_load_b32 v5, off, off offset:48
	v_cvt_f32_i32_e32 v0, v0
	scratch_load_b32 v152, off, off offset:1212 th:TH_LOAD_LU ; 4-byte Folded Reload
	v_add3_u32 v1, v1, v6, v7
	s_clause 0x1
	scratch_load_b32 v6, off, off offset:52
	scratch_load_b32 v7, off, off offset:56
	v_fma_mix_f32 v0, v71, v0, 0 op_sel_hi:[1,0,0]
	scratch_load_b32 v164, off, off offset:1220 th:TH_LOAD_LU ; 4-byte Folded Reload
	v_add3_u32 v1, v1, v8, v9
	s_clause 0x3
	scratch_load_b32 v8, off, off offset:372
	scratch_load_b32 v9, off, off offset:72
	scratch_load_b32 v165, off, off offset:1224 th:TH_LOAD_LU
	scratch_load_b32 v166, off, off offset:1228 th:TH_LOAD_LU
	v_add3_u32 v1, v1, v10, v11
	s_clause 0x3
	scratch_load_b32 v10, off, off
	scratch_load_b32 v11, off, off offset:4
	scratch_load_b32 v167, off, off offset:712
	scratch_load_b32 v169, off, off offset:1240 th:TH_LOAD_LU
	v_add3_u32 v1, v1, v12, v13
	s_clause 0x3
	scratch_load_b32 v12, off, off offset:8
	scratch_load_b32 v13, off, off offset:12
	;; [unrolled: 1-line block ×4, first 2 shown]
	v_add3_u32 v1, v1, v14, v15
	s_clause 0x3
	scratch_load_b32 v14, off, off offset:16
	scratch_load_b32 v15, off, off offset:76
	scratch_load_b32 v173, off, off offset:1244 th:TH_LOAD_LU
	scratch_load_b32 v242, off, off offset:256
	v_add3_u32 v1, v1, v16, v17
	s_clause 0x1
	scratch_load_b32 v16, off, off offset:80
	scratch_load_b32 v17, off, off offset:84
	v_mov_b32_e32 v153, v216
	v_mov_b32_e32 v125, v248
	v_add3_u32 v1, v1, v18, v19
	s_clause 0x3
	scratch_load_b32 v18, off, off offset:88
	scratch_load_b32 v19, off, off offset:92
	;; [unrolled: 1-line block ×4, first 2 shown]
	v_add3_u32 v1, v1, v20, v21
	scratch_load_b32 v20, off, off offset:96 ; 4-byte Folded Reload
	v_mul_i32_i24_e32 v21, v223, v252
	s_clause 0x1
	scratch_load_b32 v252, off, off offset:760
	scratch_load_b32 v157, off, off offset:456
	v_add3_u32 v1, v1, v22, v23
	s_clause 0x2
	scratch_load_b32 v22, off, off offset:100
	scratch_load_b32 v23, off, off offset:104
	;; [unrolled: 1-line block ×3, first 2 shown]
	v_add3_u32 v1, v1, v24, v25
	s_clause 0x1
	scratch_load_b32 v24, off, off offset:108
	scratch_load_b32 v25, off, off offset:112
	v_mul_lo_u32 v1, v1, v208
	scratch_load_b32 v208, off, off offset:1064 th:TH_LOAD_LU ; 4-byte Folded Reload
	v_cvt_f32_i32_e32 v1, v1
	s_delay_alu instid0(VALU_DEP_1)
	v_fma_mix_f32 v0, v72, v1, v0 op_sel_hi:[1,0,0]
	v_fma_mix_f32 v1, v213, v72, v27 op_sel:[0,1,0] op_sel_hi:[0,1,0]
	s_clause 0x1
	scratch_load_b32 v27, off, off offset:120
	scratch_load_b32 v213, off, off offset:484
	v_mul_f32_e32 v1, v1, v28
	scratch_load_b32 v28, off, off offset:1256 ; 4-byte Folded Reload
	v_fma_f32 v0, v0, v232, -v1
	s_clause 0x1
	scratch_load_b32 v1, off, off offset:20
	scratch_load_b32 v232, off, off offset:964 th:TH_LOAD_LU
	v_add_f32_e32 v94, v94, v0
	scratch_load_b32 v0, off, off offset:124 ; 4-byte Folded Reload
	scratch_store_b32 off, v94, off offset:600 ; 4-byte Folded Spill
	scratch_load_b32 v94, off, off offset:832 ; 4-byte Folded Reload
	s_wait_loadcnt 0x30
	v_mul_i32_i24_e32 v26, v65, v26
	s_wait_loadcnt 0x2f
	v_mul_i32_i24_e32 v2, v52, v2
	;; [unrolled: 2-line block ×26, first 2 shown]
	s_delay_alu instid0(VALU_DEP_1)
	v_mad_i32_i24 v0, v69, v3, v0
	scratch_load_b32 v3, off, off offset:40 ; 4-byte Folded Reload
	v_add3_u32 v0, v0, v1, v2
	s_clause 0x1
	scratch_load_b32 v1, off, off offset:32
	scratch_load_b32 v2, off, off offset:36
	s_wait_loadcnt 0x2
	v_mul_i32_i24_e32 v3, v56, v3
	s_wait_loadcnt 0x1
	v_mul_i32_i24_e32 v1, v54, v1
	;; [unrolled: 2-line block ×3, first 2 shown]
	s_delay_alu instid0(VALU_DEP_1)
	v_add3_u32 v0, v0, v1, v2
	v_mul_i32_i24_e32 v2, v80, v222
	scratch_load_b32 v222, off, off offset:1204 th:TH_LOAD_LU ; 4-byte Folded Reload
	v_fma_mix_f32 v1, v210, v71, 0 op_sel:[0,1,0] op_sel_hi:[0,1,0]
	v_mov_b32_e32 v210, v229
	v_add3_u32 v0, v0, v3, v4
	s_clause 0x1
	scratch_load_b32 v3, off, off offset:64
	scratch_load_b32 v4, off, off offset:364
	v_mad_i32_i24 v2, v149, v231, v2
	v_fma_mix_f32 v1, v130, v72, v1 op_sel:[0,1,0] op_sel_hi:[0,1,0]
	v_add3_u32 v0, v0, v5, v6
	scratch_load_b32 v5, off, off offset:376 ; 4-byte Folded Reload
	v_mul_i32_i24_e32 v6, v106, v245
	scratch_load_b32 v229, off, off offset:1056 th:TH_LOAD_LU ; 4-byte Folded Reload
	v_mov_b32_e32 v130, v244
	v_add3_u32 v0, v0, v7, v8
	v_mul_i32_i24_e32 v7, v89, v220
	v_mul_i32_i24_e32 v8, v90, v251
	scratch_load_b32 v244, off, off offset:468 ; 4-byte Folded Reload
	v_add3_u32 v0, v0, v9, v10
	scratch_load_b32 v9, off, off offset:888 ; 4-byte Folded Reload
	v_mul_i32_i24_e32 v10, v82, v246
	v_add3_u32 v0, v0, v11, v12
	scratch_load_b32 v11, off, off offset:68 ; 4-byte Folded Reload
	v_mul_i32_i24_e32 v12, v93, v247
	v_add3_u32 v0, v0, v13, v14
	v_mul_i32_i24_e32 v13, v86, v252
	s_delay_alu instid0(VALU_DEP_2) | instskip(SKIP_2) | instid1(VALU_DEP_3)
	v_add3_u32 v0, v0, v15, v16
	v_mul_i32_i24_e32 v15, v41, v228
	v_mul_i32_i24_e32 v16, v40, v155
	v_add3_u32 v0, v0, v17, v18
	v_mul_i32_i24_e32 v17, v42, v162
	v_mul_i32_i24_e32 v18, v43, v134
	s_clause 0x1
	scratch_load_b32 v134, off, off offset:680
	scratch_load_b32 v162, off, off offset:452
	v_add3_u32 v0, v0, v19, v20
	v_mul_i32_i24_e32 v19, v44, v206
	scratch_load_b32 v206, off, off offset:1008 th:TH_LOAD_LU ; 4-byte Folded Reload
	v_mul_i32_i24_e32 v20, v45, v124
	scratch_load_b32 v124, off, off offset:492 ; 4-byte Folded Reload
	v_add3_u32 v0, v0, v21, v22
	v_mul_i32_i24_e32 v21, v36, v122
	v_mul_i32_i24_e32 v22, v37, v154
	;; [unrolled: 1-line block ×4, first 2 shown]
	v_add3_u32 v0, v0, v23, v24
	v_mul_i32_i24_e32 v23, v47, v160
	v_mov_b32_e32 v122, v250
	scratch_load_b32 v250, off, off offset:260 ; 4-byte Folded Reload
	v_add3_u32 v0, v0, v25, v26
	v_mul_i32_i24_e32 v25, v49, v210
	v_mul_i32_i24_e32 v26, v38, v199
	s_delay_alu instid0(VALU_DEP_3)
	v_add3_u32 v0, v0, v27, v66
	v_mul_i32_i24_e32 v66, v51, v28
	scratch_load_b32 v28, off, off offset:768 ; 4-byte Folded Reload
	v_mul_i32_i24_e32 v27, v50, v217
	scratch_load_b32 v217, off, off offset:476 ; 4-byte Folded Reload
	v_mul_lo_u32 v0, v0, v31
	v_bfe_i32 v31, v110, 0, 8
	s_delay_alu instid0(VALU_DEP_2) | instskip(NEXT) | instid1(VALU_DEP_1)
	v_cvt_f32_i32_e32 v0, v0
	v_fma_mix_f32 v0, v71, v0, 0 op_sel_hi:[1,0,0]
	s_wait_loadcnt 0xe
	v_mul_i32_i24_e32 v14, v85, v222
	s_wait_loadcnt 0xd
	v_mul_i32_i24_e32 v3, v79, v3
	;; [unrolled: 2-line block ×4, first 2 shown]
	s_delay_alu instid0(VALU_DEP_2) | instskip(SKIP_2) | instid1(VALU_DEP_1)
	v_add3_u32 v2, v2, v3, v4
	v_mul_i32_i24_e32 v3, v87, v243
	v_mul_i32_i24_e32 v4, v88, v212
	v_add3_u32 v2, v2, v3, v4
	v_mul_i32_i24_e32 v3, v56, v203
	s_wait_loadcnt 0x8
	v_mul_i32_i24_e32 v9, v91, v9
	v_mul_i32_i24_e32 v4, v57, v204
	;; [unrolled: 1-line block ×3, first 2 shown]
	v_add3_u32 v2, v2, v5, v6
	v_mul_i32_i24_e32 v5, v58, v205
	s_wait_loadcnt 0x7
	v_mul_i32_i24_e32 v11, v104, v11
	v_mul_i32_i24_e32 v58, v45, v235
	v_bfe_i32 v44, v113, 8, 8
	v_add3_u32 v2, v2, v7, v8
	v_mul_i32_i24_e32 v7, v60, v207
	v_mul_i32_i24_e32 v8, v61, v186
	;; [unrolled: 1-line block ×3, first 2 shown]
	v_bfe_i32 v43, v113, 0, 8
	v_add3_u32 v2, v2, v9, v10
	v_mul_i32_i24_e32 v10, v63, v188
	scratch_load_b32 v63, off, off offset:804 ; 4-byte Folded Reload
	v_mul_i32_i24_e32 v9, v62, v187
	scratch_load_b32 v62, off, off offset:816 ; 4-byte Folded Reload
	v_add3_u32 v2, v2, v11, v12
	v_mul_i32_i24_e32 v11, v73, v189
	v_mul_i32_i24_e32 v12, v74, v190
	v_bfe_i32 v45, v113, 16, 8
	s_delay_alu instid0(VALU_DEP_4)
	v_add3_u32 v2, v2, v13, v14
	v_mul_i32_i24_e32 v13, v75, v191
	v_mul_i32_i24_e32 v14, v76, v192
	s_wait_loadcnt 0x6
	v_mul_i32_i24_e32 v6, v59, v206
	v_mul_i32_i24_e32 v59, v42, v230
	v_add3_u32 v2, v2, v15, v16
	v_mul_i32_i24_e32 v15, v143, v193
	scratch_load_b32 v143, off, off offset:1168 th:TH_LOAD_LU ; 4-byte Folded Reload
	v_dual_mul_f32 v1, v1, v218 :: v_dual_mov_b32 v218, v255
	v_add3_u32 v2, v2, v17, v18
	v_mul_i32_i24_e32 v24, v48, v185
	v_mul_i32_i24_e32 v16, v209, v194
	scratch_load_b32 v209, off, off offset:844 ; 4-byte Folded Reload
	v_mul_i32_i24_e32 v17, v214, v195
	v_add3_u32 v2, v2, v19, v20
	v_mul_i32_i24_e32 v18, v215, v196
	v_mul_i32_i24_e32 v19, v158, v197
	;; [unrolled: 1-line block ×3, first 2 shown]
	scratch_load_b32 v158, off, off offset:464 ; 4-byte Folded Reload
	v_add3_u32 v2, v2, v21, v22
	v_mul_i32_i24_e32 v21, v223, v101
	v_mul_i32_i24_e32 v22, v224, v102
	s_wait_loadcnt 0x6
	v_mul_i32_i24_e32 v77, v46, v28
	v_bfe_i32 v28, v100, 0, 8
	v_add3_u32 v2, v2, v23, v24
	v_mul_i32_i24_e32 v24, v226, v126
	scratch_load_b32 v226, off, off offset:812 ; 4-byte Folded Reload
	v_mul_i32_i24_e32 v23, v225, v151
	scratch_load_b32 v225, off, off offset:1092 th:TH_LOAD_LU ; 4-byte Folded Reload
	v_add3_u32 v2, v2, v25, v26
	v_mul_i32_i24_e32 v25, v227, v127
	scratch_load_b32 v227, off, off offset:808 ; 4-byte Folded Reload
	v_mul_i32_i24_e32 v26, v65, v148
	scratch_load_b32 v255, off, off offset:548 ; 4-byte Folded Reload
	v_add3_u32 v2, v2, v27, v66
	s_clause 0x1
	scratch_load_b32 v159, off, off offset:460
	scratch_load_b32 v224, off, off offset:1200
	v_ashrrev_i32_e32 v42, 24, v112
	scratch_load_b32 v215, off, off offset:1196 ; 4-byte Folded Reload
	v_add3_u32 v2, v2, v77, v78
	scratch_load_b32 v223, off, off offset:884 ; 4-byte Folded Reload
	v_ashrrev_i32_e32 v214, 24, v100
	scratch_load_b32 v100, off, off offset:872 ; 4-byte Folded Reload
	v_mul_lo_u32 v2, v2, v132
	scratch_load_b32 v132, off, off offset:568 ; 4-byte Folded Reload
	v_cvt_f32_i32_e32 v2, v2
	s_delay_alu instid0(VALU_DEP_1) | instskip(SKIP_1) | instid1(VALU_DEP_2)
	v_fma_mix_f32 v0, v72, v2, v0 op_sel_hi:[1,0,0]
	v_mul_i32_i24_e32 v2, v52, v249
	v_fma_f32 v0, v0, v241, -v1
	v_mul_i32_i24_e32 v1, v68, v221
	scratch_load_b32 v241, off, off offset:1068 th:TH_LOAD_LU ; 4-byte Folded Reload
	v_add_f32_e32 v96, v96, v0
	v_mul_i32_i24_e32 v0, v53, v200
	scratch_store_b32 off, v96, off offset:636 ; 4-byte Folded Spill
	v_mad_i32_i24 v0, v69, v140, v0
	scratch_load_b32 v96, off, off offset:800 ; 4-byte Folded Reload
	v_add3_u32 v0, v0, v1, v2
	v_mul_i32_i24_e32 v1, v54, v201
	v_mul_i32_i24_e32 v2, v55, v202
	s_delay_alu instid0(VALU_DEP_1) | instskip(SKIP_2) | instid1(VALU_DEP_3)
	v_add3_u32 v0, v0, v1, v2
	v_mul_i32_i24_e32 v1, v80, v179
	v_mul_i32_i24_e32 v2, v79, v180
	v_add3_u32 v0, v0, v3, v4
	s_delay_alu instid0(VALU_DEP_3)
	v_mad_i32_i24 v1, v149, v208, v1
	scratch_load_b32 v149, off, off offset:1072 th:TH_LOAD_LU ; 4-byte Folded Reload
	v_mul_i32_i24_e32 v4, v51, v95
	v_add3_u32 v0, v0, v5, v6
	v_mul_i32_i24_e32 v5, v49, v238
	v_mul_i32_i24_e32 v6, v38, v240
	v_ashrrev_i32_e32 v38, 24, v111
	s_delay_alu instid0(VALU_DEP_4) | instskip(SKIP_2) | instid1(VALU_DEP_3)
	v_add3_u32 v0, v0, v7, v8
	v_mul_i32_i24_e32 v8, v86, v168
	v_mul_i32_i24_e32 v7, v47, v237
	v_add3_u32 v0, v0, v9, v10
	v_mul_i32_i24_e32 v10, v104, v108
	v_mul_i32_i24_e32 v9, v85, v121
	scratch_load_b32 v104, off, off offset:1248 th:TH_LOAD_LU ; 4-byte Folded Reload
	v_add3_u32 v0, v0, v11, v12
	s_delay_alu instid0(VALU_DEP_1)
	v_add3_u32 v0, v0, v13, v14
	v_mul_i32_i24_e32 v13, v89, v109
	v_mul_i32_i24_e32 v14, v41, v229
	;; [unrolled: 1-line block ×3, first 2 shown]
	v_bfe_i32 v41, v112, 16, 8
	v_add3_u32 v0, v0, v15, v16
	v_mul_i32_i24_e32 v16, v92, v142
	scratch_load_b32 v92, off, off offset:820 ; 4-byte Folded Reload
	v_add3_u32 v0, v0, v17, v18
	v_bfe_i32 v18, v97, 16, 8
	s_delay_alu instid0(VALU_DEP_2) | instskip(SKIP_2) | instid1(VALU_DEP_4)
	v_add3_u32 v0, v0, v19, v20
	v_ashrrev_i32_e32 v19, 24, v97
	v_bfe_i32 v20, v98, 0, 8
	v_mul_i32_i24_e32 v78, v18, v166
	s_delay_alu instid0(VALU_DEP_4)
	v_add3_u32 v0, v0, v21, v22
	v_bfe_i32 v21, v98, 8, 8
	v_mul_i32_i24_e32 v79, v19, v167
	v_bfe_i32 v22, v98, 16, 8
	v_mul_i32_i24_e32 v80, v20, v144
	v_add3_u32 v0, v0, v23, v24
	v_ashrrev_i32_e32 v23, 24, v98
	v_mul_i32_i24_e32 v81, v21, v145
	v_bfe_i32 v24, v99, 0, 8
	s_delay_alu instid0(VALU_DEP_4) | instskip(SKIP_4) | instid1(VALU_DEP_2)
	v_add3_u32 v0, v0, v25, v26
	v_mul_i32_i24_e32 v25, v48, v239
	v_mul_i32_i24_e32 v83, v23, v147
	v_bfe_i32 v26, v99, 16, 8
	v_mul_i32_i24_e32 v84, v24, v169
	v_mul_i32_i24_e32 v86, v26, v170
	s_wait_loadcnt 0x13
	v_mul_i32_i24_e32 v55, v88, v63
	v_mul_i32_i24_e32 v88, v28, v172
	s_wait_loadcnt 0x12
	v_mul_i32_i24_e32 v11, v93, v62
	v_mov_b32_e32 v93, v253
	scratch_load_b32 v253, off, off offset:512 ; 4-byte Folded Reload
	s_wait_loadcnt 0x12
	v_mul_i32_i24_e32 v27, v64, v143
	s_wait_loadcnt 0x11
	v_mul_i32_i24_e32 v52, v67, v209
	s_delay_alu instid0(VALU_DEP_1)
	v_add3_u32 v0, v0, v27, v52
	v_mul_i32_i24_e32 v52, v106, v107
	v_fma_mix_f32 v27, v71, v136, 0 op_sel:[1,0,0] op_sel_hi:[1,0,0]
	s_clause 0x1
	scratch_load_b32 v136, off, off offset:688
	scratch_load_b32 v106, off, off offset:508
	s_wait_loadcnt 0x11
	v_mul_i32_i24_e32 v12, v82, v226
	v_mul_i32_i24_e32 v82, v22, v146
	s_wait_loadcnt 0x10
	v_mul_lo_u32 v0, v0, v225
	s_wait_loadcnt 0xf
	v_mul_i32_i24_e32 v15, v90, v227
	v_mul_i32_i24_e32 v90, v30, v174
	s_delay_alu instid0(VALU_DEP_3) | instskip(SKIP_4) | instid1(VALU_DEP_1)
	v_cvt_f32_i32_e32 v0, v0
	scratch_store_b32 off, v90, off offset:1640 ; 4-byte Folded Spill
	v_fma_mix_f32 v0, v71, v0, 0 op_sel_hi:[1,0,0]
	s_wait_loadcnt 0x7
	v_mul_i32_i24_e32 v3, v70, v241
	v_add3_u32 v53, v1, v2, v3
	v_mul_i32_i24_e32 v3, v50, v94
	v_mul_i32_i24_e32 v1, v46, v93
	v_mul_i32_i24_e32 v2, v39, v103
	scratch_load_b32 v103, off, off offset:504 ; 4-byte Folded Reload
	s_wait_loadcnt 0x7
	v_mul_i32_i24_e32 v61, v91, v96
	v_bfe_i32 v39, v112, 0, 8
	v_ashrrev_i32_e32 v46, 24, v113
	s_clause 0x1
	scratch_load_b32 v113, off, off offset:880
	scratch_load_b32 v91, off, off offset:132
	s_wait_loadcnt 0x8
	v_mul_i32_i24_e32 v54, v87, v149
	s_delay_alu instid0(VALU_DEP_1) | instskip(NEXT) | instid1(VALU_DEP_1)
	v_add3_u32 v17, v53, v54, v55
	v_add3_u32 v16, v17, v16, v52
	v_bfe_i32 v17, v97, 8, 8
	s_delay_alu instid0(VALU_DEP_2) | instskip(SKIP_2) | instid1(VALU_DEP_4)
	v_add3_u32 v13, v16, v13, v15
	v_ashrrev_i32_e32 v15, 24, v35
	v_bfe_i32 v16, v97, 0, 8
	v_mul_i32_i24_e32 v77, v17, v165
	s_delay_alu instid0(VALU_DEP_4) | instskip(SKIP_3) | instid1(VALU_DEP_4)
	v_add3_u32 v12, v13, v61, v12
	v_bfe_i32 v13, v35, 8, 8
	v_mul_i32_i24_e32 v75, v15, v156
	v_mul_i32_i24_e32 v76, v16, v164
	v_add3_u32 v10, v12, v10, v11
	v_ashrrev_i32_e32 v11, 24, v34
	v_bfe_i32 v12, v35, 0, 8
	v_mul_i32_i24_e32 v73, v13, v152
	s_wait_loadcnt 0x6
	v_mul_i32_i24_e32 v56, v40, v92
	v_add3_u32 v8, v10, v8, v9
	v_bfe_i32 v9, v34, 8, 8
	v_bfe_i32 v10, v34, 16, 8
	v_mul_i32_i24_e32 v71, v11, v139
	v_bfe_i32 v40, v112, 8, 8
	v_add3_u32 v8, v8, v14, v56
	v_bfe_i32 v14, v35, 16, 8
	v_mul_i32_i24_e32 v70, v10, v138
	v_bfe_i32 v35, v111, 0, 8
	scratch_load_b32 v112, off, off offset:876 ; 4-byte Folded Reload
	v_add3_u32 v8, v8, v59, v60
	v_mul_i32_i24_e32 v74, v14, v153
	s_delay_alu instid0(VALU_DEP_2)
	v_add3_u32 v8, v8, v57, v58
	scratch_load_b128 v[58:61], off, off offset:1016 ; 16-byte Folded Reload
	v_add3_u32 v8, v8, v36, v37
	v_bfe_i32 v36, v111, 8, 8
	v_bfe_i32 v37, v111, 16, 8
	scratch_load_b32 v111, off, off offset:788 ; 4-byte Folded Reload
	v_add3_u32 v7, v8, v7, v25
	v_bfe_i32 v8, v34, 0, 8
	v_ashrrev_i32_e32 v34, 24, v110
	v_bfe_i32 v25, v99, 8, 8
	s_delay_alu instid0(VALU_DEP_4) | instskip(SKIP_2) | instid1(VALU_DEP_4)
	v_add3_u32 v5, v7, v5, v6
	v_bfe_i32 v6, v33, 16, 8
	v_ashrrev_i32_e32 v7, 24, v33
	v_mul_i32_i24_e32 v85, v25, v150
	s_delay_alu instid0(VALU_DEP_4)
	v_add3_u32 v3, v5, v3, v4
	v_bfe_i32 v4, v33, 0, 8
	v_bfe_i32 v5, v33, 8, 8
	v_bfe_i32 v33, v110, 16, 8
	v_mul_i32_i24_e32 v66, v6, v133
	v_add3_u32 v1, v3, v1, v2
	v_bfe_i32 v2, v32, 16, 8
	v_ashrrev_i32_e32 v3, 24, v32
	v_mul_i32_i24_e32 v67, v7, v134
	s_delay_alu instid0(VALU_DEP_4) | instskip(NEXT) | instid1(VALU_DEP_4)
	v_mul_lo_u32 v1, v1, v128
	v_mul_i32_i24_e32 v64, v2, v161
	s_delay_alu instid0(VALU_DEP_4) | instskip(SKIP_2) | instid1(VALU_DEP_1)
	v_mul_i32_i24_e32 v65, v3, v163
	scratch_load_b32 v128, off, off offset:552 ; 4-byte Folded Reload
	v_cvt_f32_i32_e32 v1, v1
	v_fma_mix_f32 v0, v72, v1, v0 op_sel_hi:[1,0,0]
	v_fma_mix_f32 v1, v72, v105, v27 op_sel:[1,0,0] op_sel_hi:[1,0,0]
	v_mul_i32_i24_e32 v72, v12, v141
	v_ashrrev_i32_e32 v27, 24, v99
	v_mov_b32_e32 v105, v219
	scratch_load_b32 v219, off, off offset:480 ; 4-byte Folded Reload
	v_mul_f32_e32 v1, v1, v137
	scratch_load_b32 v137, off, off offset:692 ; 4-byte Folded Reload
	v_mul_i32_i24_e32 v87, v27, v171
	scratch_load_b32 v99, off, off offset:784 ; 4-byte Folded Reload
	v_fma_f32 v0, v0, v114, -v1
	s_clause 0x1
	scratch_load_b32 v1, off, off offset:520
	scratch_load_b32 v114, off, off offset:556
	s_wait_loadcnt 0xd
	v_mul_i32_i24_e32 v68, v8, v136
	s_wait_loadcnt 0x9
	v_mul_i32_i24_e32 v91, v91, v214
	s_wait_loadcnt 0x7
	v_bfe_i32 v47, v58, 0, 8
	v_bfe_i32 v48, v58, 8, 8
	v_bfe_i32 v49, v58, 16, 8
	v_ashrrev_i32_e32 v50, 24, v58
	v_bfe_i32 v51, v59, 0, 8
	v_bfe_i32 v52, v59, 8, 8
	v_bfe_i32 v53, v59, 16, 8
	v_ashrrev_i32_e32 v54, 24, v59
	;; [unrolled: 4-line block ×3, first 2 shown]
	v_bfe_i32 v59, v61, 0, 8
	v_bfe_i32 v60, v61, 8, 8
	s_wait_loadcnt 0x3
	v_mul_i32_i24_e32 v69, v9, v137
	s_wait_loadcnt 0x2
	v_mul_i32_i24_e32 v90, v99, v30
	s_wait_loadcnt 0x1
	v_add_f32_e32 v1, v1, v0
	v_bfe_i32 v0, v32, 0, 8
	scratch_store_b32 off, v1, off offset:520 ; 4-byte Folded Spill
	v_bfe_i32 v1, v32, 8, 8
	v_bfe_i32 v32, v110, 8, 8
	;; [unrolled: 1-line block ×3, first 2 shown]
	v_mul_i32_i24_e32 v61, v0, v135
	s_delay_alu instid0(VALU_DEP_1) | instskip(NEXT) | instid1(VALU_DEP_1)
	v_mad_i32_i24 v61, v1, v129, v61
	v_add3_u32 v61, v61, v64, v65
	v_mul_i32_i24_e32 v64, v4, v131
	v_mul_i32_i24_e32 v65, v5, v132
	s_delay_alu instid0(VALU_DEP_1) | instskip(SKIP_2) | instid1(VALU_DEP_3)
	v_add3_u32 v61, v61, v64, v65
	v_mul_i32_i24_e32 v64, v33, v158
	v_mul_i32_i24_e32 v65, v34, v130
	v_add3_u32 v61, v61, v66, v67
	v_mul_i32_i24_e32 v66, v37, v104
	v_mul_i32_i24_e32 v67, v38, v244
	s_delay_alu instid0(VALU_DEP_3) | instskip(SKIP_2) | instid1(VALU_DEP_3)
	v_add3_u32 v61, v61, v68, v69
	v_mul_i32_i24_e32 v68, v39, v123
	v_mul_i32_i24_e32 v69, v40, v248
	v_add3_u32 v61, v61, v70, v71
	v_mul_i32_i24_e32 v70, v41, v211
	v_mul_i32_i24_e32 v71, v42, v216
	s_delay_alu instid0(VALU_DEP_3) | instskip(SKIP_2) | instid1(VALU_DEP_3)
	;; [unrolled: 7-line block ×4, first 2 shown]
	v_add3_u32 v61, v61, v80, v81
	v_mul_i32_i24_e32 v80, v51, v255
	v_mul_i32_i24_e32 v81, v52, v128
	v_add3_u32 v61, v61, v82, v83
	v_mul_i32_i24_e32 v82, v53, v157
	v_mul_i32_i24_e32 v83, v54, v219
	s_delay_alu instid0(VALU_DEP_3) | instskip(SKIP_3) | instid1(VALU_DEP_3)
	v_add3_u32 v61, v61, v84, v85
	s_wait_loadcnt 0x0
	v_mul_i32_i24_e32 v84, v55, v114
	v_mul_i32_i24_e32 v85, v56, v115
	v_add3_u32 v61, v61, v86, v87
	v_mul_i32_i24_e32 v86, v57, v159
	v_mul_i32_i24_e32 v87, v58, v213
	s_delay_alu instid0(VALU_DEP_3)
	v_add3_u32 v61, v61, v88, v89
	v_mul_i32_i24_e32 v88, v59, v122
	v_mul_i32_i24_e32 v89, v100, v29
	s_clause 0x1
	scratch_store_b32 off, v61, off offset:1644
	scratch_store_b32 off, v88, off offset:1648
	v_mul_i32_i24_e32 v61, v31, v116
	v_mul_i32_i24_e32 v88, v60, v250
	s_delay_alu instid0(VALU_DEP_2)
	v_mad_i32_i24 v61, v32, v242, v61
	scratch_store_b32 off, v88, off offset:1672 ; 4-byte Folded Spill
	v_mul_i32_i24_e32 v88, v111, v28
	v_add3_u32 v61, v61, v64, v65
	v_mul_i32_i24_e32 v64, v35, v124
	v_mul_i32_i24_e32 v65, v36, v125
	s_delay_alu instid0(VALU_DEP_1)
	v_add3_u32 v61, v61, v64, v65
	s_clause 0x1
	scratch_load_b32 v64, off, off offset:272
	scratch_load_b32 v65, off, off offset:268
	v_add3_u32 v61, v61, v66, v67
	s_clause 0x1
	scratch_load_b32 v66, off, off offset:732
	scratch_load_b32 v67, off, off offset:280
	;; [unrolled: 4-line block ×3, first 2 shown]
	v_add3_u32 v61, v61, v70, v71
	scratch_load_b32 v70, off, off offset:288 ; 4-byte Folded Reload
	v_mul_i32_i24_e32 v71, v112, v11
	v_add3_u32 v61, v61, v72, v73
	scratch_load_b32 v73, off, off offset:264 ; 4-byte Folded Reload
	v_mul_i32_i24_e32 v72, v215, v12
	v_add3_u32 v61, v61, v74, v75
	v_mul_i32_i24_e32 v74, v113, v14
	v_mul_i32_i24_e32 v75, v223, v15
	s_delay_alu instid0(VALU_DEP_3)
	v_add3_u32 v61, v61, v76, v77
	s_clause 0x1
	scratch_load_b32 v76, off, off offset:332
	scratch_load_b32 v77, off, off offset:128
	v_add3_u32 v61, v61, v78, v79
	s_clause 0x1
	scratch_load_b32 v78, off, off offset:340
	scratch_load_b32 v79, off, off offset:336
	;; [unrolled: 4-line block ×6, first 2 shown]
	scratch_store_b32 off, v61, off offset:1676 ; 4-byte Folded Spill
	v_mul_i32_i24_e32 v61, v224, v0
	s_wait_loadcnt 0x13
	v_mul_i32_i24_e32 v64, v64, v2
	s_wait_loadcnt 0x12
	;; [unrolled: 2-line block ×3, first 2 shown]
	v_mad_i32_i24 v61, v66, v1, v61
	scratch_load_b32 v66, off, off offset:284 ; 4-byte Folded Reload
	s_wait_loadcnt 0x11
	v_mul_i32_i24_e32 v67, v67, v7
	v_add3_u32 v61, v61, v64, v65
	s_clause 0x1
	scratch_load_b32 v64, off, off offset:736
	scratch_load_b32 v65, off, off offset:276
	s_wait_loadcnt 0x12
	v_mul_i32_i24_e32 v68, v68, v8
	s_wait_loadcnt 0x11
	v_mul_i32_i24_e32 v69, v69, v9
	;; [unrolled: 2-line block ×19, first 2 shown]
	s_delay_alu instid0(VALU_DEP_1)
	v_add3_u32 v61, v61, v64, v65
	s_clause 0x1
	scratch_load_b32 v64, off, off offset:408
	scratch_load_b32 v65, off, off offset:136
	v_add3_u32 v61, v61, v66, v67
	s_clause 0x1
	scratch_load_b32 v66, off, off offset:144
	scratch_load_b32 v67, off, off offset:152
	;; [unrolled: 4-line block ×14, first 2 shown]
	s_wait_loadcnt 0x1b
	v_mul_lo_u32 v61, v61, v64
	scratch_load_b32 v64, off, off offset:140 ; 4-byte Folded Reload
	s_wait_loadcnt 0x1b
	v_mul_i32_i24_e32 v65, v65, v34
	s_wait_loadcnt 0x19
	v_mul_i32_i24_e32 v67, v67, v38
	v_cvt_f32_i32_e32 v61, v61
	s_wait_loadcnt 0x18
	v_mul_i32_i24_e32 v68, v68, v39
	s_wait_loadcnt 0x17
	v_mul_i32_i24_e32 v69, v69, v40
	scratch_store_b32 off, v61, off offset:1680 ; 4-byte Folded Spill
	scratch_load_b32 v61, off, off offset:148 ; 4-byte Folded Reload
	s_wait_loadcnt 0x17
	v_mul_i32_i24_e32 v70, v70, v41
	s_wait_loadcnt 0x16
	v_mul_i32_i24_e32 v71, v71, v42
	;; [unrolled: 2-line block ×22, first 2 shown]
	scratch_store_b32 off, v90, off offset:1684 ; 4-byte Folded Spill
	scratch_load_b32 v90, off, off offset:120 ; 4-byte Folded Reload
	s_wait_loadcnt 0x2
	v_mul_i32_i24_e32 v64, v64, v33
	s_wait_loadcnt 0x1
	v_mul_i32_i24_e32 v61, v61, v31
	s_delay_alu instid0(VALU_DEP_1)
	v_mad_i32_i24 v61, v66, v32, v61
	scratch_load_b32 v66, off, off offset:156 ; 4-byte Folded Reload
	v_add3_u32 v61, v61, v64, v65
	s_clause 0x1
	scratch_load_b32 v64, off, off offset:164
	scratch_load_b32 v65, off, off offset:160
	s_wait_loadcnt 0x3
	v_mul_i32_i24_e32 v90, v30, v90
	s_wait_loadcnt 0x2
	v_mul_i32_i24_e32 v66, v66, v37
	;; [unrolled: 2-line block ×4, first 2 shown]
	s_delay_alu instid0(VALU_DEP_1)
	v_add3_u32 v61, v61, v64, v65
	s_clause 0x1
	scratch_load_b32 v64, off, off offset:20
	scratch_load_b32 v65, off, off offset:28
	v_add3_u32 v61, v61, v66, v67
	s_clause 0x1
	scratch_load_b32 v66, off, off offset:24
	scratch_load_b32 v67, off, off offset:44
	;; [unrolled: 4-line block ×4, first 2 shown]
	v_add3_u32 v61, v61, v72, v73
	s_clause 0x1
	scratch_load_b32 v72, off, off offset:72
	scratch_load_b32 v73, off, off
	v_add3_u32 v61, v61, v74, v75
	s_clause 0x1
	scratch_load_b32 v74, off, off offset:4
	scratch_load_b32 v75, off, off offset:8
	v_add3_u32 v61, v61, v76, v77
	s_clause 0x1
	scratch_load_b32 v76, off, off offset:12
	scratch_load_b32 v77, off, off offset:16
	;; [unrolled: 4-line block ×8, first 2 shown]
	scratch_load_b32 v89, off, off offset:116
	s_wait_loadcnt 0x1a
	v_mul_i32_i24_e32 v64, v2, v64
	s_wait_loadcnt 0x19
	v_mul_i32_i24_e32 v65, v3, v65
	v_mul_i32_i24_e32 v2, v2, v221
	;; [unrolled: 1-line block ×3, first 2 shown]
	s_wait_loadcnt 0x17
	v_mul_i32_i24_e32 v67, v7, v67
	s_wait_loadcnt 0x16
	v_mul_i32_i24_e32 v68, v8, v68
	;; [unrolled: 2-line block ×24, first 2 shown]
	v_mul_i32_i24_e32 v0, v0, v200
	v_mov_b32_e32 v200, v201
	v_mad_i32_i24 v61, v1, v66, v61
	scratch_load_b32 v66, off, off offset:40 ; 4-byte Folded Reload
	v_mad_i32_i24 v0, v1, v140, v0
	v_mul_i32_i24_e32 v1, v4, v201
	v_add3_u32 v61, v61, v64, v65
	s_clause 0x1
	scratch_load_b32 v64, off, off offset:32
	scratch_load_b32 v65, off, off offset:36
	v_add3_u32 v0, v0, v2, v3
	v_mul_i32_i24_e32 v2, v5, v202
	v_mul_i32_i24_e32 v3, v6, v203
	v_mov_b32_e32 v140, v143
	s_delay_alu instid0(VALU_DEP_3)
	v_add3_u32 v0, v0, v1, v2
	v_mul_i32_i24_e32 v1, v33, v180
	v_mul_i32_i24_e32 v2, v34, v241
	v_mov_b32_e32 v180, v205
	s_wait_loadcnt 0x2
	v_mul_i32_i24_e32 v66, v6, v66
	v_mul_i32_i24_e32 v6, v9, v206
	;; [unrolled: 1-line block ×5, first 2 shown]
	s_wait_loadcnt 0x1
	v_mul_i32_i24_e32 v64, v4, v64
	s_wait_loadcnt 0x0
	v_mul_i32_i24_e32 v65, v5, v65
	v_mul_i32_i24_e32 v4, v7, v204
	;; [unrolled: 1-line block ×5, first 2 shown]
	v_add3_u32 v61, v61, v64, v65
	s_clause 0x1
	scratch_load_b32 v64, off, off offset:356
	scratch_load_b32 v65, off, off offset:364
	v_add3_u32 v0, v0, v3, v4
	v_mul_i32_i24_e32 v10, v13, v188
	v_add3_u32 v61, v61, v66, v67
	v_mul_i32_i24_e32 v11, v14, v189
	v_mul_i32_i24_e32 v13, v16, v191
	v_add3_u32 v0, v0, v5, v6
	v_mul_i32_i24_e32 v14, v17, v192
	v_add3_u32 v61, v61, v68, v69
	v_mul_i32_i24_e32 v16, v19, v194
	v_mul_i32_i24_e32 v17, v20, v195
	;; [unrolled: 5-line block ×6, first 2 shown]
	v_add3_u32 v0, v0, v15, v16
	v_mul_i32_i24_e32 v4, v38, v107
	v_add3_u32 v61, v61, v78, v79
	scratch_load_b32 v66, off, off offset:376 ; 4-byte Folded Reload
	v_mul_i32_i24_e32 v5, v39, v109
	v_add3_u32 v0, v0, v17, v18
	v_mul_i32_i24_e32 v6, v40, v227
	v_add3_u32 v61, v61, v80, v81
	v_mul_i32_i24_e32 v7, v41, v96
	v_mul_i32_i24_e32 v8, v42, v226
	v_add3_u32 v0, v0, v19, v20
	v_mul_i32_i24_e32 v68, v39, v220
	v_add3_u32 v61, v61, v82, v83
	v_mul_i32_i24_e32 v69, v40, v251
	scratch_load_b32 v251, off, off offset:888 th:TH_LOAD_LU ; 4-byte Folded Reload
	v_add3_u32 v0, v0, v21, v22
	scratch_load_b32 v220, off, off offset:1176 th:TH_LOAD_LU ; 4-byte Folded Reload
	v_add3_u32 v61, v61, v84, v85
	scratch_load_b32 v72, off, off offset:68 ; 4-byte Folded Reload
	v_mul_i32_i24_e32 v73, v44, v247
	v_add3_u32 v0, v0, v23, v24
	v_mul_i32_i24_e32 v74, v45, v252
	v_add3_u32 v61, v61, v86, v87
	v_mul_i32_i24_e32 v86, v57, v210
	v_mov_b32_e32 v247, v252
	v_add3_u32 v0, v0, v25, v26
	v_mul_i32_i24_e32 v75, v46, v222
	v_add3_u32 v61, v61, v88, v89
	v_mov_b32_e32 v252, v222
	scratch_load_b32 v222, off, off offset:1180 th:TH_LOAD_LU ; 4-byte Folded Reload
	v_add3_u32 v0, v0, v27, v28
	v_mul_i32_i24_e32 v67, v38, v245
	v_add3_u32 v61, v61, v90, v91
	v_mul_i32_i24_e32 v84, v55, v160
	scratch_load_b32 v160, off, off offset:1744 th:TH_LOAD_LU ; 4-byte Folded Reload
	v_mul_lo_u32 v0, v0, v225
	scratch_load_b32 v245, off, off offset:1256 th:TH_LOAD_LU ; 4-byte Folded Reload
	v_mul_i32_i24_e32 v9, v43, v108
	v_mul_i32_i24_e32 v10, v44, v62
	;; [unrolled: 1-line block ×6, first 2 shown]
	v_cvt_f32_i32_e32 v210, v0
	v_mul_i32_i24_e32 v0, v31, v179
	v_mul_i32_i24_e32 v15, v49, v230
	;; [unrolled: 1-line block ×5, first 2 shown]
	v_mad_i32_i24 v0, v32, v208, v0
	v_mul_i32_i24_e32 v19, v53, v234
	v_mul_i32_i24_e32 v20, v54, v236
	v_mul_i32_i24_e32 v21, v55, v237
	v_mul_i32_i24_e32 v22, v56, v239
	v_add3_u32 v0, v0, v1, v2
	v_mul_i32_i24_e32 v1, v35, v149
	v_mul_i32_i24_e32 v2, v36, v63
	;; [unrolled: 1-line block ×6, first 2 shown]
	v_add3_u32 v0, v0, v1, v2
	v_bfe_i32 v44, v117, 8, 8
	v_bfe_i32 v2, v117, 16, 8
	;; [unrolled: 1-line block ×4, first 2 shown]
	v_add3_u32 v0, v0, v3, v4
	v_mul_i32_i24_e32 v76, v47, v228
	v_mul_i32_i24_e32 v1, v2, v161
	;; [unrolled: 1-line block ×3, first 2 shown]
	v_bfe_i32 v47, v118, 16, 8
	v_add3_u32 v0, v0, v5, v6
	v_ashrrev_i32_e32 v48, 24, v118
	v_mul_i32_i24_e32 v71, v42, v246
	v_mul_i32_i24_e32 v83, v54, v154
	v_bfe_i32 v54, v120, 0, 8
	v_add3_u32 v0, v0, v7, v8
	scratch_load_b128 v[4:7], off, off offset:1656 th:TH_LOAD_LU ; 16-byte Folded Reload
	v_mov_b32_e32 v118, v129
	v_mul_i32_i24_e32 v85, v56, v185
	v_mul_i32_i24_e32 v87, v58, v199
	v_add3_u32 v0, v0, v9, v10
	v_bfe_i32 v42, v181, 16, 8
	v_bfe_i32 v8, v182, 0, 8
	;; [unrolled: 1-line block ×3, first 2 shown]
	v_ashrrev_i32_e32 v9, 24, v182
	v_add3_u32 v0, v0, v11, v12
	v_bfe_i32 v12, v176, 8, 8
	v_bfe_i32 v57, v183, 0, 8
	;; [unrolled: 1-line block ×3, first 2 shown]
	v_ashrrev_i32_e32 v10, 24, v183
	v_add3_u32 v0, v0, v13, v14
	v_ashrrev_i32_e32 v13, 24, v176
	v_ashrrev_i32_e32 v14, 24, v177
	v_bfe_i32 v58, v184, 0, 8
	v_ashrrev_i32_e32 v11, 24, v184
	v_add3_u32 v0, v0, v15, v16
	v_ashrrev_i32_e32 v16, 24, v117
	v_ashrrev_i32_e32 v15, 24, v178
	scratch_load_b32 v185, off, off offset:768 th:TH_LOAD_LU ; 4-byte Folded Reload
	v_mul_i32_i24_e32 v92, v110, v93
	v_add3_u32 v0, v0, v17, v18
	v_mul_i32_i24_e32 v3, v16, v163
	v_bfe_i32 v17, v177, 0, 8
	v_bfe_i32 v18, v177, 8, 8
	v_mov_b32_e32 v109, v93
	v_add3_u32 v0, v0, v19, v20
	v_bfe_i32 v20, v117, 0, 8
	v_bfe_i32 v19, v177, 16, 8
	scratch_load_b64 v[93:94], off, off offset:612 th:TH_LOAD_LU ; 8-byte Folded Reload
	v_mov_b32_e32 v177, v104
	v_add3_u32 v0, v0, v21, v22
	v_bfe_i32 v21, v178, 8, 8
	v_bfe_i32 v22, v178, 16, 8
	v_mov_b32_e32 v205, v127
	s_delay_alu instid0(VALU_DEP_4)
	v_add3_u32 v0, v0, v23, v24
	v_bfe_i32 v23, v176, 0, 8
	v_bfe_i32 v24, v178, 0, 8
	v_mul_i32_i24_e32 v91, v21, v173
	v_mul_i32_i24_e32 v95, v22, v174
	v_add3_u32 v209, v0, v25, v26
	v_mul_i32_i24_e32 v0, v20, v135
	v_bfe_i32 v25, v176, 16, 8
	v_mul_i32_i24_e32 v90, v24, v172
	v_bfe_i32 v26, v184, 16, 8
	v_mov_b32_e32 v178, v207
	v_mad_i32_i24 v0, v44, v129, v0
	v_mov_b32_e32 v207, v140
	s_delay_alu instid0(VALU_DEP_2) | instskip(SKIP_3) | instid1(VALU_DEP_2)
	v_add3_u32 v0, v0, v1, v3
	v_mul_i32_i24_e32 v1, v45, v131
	v_mul_i32_i24_e32 v3, v46, v132
	v_mov_b32_e32 v132, v156
	v_add3_u32 v0, v0, v1, v3
	v_mul_i32_i24_e32 v1, v42, v158
	v_mov_b32_e32 v158, v121
	s_wait_loadcnt 0xb
	v_mul_lo_u32 v61, v61, v64
	scratch_load_b32 v64, off, off offset:64 ; 4-byte Folded Reload
	s_wait_loadcnt 0xb
	v_mul_i32_i24_e32 v65, v34, v65
	v_cvt_f32_i32_e32 v97, v61
	scratch_load_b32 v61, off, off offset:848 ; 4-byte Folded Reload
	s_wait_loadcnt 0xb
	v_mul_i32_i24_e32 v66, v37, v66
	s_wait_loadcnt 0xa
	v_mul_i32_i24_e32 v70, v41, v251
	v_bfe_i32 v41, v181, 0, 8
	s_wait_loadcnt 0x9
	v_mul_i32_i24_e32 v79, v50, v220
	v_bfe_i32 v50, v119, 8, 8
	s_wait_loadcnt 0x8
	v_mul_i32_i24_e32 v72, v43, v72
	v_ashrrev_i32_e32 v43, 24, v181
	s_delay_alu instid0(VALU_DEP_1)
	v_mul_i32_i24_e32 v3, v43, v130
	s_wait_loadcnt 0x7
	v_mul_i32_i24_e32 v80, v51, v222
	v_bfe_i32 v51, v119, 16, 8
	s_wait_loadcnt 0x6
	v_mul_i32_i24_e32 v88, v59, v160
	v_bfe_i32 v59, v184, 8, 8
	;; [unrolled: 3-line block ×3, first 2 shown]
	s_wait_loadcnt 0x4
	v_bfe_i32 v27, v4, 0, 8
	v_bfe_i32 v28, v4, 8, 8
	;; [unrolled: 1-line block ×3, first 2 shown]
	v_ashrrev_i32_e32 v30, 24, v4
	v_ashrrev_i32_e32 v34, 24, v5
	v_mul_i32_i24_e32 v4, v47, v133
	v_bfe_i32 v38, v7, 0, 8
	v_bfe_i32 v39, v7, 8, 8
	;; [unrolled: 1-line block ×3, first 2 shown]
	v_mov_b32_e32 v62, v7
	v_bfe_i32 v37, v6, 16, 8
	s_wait_loadcnt 0x3
	v_mul_i32_i24_e32 v155, v110, v185
	v_mov_b32_e32 v249, v185
	v_mov_b32_e32 v185, v101
	s_wait_loadcnt 0x1
	v_mul_i32_i24_e32 v64, v33, v64
	v_bfe_i32 v33, v5, 16, 8
	s_wait_loadcnt 0x0
	v_mul_i32_i24_e32 v61, v31, v61
	v_bfe_i32 v31, v5, 0, 8
	s_delay_alu instid0(VALU_DEP_2)
	v_mad_i32_i24 v61, v32, v231, v61
	scratch_load_b32 v231, off, off offset:1184 th:TH_LOAD_LU ; 4-byte Folded Reload
	v_bfe_i32 v32, v5, 8, 8
	v_mul_i32_i24_e32 v5, v48, v134
	v_mov_b32_e32 v134, v164
	v_add3_u32 v61, v61, v64, v65
	v_mul_i32_i24_e32 v65, v36, v212
	scratch_load_b32 v212, off, off offset:1172 th:TH_LOAD_LU ; 4-byte Folded Reload
	v_mul_i32_i24_e32 v64, v35, v243
	scratch_load_b32 v243, off, off offset:1188 th:TH_LOAD_LU ; 4-byte Folded Reload
	v_add3_u32 v0, v0, v4, v5
	v_mul_i32_i24_e32 v4, v60, v104
	v_mul_i32_i24_e32 v5, v9, v244
	v_add3_u32 v61, v61, v64, v65
	v_mul_i32_i24_e32 v64, v50, v137
	v_mul_i32_i24_e32 v65, v51, v138
	v_bfe_i32 v35, v6, 0, 8
	v_bfe_i32 v36, v6, 8, 8
	v_add3_u32 v61, v61, v66, v67
	v_mul_i32_i24_e32 v67, v54, v141
	v_ashrrev_i32_e32 v6, 24, v6
	v_mov_b32_e32 v137, v169
	v_mov_b32_e32 v135, v165
	v_add3_u32 v61, v61, v68, v69
	s_delay_alu instid0(VALU_DEP_1) | instskip(SKIP_1) | instid1(VALU_DEP_2)
	v_add3_u32 v61, v61, v70, v71
	v_bfe_i32 v71, v120, 8, 8
	v_add3_u32 v61, v61, v72, v73
	v_bfe_i32 v72, v120, 16, 8
	v_ashrrev_i32_e32 v73, 24, v120
	s_delay_alu instid0(VALU_DEP_4) | instskip(NEXT) | instid1(VALU_DEP_4)
	v_mul_i32_i24_e32 v68, v71, v152
	v_add3_u32 v61, v61, v74, v75
	v_bfe_i32 v74, v175, 0, 8
	v_mul_i32_i24_e32 v69, v72, v153
	v_mul_i32_i24_e32 v70, v73, v156
	v_mov_b32_e32 v156, v108
	v_add3_u32 v61, v61, v76, v77
	v_bfe_i32 v76, v175, 8, 8
	v_bfe_i32 v77, v175, 16, 8
	v_mul_i32_i24_e32 v75, v74, v164
	s_wait_loadcnt 0x2
	v_mul_i32_i24_e32 v82, v53, v231
	v_bfe_i32 v53, v183, 8, 8
	s_wait_loadcnt 0x1
	v_mul_i32_i24_e32 v78, v49, v212
	v_bfe_i32 v49, v119, 0, 8
	s_wait_loadcnt 0x0
	v_mul_i32_i24_e32 v81, v52, v243
	v_ashrrev_i32_e32 v52, 24, v119
	v_add3_u32 v61, v61, v78, v79
	v_mul_i32_i24_e32 v7, v49, v136
	v_ashrrev_i32_e32 v78, 24, v175
	s_delay_alu instid0(VALU_DEP_4)
	v_mul_i32_i24_e32 v66, v52, v139
	v_mul_i32_i24_e32 v79, v76, v165
	v_add3_u32 v61, v61, v80, v81
	v_add3_u32 v0, v0, v7, v64
	v_mul_i32_i24_e32 v80, v77, v166
	v_mul_i32_i24_e32 v81, v78, v167
	v_mul_i32_i24_e32 v7, v57, v123
	v_add3_u32 v61, v61, v82, v83
	v_add3_u32 v0, v0, v65, v66
	v_mul_i32_i24_e32 v82, v23, v144
	;; [unrolled: 5-line block ×5, first 2 shown]
	v_mul_i32_i24_e32 v89, v14, v171
	v_bfe_i32 v61, v181, 8, 8
	v_mul_i32_i24_e32 v67, v58, v103
	v_add3_u32 v0, v0, v80, v81
	v_mul_i32_i24_e32 v68, v59, v106
	v_mul_i32_i24_e32 v69, v26, v162
	;; [unrolled: 1-line block ×4, first 2 shown]
	v_add3_u32 v0, v0, v82, v83
	v_mul_i32_i24_e32 v79, v28, v254
	v_mov_b32_e32 v136, v146
	v_mul_i32_i24_e32 v80, v29, v105
	v_mul_i32_i24_e32 v81, v30, v218
	v_add3_u32 v0, v0, v84, v85
	v_mul_i32_i24_e32 v82, v31, v255
	v_mul_i32_i24_e32 v83, v32, v128
	;; [unrolled: 1-line block ×4, first 2 shown]
	v_add3_u32 v0, v0, v86, v87
	v_mul_i32_i24_e32 v86, v35, v114
	v_mul_i32_i24_e32 v87, v36, v115
	v_dual_mov_b32 v150, v173 :: v_dual_mov_b32 v129, v141
	s_delay_alu instid0(VALU_DEP_4) | instskip(SKIP_3) | instid1(VALU_DEP_4)
	v_add3_u32 v0, v0, v88, v89
	v_mul_i32_i24_e32 v88, v37, v159
	v_mul_i32_i24_e32 v89, v6, v213
	v_dual_mov_b32 v141, v166 :: v_dual_mov_b32 v254, v160
	v_add3_u32 v143, v0, v90, v91
	v_mul_i32_i24_e32 v0, v41, v116
	v_mul_i32_i24_e32 v90, v38, v122
	;; [unrolled: 1-line block ×3, first 2 shown]
	v_mov_b32_e32 v166, v151
	s_delay_alu instid0(VALU_DEP_4) | instskip(NEXT) | instid1(VALU_DEP_1)
	v_mad_i32_i24 v0, v61, v242, v0
	v_add3_u32 v0, v0, v1, v3
	v_mul_i32_i24_e32 v1, v8, v124
	v_mul_i32_i24_e32 v3, v55, v125
	s_delay_alu instid0(VALU_DEP_1) | instskip(SKIP_1) | instid1(VALU_DEP_2)
	v_add3_u32 v0, v0, v1, v3
	v_ashrrev_i32_e32 v3, 24, v62
	v_add3_u32 v0, v0, v4, v5
	s_delay_alu instid0(VALU_DEP_1) | instskip(NEXT) | instid1(VALU_DEP_1)
	v_add3_u32 v0, v0, v7, v64
	v_add3_u32 v0, v0, v65, v66
	scratch_load_b128 v[62:65], off, off offset:1016 th:TH_LOAD_LU ; 16-byte Folded Reload
	s_wait_loadcnt 0x0
	scratch_load_b32 v62, off, off offset:740 ; 4-byte Folded Reload
	v_add3_u32 v0, v0, v67, v68
	s_delay_alu instid0(VALU_DEP_1) | instskip(NEXT) | instid1(VALU_DEP_1)
	v_add3_u32 v0, v0, v69, v70
	v_add3_u32 v0, v0, v75, v79
	s_delay_alu instid0(VALU_DEP_1) | instskip(NEXT) | instid1(VALU_DEP_1)
	v_add3_u32 v0, v0, v80, v81
	;; [unrolled: 3-line block ×3, first 2 shown]
	v_add3_u32 v0, v0, v86, v87
	s_delay_alu instid0(VALU_DEP_1)
	v_add3_u32 v75, v0, v88, v89
	scratch_load_b32 v0, off, off offset:1632 th:TH_LOAD_LU ; 4-byte Folded Reload
	v_add3_u32 v70, v75, v90, v91
	v_mul_i32_i24_e32 v91, v111, v24
	v_ashrrev_i32_e32 v7, 24, v65
	s_wait_loadcnt 0x1
	v_mul_i32_i24_e32 v63, v214, v62
	v_mul_i32_i24_e32 v64, v15, v62
	v_mov_b32_e32 v214, v212
	s_delay_alu instid0(VALU_DEP_2)
	v_add3_u32 v64, v143, v95, v64
	s_wait_loadcnt 0x0
	ds_load_b64 v[4:5], v0 offset:27200
	scratch_load_b32 v0, off, off offset:1636 th:TH_LOAD_LU ; 4-byte Folded Reload
	s_wait_loadcnt 0x0
	ds_load_b64 v[0:1], v0 offset:27200
	s_clause 0x2
	scratch_load_b32 v62, off, off offset:1640 th:TH_LOAD_LU
	scratch_load_b32 v65, off, off offset:1644 th:TH_LOAD_LU
	scratch_load_b32 v69, off, off offset:352
	s_wait_loadcnt 0x1
	v_add3_u32 v63, v65, v62, v63
	scratch_load_b32 v62, off, off offset:744 ; 4-byte Folded Reload
	s_wait_loadcnt 0x1
	v_mul_i32_i24_e32 v68, v69, v3
	v_mul_i32_i24_e32 v69, v69, v7
	s_wait_loadcnt 0x0
	v_mul_lo_u32 v63, v63, v62
	v_mul_lo_u32 v64, v64, v62
	scratch_load_b32 v62, off, off offset:348 ; 4-byte Folded Reload
	v_cvt_f32_i32_e32 v63, v63
	v_cvt_f32_i32_e32 v64, v64
	s_wait_dscnt 0x1
	s_delay_alu instid0(VALU_DEP_2) | instskip(SKIP_1) | instid1(VALU_DEP_2)
	v_fma_mix_f32 v63, v4, v63, 0 op_sel_hi:[1,0,0]
	s_wait_dscnt 0x0
	v_fma_mix_f32 v64, v0, v64, 0 op_sel_hi:[1,0,0]
	s_wait_loadcnt 0x0
	v_fma_mix_f32 v65, v62, v0, 0 op_sel:[0,1,0] op_sel_hi:[0,1,0]
	v_fma_mix_f32 v66, v62, v4, 0 op_sel:[0,1,0] op_sel_hi:[0,1,0]
	s_clause 0x1f
	scratch_load_b32 v62, off, off offset:344
	scratch_load_b32 v75, off, off offset:1648 th:TH_LOAD_LU
	scratch_load_b32 v79, off, off offset:1672 th:TH_LOAD_LU
	;; [unrolled: 1-line block ×3, first 2 shown]
	scratch_load_b32 v96, off, off offset:428
	scratch_load_b32 v169, off, off offset:432
	;; [unrolled: 1-line block ×3, first 2 shown]
	scratch_load_b32 v175, off, off offset:748 th:TH_LOAD_LU
	scratch_load_b32 v157, off, off offset:752 th:TH_LOAD_LU
	scratch_load_b32 v107, off, off offset:436
	scratch_load_b32 v143, off, off offset:396
	;; [unrolled: 1-line block ×3, first 2 shown]
	scratch_load_b32 v202, off, off offset:1040 th:TH_LOAD_LU
	scratch_load_b32 v171, off, off offset:1044 th:TH_LOAD_LU
	;; [unrolled: 1-line block ×4, first 2 shown]
	scratch_load_b32 v95, off, off offset:908
	scratch_load_b32 v104, off, off offset:912
	;; [unrolled: 1-line block ×4, first 2 shown]
	scratch_load_b32 v211, off, off offset:1036 th:TH_LOAD_LU
	scratch_load_b32 v161, off, off offset:1032 th:TH_LOAD_LU
	scratch_load_b32 v170, off, off offset:924
	scratch_load_b32 v176, off, off offset:904
	;; [unrolled: 1-line block ×3, first 2 shown]
	scratch_load_b32 v190, off, off offset:848 th:TH_LOAD_LU
	scratch_load_b32 v172, off, off offset:852 th:TH_LOAD_LU
	;; [unrolled: 1-line block ×7, first 2 shown]
	s_clause 0x17
	scratch_load_b32 v81, off, off offset:340
	scratch_load_b32 v217, off, off offset:364
	scratch_load_b32 v255, off, off offset:376 th:TH_LOAD_LU
	scratch_load_b32 v253, off, off offset:380 th:TH_LOAD_LU
	scratch_load_b32 v227, off, off offset:360
	scratch_load_b32 v82, off, off offset:336
	;; [unrolled: 1-line block ×13, first 2 shown]
	scratch_load_b32 v218, off, off offset:780 th:TH_LOAD_LU
	scratch_load_b32 v234, off, off offset:792 th:TH_LOAD_LU
	scratch_load_b32 v244, off, off offset:796 th:TH_LOAD_LU
	scratch_load_b32 v165, off, off offset:800 th:TH_LOAD_LU
	scratch_load_b32 v159, off, off offset:824 th:TH_LOAD_LU
	scratch_load_b32 v162, off, off offset:828 th:TH_LOAD_LU
	scratch_load_b32 v219, off, off offset:772 th:TH_LOAD_LU
	v_mov_b32_e32 v237, v243
	v_mov_b32_e32 v163, v196
	s_clause 0x3
	scratch_load_b32 v243, off, off offset:776 th:TH_LOAD_LU
	scratch_load_b32 v160, off, off offset:804 th:TH_LOAD_LU
	;; [unrolled: 1-line block ×4, first 2 shown]
	s_wait_loadcnt 0x3b
	v_mul_i32_i24_e32 v67, v40, v62
	v_mul_i32_i24_e32 v62, v110, v62
	s_wait_loadcnt 0x38
	v_add3_u32 v75, v80, v75, v79
	s_clause 0x1
	scratch_load_b32 v79, off, off offset:332
	scratch_load_b32 v80, off, off offset:128
	v_add3_u32 v67, v70, v67, v68
	scratch_load_b32 v68, off, off offset:252 ; 4-byte Folded Reload
	v_add3_u32 v62, v75, v62, v69
	v_mul_i32_i24_e32 v75, v223, v73
	v_mov_b32_e32 v223, v231
	v_dual_mov_b32 v231, v200 :: v_dual_mov_b32 v200, v198
	v_mov_b32_e32 v198, v102
	scratch_load_b32 v69, off, off offset:264 ; 4-byte Folded Reload
	v_mul_i32_i24_e32 v70, v113, v72
	s_wait_loadcnt 0x1f
	v_mul_i32_i24_e32 v81, v81, v77
	s_wait_loadcnt 0x1a
	v_mul_i32_i24_e32 v82, v82, v78
	s_wait_loadcnt 0x19
	v_mul_i32_i24_e32 v87, v87, v17
	s_wait_loadcnt 0x18
	v_mul_i32_i24_e32 v88, v88, v18
	s_wait_loadcnt 0x17
	v_mul_i32_i24_e32 v83, v83, v23
	s_wait_loadcnt 0x16
	v_mul_i32_i24_e32 v89, v89, v19
	s_wait_loadcnt 0x15
	v_mul_i32_i24_e32 v90, v90, v14
	s_wait_loadcnt 0x14
	v_mul_i32_i24_e32 v84, v84, v12
	s_wait_loadcnt 0x13
	v_mul_i32_i24_e32 v85, v85, v25
	s_wait_loadcnt 0x12
	v_mul_i32_i24_e32 v86, v86, v13
	s_wait_loadcnt 0x3
	v_mul_i32_i24_e32 v79, v79, v74
	s_wait_loadcnt 0x2
	v_mul_i32_i24_e32 v80, v80, v76
	s_wait_loadcnt 0x1
	v_mul_lo_u32 v67, v67, v68
	v_mul_lo_u32 v62, v62, v68
	v_mul_i32_i24_e32 v68, v215, v54
	v_mov_b32_e32 v215, v220
	scratch_load_b32 v220, off, off offset:808 th:TH_LOAD_LU ; 4-byte Folded Reload
	s_wait_loadcnt 0x1
	v_mul_i32_i24_e32 v69, v69, v71
	v_cvt_f32_i32_e32 v67, v67
	v_cvt_f32_i32_e32 v62, v62
	s_delay_alu instid0(VALU_DEP_2)
	v_fma_mix_f32 v64, v1, v67, v64 op_sel_hi:[1,0,0]
	scratch_load_b32 v67, off, off offset:248 ; 4-byte Folded Reload
	v_fma_mix_f32 v62, v5, v62, v63 op_sel_hi:[1,0,0]
	s_wait_loadcnt 0x0
	v_fma_mix_f32 v63, v67, v5, v66 op_sel:[0,1,0] op_sel_hi:[0,1,0]
	scratch_load_b32 v66, off, off offset:404 ; 4-byte Folded Reload
	v_fma_mix_f32 v65, v67, v1, v65 op_sel:[0,1,0] op_sel_hi:[0,1,0]
	scratch_load_b32 v67, off, off offset:1684 th:TH_LOAD_LU ; 4-byte Folded Reload
	s_wait_loadcnt 0x1
	v_mul_f32_e32 v65, v65, v66
	scratch_load_b32 v66, off, off offset:388 ; 4-byte Folded Reload
	s_wait_loadcnt 0x0
	v_mul_f32_e32 v63, v63, v66
	scratch_load_b32 v66, off, off offset:384 ; 4-byte Folded Reload
	s_wait_loadcnt 0x0
	v_fma_f32 v62, v62, v66, -v63
	scratch_load_b32 v63, off, off offset:400 ; 4-byte Folded Reload
	v_mul_i32_i24_e32 v66, v96, v7
	v_mul_i32_i24_e32 v96, v96, v3
	s_delay_alu instid0(VALU_DEP_2)
	v_add3_u32 v66, v98, v67, v66
	scratch_load_b32 v98, off, off offset:916 ; 4-byte Folded Reload
	v_mul_i32_i24_e32 v67, v112, v52
	s_wait_loadcnt 0x1
	v_fma_f32 v63, v64, v63, -v65
	scratch_load_b32 v64, off, off offset:1680 th:TH_LOAD_LU ; 4-byte Folded Reload
	v_fma_mix_f32 v65, v95, v4, 0 op_sel:[0,1,0] op_sel_hi:[0,1,0]
	v_mov_b32_e32 v119, v131
	v_dual_mov_b32 v131, v153 :: v_dual_add_f32 v94, v94, v63
	scratch_load_b32 v63, off, off offset:280 ; 4-byte Folded Reload
	s_wait_loadcnt 0x2
	v_mul_lo_u32 v66, v66, v98
	v_fma_mix_f32 v65, v104, v5, v65 op_sel:[0,1,0] op_sel_hi:[0,1,0]
	v_mov_b32_e32 v153, v149
	s_delay_alu instid0(VALU_DEP_2) | instskip(NEXT) | instid1(VALU_DEP_4)
	v_mul_f32_e32 v65, v65, v105
	v_cvt_f32_i32_e32 v66, v66
	s_wait_loadcnt 0x1
	v_fma_mix_f32 v64, v4, v64, 0 op_sel_hi:[1,0,0]
	s_delay_alu instid0(VALU_DEP_1) | instskip(SKIP_3) | instid1(VALU_DEP_3)
	v_fma_mix_f32 v64, v5, v66, v64 op_sel_hi:[1,0,0]
	v_mul_i32_i24_e32 v66, v169, v7
	s_wait_loadcnt 0x0
	v_mul_i32_i24_e32 v63, v63, v48
	v_fma_f32 v64, v64, v103, -v65
	scratch_load_b32 v65, off, off offset:576 ; 4-byte Folded Reload
	v_add3_u32 v66, v154, v155, v66
	s_clause 0x1
	scratch_load_b32 v155, off, off offset:920
	scratch_load_b32 v154, off, off offset:896
	v_mul_lo_u32 v66, v66, v170
	s_delay_alu instid0(VALU_DEP_1)
	v_cvt_f32_i32_e32 v66, v66
	s_wait_loadcnt 0x2
	v_add_f32_e32 v65, v65, v64
	v_fma_mix_f32 v64, v4, v97, 0 op_sel_hi:[1,0,0]
	scratch_load_b32 v97, off, off offset:444 ; 4-byte Folded Reload
	scratch_store_b32 off, v65, off offset:576 ; 4-byte Folded Spill
	v_fma_mix_f32 v65, v106, v4, 0 op_sel:[0,1,0] op_sel_hi:[0,1,0]
	v_fma_mix_f32 v64, v5, v66, v64 op_sel_hi:[1,0,0]
	scratch_load_b32 v66, off, off offset:288 ; 4-byte Folded Reload
	s_wait_loadcnt 0x3
	v_fma_mix_f32 v65, v155, v5, v65 op_sel:[0,1,0] op_sel_hi:[0,1,0]
	s_delay_alu instid0(VALU_DEP_1) | instskip(SKIP_1) | instid1(VALU_DEP_1)
	v_mul_f32_e32 v65, v65, v176
	s_wait_loadcnt 0x2
	v_fma_f32 v64, v64, v154, -v65
	scratch_load_b32 v65, off, off offset:584 ; 4-byte Folded Reload
	s_wait_loadcnt 0x2
	v_mul_i32_i24_e32 v7, v7, v97
	s_delay_alu instid0(VALU_DEP_1)
	v_add3_u32 v7, v209, v92, v7
	scratch_load_b32 v209, off, off offset:424 ; 4-byte Folded Reload
	s_wait_loadcnt 0x2
	v_mul_i32_i24_e32 v66, v66, v51
	v_mul_i32_i24_e32 v92, v100, v21
	scratch_load_b32 v100, off, off offset:72 ; 4-byte Folded Reload
	v_mul_lo_u32 v7, v7, v107
	s_delay_alu instid0(VALU_DEP_1)
	v_cvt_f32_i32_e32 v7, v7
	s_wait_loadcnt 0x2
	v_add_f32_e32 v65, v65, v64
	v_fma_mix_f32 v64, v4, v210, 0 op_sel_hi:[1,0,0]
	v_fma_mix_f32 v4, v4, v120, 0 op_sel:[1,0,0] op_sel_hi:[1,0,0]
	v_mov_b32_e32 v210, v247
	scratch_load_b32 v247, off, off offset:816 th:TH_LOAD_LU ; 4-byte Folded Reload
	scratch_store_b32 off, v65, off offset:584 ; 4-byte Folded Spill
	v_fma_mix_f32 v7, v5, v7, v64 op_sel_hi:[1,0,0]
	s_clause 0x1
	scratch_load_b32 v64, off, off offset:296
	scratch_load_b32 v65, off, off offset:292
	s_wait_loadcnt 0x4
	v_fma_mix_f32 v4, v5, v209, v4 op_sel:[1,0,0] op_sel_hi:[1,0,0]
	scratch_load_b32 v5, off, off offset:608 ; 4-byte Folded Reload
	v_dual_mul_f32 v4, v4, v143 :: v_dual_mov_b32 v167, v109
	s_delay_alu instid0(VALU_DEP_1)
	v_fma_f32 v4, v7, v246, -v4
	scratch_load_b32 v7, off, off offset:268 ; 4-byte Folded Reload
	s_wait_loadcnt 0x3
	v_mul_i32_i24_e32 v64, v64, v49
	s_wait_loadcnt 0x2
	v_mul_i32_i24_e32 v65, v65, v50
	s_wait_loadcnt 0x1
	v_add_f32_e32 v5, v5, v4
	v_mul_i32_i24_e32 v4, v224, v20
	v_dual_mov_b32 v224, v252 :: v_dual_add_f32 v93, v93, v62
	scratch_load_b32 v62, off, off offset:732 ; 4-byte Folded Reload
	scratch_store_b32 off, v5, off offset:608 ; 4-byte Folded Spill
	s_clause 0x1
	scratch_load_b32 v5, off, off offset:272
	scratch_load_b32 v252, off, off offset:864 th:TH_LOAD_LU
	scratch_store_b64 off, v[93:94], off offset:612 ; 8-byte Folded Spill
	scratch_load_b32 v94, off, off offset:132 ; 4-byte Folded Reload
	s_wait_loadcnt 0x4
	v_mul_i32_i24_e32 v7, v7, v16
	v_mul_i32_i24_e32 v93, v99, v22
	scratch_load_b32 v99, off, off offset:372 th:TH_LOAD_LU ; 4-byte Folded Reload
	s_wait_loadcnt 0x4
	v_mad_i32_i24 v4, v62, v44, v4
	scratch_load_b32 v62, off, off offset:284 ; 4-byte Folded Reload
	s_wait_loadcnt 0x4
	v_mul_i32_i24_e32 v5, v5, v2
	s_wait_loadcnt 0x2
	v_mul_i32_i24_e32 v94, v94, v15
	s_delay_alu instid0(VALU_DEP_2)
	v_add3_u32 v4, v4, v5, v7
	s_clause 0x1
	scratch_load_b32 v5, off, off offset:736
	scratch_load_b32 v7, off, off offset:276
	s_wait_loadcnt 0x2
	v_mul_i32_i24_e32 v62, v62, v47
	s_wait_loadcnt 0x1
	v_mul_i32_i24_e32 v5, v5, v45
	;; [unrolled: 2-line block ×3, first 2 shown]
	s_delay_alu instid0(VALU_DEP_1)
	v_add3_u32 v4, v4, v5, v7
	s_clause 0x1
	scratch_load_b32 v5, off, off offset:408
	scratch_load_b32 v7, off, off offset:148
	v_add3_u32 v4, v4, v62, v63
	s_clause 0x1
	scratch_load_b32 v62, off, off offset:140
	scratch_load_b32 v63, off, off offset:136
	v_add3_u32 v4, v4, v64, v65
	s_clause 0x1
	scratch_load_b32 v64, off, off offset:144
	scratch_load_b32 v65, off, off offset:152
	v_add3_u32 v4, v4, v66, v67
	s_clause 0x1
	scratch_load_b32 v66, off, off offset:180
	scratch_load_b32 v67, off, off offset:176
	v_add3_u32 v4, v4, v68, v69
	s_clause 0x1
	scratch_load_b32 v68, off, off offset:172
	scratch_load_b32 v69, off, off offset:168
	v_add3_u32 v4, v4, v70, v75
	s_clause 0x1
	scratch_load_b32 v70, off, off offset:196
	scratch_load_b32 v75, off, off offset:192
	v_add3_u32 v4, v4, v79, v80
	s_clause 0x1
	scratch_load_b32 v79, off, off offset:188
	scratch_load_b32 v80, off, off offset:184
	v_add3_u32 v4, v4, v81, v82
	s_clause 0x1
	scratch_load_b32 v81, off, off offset:204
	scratch_load_b32 v82, off, off offset:200
	v_add3_u32 v4, v4, v83, v84
	s_clause 0x1
	scratch_load_b32 v83, off, off offset:244
	scratch_load_b32 v84, off, off offset:208
	v_add3_u32 v4, v4, v85, v86
	s_clause 0x1
	scratch_load_b32 v85, off, off offset:224
	scratch_load_b32 v86, off, off offset:220
	v_add3_u32 v4, v4, v87, v88
	s_clause 0x1
	scratch_load_b32 v87, off, off offset:216
	scratch_load_b32 v88, off, off offset:212
	v_add3_u32 v4, v4, v89, v90
	s_clause 0x1
	scratch_load_b32 v89, off, off offset:240
	scratch_load_b32 v90, off, off offset:236
	v_add3_u32 v4, v4, v91, v92
	s_clause 0x1
	scratch_load_b32 v91, off, off offset:232
	scratch_load_b32 v92, off, off offset:228
	v_add3_u32 v4, v4, v93, v94
	s_clause 0x1
	scratch_load_b32 v93, off, off offset:416
	scratch_load_b32 v94, off, off offset:420
	s_wait_loadcnt 0x1b
	v_mul_lo_u32 v4, v4, v5
	s_wait_loadcnt 0x1a
	v_mul_i32_i24_e32 v7, v7, v41
	v_fma_mix_f32 v5, v95, v0, 0 op_sel:[0,1,0] op_sel_hi:[0,1,0]
	scratch_load_b32 v95, off, off offset:412 ; 4-byte Folded Reload
	s_wait_loadcnt 0x1a
	v_mul_i32_i24_e32 v62, v62, v42
	s_wait_loadcnt 0x19
	v_mul_i32_i24_e32 v63, v63, v43
	v_fma_mix_f32 v5, v104, v1, v5 op_sel:[0,1,0] op_sel_hi:[0,1,0]
	v_cvt_f32_i32_e32 v4, v4
	v_mov_b32_e32 v104, v137
	s_wait_loadcnt 0x18
	v_mad_i32_i24 v7, v64, v61, v7
	scratch_load_b32 v64, off, off offset:156 ; 4-byte Folded Reload
	s_wait_loadcnt 0x18
	v_mul_i32_i24_e32 v65, v65, v9
	v_fma_mix_f32 v4, v0, v4, 0 op_sel_hi:[1,0,0]
	v_mul_f32_e32 v5, v5, v105
	v_add3_u32 v7, v7, v62, v63
	s_clause 0x1
	scratch_load_b32 v62, off, off offset:164
	scratch_load_b32 v63, off, off offset:160
	s_wait_loadcnt 0x19
	v_mul_i32_i24_e32 v66, v66, v57
	s_wait_loadcnt 0x18
	v_mul_i32_i24_e32 v67, v67, v53
	s_wait_loadcnt 0x17
	v_mul_i32_i24_e32 v68, v68, v56
	s_wait_loadcnt 0x16
	v_mul_i32_i24_e32 v69, v69, v10
	s_wait_loadcnt 0x15
	v_mul_i32_i24_e32 v70, v70, v58
	s_wait_loadcnt 0x14
	v_mul_i32_i24_e32 v75, v75, v59
	s_wait_loadcnt 0x13
	v_mul_i32_i24_e32 v79, v79, v26
	s_wait_loadcnt 0x12
	v_mul_i32_i24_e32 v80, v80, v11
	s_wait_loadcnt 0x11
	v_mul_i32_i24_e32 v81, v81, v27
	s_wait_loadcnt 0x10
	v_mul_i32_i24_e32 v82, v82, v28
	s_wait_loadcnt 0xf
	v_mul_i32_i24_e32 v83, v83, v29
	s_wait_loadcnt 0xe
	v_mul_i32_i24_e32 v84, v84, v30
	s_wait_loadcnt 0xd
	v_mul_i32_i24_e32 v85, v85, v31
	s_wait_loadcnt 0xc
	v_mul_i32_i24_e32 v86, v86, v32
	s_wait_loadcnt 0xb
	v_mul_i32_i24_e32 v87, v87, v33
	s_wait_loadcnt 0xa
	v_mul_i32_i24_e32 v88, v88, v34
	s_wait_loadcnt 0x9
	v_mul_i32_i24_e32 v89, v89, v35
	s_wait_loadcnt 0x8
	v_mul_i32_i24_e32 v90, v90, v36
	s_wait_loadcnt 0x7
	v_mul_i32_i24_e32 v91, v91, v37
	s_wait_loadcnt 0x6
	v_mul_i32_i24_e32 v92, v92, v6
	s_wait_loadcnt 0x5
	v_mul_i32_i24_e32 v93, v38, v93
	s_wait_loadcnt 0x4
	v_mul_i32_i24_e32 v94, v39, v94
	s_wait_loadcnt 0x3
	v_mul_i32_i24_e32 v95, v40, v95
	s_wait_loadcnt 0x2
	v_mul_i32_i24_e32 v64, v64, v60
	s_wait_loadcnt 0x1
	v_mul_i32_i24_e32 v62, v62, v8
	s_wait_loadcnt 0x0
	v_mul_i32_i24_e32 v63, v63, v55
	s_delay_alu instid0(VALU_DEP_1)
	v_add3_u32 v7, v7, v62, v63
	s_clause 0x1
	scratch_load_b32 v62, off, off offset:24
	scratch_load_b32 v63, off, off offset:44
	v_add3_u32 v7, v7, v64, v65
	s_clause 0x1
	scratch_load_b32 v64, off, off offset:48
	scratch_load_b32 v65, off, off offset:52
	v_add3_u32 v7, v7, v66, v67
	scratch_load_b32 v66, off, off offset:56 ; 4-byte Folded Reload
	v_mul_i32_i24_e32 v67, v52, v99
	v_add3_u32 v7, v7, v68, v69
	scratch_load_b32 v69, off, off          ; 4-byte Folded Reload
	v_mul_i32_i24_e32 v68, v54, v100
	v_add3_u32 v7, v7, v70, v75
	s_clause 0x1
	scratch_load_b32 v70, off, off offset:4
	scratch_load_b32 v75, off, off offset:8
	v_add3_u32 v7, v7, v79, v80
	s_clause 0x1
	scratch_load_b32 v79, off, off offset:12
	scratch_load_b32 v80, off, off offset:16
	;; [unrolled: 4-line block ×9, first 2 shown]
	v_add3_u32 v7, v7, v95, v96
	v_mul_i32_i24_e32 v96, v169, v3
	v_mov_b32_e32 v169, v206
	v_mov_b32_e32 v201, v221
	;; [unrolled: 1-line block ×3, first 2 shown]
	v_mul_lo_u32 v7, v7, v98
	scratch_load_b32 v98, off, off offset:124 ; 4-byte Folded Reload
	v_mul_i32_i24_e32 v95, v40, v249
	scratch_load_b32 v221, off, off offset:820 th:TH_LOAD_LU ; 4-byte Folded Reload
	v_mov_b32_e32 v245, v203
	v_dual_mov_b32 v203, v126 :: v_dual_mov_b32 v206, v148
	v_mul_i32_i24_e32 v3, v3, v97
	v_cvt_f32_i32_e32 v7, v7
	s_delay_alu instid0(VALU_DEP_1)
	v_fma_mix_f32 v4, v1, v7, v4 op_sel_hi:[1,0,0]
	scratch_load_b32 v7, off, off offset:28 ; 4-byte Folded Reload
	v_fma_f32 v4, v4, v103, -v5
	scratch_load_b32 v5, off, off offset:572 ; 4-byte Folded Reload
	s_wait_loadcnt 0x1a
	v_mul_i32_i24_e32 v63, v48, v63
	s_wait_loadcnt 0x19
	v_mul_i32_i24_e32 v64, v49, v64
	;; [unrolled: 2-line block ×13, first 2 shown]
	v_mul_i32_i24_e32 v23, v23, v195
	v_mul_i32_i24_e32 v12, v12, v163
	s_wait_loadcnt 0xd
	v_mul_i32_i24_e32 v85, v25, v85
	s_wait_loadcnt 0xc
	v_mul_i32_i24_e32 v86, v13, v86
	v_mul_i32_i24_e32 v25, v25, v197
	v_mul_i32_i24_e32 v13, v13, v200
	s_wait_loadcnt 0xb
	v_mul_i32_i24_e32 v87, v17, v87
	s_wait_loadcnt 0xa
	v_mul_i32_i24_e32 v88, v18, v88
	;; [unrolled: 6-line block ×5, first 2 shown]
	v_mul_i32_i24_e32 v22, v22, v207
	v_mul_i32_i24_e32 v15, v15, v212
	s_wait_loadcnt 0x1
	v_mul_i32_i24_e32 v7, v16, v7
	s_wait_loadcnt 0x0
	v_add_f32_e32 v5, v5, v4
	v_mul_i32_i24_e32 v4, v20, v98
	scratch_store_b32 off, v5, off offset:572 ; 4-byte Folded Spill
	scratch_load_b32 v5, off, off offset:20 ; 4-byte Folded Reload
	v_mad_i32_i24 v4, v44, v62, v4
	scratch_load_b32 v62, off, off offset:40 ; 4-byte Folded Reload
	s_wait_loadcnt 0x1
	v_mul_i32_i24_e32 v5, v2, v5
	v_mul_i32_i24_e32 v2, v2, v201
	s_wait_loadcnt 0x0
	v_mul_i32_i24_e32 v62, v47, v62
	s_delay_alu instid0(VALU_DEP_3)
	v_add3_u32 v4, v4, v5, v7
	s_clause 0x1
	scratch_load_b32 v5, off, off offset:32
	scratch_load_b32 v7, off, off offset:36
	s_wait_loadcnt 0x1
	v_mul_i32_i24_e32 v5, v45, v5
	s_wait_loadcnt 0x0
	v_mul_i32_i24_e32 v7, v46, v7
	s_delay_alu instid0(VALU_DEP_1)
	v_add3_u32 v4, v4, v5, v7
	scratch_load_b32 v5, off, off offset:356 ; 4-byte Folded Reload
	v_mul_i32_i24_e32 v7, v41, v190
	v_add3_u32 v4, v4, v62, v63
	v_mul_i32_i24_e32 v62, v42, v216
	v_mul_i32_i24_e32 v63, v43, v217
	s_delay_alu instid0(VALU_DEP_4) | instskip(NEXT) | instid1(VALU_DEP_4)
	v_mad_i32_i24 v7, v61, v227, v7
	v_add3_u32 v4, v4, v64, v65
	v_mul_i32_i24_e32 v64, v60, v255
	v_mul_i32_i24_e32 v65, v9, v173
	s_delay_alu instid0(VALU_DEP_4)
	v_add3_u32 v7, v7, v62, v63
	v_mul_i32_i24_e32 v62, v8, v211
	v_mul_i32_i24_e32 v63, v55, v202
	v_add3_u32 v4, v4, v66, v67
	v_mul_i32_i24_e32 v66, v57, v171
	v_mul_i32_i24_e32 v67, v53, v172
	v_mul_i32_i24_e32 v9, v9, v234
	v_add3_u32 v7, v7, v62, v63
	v_add3_u32 v4, v4, v68, v69
	v_mul_i32_i24_e32 v68, v56, v251
	v_mul_i32_i24_e32 v69, v10, v174
	v_mul_i32_i24_e32 v62, v78, v194
	v_add3_u32 v7, v7, v64, v65
	;; [unrolled: 5-line block ×4, first 2 shown]
	v_add3_u32 v4, v4, v81, v82
	v_mul_i32_i24_e32 v81, v27, v228
	v_mul_i32_i24_e32 v82, v28, v252
	s_delay_alu instid0(VALU_DEP_4) | instskip(NEXT) | instid1(VALU_DEP_4)
	v_add3_u32 v7, v7, v70, v75
	v_add3_u32 v4, v4, v83, v84
	v_mul_i32_i24_e32 v83, v29, v214
	v_mul_i32_i24_e32 v84, v30, v215
	s_delay_alu instid0(VALU_DEP_4) | instskip(NEXT) | instid1(VALU_DEP_4)
	v_add3_u32 v7, v7, v79, v80
	;; [unrolled: 5-line block ×5, first 2 shown]
	v_add3_u32 v4, v4, v91, v92
	v_mul_i32_i24_e32 v91, v37, v242
	v_mul_i32_i24_e32 v92, v6, v199
	;; [unrolled: 1-line block ×3, first 2 shown]
	v_add3_u32 v7, v7, v87, v88
	v_add3_u32 v4, v4, v93, v94
	v_mul_i32_i24_e32 v93, v38, v254
	v_mul_i32_i24_e32 v94, v39, v239
	s_delay_alu instid0(VALU_DEP_4) | instskip(NEXT) | instid1(VALU_DEP_1)
	v_add3_u32 v7, v7, v89, v90
	v_add3_u32 v7, v7, v91, v92
	s_delay_alu instid0(VALU_DEP_1) | instskip(NEXT) | instid1(VALU_DEP_1)
	v_add3_u32 v7, v7, v93, v94
	v_add3_u32 v7, v7, v95, v96
	s_delay_alu instid0(VALU_DEP_1)
	v_mul_lo_u32 v7, v7, v170
	scratch_load_b32 v170, off, off offset:988 th:TH_LOAD_LU ; 4-byte Folded Reload
	v_cvt_f32_i32_e32 v7, v7
	s_wait_loadcnt 0x1
	v_mul_lo_u32 v4, v4, v5
	v_fma_mix_f32 v5, v106, v0, 0 op_sel:[0,1,0] op_sel_hi:[0,1,0]
	s_delay_alu instid0(VALU_DEP_1) | instskip(SKIP_3) | instid1(VALU_DEP_2)
	v_fma_mix_f32 v5, v155, v1, v5 op_sel:[0,1,0] op_sel_hi:[0,1,0]
	scratch_load_b32 v155, off, off offset:832 th:TH_LOAD_LU ; 4-byte Folded Reload
	v_cvt_f32_i32_e32 v4, v4
	v_mul_f32_e32 v5, v5, v176
	v_fma_mix_f32 v4, v0, v4, 0 op_sel_hi:[1,0,0]
	s_delay_alu instid0(VALU_DEP_1) | instskip(SKIP_3) | instid1(VALU_DEP_4)
	v_fma_mix_f32 v4, v1, v7, v4 op_sel_hi:[1,0,0]
	v_mul_i32_i24_e32 v7, v47, v245
	v_mul_i32_i24_e32 v47, v54, v187
	;; [unrolled: 1-line block ×3, first 2 shown]
	v_fma_f32 v4, v4, v154, -v5
	scratch_load_b32 v5, off, off offset:580 ; 4-byte Folded Reload
	s_wait_loadcnt 0x0
	v_dual_mov_b32 v154, v142 :: v_dual_add_f32 v5, v5, v4
	v_mul_i32_i24_e32 v4, v20, v170
	v_mul_i32_i24_e32 v20, v49, v180
	;; [unrolled: 1-line block ×3, first 2 shown]
	scratch_store_b32 off, v5, off offset:580 ; 4-byte Folded Spill
	v_mul_i32_i24_e32 v5, v16, v218
	v_mad_i32_i24 v4, v44, v219, v4
	v_mul_i32_i24_e32 v16, v48, v204
	v_mul_i32_i24_e32 v44, v50, v169
	;; [unrolled: 1-line block ×4, first 2 shown]
	v_add3_u32 v2, v4, v2, v5
	v_mul_i32_i24_e32 v4, v45, v231
	v_mul_i32_i24_e32 v5, v46, v243
	v_mul_i32_i24_e32 v45, v51, v178
	v_mul_i32_i24_e32 v46, v52, v186
	v_mul_i32_i24_e32 v51, v74, v191
	v_mul_i32_i24_e32 v52, v76, v192
	v_add3_u32 v2, v2, v4, v5
	v_mul_i32_i24_e32 v4, v41, v179
	v_mul_i32_i24_e32 v5, v42, v164
	s_delay_alu instid0(VALU_DEP_3) | instskip(SKIP_1) | instid1(VALU_DEP_4)
	v_add3_u32 v2, v2, v7, v16
	v_mul_i32_i24_e32 v7, v43, v241
	v_mad_i32_i24 v4, v61, v208, v4
	v_mul_i32_i24_e32 v16, v59, v247
	v_mov_b32_e32 v59, v152
	v_add3_u32 v2, v2, v20, v44
	v_mul_i32_i24_e32 v20, v29, v230
	v_add3_u32 v4, v4, v5, v7
	v_mul_i32_i24_e32 v5, v8, v153
	v_mul_i32_i24_e32 v7, v55, v160
	v_add3_u32 v2, v2, v45, v46
	v_mul_i32_i24_e32 v8, v60, v154
	v_mul_i32_i24_e32 v29, v38, v155
	s_delay_alu instid0(VALU_DEP_4) | instskip(NEXT) | instid1(VALU_DEP_4)
	v_add3_u32 v4, v4, v5, v7
	v_add3_u32 v2, v2, v47, v48
	s_delay_alu instid0(VALU_DEP_2) | instskip(NEXT) | instid1(VALU_DEP_2)
	v_add3_u32 v4, v4, v8, v9
	v_add3_u32 v2, v2, v49, v50
	s_delay_alu instid0(VALU_DEP_1) | instskip(NEXT) | instid1(VALU_DEP_1)
	v_add3_u32 v2, v2, v51, v52
	v_add3_u32 v2, v2, v54, v62
	s_delay_alu instid0(VALU_DEP_1) | instskip(SKIP_2) | instid1(VALU_DEP_3)
	v_add3_u32 v2, v2, v23, v12
	v_mul_i32_i24_e32 v12, v57, v244
	v_mul_i32_i24_e32 v23, v32, v235
	v_add3_u32 v2, v2, v25, v13
	v_mul_i32_i24_e32 v13, v53, v220
	v_mul_i32_i24_e32 v25, v34, v236
	s_delay_alu instid0(VALU_DEP_3) | instskip(NEXT) | instid1(VALU_DEP_3)
	v_add3_u32 v2, v2, v17, v18
	v_add3_u32 v4, v4, v12, v13
	v_mul_i32_i24_e32 v17, v26, v168
	v_mul_i32_i24_e32 v18, v27, v229
	;; [unrolled: 1-line block ×3, first 2 shown]
	v_add3_u32 v2, v2, v19, v14
	v_mul_i32_i24_e32 v14, v56, v165
	v_mul_i32_i24_e32 v19, v28, v221
	;; [unrolled: 1-line block ×4, first 2 shown]
	v_add3_u32 v2, v2, v24, v21
	v_add3_u32 v4, v4, v14, v10
	v_mul_i32_i24_e32 v21, v30, v232
	v_mul_i32_i24_e32 v24, v33, v162
	;; [unrolled: 1-line block ×3, first 2 shown]
	v_add3_u32 v2, v2, v22, v15
	v_mul_i32_i24_e32 v15, v58, v156
	v_mul_i32_i24_e32 v22, v31, v159
	;; [unrolled: 1-line block ×3, first 2 shown]
	s_delay_alu instid0(VALU_DEP_4) | instskip(NEXT) | instid1(VALU_DEP_4)
	v_mul_lo_u32 v2, v2, v225
	v_add3_u32 v4, v4, v15, v16
	s_delay_alu instid0(VALU_DEP_1) | instskip(NEXT) | instid1(VALU_DEP_3)
	v_add3_u32 v4, v4, v17, v11
	v_cvt_f32_i32_e32 v2, v2
	s_delay_alu instid0(VALU_DEP_2) | instskip(NEXT) | instid1(VALU_DEP_2)
	v_add3_u32 v4, v4, v18, v19
	v_fma_mix_f32 v2, v0, v2, 0 op_sel_hi:[1,0,0]
	v_fma_mix_f32 v0, v0, v120, 0 op_sel:[1,0,0] op_sel_hi:[1,0,0]
	s_delay_alu instid0(VALU_DEP_3) | instskip(NEXT) | instid1(VALU_DEP_2)
	v_add3_u32 v4, v4, v20, v21
	v_fma_mix_f32 v0, v1, v209, v0 op_sel:[1,0,0] op_sel_hi:[1,0,0]
	s_delay_alu instid0(VALU_DEP_2) | instskip(NEXT) | instid1(VALU_DEP_2)
	v_add3_u32 v4, v4, v22, v23
	v_mul_f32_e32 v0, v0, v143
	s_delay_alu instid0(VALU_DEP_2) | instskip(NEXT) | instid1(VALU_DEP_1)
	v_add3_u32 v4, v4, v24, v25
	v_add3_u32 v4, v4, v26, v27
	s_delay_alu instid0(VALU_DEP_1) | instskip(NEXT) | instid1(VALU_DEP_1)
	v_add3_u32 v4, v4, v28, v6
	v_add3_u32 v4, v4, v29, v30
	s_delay_alu instid0(VALU_DEP_1) | instskip(NEXT) | instid1(VALU_DEP_1)
	v_add3_u32 v3, v4, v31, v3
	v_mul_lo_u32 v3, v3, v107
	s_delay_alu instid0(VALU_DEP_1) | instskip(NEXT) | instid1(VALU_DEP_1)
	v_cvt_f32_i32_e32 v3, v3
	v_fma_mix_f32 v2, v1, v3, v2 op_sel_hi:[1,0,0]
	scratch_load_b32 v1, off, off offset:596 ; 4-byte Folded Reload
	v_fma_f32 v0, v2, v246, -v0
	s_wait_loadcnt 0x0
	s_delay_alu instid0(VALU_DEP_1)
	v_add_f32_e32 v1, v1, v0
	scratch_load_b32 v0, off, off offset:1376 th:TH_LOAD_LU ; 4-byte Folded Reload
	scratch_store_b32 off, v1, off offset:596 ; 4-byte Folded Spill
	s_wait_loadcnt 0x0
	ds_load_b128 v[12:15], v0 offset:16896
	ds_load_b128 v[8:11], v0 offset:16912
	ds_load_b128 v[4:7], v0 offset:16928
	ds_load_b128 v[181:184], v0 offset:16944
	s_clause 0x1f
	scratch_load_b32 v54, off, off offset:684 th:TH_LOAD_LU
	scratch_load_b32 v43, off, off offset:568 th:TH_LOAD_LU
	;; [unrolled: 1-line block ×32, first 2 shown]
	s_clause 0x1
	scratch_load_b32 v246, off, off offset:460 th:TH_LOAD_LU
	scratch_load_b32 v97, off, off offset:132 th:TH_LOAD_LU
	s_wait_dscnt 0x3
	v_bfe_i32 v146, v12, 0, 8
	v_bfe_i32 v148, v12, 8, 8
	;; [unrolled: 1-line block ×3, first 2 shown]
	v_ashrrev_i32_e32 v12, 24, v12
	v_bfe_i32 v145, v13, 0, 8
	v_bfe_i32 v16, v13, 8, 8
	;; [unrolled: 1-line block ×3, first 2 shown]
	v_ashrrev_i32_e32 v19, 24, v13
	v_bfe_i32 v20, v14, 0, 8
	v_bfe_i32 v21, v14, 8, 8
	s_wait_dscnt 0x1
	v_bfe_i32 v140, v4, 0, 8
	v_bfe_i32 v142, v4, 8, 8
	v_bfe_i32 v139, v4, 16, 8
	v_ashrrev_i32_e32 v138, 24, v4
	v_bfe_i32 v130, v5, 0, 8
	v_bfe_i32 v128, v5, 8, 8
	;; [unrolled: 1-line block ×3, first 2 shown]
	v_ashrrev_i32_e32 v126, 24, v5
	v_bfe_i32 v26, v14, 16, 8
	v_ashrrev_i32_e32 v23, 24, v14
	v_bfe_i32 v123, v6, 0, 8
	v_bfe_i32 v124, v6, 8, 8
	v_bfe_i32 v122, v6, 16, 8
	v_ashrrev_i32_e32 v121, 24, v6
	v_bfe_i32 v116, v7, 0, 8
	v_bfe_i32 v117, v7, 8, 8
	;; [unrolled: 4-line block ×3, first 2 shown]
	v_bfe_i32 v28, v8, 0, 8
	v_bfe_i32 v29, v8, 8, 8
	;; [unrolled: 1-line block ×3, first 2 shown]
	v_ashrrev_i32_e32 v31, 24, v8
	v_bfe_i32 v32, v9, 0, 8
	v_bfe_i32 v33, v9, 8, 8
	;; [unrolled: 1-line block ×3, first 2 shown]
	v_ashrrev_i32_e32 v35, 24, v9
	v_bfe_i32 v30, v15, 16, 8
	v_ashrrev_i32_e32 v27, 24, v15
	v_bfe_i32 v39, v11, 0, 8
	v_bfe_i32 v40, v11, 8, 8
	;; [unrolled: 1-line block ×3, first 2 shown]
	v_ashrrev_i32_e32 v151, 24, v11
	v_mul_i32_i24_e32 v11, v24, v129
	v_mul_i32_i24_e32 v15, v25, v59
	v_mul_i32_i24_e32 v76, v30, v131
	v_mul_i32_i24_e32 v77, v27, v132
	v_mul_i32_i24_e32 v78, v28, v134
	v_mul_i32_i24_e32 v79, v29, v135
	v_mul_i32_i24_e32 v80, v34, v141
	s_wait_dscnt 0x0
	v_bfe_i32 v62, v181, 0, 8
	v_bfe_i32 v63, v181, 8, 8
	;; [unrolled: 1-line block ×3, first 2 shown]
	v_ashrrev_i32_e32 v65, 24, v181
	v_mul_i32_i24_e32 v82, v32, v144
	v_mov_b32_e32 v181, v136
	v_bfe_i32 v36, v10, 0, 8
	v_bfe_i32 v37, v10, 8, 8
	v_mul_i32_i24_e32 v85, v35, v147
	v_bfe_i32 v42, v10, 16, 8
	v_mul_i32_i24_e32 v84, v38, v181
	v_ashrrev_i32_e32 v10, 24, v10
	v_mul_i32_i24_e32 v86, v36, v104
	s_clause 0x7
	scratch_load_b32 v45, off, off offset:492 th:TH_LOAD_LU
	scratch_load_b32 v110, off, off offset:496 th:TH_LOAD_LU
	;; [unrolled: 1-line block ×8, first 2 shown]
	v_mul_i32_i24_e32 v91, v40, v150
	v_bfe_i32 v66, v182, 0, 8
	v_bfe_i32 v67, v182, 8, 8
	;; [unrolled: 1-line block ×3, first 2 shown]
	v_ashrrev_i32_e32 v69, 24, v182
	s_clause 0x3
	scratch_load_b32 v136, off, off offset:552 th:TH_LOAD_LU
	scratch_load_b32 v13, off, off offset:480 th:TH_LOAD_LU
	;; [unrolled: 1-line block ×4, first 2 shown]
	v_bfe_i32 v70, v183, 0, 8
	v_bfe_i32 v71, v183, 8, 8
	;; [unrolled: 1-line block ×3, first 2 shown]
	v_ashrrev_i32_e32 v73, 24, v183
	v_bfe_i32 v133, v184, 0, 8
	v_bfe_i32 v127, v184, 8, 8
	v_mov_b32_e32 v183, v99
	v_bfe_i32 v149, v184, 16, 8
	s_wait_loadcnt 0x2d
	v_mul_i32_i24_e32 v0, v146, v54
	s_wait_loadcnt 0x2b
	v_mul_i32_i24_e32 v4, v22, v44
	;; [unrolled: 2-line block ×4, first 2 shown]
	v_mad_i32_i24 v0, v148, v118, v0
	s_wait_loadcnt 0x25
	v_mul_i32_i24_e32 v1, v17, v60
	s_wait_loadcnt 0x24
	v_mul_i32_i24_e32 v2, v12, v61
	;; [unrolled: 2-line block ×6, first 2 shown]
	v_add3_u32 v0, v0, v1, v2
	v_mul_i32_i24_e32 v1, v145, v119
	v_mul_i32_i24_e32 v2, v16, v43
	s_wait_loadcnt 0x1e
	v_mul_i32_i24_e32 v9, v23, v58
	s_wait_loadcnt 0x1d
	;; [unrolled: 2-line block ×3, first 2 shown]
	v_mul_i32_i24_e32 v88, v42, v106
	v_mul_i32_i24_e32 v89, v10, v111
	v_add3_u32 v0, v0, v1, v2
	s_wait_loadcnt 0x1b
	v_mul_i32_i24_e32 v90, v39, v113
	s_wait_loadcnt 0x1a
	v_mul_i32_i24_e32 v2, v138, v52
	;; [unrolled: 2-line block ×4, first 2 shown]
	v_add3_u32 v0, v0, v4, v5
	s_wait_loadcnt 0x13
	v_mul_i32_i24_e32 v1, v139, v3
	v_mul_i32_i24_e32 v5, v128, v108
	v_mul_i32_i24_e32 v96, v96, v41
	v_mul_i32_i24_e32 v152, v41, v114
	v_add3_u32 v0, v0, v6, v7
	v_mul_i32_i24_e32 v6, v125, v177
	s_wait_loadcnt 0x11
	v_mul_i32_i24_e32 v7, v126, v103
	s_wait_loadcnt 0xc
	v_mul_i32_i24_e32 v97, v97, v151
	v_add3_u32 v0, v0, v8, v9
	s_delay_alu instid0(VALU_DEP_1) | instskip(SKIP_3) | instid1(VALU_DEP_1)
	v_add3_u32 v0, v0, v11, v15
	v_mul_i32_i24_e32 v11, v122, v107
	scratch_load_b32 v15, off, off offset:488 th:TH_LOAD_LU ; 4-byte Folded Reload
	v_add3_u32 v0, v0, v76, v77
	v_add3_u32 v0, v0, v78, v79
	v_mul_i32_i24_e32 v79, v120, v143
	s_delay_alu instid0(VALU_DEP_2) | instskip(NEXT) | instid1(VALU_DEP_1)
	v_add3_u32 v0, v0, v80, v81
	v_add3_u32 v0, v0, v82, v83
	v_mul_i32_i24_e32 v83, v64, v176
	s_delay_alu instid0(VALU_DEP_2) | instskip(SKIP_1) | instid1(VALU_DEP_2)
	v_add3_u32 v0, v0, v84, v85
	v_mul_i32_i24_e32 v85, v66, v49
	v_add3_u32 v0, v0, v86, v87
	v_mul_i32_i24_e32 v87, v68, v209
	s_delay_alu instid0(VALU_DEP_2) | instskip(NEXT) | instid1(VALU_DEP_1)
	v_add3_u32 v0, v0, v88, v89
	v_add3_u32 v182, v0, v90, v91
	v_mul_i32_i24_e32 v0, v140, v51
	v_mul_i32_i24_e32 v90, v71, v50
	;; [unrolled: 1-line block ×3, first 2 shown]
	s_delay_alu instid0(VALU_DEP_3) | instskip(NEXT) | instid1(VALU_DEP_1)
	v_mad_i32_i24 v0, v142, v101, v0
	v_add3_u32 v0, v0, v1, v2
	s_clause 0x1
	scratch_load_b32 v1, off, off offset:476 th:TH_LOAD_LU
	scratch_load_b32 v2, off, off offset:936 th:TH_LOAD_LU
	s_wait_loadcnt 0xe
	v_mul_i32_i24_e32 v4, v130, v45
	s_wait_loadcnt 0xd
	v_mul_i32_i24_e32 v8, v123, v110
	s_wait_loadcnt 0xc
	v_mul_i32_i24_e32 v9, v124, v109
	s_wait_loadcnt 0xb
	v_mul_i32_i24_e32 v77, v116, v46
	s_wait_loadcnt 0xa
	v_mul_i32_i24_e32 v78, v117, v47
	v_add3_u32 v0, v0, v4, v5
	s_wait_loadcnt 0x9
	v_mul_i32_i24_e32 v81, v62, v48
	s_wait_loadcnt 0x7
	v_mul_i32_i24_e32 v76, v121, v102
	v_mul_i32_i24_e32 v82, v63, v112
	scratch_load_b32 v5, off, off offset:272 th:TH_LOAD_LU ; 4-byte Folded Reload
	v_add3_u32 v0, v0, v6, v7
	s_clause 0x1
	scratch_load_b32 v6, off, off offset:268 th:TH_LOAD_LU
	scratch_load_b32 v7, off, off offset:732 th:TH_LOAD_LU
	s_wait_loadcnt 0x9
	v_mul_i32_i24_e32 v86, v67, v136
	s_wait_loadcnt 0x8
	v_mul_i32_i24_e32 v88, v69, v13
	v_add3_u32 v0, v0, v8, v9
	s_wait_loadcnt 0x7
	v_mul_i32_i24_e32 v89, v70, v137
	s_wait_loadcnt 0x6
	v_mul_i32_i24_e32 v92, v73, v14
	s_clause 0x1
	scratch_load_b32 v8, off, off offset:280 th:TH_LOAD_LU
	scratch_load_b32 v9, off, off offset:296 th:TH_LOAD_LU
	v_add3_u32 v0, v0, v11, v76
	s_clause 0x1
	scratch_load_b32 v11, off, off offset:292 th:TH_LOAD_LU
	scratch_load_b32 v76, off, off offset:288 th:TH_LOAD_LU
	v_add3_u32 v0, v0, v77, v78
	s_clause 0x1
	scratch_load_b32 v77, off, off offset:876 th:TH_LOAD_LU
	scratch_load_b32 v78, off, off offset:1196 th:TH_LOAD_LU
	s_wait_loadcnt 0xb
	v_mul_i32_i24_e32 v18, v133, v15
	scratch_store_b32 off, v18, off offset:1016 ; 4-byte Folded Spill
	scratch_load_b32 v18, off, off offset:260 th:TH_LOAD_LU ; 4-byte Folded Reload
	s_wait_loadcnt 0xb
	v_mul_i32_i24_e32 v80, v115, v1
	s_wait_loadcnt 0xa
	v_mul_i32_i24_e32 v84, v65, v2
	s_delay_alu instid0(VALU_DEP_2)
	v_add3_u32 v0, v0, v79, v80
	s_clause 0x1
	scratch_load_b32 v79, off, off offset:264 th:TH_LOAD_LU
	scratch_load_b32 v80, off, off offset:880 th:TH_LOAD_LU
	v_add3_u32 v0, v0, v81, v82
	s_clause 0x1
	scratch_load_b32 v81, off, off offset:884 th:TH_LOAD_LU
	scratch_load_b32 v82, off, off offset:332 th:TH_LOAD_LU
	s_wait_loadcnt 0xd
	v_mul_i32_i24_e32 v5, v5, v17
	v_add3_u32 v0, v0, v83, v84
	s_wait_loadcnt 0xc
	v_mul_i32_i24_e32 v6, v6, v12
	s_clause 0x1
	scratch_load_b32 v83, off, off offset:128 th:TH_LOAD_LU
	scratch_load_b32 v84, off, off offset:340 th:TH_LOAD_LU
	v_add3_u32 v0, v0, v85, v86
	s_clause 0x1
	scratch_load_b32 v85, off, off offset:336 th:TH_LOAD_LU
	scratch_load_b32 v86, off, off offset:312 th:TH_LOAD_LU
	s_wait_loadcnt 0xe
	v_mul_i32_i24_e32 v8, v8, v19
	s_wait_loadcnt 0xd
	v_mul_i32_i24_e32 v9, v9, v20
	v_add3_u32 v0, v0, v87, v88
	s_clause 0x1
	scratch_load_b32 v87, off, off offset:308 th:TH_LOAD_LU
	scratch_load_b32 v88, off, off offset:304 th:TH_LOAD_LU
	s_wait_loadcnt 0xe
	v_mul_i32_i24_e32 v11, v11, v21
	s_wait_loadcnt 0xd
	v_mul_i32_i24_e32 v76, v76, v26
	;; [unrolled: 8-line block ×3, first 2 shown]
	v_add3_u32 v4, v0, v91, v92
	s_clause 0x2
	scratch_load_b32 v0, off, off offset:1200 th:TH_LOAD_LU
	scratch_load_b32 v91, off, off offset:324 th:TH_LOAD_LU
	;; [unrolled: 1-line block ×3, first 2 shown]
	s_wait_loadcnt 0xf
	v_mul_i32_i24_e32 v93, v127, v18
	scratch_store_b32 off, v93, off offset:1376 ; 4-byte Folded Spill
	scratch_load_b32 v93, off, off offset:316 th:TH_LOAD_LU ; 4-byte Folded Reload
	s_wait_loadcnt 0xf
	v_mul_i32_i24_e32 v79, v79, v25
	s_wait_loadcnt 0xe
	v_mul_i32_i24_e32 v80, v80, v30
	;; [unrolled: 2-line block ×15, first 2 shown]
	v_mad_i32_i24 v0, v7, v148, v0
	scratch_load_b32 v7, off, off offset:284 th:TH_LOAD_LU ; 4-byte Folded Reload
	v_add3_u32 v0, v0, v5, v6
	s_clause 0x1
	scratch_load_b32 v5, off, off offset:736 th:TH_LOAD_LU
	scratch_load_b32 v6, off, off offset:276 th:TH_LOAD_LU
	s_wait_loadcnt 0x3
	v_mul_i32_i24_e32 v93, v93, v10
	s_wait_loadcnt 0x2
	v_mul_i32_i24_e32 v7, v7, v22
	;; [unrolled: 2-line block ×4, first 2 shown]
	s_delay_alu instid0(VALU_DEP_1)
	v_add3_u32 v0, v0, v5, v6
	s_clause 0x1
	scratch_load_b32 v5, off, off offset:408 th:TH_LOAD_LU
	scratch_load_b32 v6, off, off offset:140 th:TH_LOAD_LU
	v_add3_u32 v0, v0, v7, v8
	s_clause 0x1
	scratch_load_b32 v7, off, off offset:136 th:TH_LOAD_LU
	scratch_load_b32 v8, off, off offset:144 th:TH_LOAD_LU
	v_add3_u32 v0, v0, v9, v11
	s_delay_alu instid0(VALU_DEP_1) | instskip(NEXT) | instid1(VALU_DEP_1)
	v_add3_u32 v0, v0, v76, v77
	v_add3_u32 v0, v0, v78, v79
	s_delay_alu instid0(VALU_DEP_1) | instskip(NEXT) | instid1(VALU_DEP_1)
	v_add3_u32 v0, v0, v80, v81
	;; [unrolled: 3-line block ×5, first 2 shown]
	v_add3_u32 v0, v0, v94, v95
	s_delay_alu instid0(VALU_DEP_1) | instskip(SKIP_1) | instid1(VALU_DEP_1)
	v_add3_u32 v0, v0, v96, v97
	s_wait_loadcnt 0x3
	v_mul_lo_u32 v0, v0, v5
	scratch_load_b32 v5, off, off offset:148 th:TH_LOAD_LU ; 4-byte Folded Reload
	s_wait_loadcnt 0x3
	v_mul_i32_i24_e32 v6, v6, v139
	s_wait_loadcnt 0x2
	v_mul_i32_i24_e32 v7, v7, v138
	v_cvt_f32_i32_e32 v0, v0
	s_wait_loadcnt 0x0
	v_mul_i32_i24_e32 v5, v5, v140
	s_delay_alu instid0(VALU_DEP_1) | instskip(NEXT) | instid1(VALU_DEP_1)
	v_mad_i32_i24 v5, v8, v142, v5
	v_add3_u32 v6, v5, v6, v7
	scratch_load_b32 v5, off, off offset:164 th:TH_LOAD_LU ; 4-byte Folded Reload
	s_wait_loadcnt 0x0
	v_mul_i32_i24_e32 v7, v5, v130
	scratch_load_b32 v5, off, off offset:160 th:TH_LOAD_LU ; 4-byte Folded Reload
	s_wait_loadcnt 0x0
	v_mul_i32_i24_e32 v8, v5, v128
	scratch_load_b32 v5, off, off offset:156 th:TH_LOAD_LU ; 4-byte Folded Reload
	v_add3_u32 v6, v6, v7, v8
	scratch_load_b32 v8, off, off offset:20 ; 4-byte Folded Reload
	s_wait_loadcnt 0x1
	v_mul_i32_i24_e32 v9, v5, v125
	scratch_load_b32 v5, off, off offset:152 th:TH_LOAD_LU ; 4-byte Folded Reload
	s_wait_loadcnt 0x1
	v_mul_i32_i24_e32 v8, v17, v8
	s_wait_loadcnt 0x0
	v_mul_i32_i24_e32 v11, v5, v126
	scratch_load_b32 v5, off, off offset:180 th:TH_LOAD_LU ; 4-byte Folded Reload
	v_add3_u32 v6, v6, v9, v11
	s_clause 0x1
	scratch_load_b32 v9, off, off offset:28
	scratch_load_b32 v11, off, off offset:24
	s_wait_loadcnt 0x2
	v_mul_i32_i24_e32 v76, v5, v123
	scratch_load_b32 v5, off, off offset:176 th:TH_LOAD_LU ; 4-byte Folded Reload
	s_wait_loadcnt 0x2
	v_mul_i32_i24_e32 v9, v12, v9
	v_mul_i32_i24_e32 v12, v12, v218
	s_wait_loadcnt 0x0
	v_mul_i32_i24_e32 v77, v5, v124
	scratch_load_b32 v5, off, off offset:172 th:TH_LOAD_LU ; 4-byte Folded Reload
	v_add3_u32 v6, v6, v76, v77
	s_clause 0x1
	scratch_load_b32 v76, off, off offset:44
	scratch_load_b32 v77, off, off offset:48
	s_wait_loadcnt 0x2
	v_mul_i32_i24_e32 v78, v5, v122
	scratch_load_b32 v5, off, off offset:168 th:TH_LOAD_LU ; 4-byte Folded Reload
	s_wait_loadcnt 0x2
	v_mul_i32_i24_e32 v76, v19, v76
	s_wait_loadcnt 0x1
	v_mul_i32_i24_e32 v77, v20, v77
	v_mul_i32_i24_e32 v19, v19, v204
	;; [unrolled: 1-line block ×3, first 2 shown]
	s_wait_loadcnt 0x0
	v_mul_i32_i24_e32 v79, v5, v121
	scratch_load_b32 v5, off, off offset:196 th:TH_LOAD_LU ; 4-byte Folded Reload
	v_add3_u32 v6, v6, v78, v79
	s_clause 0x1
	scratch_load_b32 v78, off, off offset:52
	scratch_load_b32 v79, off, off offset:56
	s_wait_loadcnt 0x2
	v_mul_i32_i24_e32 v80, v5, v116
	scratch_load_b32 v5, off, off offset:192 th:TH_LOAD_LU ; 4-byte Folded Reload
	s_wait_loadcnt 0x2
	v_mul_i32_i24_e32 v78, v21, v78
	s_wait_loadcnt 0x1
	v_mul_i32_i24_e32 v79, v26, v79
	v_mul_i32_i24_e32 v21, v21, v169
	s_wait_loadcnt 0x0
	v_mul_i32_i24_e32 v81, v5, v117
	scratch_load_b32 v5, off, off offset:188 th:TH_LOAD_LU ; 4-byte Folded Reload
	v_add3_u32 v6, v6, v80, v81
	v_mul_i32_i24_e32 v80, v23, v99
	v_mul_i32_i24_e32 v81, v24, v100
	s_clause 0x1
	scratch_load_b32 v99, off, off offset:120
	scratch_load_b32 v100, off, off offset:60
	v_mul_i32_i24_e32 v23, v23, v186
	v_mul_i32_i24_e32 v24, v24, v187
	s_wait_loadcnt 0x2
	v_mul_i32_i24_e32 v82, v5, v120
	scratch_load_b32 v5, off, off offset:184 th:TH_LOAD_LU ; 4-byte Folded Reload
	s_wait_loadcnt 0x2
	v_mul_i32_i24_e32 v99, v41, v99
	s_wait_loadcnt 0x1
	v_mul_i32_i24_e32 v100, v151, v100
	v_mul_i32_i24_e32 v41, v41, v207
	s_wait_loadcnt 0x0
	v_mul_i32_i24_e32 v83, v5, v115
	scratch_load_b32 v5, off, off offset:204 th:TH_LOAD_LU ; 4-byte Folded Reload
	v_add3_u32 v6, v6, v82, v83
	s_clause 0x1
	scratch_load_b32 v82, off, off
	scratch_load_b32 v83, off, off offset:4
	s_wait_loadcnt 0x2
	v_mul_i32_i24_e32 v84, v5, v62
	scratch_load_b32 v5, off, off offset:200 th:TH_LOAD_LU ; 4-byte Folded Reload
	s_wait_loadcnt 0x2
	v_mul_i32_i24_e32 v82, v25, v82
	s_wait_loadcnt 0x1
	v_mul_i32_i24_e32 v83, v30, v83
	v_mul_i32_i24_e32 v25, v25, v188
	s_wait_loadcnt 0x0
	v_mul_i32_i24_e32 v85, v5, v63
	scratch_load_b32 v5, off, off offset:244 th:TH_LOAD_LU ; 4-byte Folded Reload
	v_add3_u32 v6, v6, v84, v85
	s_clause 0x1
	scratch_load_b32 v84, off, off offset:8
	scratch_load_b32 v85, off, off offset:12
	s_wait_loadcnt 0x2
	v_mul_i32_i24_e32 v86, v5, v64
	scratch_load_b32 v5, off, off offset:208 th:TH_LOAD_LU ; 4-byte Folded Reload
	s_wait_loadcnt 0x2
	v_mul_i32_i24_e32 v84, v27, v84
	s_wait_loadcnt 0x1
	v_mul_i32_i24_e32 v85, v28, v85
	v_mul_i32_i24_e32 v27, v27, v226
	;; [unrolled: 1-line block ×3, first 2 shown]
	s_wait_loadcnt 0x0
	v_mul_i32_i24_e32 v87, v5, v65
	scratch_load_b32 v5, off, off offset:224 th:TH_LOAD_LU ; 4-byte Folded Reload
	v_add3_u32 v6, v6, v86, v87
	s_clause 0x1
	scratch_load_b32 v86, off, off offset:16
	scratch_load_b32 v87, off, off offset:76
	s_wait_loadcnt 0x2
	v_mul_i32_i24_e32 v88, v5, v66
	scratch_load_b32 v5, off, off offset:220 th:TH_LOAD_LU ; 4-byte Folded Reload
	s_wait_loadcnt 0x2
	v_mul_i32_i24_e32 v86, v29, v86
	s_wait_loadcnt 0x1
	v_mul_i32_i24_e32 v87, v34, v87
	v_mul_i32_i24_e32 v29, v29, v192
	s_wait_loadcnt 0x0
	v_mul_i32_i24_e32 v89, v5, v67
	scratch_load_b32 v5, off, off offset:216 th:TH_LOAD_LU ; 4-byte Folded Reload
	v_add3_u32 v6, v6, v88, v89
	s_clause 0x1
	scratch_load_b32 v88, off, off offset:80
	scratch_load_b32 v89, off, off offset:84
	s_wait_loadcnt 0x2
	v_mul_i32_i24_e32 v90, v5, v68
	scratch_load_b32 v5, off, off offset:212 th:TH_LOAD_LU ; 4-byte Folded Reload
	s_wait_loadcnt 0x2
	v_mul_i32_i24_e32 v88, v31, v88
	s_wait_loadcnt 0x1
	v_mul_i32_i24_e32 v89, v32, v89
	v_mul_i32_i24_e32 v31, v31, v194
	;; [unrolled: 1-line block ×3, first 2 shown]
	s_wait_loadcnt 0x0
	v_mul_i32_i24_e32 v91, v5, v69
	scratch_load_b32 v5, off, off offset:240 th:TH_LOAD_LU ; 4-byte Folded Reload
	v_add3_u32 v6, v6, v90, v91
	s_clause 0x1
	scratch_load_b32 v90, off, off offset:88
	scratch_load_b32 v91, off, off offset:92
	s_wait_loadcnt 0x2
	v_mul_i32_i24_e32 v92, v5, v70
	scratch_load_b32 v5, off, off offset:236 th:TH_LOAD_LU ; 4-byte Folded Reload
	s_wait_loadcnt 0x2
	v_mul_i32_i24_e32 v90, v33, v90
	s_wait_loadcnt 0x1
	v_mul_i32_i24_e32 v91, v38, v91
	;; [unrolled: 2-line block ×3, first 2 shown]
	scratch_load_b32 v5, off, off offset:232 th:TH_LOAD_LU ; 4-byte Folded Reload
	v_add3_u32 v6, v6, v92, v93
	s_clause 0x1
	scratch_load_b32 v92, off, off offset:96
	scratch_load_b32 v93, off, off offset:368
	s_wait_loadcnt 0x2
	v_mul_i32_i24_e32 v94, v5, v72
	scratch_load_b32 v5, off, off offset:228 th:TH_LOAD_LU ; 4-byte Folded Reload
	s_wait_loadcnt 0x2
	v_mul_i32_i24_e32 v92, v35, v92
	s_wait_loadcnt 0x1
	v_mul_i32_i24_e32 v93, v36, v93
	v_mul_i32_i24_e32 v35, v35, v200
	;; [unrolled: 1-line block ×3, first 2 shown]
	s_wait_loadcnt 0x0
	v_mul_i32_i24_e32 v95, v5, v73
	scratch_load_b32 v5, off, off offset:416 th:TH_LOAD_LU ; 4-byte Folded Reload
	v_add3_u32 v6, v6, v94, v95
	s_clause 0x1
	scratch_load_b32 v94, off, off offset:100
	scratch_load_b32 v95, off, off offset:104
	s_wait_loadcnt 0x2
	v_mul_i32_i24_e32 v96, v133, v5
	scratch_load_b32 v5, off, off offset:420 th:TH_LOAD_LU ; 4-byte Folded Reload
	s_wait_loadcnt 0x2
	v_mul_i32_i24_e32 v94, v37, v94
	s_wait_loadcnt 0x1
	v_mul_i32_i24_e32 v95, v42, v95
	v_mul_i32_i24_e32 v37, v37, v198
	s_wait_loadcnt 0x0
	v_mul_i32_i24_e32 v97, v127, v5
	scratch_load_b32 v5, off, off offset:412 th:TH_LOAD_LU ; 4-byte Folded Reload
	v_add3_u32 v7, v6, v96, v97
	v_mul_i32_i24_e32 v6, v146, v98
	s_clause 0x2
	scratch_load_b32 v96, off, off offset:108
	scratch_load_b32 v97, off, off offset:112
	;; [unrolled: 1-line block ×3, first 2 shown]
	v_mad_i32_i24 v6, v148, v11, v6
	scratch_load_b32 v11, off, off offset:40 ; 4-byte Folded Reload
	v_add3_u32 v6, v6, v8, v9
	s_clause 0x1
	scratch_load_b32 v8, off, off offset:32
	scratch_load_b32 v9, off, off offset:36
	s_wait_loadcnt 0x6
	v_mul_i32_i24_e32 v5, v149, v5
	s_wait_loadcnt 0x5
	v_mul_i32_i24_e32 v96, v10, v96
	;; [unrolled: 2-line block ×4, first 2 shown]
	v_mul_i32_i24_e32 v10, v10, v203
	v_mul_i32_i24_e32 v39, v39, v205
	s_wait_loadcnt 0x2
	v_mul_i32_i24_e32 v11, v22, v11
	v_mul_i32_i24_e32 v40, v40, v206
	s_wait_loadcnt 0x1
	v_mul_i32_i24_e32 v8, v145, v8
	s_wait_loadcnt 0x0
	v_mul_i32_i24_e32 v9, v16, v9
	v_mul_i32_i24_e32 v16, v16, v243
	s_delay_alu instid0(VALU_DEP_2) | instskip(SKIP_4) | instid1(VALU_DEP_3)
	v_add3_u32 v6, v6, v8, v9
	scratch_load_b32 v8, off, off offset:356 ; 4-byte Folded Reload
	v_add3_u32 v6, v6, v11, v76
	v_mul_i32_i24_e32 v11, v138, v217
	v_mul_i32_i24_e32 v76, v128, v202
	v_add3_u32 v6, v6, v77, v78
	v_mul_i32_i24_e32 v77, v125, v255
	v_mul_i32_i24_e32 v78, v126, v173
	s_delay_alu instid0(VALU_DEP_3) | instskip(SKIP_2) | instid1(VALU_DEP_3)
	v_add3_u32 v6, v6, v79, v80
	v_mul_i32_i24_e32 v79, v123, v171
	v_mul_i32_i24_e32 v80, v124, v172
	v_add3_u32 v6, v6, v81, v82
	v_mul_i32_i24_e32 v81, v122, v251
	v_mul_i32_i24_e32 v82, v121, v174
	s_delay_alu instid0(VALU_DEP_3) | instskip(SKIP_2) | instid1(VALU_DEP_3)
	v_add3_u32 v6, v6, v83, v84
	v_mul_i32_i24_e32 v83, v116, v250
	v_mul_i32_i24_e32 v84, v117, v213
	v_add3_u32 v6, v6, v85, v86
	v_mul_i32_i24_e32 v85, v120, v210
	v_mul_i32_i24_e32 v86, v115, v224
	v_mov_b32_e32 v210, v224
	v_mov_b32_e32 v224, v228
	v_add3_u32 v6, v6, v87, v88
	v_mul_i32_i24_e32 v87, v62, v228
	v_mul_i32_i24_e32 v88, v63, v252
	v_mov_b32_e32 v228, v252
	v_mov_b32_e32 v252, v248
	v_add3_u32 v6, v6, v89, v90
	v_mul_i32_i24_e32 v89, v64, v214
	v_mul_i32_i24_e32 v90, v65, v215
	s_delay_alu instid0(VALU_DEP_3) | instskip(SKIP_2) | instid1(VALU_DEP_3)
	v_add3_u32 v6, v6, v91, v92
	v_mul_i32_i24_e32 v91, v66, v222
	v_mul_i32_i24_e32 v92, v67, v237
	v_add3_u32 v6, v6, v93, v94
	v_mul_i32_i24_e32 v93, v68, v223
	v_mul_i32_i24_e32 v94, v69, v233
	s_delay_alu instid0(VALU_DEP_3) | instskip(SKIP_3) | instid1(VALU_DEP_4)
	v_add3_u32 v6, v6, v95, v96
	v_mul_i32_i24_e32 v96, v71, v248
	v_mov_b32_e32 v248, v189
	v_mul_i32_i24_e32 v95, v70, v253
	v_add3_u32 v6, v6, v97, v98
	v_mul_i32_i24_e32 v97, v72, v242
	v_mul_i32_i24_e32 v98, v73, v199
	s_delay_alu instid0(VALU_DEP_3) | instskip(SKIP_2) | instid1(VALU_DEP_2)
	v_add3_u32 v6, v6, v99, v100
	v_mul_i32_i24_e32 v99, v133, v254
	s_wait_loadcnt 0x0
	v_mul_lo_u32 v6, v6, v8
	v_mul_i32_i24_e32 v8, v139, v216
	scratch_load_b64 v[216:217], off, off offset:660 th:TH_LOAD_LU ; 8-byte Folded Reload
	v_cvt_f32_i32_e32 v9, v6
	v_mul_i32_i24_e32 v6, v140, v190
	s_delay_alu instid0(VALU_DEP_1) | instskip(NEXT) | instid1(VALU_DEP_1)
	v_mad_i32_i24 v6, v142, v227, v6
	v_add3_u32 v8, v6, v8, v11
	v_mul_i32_i24_e32 v11, v130, v211
	s_delay_alu instid0(VALU_DEP_1)
	v_add3_u32 v8, v8, v11, v76
	v_mul_i32_i24_e32 v11, v146, v170
	scratch_load_b32 v76, off, off offset:1532 th:TH_LOAD_LU ; 4-byte Folded Reload
	v_add3_u32 v8, v8, v77, v78
	v_mad_i32_i24 v11, v148, v219, v11
	v_mov_b32_e32 v148, v204
	v_mov_b32_e32 v204, v169
	v_mul_i32_i24_e32 v17, v17, v201
	v_add3_u32 v8, v8, v79, v80
	s_clause 0x3
	scratch_load_b32 v78, off, off offset:1612 th:TH_LOAD_LU
	scratch_load_b32 v77, off, off offset:1608 th:TH_LOAD_LU
	;; [unrolled: 1-line block ×4, first 2 shown]
	v_add3_u32 v11, v11, v17, v12
	v_mul_i32_i24_e32 v12, v145, v231
	v_mul_i32_i24_e32 v17, v22, v245
	;; [unrolled: 1-line block ×4, first 2 shown]
	v_add3_u32 v8, v8, v81, v82
	v_add3_u32 v11, v11, v12, v16
	v_mul_i32_i24_e32 v30, v34, v193
	v_mul_i32_i24_e32 v34, v38, v197
	s_clause 0x1
	scratch_load_b32 v81, off, off offset:1380 th:TH_LOAD_LU
	scratch_load_b32 v82, off, off offset:1384 th:TH_LOAD_LU
	v_add3_u32 v11, v11, v17, v19
	v_add3_u32 v8, v8, v83, v84
	s_clause 0x1
	scratch_load_b32 v83, off, off offset:1388 th:TH_LOAD_LU
	scratch_load_b32 v84, off, off offset:1392 th:TH_LOAD_LU
	v_mul_i32_i24_e32 v38, v42, v166
	v_add3_u32 v11, v11, v20, v21
	v_add3_u32 v8, v8, v85, v86
	s_clause 0x1
	scratch_load_b32 v85, off, off offset:1396 th:TH_LOAD_LU
	scratch_load_b32 v86, off, off offset:1400 th:TH_LOAD_LU
	v_mul_i32_i24_e32 v42, v151, v212
	v_add3_u32 v11, v11, v22, v23
	v_add3_u32 v8, v8, v87, v88
	v_mul_i32_i24_e32 v22, v124, v220
	v_mov_b32_e32 v124, v159
	v_mul_i32_i24_e32 v12, v139, v164
	v_add3_u32 v11, v11, v24, v25
	v_add3_u32 v8, v8, v89, v90
	s_clause 0x1
	scratch_load_b32 v90, off, off offset:1416 th:TH_LOAD_LU
	scratch_load_b32 v89, off, off offset:1412 th:TH_LOAD_LU
	v_mul_i32_i24_e32 v16, v138, v241
	v_add3_u32 v11, v11, v26, v27
	v_mul_i32_i24_e32 v27, v120, v168
	v_mov_b32_e32 v120, v161
	v_mul_i32_i24_e32 v33, v33, v163
	v_add3_u32 v8, v8, v91, v92
	v_add3_u32 v11, v11, v28, v29
	s_clause 0x1
	scratch_load_b32 v91, off, off offset:1420 th:TH_LOAD_LU
	scratch_load_b32 v92, off, off offset:1424 th:TH_LOAD_LU
	v_mul_i32_i24_e32 v29, v62, v229
	v_add3_u32 v8, v8, v93, v94
	v_add3_u32 v11, v11, v30, v31
	v_mul_i32_i24_e32 v31, v64, v230
	s_clause 0x2
	scratch_load_b32 v64, off, off offset:1492 th:TH_LOAD_LU
	scratch_load_b32 v93, off, off offset:1428 th:TH_LOAD_LU
	;; [unrolled: 1-line block ×3, first 2 shown]
	v_add3_u32 v11, v11, v32, v33
	v_mul_i32_i24_e32 v33, v66, v159
	scratch_load_b32 v66, off, off offset:1496 th:TH_LOAD_LU ; 4-byte Folded Reload
	v_add3_u32 v8, v8, v95, v96
	s_clause 0x1
	scratch_load_b32 v95, off, off offset:1436 th:TH_LOAD_LU
	scratch_load_b32 v96, off, off offset:1440 th:TH_LOAD_LU
	v_add3_u32 v11, v11, v34, v35
	v_mul_i32_i24_e32 v35, v68, v162
	scratch_load_b32 v68, off, off offset:1500 th:TH_LOAD_LU ; 4-byte Folded Reload
	v_add3_u32 v8, v8, v97, v98
	s_clause 0x2
	scratch_load_b32 v97, off, off offset:1444 th:TH_LOAD_LU
	scratch_load_b32 v98, off, off offset:1448 th:TH_LOAD_LU
	;; [unrolled: 1-line block ×3, first 2 shown]
	v_mov_b32_e32 v173, v171
	scratch_load_b32 v159, off, off offset:1484 th:TH_LOAD_LU ; 4-byte Folded Reload
	v_mov_b32_e32 v171, v251
	v_dual_mov_b32 v251, v242 :: v_dual_mov_b32 v242, v201
	v_mul_i32_i24_e32 v100, v127, v239
	v_add3_u32 v11, v11, v36, v37
	v_mul_i32_i24_e32 v17, v128, v160
	v_mul_i32_i24_e32 v19, v125, v154
	;; [unrolled: 1-line block ×3, first 2 shown]
	v_add3_u32 v8, v8, v99, v100
	s_clause 0x1
	scratch_load_b32 v99, off, off offset:1452 th:TH_LOAD_LU
	scratch_load_b32 v100, off, off offset:1456 th:TH_LOAD_LU
	v_add3_u32 v10, v11, v38, v10
	v_mul_i32_i24_e32 v21, v123, v244
	v_mul_i32_i24_e32 v23, v122, v165
	;; [unrolled: 1-line block ×4, first 2 shown]
	v_add3_u32 v10, v10, v39, v40
	v_mul_i32_i24_e32 v26, v117, v247
	v_mul_i32_i24_e32 v28, v115, v158
	;; [unrolled: 1-line block ×4, first 2 shown]
	v_add3_u32 v10, v10, v41, v42
	v_mul_i32_i24_e32 v34, v67, v235
	v_mul_i32_i24_e32 v36, v69, v236
	s_clause 0x1
	scratch_load_b32 v87, off, off offset:1404 th:TH_LOAD_LU
	scratch_load_b32 v88, off, off offset:1408 th:TH_LOAD_LU
	v_mul_lo_u32 v10, v10, v225
	v_mul_i32_i24_e32 v37, v70, v175
	s_clause 0x1
	scratch_load_b32 v69, off, off offset:1504 th:TH_LOAD_LU
	scratch_load_b32 v70, off, off offset:1508 th:TH_LOAD_LU
	v_mul_i32_i24_e32 v38, v71, v157
	v_mul_i32_i24_e32 v39, v72, v238
	;; [unrolled: 1-line block ×3, first 2 shown]
	scratch_load_b32 v121, off, off offset:1460 th:TH_LOAD_LU ; 4-byte Folded Reload
	v_cvt_f32_i32_e32 v11, v10
	v_mul_i32_i24_e32 v10, v140, v179
	s_clause 0x3
	scratch_load_b32 v122, off, off offset:1464 th:TH_LOAD_LU
	scratch_load_b32 v71, off, off offset:1512 th:TH_LOAD_LU
	;; [unrolled: 1-line block ×4, first 2 shown]
	v_mad_i32_i24 v10, v142, v208, v10
	v_mul_i32_i24_e32 v41, v133, v155
	v_mul_i32_i24_e32 v42, v127, v161
	scratch_load_b32 v161, off, off offset:1488 th:TH_LOAD_LU ; 4-byte Folded Reload
	v_mul_i32_i24_e32 v6, v149, v249
	v_add3_u32 v12, v10, v12, v16
	v_mul_i32_i24_e32 v16, v130, v153
	v_mov_b32_e32 v199, v249
	v_mov_b32_e32 v201, v218
	s_clause 0x1
	scratch_load_b32 v145, off, off offset:640 th:TH_LOAD_LU
	scratch_load_b32 v138, off, off offset:648 th:TH_LOAD_LU
	v_add3_u32 v12, v12, v16, v17
	s_clause 0x3
	scratch_load_b32 v128, off, off offset:652 th:TH_LOAD_LU
	scratch_load_b32 v130, off, off offset:656 th:TH_LOAD_LU
	scratch_load_b32 v169, off, off offset:1296
	scratch_load_b32 v218, off, off offset:1300
	v_add3_u32 v12, v12, v19, v20
	scratch_load_b64 v[249:250], off, off offset:668 th:TH_LOAD_LU ; 8-byte Folded Reload
	v_dual_mov_b32 v146, v163 :: v_dual_mov_b32 v163, v225
	v_mov_b32_e32 v140, v153
	v_add3_u32 v12, v12, v21, v22
	v_mul_i32_i24_e32 v10, v149, v167
	s_delay_alu instid0(VALU_DEP_2) | instskip(NEXT) | instid1(VALU_DEP_1)
	v_add3_u32 v12, v12, v23, v24
	v_add3_u32 v12, v12, v25, v26
	s_delay_alu instid0(VALU_DEP_1) | instskip(NEXT) | instid1(VALU_DEP_1)
	v_add3_u32 v12, v12, v27, v28
	v_add3_u32 v12, v12, v29, v30
	s_delay_alu instid0(VALU_DEP_1) | instskip(NEXT) | instid1(VALU_DEP_1)
	;; [unrolled: 3-line block ×4, first 2 shown]
	v_add3_u32 v12, v12, v39, v40
	v_add3_u32 v12, v12, v41, v42
	s_wait_loadcnt 0x27
	v_mul_i32_i24_e32 v26, v81, v58
	s_wait_loadcnt 0x26
	v_mul_i32_i24_e32 v27, v82, v129
	scratch_load_b32 v58, off, off offset:1556 th:TH_LOAD_LU ; 4-byte Folded Reload
	s_wait_loadcnt 0x25
	v_mul_i32_i24_e32 v29, v84, v131
	s_wait_loadcnt 0x24
	v_mul_i32_i24_e32 v30, v85, v132
	;; [unrolled: 2-line block ×4, first 2 shown]
	scratch_load_b32 v74, off, off offset:1524 th:TH_LOAD_LU ; 4-byte Folded Reload
	s_wait_loadcnt 0x20
	v_mul_i32_i24_e32 v20, v92, v43
	s_wait_loadcnt 0x1f
	v_mul_i32_i24_e32 v16, v64, v54
	;; [unrolled: 2-line block ×4, first 2 shown]
	scratch_load_b32 v53, off, off offset:1560 th:TH_LOAD_LU ; 4-byte Folded Reload
	s_wait_loadcnt 0x1d
	v_mul_i32_i24_e32 v17, v66, v60
	v_mad_i32_i24 v16, v90, v118, v16
	s_wait_loadcnt 0x1c
	v_mul_i32_i24_e32 v23, v95, v55
	s_wait_loadcnt 0x1b
	v_mul_i32_i24_e32 v24, v96, v56
	v_mov_b32_e32 v116, v66
	v_mul_i32_i24_e32 v28, v83, v59
	s_wait_loadcnt 0x1a
	v_mul_i32_i24_e32 v19, v68, v61
	scratch_load_b32 v60, off, off offset:1468 th:TH_LOAD_LU ; 4-byte Folded Reload
	s_wait_loadcnt 0x1a
	v_mul_i32_i24_e32 v25, v97, v57
	s_wait_loadcnt 0x19
	v_mul_i32_i24_e32 v35, v98, v144
	scratch_load_b32 v61, off, off offset:1472 th:TH_LOAD_LU ; 4-byte Folded Reload
	v_add3_u32 v17, v16, v17, v19
	v_mul_i32_i24_e32 v19, v91, v119
	s_clause 0x2
	scratch_load_b32 v56, off, off offset:1572 th:TH_LOAD_LU
	scratch_load_b32 v57, off, off offset:1576 th:TH_LOAD_LU
	;; [unrolled: 1-line block ×3, first 2 shown]
	s_wait_loadcnt 0x1c
	v_mul_i32_i24_e32 v42, v62, v111
	v_add3_u32 v17, v17, v19, v20
	v_mul_i32_i24_e32 v19, v78, v51
	v_mul_i32_i24_e32 v20, v79, v3
	scratch_load_b32 v51, off, off offset:1584 th:TH_LOAD_LU ; 4-byte Folded Reload
	s_wait_loadcnt 0x1c
	v_mul_i32_i24_e32 v44, v159, v150
	v_add3_u32 v17, v17, v21, v22
	s_wait_loadcnt 0x1b
	v_mul_i32_i24_e32 v36, v99, v75
	scratch_load_b32 v75, off, off offset:1528 th:TH_LOAD_LU ; 4-byte Folded Reload
	v_mad_i32_i24 v19, v77, v101, v19
	scratch_load_b32 v101, off, off offset:1536 th:TH_LOAD_LU ; 4-byte Folded Reload
	v_add3_u32 v17, v17, v23, v24
	v_mul_i32_i24_e32 v21, v80, v52
	scratch_load_b32 v52, off, off offset:1552 th:TH_LOAD_LU ; 4-byte Folded Reload
	v_mov_b32_e32 v227, v211
	scratch_load_b32 v211, off, off offset:644 th:TH_LOAD_LU ; 4-byte Folded Reload
	v_add3_u32 v17, v17, v25, v26
	v_add3_u32 v19, v19, v20, v21
	v_mov_b32_e32 v139, v160
	scratch_load_b32 v160, off, off offset:1292 ; 4-byte Folded Reload
	v_ashrrev_i32_e32 v3, 24, v184
	v_add3_u32 v17, v17, v27, v28
	s_wait_loadcnt 0x1e
	v_mul_i32_i24_e32 v32, v87, v135
	s_wait_loadcnt 0x1d
	v_mul_i32_i24_e32 v33, v88, v141
	v_mov_b32_e32 v225, v241
	s_wait_loadcnt 0x1c
	v_mul_i32_i24_e32 v20, v69, v45
	v_add3_u32 v17, v17, v29, v30
	v_mul_i32_i24_e32 v29, v76, v102
	scratch_load_b32 v102, off, off offset:1540 th:TH_LOAD_LU ; 4-byte Folded Reload
	s_wait_loadcnt 0x1c
	v_mul_i32_i24_e32 v23, v70, v108
	s_wait_loadcnt 0x1b
	v_mul_i32_i24_e32 v38, v121, v147
	v_add3_u32 v17, v17, v31, v32
	v_mov_b32_e32 v108, v62
	s_wait_loadcnt 0x1a
	v_mul_i32_i24_e32 v39, v122, v104
	s_wait_loadcnt 0x19
	v_mul_i32_i24_e32 v24, v71, v177
	;; [unrolled: 2-line block ×3, first 2 shown]
	v_add3_u32 v17, v17, v33, v34
	s_wait_loadcnt 0x17
	v_mul_i32_i24_e32 v26, v73, v110
	scratch_load_b32 v110, off, off offset:1580 th:TH_LOAD_LU ; 4-byte Folded Reload
	v_add3_u32 v19, v19, v20, v23
	v_mov_b32_e32 v104, v122
	v_mul_i32_i24_e32 v37, v100, v181
	v_add3_u32 v17, v17, v35, v36
	s_wait_loadcnt 0x17
	v_mul_i32_i24_e32 v16, v161, v114
	v_add3_u32 v19, v19, v24, v25
	scratch_load_b64 v[24:25], off, off offset:1348 th:TH_LOAD_LU ; 8-byte Folded Reload
	v_mov_b32_e32 v241, v157
	v_add3_u32 v17, v17, v37, v38
	s_wait_loadcnt 0x10
	v_mul_i32_i24_e32 v35, v58, v112
	v_mov_b32_e32 v112, v159
	s_wait_loadcnt 0xf
	v_mul_i32_i24_e32 v27, v74, v109
	scratch_load_b32 v109, off, off offset:1596 th:TH_LOAD_LU ; 4-byte Folded Reload
	v_add3_u32 v19, v19, v26, v27
	s_wait_loadcnt 0xf
	v_mul_i32_i24_e32 v36, v53, v176
	s_wait_loadcnt 0xe
	v_mul_i32_i24_e32 v40, v60, v105
	v_dual_mov_b32 v105, v60 :: v_dual_mov_b32 v60, v58
	s_wait_loadcnt 0xd
	v_mul_i32_i24_e32 v41, v61, v106
	v_mov_b32_e32 v106, v61
	v_add3_u32 v17, v17, v39, v40
	s_wait_loadcnt 0xc
	v_mul_i32_i24_e32 v39, v56, v136
	s_wait_loadcnt 0xb
	v_mul_i32_i24_e32 v40, v57, v209
	scratch_load_b32 v136, off, off offset:1604 th:TH_LOAD_LU ; 4-byte Folded Reload
	v_mov_b32_e32 v61, v53
	v_add3_u32 v17, v17, v41, v42
	v_mov_b32_e32 v66, v56
	s_wait_loadcnt 0xa
	v_mul_i32_i24_e32 v42, v51, v137
	s_wait_loadcnt 0x9
	v_mul_i32_i24_e32 v28, v75, v107
	scratch_load_b32 v107, off, off offset:1568 th:TH_LOAD_LU ; 4-byte Folded Reload
	s_wait_loadcnt 0x9
	v_mul_i32_i24_e32 v30, v101, v46
	scratch_load_b32 v46, off, off offset:1544 th:TH_LOAD_LU ; 4-byte Folded Reload
	v_mov_b32_e32 v125, v196
	s_wait_loadcnt 0x9
	v_mul_i32_i24_e32 v34, v52, v48
	scratch_load_b32 v48, off, off offset:1564 th:TH_LOAD_LU ; 4-byte Folded Reload
	v_add3_u32 v19, v19, v28, v29
	scratch_load_b32 v28, off, off offset:1356 th:TH_LOAD_LU ; 4-byte Folded Reload
	v_mov_b32_e32 v196, v156
	s_wait_loadcnt 0x8
	v_mul_i32_i24_e32 v31, v102, v47
	scratch_load_b32 v47, off, off offset:1548 th:TH_LOAD_LU ; 4-byte Folded Reload
	v_mov_b32_e32 v67, v162
	scratch_load_b32 v162, off, off offset:1480 th:TH_LOAD_LU ; 4-byte Folded Reload
	v_add3_u32 v19, v19, v30, v31
	s_wait_loadcnt 0x9
	v_mul_i32_i24_e32 v41, v110, v13
	s_wait_loadcnt 0x7
	v_mul_i32_i24_e32 v45, v109, v14
	;; [unrolled: 2-line block ×4, first 2 shown]
	scratch_load_b32 v49, off, off offset:1588 th:TH_LOAD_LU ; 4-byte Folded Reload
	s_wait_loadcnt 0x5
	v_mul_i32_i24_e32 v32, v46, v143
	s_wait_loadcnt 0x4
	v_mul_i32_i24_e32 v37, v48, v2
	v_mov_b32_e32 v62, v48
	s_wait_loadcnt 0x3
	v_mov_b32_e32 v114, v28
	s_wait_loadcnt 0x2
	v_mul_i32_i24_e32 v33, v47, v1
	scratch_load_b32 v1, off, off offset:740 th:TH_LOAD_LU ; 4-byte Folded Reload
	s_wait_loadcnt 0x2
	v_mul_i32_i24_e32 v43, v162, v113
	v_mov_b32_e32 v111, v162
	v_mov_b32_e32 v113, v161
	v_add3_u32 v19, v19, v32, v33
	scratch_load_b64 v[31:32], off, off offset:1368 th:TH_LOAD_LU ; 8-byte Folded Reload
	v_add3_u32 v17, v17, v43, v44
	v_mul_i32_i24_e32 v44, v59, v246
	v_add3_u32 v19, v19, v34, v35
	v_dual_mov_b32 v34, v69 :: v_dual_mov_b32 v35, v70
	v_dual_mov_b32 v69, v110 :: v_dual_mov_b32 v70, v51
	s_delay_alu instid0(VALU_DEP_3) | instskip(SKIP_2) | instid1(VALU_DEP_3)
	v_add3_u32 v19, v19, v36, v37
	v_dual_mov_b32 v36, v71 :: v_dual_mov_b32 v37, v72
	v_mov_b32_e32 v72, v59
	v_add3_u32 v19, v19, v38, v39
	v_dual_mov_b32 v39, v74 :: v_dual_mov_b32 v38, v73
	v_mov_b32_e32 v73, v109
	s_delay_alu instid0(VALU_DEP_3)
	v_add3_u32 v19, v19, v40, v41
	v_dual_mov_b32 v41, v76 :: v_dual_mov_b32 v40, v75
	v_mov_b32_e32 v75, v136
	s_wait_loadcnt 0x2
	v_mul_i32_i24_e32 v43, v49, v50
	scratch_load_b32 v50, off, off offset:1600 th:TH_LOAD_LU ; 4-byte Folded Reload
	v_dual_mov_b32 v115, v64 :: v_dual_mov_b32 v64, v107
	v_mov_b32_e32 v71, v49
	v_add3_u32 v19, v19, v42, v43
	v_dual_mov_b32 v42, v101 :: v_dual_mov_b32 v43, v102
	s_delay_alu instid0(VALU_DEP_2)
	v_add3_u32 v23, v19, v44, v45
	v_mov_b32_e32 v44, v46
	v_dual_mov_b32 v46, v47 :: v_dual_mov_b32 v47, v52
	s_wait_loadcnt 0x2
	v_mul_i32_i24_e32 v13, v151, v1
	v_mul_i32_i24_e32 v19, v28, v1
	scratch_load_b32 v1, off, off offset:744 th:TH_LOAD_LU ; 4-byte Folded Reload
	v_add3_u32 v13, v182, v152, v13
	v_add3_u32 v16, v17, v16, v19
	s_wait_loadcnt 0x1
	v_mul_i32_i24_e32 v21, v50, v15
	v_mov_b32_e32 v74, v50
	s_delay_alu instid0(VALU_DEP_2)
	v_add3_u32 v21, v23, v21, v22
	s_wait_loadcnt 0x0
	v_mul_lo_u32 v13, v13, v1
	v_mul_lo_u32 v14, v16, v1
	scratch_load_b32 v1, off, off offset:348 th:TH_LOAD_LU ; 4-byte Folded Reload
	v_cvt_f32_i32_e32 v13, v13
	v_cvt_f32_i32_e32 v14, v14
	s_delay_alu instid0(VALU_DEP_2) | instskip(NEXT) | instid1(VALU_DEP_2)
	v_fma_mix_f32 v13, v24, v13, 0 op_sel_hi:[1,0,0]
	v_fma_mix_f32 v15, v31, v14, 0 op_sel_hi:[1,0,0]
	s_wait_loadcnt 0x0
	v_fma_mix_f32 v14, v1, v31, 0 op_sel:[0,1,0] op_sel_hi:[0,1,0]
	v_fma_mix_f32 v16, v1, v24, 0 op_sel:[0,1,0] op_sel_hi:[0,1,0]
	s_clause 0x1
	scratch_load_b32 v33, off, off offset:1360 th:TH_LOAD_LU
	scratch_load_b32 v1, off, off offset:344 th:TH_LOAD_LU
	s_wait_loadcnt 0x0
	v_mul_i32_i24_e32 v17, v33, v1
	v_mul_i32_i24_e32 v18, v149, v1
	s_clause 0x1
	scratch_load_b32 v30, off, off offset:1364 th:TH_LOAD_LU
	scratch_load_b32 v1, off, off offset:352 th:TH_LOAD_LU
	v_dual_mov_b32 v117, v68 :: v_dual_mov_b32 v68, v57
	s_wait_loadcnt 0x1
	v_mov_b32_e32 v76, v30
	s_wait_loadcnt 0x0
	v_mul_i32_i24_e32 v19, v1, v30
	v_mul_i32_i24_e32 v20, v1, v3
	s_clause 0x11
	scratch_load_b32 v1, off, off offset:1016 th:TH_LOAD_LU
	scratch_load_b32 v2, off, off offset:1376 th:TH_LOAD_LU
	;; [unrolled: 1-line block ×4, first 2 shown]
	scratch_load_b32 v45, off, off offset:396
	scratch_load_b32 v123, off, off offset:392
	scratch_load_b32 v22, off, off offset:100 th:TH_LOAD_LU
	scratch_load_b32 v23, off, off offset:104 th:TH_LOAD_LU
	;; [unrolled: 1-line block ×7, first 2 shown]
	scratch_load_b32 v156, off, off offset:904
	scratch_load_b32 v63, off, off offset:896
	scratch_load_b32 v55, off, off offset:440 th:TH_LOAD_LU
	scratch_load_b32 v54, off, off offset:444 th:TH_LOAD_LU
	;; [unrolled: 1-line block ×3, first 2 shown]
	v_mov_b32_e32 v103, v121
	scratch_load_b32 v28, off, off offset:60 th:TH_LOAD_LU ; 4-byte Folded Reload
	s_wait_loadcnt 0x11
	v_add3_u32 v1, v4, v1, v2
	scratch_load_b32 v4, off, off offset:252 th:TH_LOAD_LU ; 4-byte Folded Reload
	v_add3_u32 v2, v21, v17, v19
	s_clause 0x1
	scratch_load_b32 v19, off, off offset:92 th:TH_LOAD_LU
	scratch_load_b32 v21, off, off offset:368 th:TH_LOAD_LU
	v_add3_u32 v1, v1, v18, v20
	v_dual_mov_b32 v17, v24 :: v_dual_mov_b32 v18, v25
	s_clause 0x2
	scratch_load_b32 v20, off, off offset:96 th:TH_LOAD_LU
	scratch_load_b32 v24, off, off offset:108 th:TH_LOAD_LU
	;; [unrolled: 1-line block ×3, first 2 shown]
	v_fma_mix_f32 v0, v17, v0, 0 op_sel_hi:[1,0,0]
	s_wait_loadcnt 0x12
	v_mul_i32_i24_e32 v22, v105, v22
	s_wait_loadcnt 0x11
	v_mul_i32_i24_e32 v23, v106, v23
	;; [unrolled: 2-line block ×4, first 2 shown]
	v_mul_i32_i24_e32 v30, v157, v76
	s_wait_loadcnt 0x6
	v_mul_i32_i24_e32 v28, v114, v28
	s_wait_loadcnt 0x5
	v_mul_lo_u32 v1, v1, v4
	v_mul_lo_u32 v2, v2, v4
	s_wait_loadcnt 0x4
	v_mul_i32_i24_e32 v19, v100, v19
	s_wait_loadcnt 0x3
	v_mul_i32_i24_e32 v21, v104, v21
	;; [unrolled: 2-line block ×3, first 2 shown]
	v_cvt_f32_i32_e32 v1, v1
	v_cvt_f32_i32_e32 v2, v2
	s_wait_loadcnt 0x1
	v_mul_i32_i24_e32 v24, v108, v24
	s_wait_loadcnt 0x0
	v_mul_i32_i24_e32 v25, v111, v25
	v_fma_mix_f32 v1, v18, v1, v13 op_sel_hi:[1,0,0]
	scratch_load_b32 v13, off, off offset:248 th:TH_LOAD_LU ; 4-byte Folded Reload
	v_fma_mix_f32 v2, v32, v2, v15 op_sel_hi:[1,0,0]
	scratch_load_b32 v15, off, off offset:76 th:TH_LOAD_LU ; 4-byte Folded Reload
	s_wait_loadcnt 0x1
	v_fma_mix_f32 v4, v13, v18, v16 op_sel:[0,1,0] op_sel_hi:[0,1,0]
	v_fma_mix_f32 v13, v13, v32, v14 op_sel:[0,1,0] op_sel_hi:[0,1,0]
	s_clause 0x1
	scratch_load_b32 v14, off, off offset:404
	scratch_load_b32 v16, off, off offset:80 th:TH_LOAD_LU
	s_wait_loadcnt 0x2
	v_mul_i32_i24_e32 v15, v88, v15
	s_wait_loadcnt 0x1
	v_mul_f32_e32 v13, v13, v14
	scratch_load_b32 v14, off, off offset:388 ; 4-byte Folded Reload
	s_wait_loadcnt 0x1
	v_mul_i32_i24_e32 v16, v89, v16
	s_wait_loadcnt 0x0
	v_mul_f32_e32 v4, v4, v14
	scratch_load_b32 v14, off, off offset:384 ; 4-byte Folded Reload
	s_wait_loadcnt 0x0
	v_fma_f32 v1, v1, v14, -v4
	s_clause 0x1
	scratch_load_b32 v4, off, off offset:400
	scratch_load_b32 v14, off, off offset:16 th:TH_LOAD_LU
	v_add_f32_e32 v249, v249, v1
	scratch_load_b32 v1, off, off offset:20 th:TH_LOAD_LU ; 4-byte Folded Reload
	s_wait_loadcnt 0x2
	v_fma_f32 v2, v2, v4, -v13
	s_clause 0x1
	scratch_load_b32 v4, off, off offset:908 th:TH_LOAD_LU
	scratch_load_b32 v13, off, off offset:428 th:TH_LOAD_LU
	s_wait_loadcnt 0x3
	v_mul_i32_i24_e32 v14, v87, v14
	v_add_f32_e32 v250, v250, v2
	scratch_load_b32 v2, off, off offset:28 th:TH_LOAD_LU ; 4-byte Folded Reload
	s_wait_loadcnt 0x3
	v_mul_i32_i24_e32 v1, v116, v1
	s_wait_loadcnt 0x2
	v_fma_mix_f32 v4, v4, v17, 0 op_sel:[0,1,0] op_sel_hi:[0,1,0]
	s_wait_loadcnt 0x1
	v_mul_i32_i24_e32 v13, v13, v3
	s_wait_loadcnt 0x0
	v_mul_i32_i24_e32 v2, v117, v2
	s_delay_alu instid0(VALU_DEP_2)
	v_add3_u32 v5, v7, v5, v13
	s_clause 0x1
	scratch_load_b32 v7, off, off offset:916 th:TH_LOAD_LU
	scratch_load_b32 v13, off, off offset:12 th:TH_LOAD_LU
	s_wait_loadcnt 0x1
	v_mul_lo_u32 v5, v5, v7
	scratch_load_b32 v7, off, off offset:56 th:TH_LOAD_LU ; 4-byte Folded Reload
	s_wait_loadcnt 0x1
	v_mul_i32_i24_e32 v13, v86, v13
	v_cvt_f32_i32_e32 v5, v5
	s_delay_alu instid0(VALU_DEP_1)
	v_fma_mix_f32 v0, v18, v5, v0 op_sel_hi:[1,0,0]
	scratch_load_b32 v5, off, off offset:912 th:TH_LOAD_LU ; 4-byte Folded Reload
	s_wait_loadcnt 0x1
	v_mul_i32_i24_e32 v7, v97, v7
	s_wait_loadcnt 0x0
	v_fma_mix_f32 v4, v5, v18, v4 op_sel:[0,1,0] op_sel_hi:[0,1,0]
	scratch_load_b32 v5, off, off offset:900 ; 4-byte Folded Reload
	s_wait_loadcnt 0x0
	v_mul_f32_e32 v4, v4, v5
	scratch_load_b32 v5, off, off offset:892 ; 4-byte Folded Reload
	s_wait_loadcnt 0x0
	v_fma_f32 v0, v0, v5, -v4
	v_mul_i32_i24_e32 v5, v157, v3
	v_fma_mix_f32 v4, v29, v17, 0 op_sel:[0,1,0] op_sel_hi:[0,1,0]
	v_mul_i32_i24_e32 v3, v3, v54
	s_delay_alu instid0(VALU_DEP_4) | instskip(NEXT) | instid1(VALU_DEP_4)
	v_add_f32_e32 v135, v145, v0
	v_add3_u32 v5, v8, v6, v5
	v_fma_mix_f32 v0, v17, v9, 0 op_sel_hi:[1,0,0]
	v_fma_mix_f32 v4, v65, v18, v4 op_sel:[0,1,0] op_sel_hi:[0,1,0]
	v_add3_u32 v3, v12, v10, v3
	scratch_load_b32 v6, off, off offset:52 th:TH_LOAD_LU ; 4-byte Folded Reload
	v_mul_lo_u32 v5, v5, v153
	scratch_load_b32 v9, off, off offset:72 th:TH_LOAD_LU ; 4-byte Folded Reload
	v_mul_f32_e32 v4, v4, v156
	v_mul_lo_u32 v3, v3, v119
	s_clause 0x1
	scratch_load_b32 v10, off, off th:TH_LOAD_LU
	scratch_load_b32 v12, off, off offset:8 th:TH_LOAD_LU
	v_cvt_f32_i32_e32 v5, v5
	v_cvt_f32_i32_e32 v3, v3
	s_delay_alu instid0(VALU_DEP_2) | instskip(SKIP_3) | instid1(VALU_DEP_2)
	v_fma_mix_f32 v0, v18, v5, v0 op_sel_hi:[1,0,0]
	scratch_load_b32 v5, off, off offset:48 th:TH_LOAD_LU ; 4-byte Folded Reload
	v_fma_f32 v0, v0, v63, -v4
	v_fma_mix_f32 v4, v17, v55, 0 op_sel:[1,0,0] op_sel_hi:[1,0,0]
	v_add_f32_e32 v150, v138, v0
	v_fma_mix_f32 v0, v17, v11, 0 op_sel_hi:[1,0,0]
	s_clause 0x1
	scratch_load_b32 v11, off, off offset:4 th:TH_LOAD_LU
	scratch_load_b32 v17, off, off offset:84 th:TH_LOAD_LU
	v_fma_mix_f32 v0, v18, v3, v0 op_sel_hi:[1,0,0]
	v_fma_mix_f32 v3, v18, v118, v4 op_sel:[1,0,0] op_sel_hi:[1,0,0]
	s_clause 0x1
	scratch_load_b32 v4, off, off offset:44 th:TH_LOAD_LU
	scratch_load_b32 v18, off, off offset:88 th:TH_LOAD_LU
	v_mul_f32_e32 v3, v3, v45
	s_delay_alu instid0(VALU_DEP_1)
	v_fma_f32 v0, v0, v123, -v3
	scratch_load_b32 v3, off, off offset:24 th:TH_LOAD_LU ; 4-byte Folded Reload
	v_add_f32_e32 v130, v130, v0
	scratch_load_b32 v0, off, off offset:1344 th:TH_LOAD_LU ; 4-byte Folded Reload
	s_wait_loadcnt 0xa
	v_mul_i32_i24_e32 v6, v96, v6
	s_wait_loadcnt 0x9
	v_mul_i32_i24_e32 v9, v82, v9
	;; [unrolled: 2-line block ×9, first 2 shown]
	s_wait_loadcnt 0x0
	v_add_f32_e32 v217, v217, v0
	scratch_load_b32 v0, off, off offset:1340 th:TH_LOAD_LU ; 4-byte Folded Reload
	s_wait_loadcnt 0x0
	v_add_f32_e32 v216, v216, v0
	scratch_load_b32 v0, off, off offset:124 th:TH_LOAD_LU ; 4-byte Folded Reload
	v_mul_i32_i24_e32 v8, v81, v183
	s_wait_loadcnt 0x0
	v_mul_i32_i24_e32 v0, v115, v0
	s_delay_alu instid0(VALU_DEP_1)
	v_mad_i32_i24 v0, v90, v3, v0
	scratch_load_b32 v3, off, off offset:40 th:TH_LOAD_LU ; 4-byte Folded Reload
	v_add3_u32 v0, v0, v1, v2
	s_clause 0x1
	scratch_load_b32 v1, off, off offset:32 th:TH_LOAD_LU
	scratch_load_b32 v2, off, off offset:36 th:TH_LOAD_LU
	s_wait_loadcnt 0x2
	v_mul_i32_i24_e32 v3, v93, v3
	s_wait_loadcnt 0x1
	v_mul_i32_i24_e32 v1, v91, v1
	;; [unrolled: 2-line block ×3, first 2 shown]
	s_delay_alu instid0(VALU_DEP_1)
	v_add3_u32 v0, v0, v1, v2
	scratch_load_b32 v1, off, off offset:356 th:TH_LOAD_LU ; 4-byte Folded Reload
	v_mul_i32_i24_e32 v2, v78, v190
	v_add3_u32 v0, v0, v3, v4
	s_clause 0x1
	scratch_load_b32 v3, off, off offset:64 th:TH_LOAD_LU
	scratch_load_b32 v4, off, off offset:364 th:TH_LOAD_LU
	v_add3_u32 v0, v0, v5, v6
	s_clause 0x1
	scratch_load_b32 v5, off, off offset:360 th:TH_LOAD_LU
	scratch_load_b32 v6, off, off offset:756 th:TH_LOAD_LU
	v_add3_u32 v0, v0, v7, v8
	v_mul_i32_i24_e32 v7, v38, v173
	v_mul_i32_i24_e32 v8, v39, v172
	s_delay_alu instid0(VALU_DEP_3) | instskip(SKIP_2) | instid1(VALU_DEP_3)
	v_add3_u32 v0, v0, v9, v10
	v_mul_i32_i24_e32 v9, v40, v171
	v_mul_i32_i24_e32 v10, v41, v174
	v_add3_u32 v0, v0, v11, v12
	scratch_load_b32 v11, off, off offset:68 th:TH_LOAD_LU ; 4-byte Folded Reload
	v_mul_i32_i24_e32 v12, v43, v213
	v_add3_u32 v0, v0, v13, v14
	scratch_load_b32 v13, off, off offset:760 th:TH_LOAD_LU ; 4-byte Folded Reload
	v_mul_i32_i24_e32 v14, v46, v210
	v_add3_u32 v0, v0, v15, v16
	v_mul_i32_i24_e32 v15, v47, v224
	v_mul_i32_i24_e32 v16, v60, v228
	s_delay_alu instid0(VALU_DEP_3) | instskip(SKIP_2) | instid1(VALU_DEP_3)
	v_add3_u32 v0, v0, v17, v18
	v_mul_i32_i24_e32 v17, v61, v214
	v_mul_i32_i24_e32 v18, v62, v215
	v_add3_u32 v0, v0, v19, v20
	v_mul_i32_i24_e32 v19, v64, v222
	v_mul_i32_i24_e32 v20, v66, v237
	s_delay_alu instid0(VALU_DEP_3) | instskip(SKIP_2) | instid1(VALU_DEP_3)
	v_add3_u32 v0, v0, v21, v22
	v_mul_i32_i24_e32 v21, v68, v223
	v_mul_i32_i24_e32 v22, v69, v233
	v_add3_u32 v0, v0, v23, v24
	v_mul_i32_i24_e32 v23, v70, v253
	v_mul_i32_i24_e32 v24, v71, v252
	s_delay_alu instid0(VALU_DEP_3)
	v_add3_u32 v0, v0, v25, v26
	scratch_load_b32 v26, off, off offset:764 th:TH_LOAD_LU ; 4-byte Folded Reload
	v_mul_i32_i24_e32 v25, v72, v251
	v_add3_u32 v0, v0, v27, v28
	v_mul_i32_i24_e32 v27, v74, v254
	v_mul_i32_i24_e32 v28, v75, v239
	s_wait_loadcnt 0x7
	s_delay_alu instid0(VALU_DEP_3)
	v_mul_lo_u32 v0, v0, v1
	v_fma_mix_f32 v1, v29, v31, 0 op_sel:[0,1,0] op_sel_hi:[0,1,0]
	v_mul_i32_i24_e32 v29, v33, v199
	s_wait_loadcnt 0x6
	v_mul_i32_i24_e32 v3, v79, v3
	s_wait_loadcnt 0x5
	v_mul_i32_i24_e32 v4, v80, v4
	v_fma_mix_f32 v1, v65, v32, v1 op_sel:[0,1,0] op_sel_hi:[0,1,0]
	v_cvt_f32_i32_e32 v0, v0
	s_wait_loadcnt 0x4
	v_mad_i32_i24 v2, v77, v5, v2
	v_mul_i32_i24_e32 v5, v36, v255
	s_wait_loadcnt 0x3
	v_mul_i32_i24_e32 v6, v37, v6
	v_fma_mix_f32 v0, v31, v0, 0 op_sel_hi:[1,0,0]
	v_mul_f32_e32 v1, v1, v156
	v_add3_u32 v2, v2, v3, v4
	v_mul_i32_i24_e32 v3, v34, v227
	v_mul_i32_i24_e32 v4, v35, v202
	s_delay_alu instid0(VALU_DEP_1)
	v_add3_u32 v2, v2, v3, v4
	v_mul_i32_i24_e32 v3, v93, v245
	v_mul_i32_i24_e32 v4, v94, v148
	s_wait_loadcnt 0x2
	v_mul_i32_i24_e32 v11, v42, v11
	v_add3_u32 v2, v2, v5, v6
	v_mul_i32_i24_e32 v5, v95, v180
	v_mul_i32_i24_e32 v6, v96, v204
	s_wait_loadcnt 0x1
	v_mul_i32_i24_e32 v13, v44, v13
	v_add3_u32 v2, v2, v7, v8
	v_mul_i32_i24_e32 v7, v97, v178
	v_mul_i32_i24_e32 v8, v81, v186
	s_delay_alu instid0(VALU_DEP_3) | instskip(SKIP_2) | instid1(VALU_DEP_3)
	v_add3_u32 v2, v2, v9, v10
	v_mul_i32_i24_e32 v9, v82, v187
	v_mul_i32_i24_e32 v10, v83, v188
	v_add3_u32 v2, v2, v11, v12
	v_mul_i32_i24_e32 v11, v84, v248
	v_mul_i32_i24_e32 v12, v85, v226
	s_delay_alu instid0(VALU_DEP_3) | instskip(SKIP_2) | instid1(VALU_DEP_3)
	v_add3_u32 v2, v2, v13, v14
	v_mul_i32_i24_e32 v13, v86, v191
	v_mul_i32_i24_e32 v14, v87, v192
	v_add3_u32 v2, v2, v15, v16
	v_mul_i32_i24_e32 v15, v88, v193
	v_mul_i32_i24_e32 v16, v89, v194
	s_delay_alu instid0(VALU_DEP_3)
	v_add3_u32 v2, v2, v17, v18
	v_mul_i32_i24_e32 v17, v98, v195
	v_mul_i32_i24_e32 v18, v99, v146
	s_wait_loadcnt 0x0
	v_mul_i32_i24_e32 v26, v73, v26
	v_add3_u32 v2, v2, v19, v20
	v_mul_i32_i24_e32 v19, v100, v197
	v_mul_i32_i24_e32 v20, v103, v200
	s_delay_alu instid0(VALU_DEP_3) | instskip(SKIP_2) | instid1(VALU_DEP_3)
	v_add3_u32 v2, v2, v21, v22
	v_mul_i32_i24_e32 v21, v104, v185
	v_mul_i32_i24_e32 v22, v105, v198
	v_add3_u32 v2, v2, v23, v24
	v_mul_i32_i24_e32 v23, v106, v166
	v_mul_i32_i24_e32 v24, v108, v203
	s_delay_alu instid0(VALU_DEP_3) | instskip(SKIP_2) | instid1(VALU_DEP_3)
	v_add3_u32 v2, v2, v25, v26
	v_mul_i32_i24_e32 v25, v111, v205
	;; [unrolled: 7-line block ×3, first 2 shown]
	v_mul_i32_i24_e32 v30, v35, v139
	v_mul_lo_u32 v2, v2, v153
	s_delay_alu instid0(VALU_DEP_1) | instskip(NEXT) | instid1(VALU_DEP_1)
	v_cvt_f32_i32_e32 v2, v2
	v_fma_mix_f32 v0, v32, v2, v0 op_sel_hi:[1,0,0]
	v_mul_i32_i24_e32 v2, v117, v201
	s_delay_alu instid0(VALU_DEP_2) | instskip(SKIP_1) | instid1(VALU_DEP_2)
	v_fma_f32 v0, v0, v63, -v1
	v_mul_i32_i24_e32 v1, v116, v242
	v_add_f32_e32 v49, v211, v0
	v_mul_i32_i24_e32 v0, v115, v170
	s_delay_alu instid0(VALU_DEP_1) | instskip(NEXT) | instid1(VALU_DEP_1)
	v_mad_i32_i24 v0, v90, v219, v0
	v_add3_u32 v0, v0, v1, v2
	v_mul_i32_i24_e32 v1, v91, v231
	v_mul_i32_i24_e32 v2, v92, v243
	s_delay_alu instid0(VALU_DEP_1) | instskip(SKIP_1) | instid1(VALU_DEP_2)
	v_add3_u32 v0, v0, v1, v2
	v_mul_i32_i24_e32 v2, v78, v179
	v_add3_u32 v0, v0, v3, v4
	v_mul_i32_i24_e32 v3, v79, v164
	v_mul_i32_i24_e32 v4, v80, v225
	s_delay_alu instid0(VALU_DEP_4) | instskip(NEXT) | instid1(VALU_DEP_4)
	v_mad_i32_i24 v2, v77, v208, v2
	v_add3_u32 v0, v0, v5, v6
	v_mul_i32_i24_e32 v6, v72, v238
	v_mul_i32_i24_e32 v5, v75, v120
	s_delay_alu instid0(VALU_DEP_3) | instskip(SKIP_2) | instid1(VALU_DEP_3)
	v_add3_u32 v0, v0, v7, v8
	v_mul_i32_i24_e32 v8, v70, v175
	v_mul_i32_i24_e32 v7, v73, v240
	v_add3_u32 v0, v0, v9, v10
	v_mul_i32_i24_e32 v10, v68, v67
	v_mul_i32_i24_e32 v9, v71, v241
	s_delay_alu instid0(VALU_DEP_3) | instskip(SKIP_2) | instid1(VALU_DEP_3)
	v_add3_u32 v0, v0, v11, v12
	v_mul_i32_i24_e32 v12, v64, v124
	v_mul_i32_i24_e32 v11, v69, v236
	;; [unrolled: 7-line block ×5, first 2 shown]
	v_add3_u32 v0, v0, v25, v26
	v_mul_i32_i24_e32 v26, v36, v154
	v_mul_i32_i24_e32 v25, v39, v220
	s_delay_alu instid0(VALU_DEP_3)
	v_add3_u32 v0, v0, v27, v28
	v_add3_u32 v28, v2, v3, v4
	v_mul_i32_i24_e32 v27, v37, v234
	v_mul_i32_i24_e32 v4, v74, v155
	;; [unrolled: 1-line block ×3, first 2 shown]
	v_mul_lo_u32 v0, v0, v163
	v_add3_u32 v28, v28, v29, v30
	v_mul_i32_i24_e32 v3, v76, v54
	s_delay_alu instid0(VALU_DEP_2) | instskip(NEXT) | instid1(VALU_DEP_4)
	v_add3_u32 v26, v28, v26, v27
	v_cvt_f32_i32_e32 v0, v0
	s_delay_alu instid0(VALU_DEP_2) | instskip(NEXT) | instid1(VALU_DEP_2)
	v_add3_u32 v24, v26, v24, v25
	v_fma_mix_f32 v1, v31, v0, 0 op_sel_hi:[1,0,0]
	v_fma_mix_f32 v0, v31, v55, 0 op_sel:[1,0,0] op_sel_hi:[1,0,0]
	s_delay_alu instid0(VALU_DEP_3) | instskip(NEXT) | instid1(VALU_DEP_2)
	v_add3_u32 v22, v24, v22, v23
	v_fma_mix_f32 v0, v32, v118, v0 op_sel:[1,0,0] op_sel_hi:[1,0,0]
	s_delay_alu instid0(VALU_DEP_2) | instskip(NEXT) | instid1(VALU_DEP_2)
	v_add3_u32 v20, v22, v20, v21
	v_mul_f32_e32 v0, v0, v45
	s_delay_alu instid0(VALU_DEP_2) | instskip(NEXT) | instid1(VALU_DEP_1)
	v_add3_u32 v18, v20, v18, v19
	v_add3_u32 v16, v18, v16, v17
	s_delay_alu instid0(VALU_DEP_1) | instskip(NEXT) | instid1(VALU_DEP_1)
	v_add3_u32 v14, v16, v14, v15
	v_add3_u32 v12, v14, v12, v13
	s_delay_alu instid0(VALU_DEP_1) | instskip(NEXT) | instid1(VALU_DEP_1)
	;; [unrolled: 3-line block ×4, first 2 shown]
	v_add3_u32 v2, v4, v2, v3
	v_mul_lo_u32 v2, v2, v119
	s_delay_alu instid0(VALU_DEP_1) | instskip(NEXT) | instid1(VALU_DEP_1)
	v_cvt_f32_i32_e32 v2, v2
	v_fma_mix_f32 v1, v32, v2, v1 op_sel_hi:[1,0,0]
	s_delay_alu instid0(VALU_DEP_1) | instskip(NEXT) | instid1(VALU_DEP_1)
	v_fma_f32 v0, v1, v123, -v0
	v_add_f32_e32 v63, v128, v0
	s_cbranch_scc1 .LBB151_8
; %bb.9:                                ;   in Loop: Header=BB151_5 Depth=1
	scratch_load_b64 v[68:69], off, off offset:540 ; 8-byte Folded Reload
	s_wait_loadcnt 0x0
	s_wait_storecnt 0x0
	s_barrier_signal -1
	s_barrier_wait -1
	global_inv scope:SCOPE_SE
	s_clause 0x4
	scratch_load_b32 v60, off, off offset:520
	scratch_load_b32 v61, off, off offset:524
	;; [unrolled: 1-line block ×5, first 2 shown]
	s_add_co_i32 s10, s10, 1
	s_wait_alu 0xfffe
	s_cmp_eq_u32 s10, s15
	s_cbranch_scc0 .LBB151_5
; %bb.10:
	scratch_load_b64 v[1:2], off, off offset:628 th:TH_LOAD_LU ; 8-byte Folded Reload
	v_cvt_f16_f32_e64 v4, v216
	s_wait_loadcnt 0x3
	v_cvt_f16_f32_e32 v29, v62
	s_wait_loadcnt 0x1
	v_cvt_f16_f32_e32 v27, v66
	v_cvt_f16_f32_e32 v24, v61
	;; [unrolled: 1-line block ×4, first 2 shown]
	v_cvt_f16_f32_e64 v7, v135
	v_cvt_f16_f32_e64 v6, v150
	;; [unrolled: 1-line block ×3, first 2 shown]
	s_wait_loadcnt 0x0
	v_cvt_f16_f32_e32 v0, v2
	scratch_load_b64 v[2:3], off, off offset:588 th:TH_LOAD_LU ; 8-byte Folded Reload
	v_cvt_f16_f32_e32 v1, v1
	s_delay_alu instid0(VALU_DEP_1) | instskip(SKIP_2) | instid1(VALU_DEP_1)
	v_pack_b32_f16 v28, v1, v0
	v_cvt_f16_f32_e32 v0, v69
	v_cvt_f16_f32_e32 v1, v68
	v_pack_b32_f16 v21, v1, v0
	scratch_load_b32 v0, off, off offset:600 th:TH_LOAD_LU ; 4-byte Folded Reload
	s_wait_loadcnt 0x1
	v_cvt_f16_f32_e32 v11, v2
	scratch_load_b32 v2, off, off offset:624 th:TH_LOAD_LU ; 4-byte Folded Reload
	s_wait_loadcnt 0x1
	v_cvt_f16_f32_e32 v22, v0
	;; [unrolled: 3-line block ×4, first 2 shown]
	s_wait_loadcnt 0x0
	v_cvt_f16_f32_e32 v26, v2
	scratch_load_b32 v2, off, off offset:604 th:TH_LOAD_LU ; 4-byte Folded Reload
	s_wait_loadcnt 0x0
	v_cvt_f16_f32_e32 v25, v2
	scratch_load_b64 v[1:2], off, off offset:612 th:TH_LOAD_LU ; 8-byte Folded Reload
	s_wait_loadcnt 0x0
	v_cvt_f16_f32_e32 v0, v2
	scratch_load_b32 v2, off, off offset:576 th:TH_LOAD_LU ; 4-byte Folded Reload
	v_cvt_f16_f32_e32 v1, v1
	s_delay_alu instid0(VALU_DEP_1)
	v_pack_b32_f16 v14, v1, v0
	scratch_load_b32 v0, off, off offset:572 th:TH_LOAD_LU ; 4-byte Folded Reload
	v_cvt_f16_f32_e64 v1, v249
	s_wait_loadcnt 0x1
	v_cvt_f16_f32_e32 v18, v2
	scratch_load_b32 v2, off, off offset:584 th:TH_LOAD_LU ; 4-byte Folded Reload
	s_wait_loadcnt 0x1
	v_cvt_f16_f32_e32 v15, v0
	scratch_load_b32 v0, off, off offset:580 th:TH_LOAD_LU ; 4-byte Folded Reload
	;; [unrolled: 3-line block ×4, first 2 shown]
	s_wait_loadcnt 0x1
	v_cvt_f16_f32_e32 v16, v2
	v_cvt_f16_f32_e64 v2, v217
	s_delay_alu instid0(VALU_DEP_1)
	v_pack_b32_f16 v2, v4, v2
	s_clause 0x2
	scratch_load_b32 v4, off, off offset:1844 th:TH_LOAD_LU
	scratch_load_b32 v9, off, off offset:1976 th:TH_LOAD_LU
	scratch_load_b32 v10, off, off offset:1980
	s_wait_loadcnt 0x3
	v_cvt_f16_f32_e32 v8, v0
	v_cvt_f16_f32_e64 v0, v250
	s_delay_alu instid0(VALU_DEP_1)
	v_pack_b32_f16 v3, v1, v0
	v_cvt_f16_f32_e32 v1, v49
	v_cvt_f16_f32_e32 v0, v63
	s_mov_b32 s0, exec_lo
	s_wait_loadcnt 0x0
	v_cmpx_gt_u32_e64 s4, v10
	s_cbranch_execnz .LBB151_13
.LBB151_11:
	s_nop 0
	s_sendmsg sendmsg(MSG_DEALLOC_VGPRS)
	s_endpgm
.LBB151_12:
	v_dual_mov_b32 v0, 0 :: v_dual_mov_b32 v3, 0
	v_dual_mov_b32 v2, 0 :: v_dual_mov_b32 v21, 0
	;; [unrolled: 1-line block ×13, first 2 shown]
	v_mov_b32_e32 v11, 0
	s_mov_b32 s0, exec_lo
	v_cmpx_gt_u32_e64 s4, v10
	s_cbranch_execz .LBB151_11
.LBB151_13:
	v_add_nc_u32_e32 v9, s14, v9
	v_mul_lo_u32 v31, v10, s6
	s_delay_alu instid0(VALU_DEP_2)
	v_cmp_gt_u32_e32 vcc_lo, s6, v9
	s_and_saveexec_b32 s1, vcc_lo
	s_cbranch_execz .LBB151_15
; %bb.14:
	s_delay_alu instid0(VALU_DEP_2) | instskip(NEXT) | instid1(VALU_DEP_1)
	v_dual_mov_b32 v33, 0 :: v_dual_add_nc_u32 v32, v9, v31
	v_lshlrev_b64_e32 v[32:33], 1, v[32:33]
	s_wait_kmcnt 0x0
	s_delay_alu instid0(VALU_DEP_1) | instskip(NEXT) | instid1(VALU_DEP_1)
	v_add_co_u32 v32, s0, s8, v32
	v_add_co_ci_u32_e64 v33, null, s9, v33, s0
	global_store_b16 v[32:33], v28, off
.LBB151_15:
	s_or_b32 exec_lo, exec_lo, s1
	v_add_nc_u32_e32 v10, 32, v9
	s_delay_alu instid0(VALU_DEP_1)
	v_cmp_gt_u32_e64 s0, s6, v10
	s_and_saveexec_b32 s2, s0
	s_cbranch_execz .LBB151_17
; %bb.16:
	v_dual_mov_b32 v33, 0 :: v_dual_add_nc_u32 v32, v10, v31
	s_delay_alu instid0(VALU_DEP_1) | instskip(SKIP_1) | instid1(VALU_DEP_1)
	v_lshlrev_b64_e32 v[32:33], 1, v[32:33]
	s_wait_kmcnt 0x0
	v_add_co_u32 v32, s1, s8, v32
	s_wait_alu 0xf1ff
	s_delay_alu instid0(VALU_DEP_2)
	v_add_co_ci_u32_e64 v33, null, s9, v33, s1
	global_store_b16 v[32:33], v11, off
.LBB151_17:
	s_wait_alu 0xfffe
	s_or_b32 exec_lo, exec_lo, s2
	v_add_nc_u32_e32 v11, 64, v9
	s_delay_alu instid0(VALU_DEP_1)
	v_cmp_gt_u32_e64 s1, s6, v11
	s_and_saveexec_b32 s3, s1
	s_cbranch_execz .LBB151_19
; %bb.18:
	v_dual_mov_b32 v33, 0 :: v_dual_add_nc_u32 v32, v11, v31
	s_delay_alu instid0(VALU_DEP_1) | instskip(SKIP_1) | instid1(VALU_DEP_1)
	v_lshlrev_b64_e32 v[32:33], 1, v[32:33]
	s_wait_kmcnt 0x0
	v_add_co_u32 v32, s2, s8, v32
	s_wait_alu 0xf1ff
	s_delay_alu instid0(VALU_DEP_2)
	v_add_co_ci_u32_e64 v33, null, s9, v33, s2
	global_store_b16 v[32:33], v2, off
.LBB151_19:
	s_wait_alu 0xfffe
	;; [unrolled: 18-line block ×3, first 2 shown]
	s_or_b32 exec_lo, exec_lo, s5
	v_add3_u32 v30, v4, s7, 8
	s_delay_alu instid0(VALU_DEP_1)
	v_cmp_gt_u32_e64 s3, s4, v30
	s_and_b32 exec_lo, exec_lo, s3
	s_cbranch_execz .LBB151_11
; %bb.22:
	v_mul_lo_u32 v30, v30, s6
	s_and_saveexec_b32 s5, vcc_lo
	s_cbranch_execnz .LBB151_62
; %bb.23:
	s_wait_alu 0xfffe
	s_or_b32 exec_lo, exec_lo, s5
	s_and_saveexec_b32 s5, s0
	s_cbranch_execnz .LBB151_63
.LBB151_24:
	s_wait_alu 0xfffe
	s_or_b32 exec_lo, exec_lo, s5
	s_and_saveexec_b32 s5, s1
	s_cbranch_execnz .LBB151_64
.LBB151_25:
	s_wait_alu 0xfffe
	s_or_b32 exec_lo, exec_lo, s5
	s_and_saveexec_b32 s5, s2
	s_cbranch_execz .LBB151_27
.LBB151_26:
	v_dual_mov_b32 v28, 0 :: v_dual_add_nc_u32 v27, v30, v12
	s_delay_alu instid0(VALU_DEP_1) | instskip(SKIP_1) | instid1(VALU_DEP_1)
	v_lshlrev_b64_e32 v[27:28], 1, v[27:28]
	s_wait_kmcnt 0x0
	v_add_co_u32 v27, s3, s8, v27
	s_wait_alu 0xf1ff
	s_delay_alu instid0(VALU_DEP_2)
	v_add_co_ci_u32_e64 v28, null, s9, v28, s3
	global_store_b16 v[27:28], v26, off
.LBB151_27:
	s_wait_alu 0xfffe
	s_or_b32 exec_lo, exec_lo, s5
	v_add3_u32 v26, v4, s7, 16
	s_delay_alu instid0(VALU_DEP_1)
	v_cmp_gt_u32_e64 s3, s4, v26
	s_and_b32 exec_lo, exec_lo, s3
	s_cbranch_execz .LBB151_11
; %bb.28:
	v_mul_lo_u32 v26, v26, s6
	s_and_saveexec_b32 s5, vcc_lo
	s_cbranch_execnz .LBB151_65
; %bb.29:
	s_wait_alu 0xfffe
	s_or_b32 exec_lo, exec_lo, s5
	s_and_saveexec_b32 s5, s0
	s_cbranch_execnz .LBB151_66
.LBB151_30:
	s_wait_alu 0xfffe
	s_or_b32 exec_lo, exec_lo, s5
	s_and_saveexec_b32 s5, s1
	s_cbranch_execnz .LBB151_67
.LBB151_31:
	s_wait_alu 0xfffe
	s_or_b32 exec_lo, exec_lo, s5
	s_and_saveexec_b32 s5, s2
	s_cbranch_execz .LBB151_33
.LBB151_32:
	v_dual_mov_b32 v25, 0 :: v_dual_add_nc_u32 v24, v26, v12
	s_delay_alu instid0(VALU_DEP_1) | instskip(SKIP_1) | instid1(VALU_DEP_1)
	v_lshlrev_b64_e32 v[24:25], 1, v[24:25]
	s_wait_kmcnt 0x0
	v_add_co_u32 v24, s3, s8, v24
	s_wait_alu 0xf1ff
	s_delay_alu instid0(VALU_DEP_2)
	v_add_co_ci_u32_e64 v25, null, s9, v25, s3
	global_store_b16 v[24:25], v23, off
.LBB151_33:
	s_wait_alu 0xfffe
	s_or_b32 exec_lo, exec_lo, s5
	v_add3_u32 v23, v4, s7, 24
	s_delay_alu instid0(VALU_DEP_1)
	v_cmp_gt_u32_e64 s3, s4, v23
	s_and_b32 exec_lo, exec_lo, s3
	s_cbranch_execz .LBB151_11
; %bb.34:
	v_mul_lo_u32 v23, v23, s6
	s_and_saveexec_b32 s5, vcc_lo
	s_cbranch_execnz .LBB151_68
; %bb.35:
	s_wait_alu 0xfffe
	s_or_b32 exec_lo, exec_lo, s5
	s_and_saveexec_b32 s5, s0
	s_cbranch_execnz .LBB151_69
.LBB151_36:
	s_wait_alu 0xfffe
	s_or_b32 exec_lo, exec_lo, s5
	s_and_saveexec_b32 s5, s1
	s_cbranch_execnz .LBB151_70
.LBB151_37:
	s_wait_alu 0xfffe
	s_or_b32 exec_lo, exec_lo, s5
	s_and_saveexec_b32 s5, s2
	s_cbranch_execz .LBB151_39
.LBB151_38:
	v_dual_mov_b32 v21, 0 :: v_dual_add_nc_u32 v20, v23, v12
	s_delay_alu instid0(VALU_DEP_1) | instskip(SKIP_1) | instid1(VALU_DEP_1)
	v_lshlrev_b64_e32 v[20:21], 1, v[20:21]
	s_wait_kmcnt 0x0
	v_add_co_u32 v20, s3, s8, v20
	s_wait_alu 0xf1ff
	s_delay_alu instid0(VALU_DEP_2)
	v_add_co_ci_u32_e64 v21, null, s9, v21, s3
	global_store_b16 v[20:21], v19, off
.LBB151_39:
	s_wait_alu 0xfffe
	s_or_b32 exec_lo, exec_lo, s5
	v_add3_u32 v19, v4, s7, 32
	s_delay_alu instid0(VALU_DEP_1)
	v_cmp_gt_u32_e64 s3, s4, v19
	s_and_b32 exec_lo, exec_lo, s3
	s_cbranch_execz .LBB151_11
; %bb.40:
	v_mul_lo_u32 v19, v19, s6
	s_and_saveexec_b32 s5, vcc_lo
	s_cbranch_execnz .LBB151_71
; %bb.41:
	s_wait_alu 0xfffe
	s_or_b32 exec_lo, exec_lo, s5
	s_and_saveexec_b32 s5, s0
	s_cbranch_execnz .LBB151_72
.LBB151_42:
	s_wait_alu 0xfffe
	s_or_b32 exec_lo, exec_lo, s5
	s_and_saveexec_b32 s5, s1
	s_cbranch_execnz .LBB151_73
.LBB151_43:
	s_wait_alu 0xfffe
	s_or_b32 exec_lo, exec_lo, s5
	s_and_saveexec_b32 s5, s2
	s_cbranch_execz .LBB151_45
.LBB151_44:
	v_dual_mov_b32 v18, 0 :: v_dual_add_nc_u32 v17, v19, v12
	s_delay_alu instid0(VALU_DEP_1) | instskip(SKIP_1) | instid1(VALU_DEP_1)
	v_lshlrev_b64_e32 v[17:18], 1, v[17:18]
	s_wait_kmcnt 0x0
	v_add_co_u32 v17, s3, s8, v17
	s_wait_alu 0xf1ff
	s_delay_alu instid0(VALU_DEP_2)
	v_add_co_ci_u32_e64 v18, null, s9, v18, s3
	global_store_b16 v[17:18], v16, off
.LBB151_45:
	s_wait_alu 0xfffe
	s_or_b32 exec_lo, exec_lo, s5
	v_add3_u32 v16, v4, s7, 40
	s_delay_alu instid0(VALU_DEP_1)
	v_cmp_gt_u32_e64 s3, s4, v16
	s_and_b32 exec_lo, exec_lo, s3
	s_cbranch_execz .LBB151_11
; %bb.46:
	v_mul_lo_u32 v16, v16, s6
	s_and_saveexec_b32 s5, vcc_lo
	s_cbranch_execnz .LBB151_74
; %bb.47:
	s_wait_alu 0xfffe
	s_or_b32 exec_lo, exec_lo, s5
	s_and_saveexec_b32 s5, s0
	s_cbranch_execnz .LBB151_75
.LBB151_48:
	s_wait_alu 0xfffe
	s_or_b32 exec_lo, exec_lo, s5
	s_and_saveexec_b32 s5, s1
	s_cbranch_execnz .LBB151_76
.LBB151_49:
	s_wait_alu 0xfffe
	s_or_b32 exec_lo, exec_lo, s5
	s_and_saveexec_b32 s5, s2
	s_cbranch_execz .LBB151_51
.LBB151_50:
	v_dual_mov_b32 v14, 0 :: v_dual_add_nc_u32 v13, v16, v12
	s_delay_alu instid0(VALU_DEP_1) | instskip(SKIP_1) | instid1(VALU_DEP_1)
	v_lshlrev_b64_e32 v[13:14], 1, v[13:14]
	s_wait_kmcnt 0x0
	v_add_co_u32 v13, s3, s8, v13
	s_wait_alu 0xf1ff
	s_delay_alu instid0(VALU_DEP_2)
	v_add_co_ci_u32_e64 v14, null, s9, v14, s3
	global_store_b16 v[13:14], v8, off
.LBB151_51:
	s_wait_alu 0xfffe
	s_or_b32 exec_lo, exec_lo, s5
	v_add3_u32 v8, v4, s7, 48
	s_delay_alu instid0(VALU_DEP_1)
	v_cmp_gt_u32_e64 s3, s4, v8
	s_and_b32 exec_lo, exec_lo, s3
	s_cbranch_execz .LBB151_11
; %bb.52:
	v_mul_lo_u32 v8, v8, s6
	s_and_saveexec_b32 s5, vcc_lo
	s_cbranch_execnz .LBB151_77
; %bb.53:
	s_wait_alu 0xfffe
	s_or_b32 exec_lo, exec_lo, s5
	s_and_saveexec_b32 s5, s0
	s_cbranch_execnz .LBB151_78
.LBB151_54:
	s_wait_alu 0xfffe
	s_or_b32 exec_lo, exec_lo, s5
	s_and_saveexec_b32 s5, s1
	s_cbranch_execnz .LBB151_79
.LBB151_55:
	s_wait_alu 0xfffe
	s_or_b32 exec_lo, exec_lo, s5
	s_and_saveexec_b32 s5, s2
	s_cbranch_execz .LBB151_57
.LBB151_56:
	v_dual_mov_b32 v7, 0 :: v_dual_add_nc_u32 v6, v8, v12
	s_delay_alu instid0(VALU_DEP_1) | instskip(SKIP_1) | instid1(VALU_DEP_1)
	v_lshlrev_b64_e32 v[6:7], 1, v[6:7]
	s_wait_kmcnt 0x0
	v_add_co_u32 v6, s3, s8, v6
	s_wait_alu 0xf1ff
	s_delay_alu instid0(VALU_DEP_2)
	v_add_co_ci_u32_e64 v7, null, s9, v7, s3
	global_store_b16 v[6:7], v5, off
.LBB151_57:
	s_wait_alu 0xfffe
	s_or_b32 exec_lo, exec_lo, s5
	v_add3_u32 v4, v4, s7, 56
	s_delay_alu instid0(VALU_DEP_1)
	v_cmp_gt_u32_e64 s3, s4, v4
	s_and_b32 exec_lo, exec_lo, s3
	s_cbranch_execz .LBB151_11
; %bb.58:
	v_mul_lo_u32 v4, v4, s6
	s_and_saveexec_b32 s3, vcc_lo
	s_cbranch_execnz .LBB151_80
; %bb.59:
	s_wait_alu 0xfffe
	s_or_b32 exec_lo, exec_lo, s3
	s_and_saveexec_b32 s3, s0
	s_cbranch_execnz .LBB151_81
.LBB151_60:
	s_wait_alu 0xfffe
	s_or_b32 exec_lo, exec_lo, s3
	s_and_saveexec_b32 s0, s1
	s_cbranch_execnz .LBB151_82
.LBB151_61:
	s_wait_alu 0xfffe
	s_or_b32 exec_lo, exec_lo, s0
	s_delay_alu instid0(SALU_CYCLE_1)
	s_and_b32 exec_lo, exec_lo, s2
	s_cbranch_execz .LBB151_11
	s_branch .LBB151_83
.LBB151_62:
	s_delay_alu instid0(VALU_DEP_1) | instskip(NEXT) | instid1(VALU_DEP_1)
	v_dual_mov_b32 v32, 0 :: v_dual_add_nc_u32 v31, v30, v9
	v_lshlrev_b64_e32 v[31:32], 1, v[31:32]
	s_wait_kmcnt 0x0
	s_delay_alu instid0(VALU_DEP_1) | instskip(SKIP_1) | instid1(VALU_DEP_2)
	v_add_co_u32 v31, s3, s8, v31
	s_wait_alu 0xf1ff
	v_add_co_ci_u32_e64 v32, null, s9, v32, s3
	global_store_d16_hi_b16 v[31:32], v28, off
	s_wait_alu 0xfffe
	s_or_b32 exec_lo, exec_lo, s5
	s_and_saveexec_b32 s5, s0
	s_cbranch_execz .LBB151_24
.LBB151_63:
	s_delay_alu instid0(VALU_DEP_1) | instskip(NEXT) | instid1(VALU_DEP_1)
	v_dual_mov_b32 v32, 0 :: v_dual_add_nc_u32 v31, v30, v10
	v_lshlrev_b64_e32 v[31:32], 1, v[31:32]
	s_wait_kmcnt 0x0
	s_delay_alu instid0(VALU_DEP_1) | instskip(SKIP_1) | instid1(VALU_DEP_2)
	v_add_co_u32 v31, s3, s8, v31
	s_wait_alu 0xf1ff
	v_add_co_ci_u32_e64 v32, null, s9, v32, s3
	global_store_b16 v[31:32], v29, off
	s_wait_alu 0xfffe
	s_or_b32 exec_lo, exec_lo, s5
	s_and_saveexec_b32 s5, s1
	s_cbranch_execz .LBB151_25
.LBB151_64:
	v_dual_mov_b32 v29, 0 :: v_dual_add_nc_u32 v28, v30, v11
	s_delay_alu instid0(VALU_DEP_1) | instskip(SKIP_1) | instid1(VALU_DEP_1)
	v_lshlrev_b64_e32 v[28:29], 1, v[28:29]
	s_wait_kmcnt 0x0
	v_add_co_u32 v28, s3, s8, v28
	s_wait_alu 0xf1ff
	s_delay_alu instid0(VALU_DEP_2)
	v_add_co_ci_u32_e64 v29, null, s9, v29, s3
	global_store_b16 v[28:29], v27, off
	s_wait_alu 0xfffe
	s_or_b32 exec_lo, exec_lo, s5
	s_and_saveexec_b32 s5, s2
	s_cbranch_execnz .LBB151_26
	s_branch .LBB151_27
.LBB151_65:
	s_delay_alu instid0(VALU_DEP_1) | instskip(NEXT) | instid1(VALU_DEP_1)
	v_dual_mov_b32 v28, 0 :: v_dual_add_nc_u32 v27, v26, v9
	v_lshlrev_b64_e32 v[27:28], 1, v[27:28]
	s_wait_kmcnt 0x0
	s_delay_alu instid0(VALU_DEP_1) | instskip(SKIP_1) | instid1(VALU_DEP_2)
	v_add_co_u32 v27, s3, s8, v27
	s_wait_alu 0xf1ff
	v_add_co_ci_u32_e64 v28, null, s9, v28, s3
	global_store_b16 v[27:28], v21, off
	s_wait_alu 0xfffe
	s_or_b32 exec_lo, exec_lo, s5
	s_and_saveexec_b32 s5, s0
	s_cbranch_execz .LBB151_30
.LBB151_66:
	s_delay_alu instid0(VALU_DEP_1) | instskip(NEXT) | instid1(VALU_DEP_1)
	v_dual_mov_b32 v28, 0 :: v_dual_add_nc_u32 v27, v26, v10
	v_lshlrev_b64_e32 v[27:28], 1, v[27:28]
	s_wait_kmcnt 0x0
	s_delay_alu instid0(VALU_DEP_1) | instskip(SKIP_1) | instid1(VALU_DEP_2)
	v_add_co_u32 v27, s3, s8, v27
	s_wait_alu 0xf1ff
	v_add_co_ci_u32_e64 v28, null, s9, v28, s3
	global_store_b16 v[27:28], v25, off
	s_wait_alu 0xfffe
	s_or_b32 exec_lo, exec_lo, s5
	s_and_saveexec_b32 s5, s1
	s_cbranch_execz .LBB151_31
.LBB151_67:
	v_dual_mov_b32 v28, 0 :: v_dual_add_nc_u32 v27, v26, v11
	s_delay_alu instid0(VALU_DEP_1) | instskip(SKIP_1) | instid1(VALU_DEP_1)
	v_lshlrev_b64_e32 v[27:28], 1, v[27:28]
	s_wait_kmcnt 0x0
	v_add_co_u32 v27, s3, s8, v27
	s_wait_alu 0xf1ff
	s_delay_alu instid0(VALU_DEP_2)
	v_add_co_ci_u32_e64 v28, null, s9, v28, s3
	global_store_b16 v[27:28], v24, off
	s_wait_alu 0xfffe
	s_or_b32 exec_lo, exec_lo, s5
	s_and_saveexec_b32 s5, s2
	s_cbranch_execnz .LBB151_32
	s_branch .LBB151_33
.LBB151_68:
	s_delay_alu instid0(VALU_DEP_1) | instskip(NEXT) | instid1(VALU_DEP_1)
	v_dual_mov_b32 v25, 0 :: v_dual_add_nc_u32 v24, v23, v9
	v_lshlrev_b64_e32 v[24:25], 1, v[24:25]
	s_wait_kmcnt 0x0
	s_delay_alu instid0(VALU_DEP_1) | instskip(SKIP_1) | instid1(VALU_DEP_2)
	v_add_co_u32 v24, s3, s8, v24
	s_wait_alu 0xf1ff
	v_add_co_ci_u32_e64 v25, null, s9, v25, s3
	global_store_d16_hi_b16 v[24:25], v21, off
	s_wait_alu 0xfffe
	s_or_b32 exec_lo, exec_lo, s5
	s_and_saveexec_b32 s5, s0
	s_cbranch_execz .LBB151_36
.LBB151_69:
	s_delay_alu instid0(VALU_DEP_1) | instskip(NEXT) | instid1(VALU_DEP_1)
	v_dual_mov_b32 v25, 0 :: v_dual_add_nc_u32 v24, v23, v10
	v_lshlrev_b64_e32 v[24:25], 1, v[24:25]
	s_wait_kmcnt 0x0
	s_delay_alu instid0(VALU_DEP_1) | instskip(SKIP_1) | instid1(VALU_DEP_2)
	v_add_co_u32 v24, s3, s8, v24
	s_wait_alu 0xf1ff
	v_add_co_ci_u32_e64 v25, null, s9, v25, s3
	global_store_b16 v[24:25], v22, off
	s_wait_alu 0xfffe
	s_or_b32 exec_lo, exec_lo, s5
	s_and_saveexec_b32 s5, s1
	s_cbranch_execz .LBB151_37
.LBB151_70:
	v_dual_mov_b32 v22, 0 :: v_dual_add_nc_u32 v21, v23, v11
	s_delay_alu instid0(VALU_DEP_1) | instskip(SKIP_1) | instid1(VALU_DEP_1)
	v_lshlrev_b64_e32 v[21:22], 1, v[21:22]
	s_wait_kmcnt 0x0
	v_add_co_u32 v21, s3, s8, v21
	s_wait_alu 0xf1ff
	s_delay_alu instid0(VALU_DEP_2)
	v_add_co_ci_u32_e64 v22, null, s9, v22, s3
	global_store_b16 v[21:22], v20, off
	s_wait_alu 0xfffe
	s_or_b32 exec_lo, exec_lo, s5
	s_and_saveexec_b32 s5, s2
	s_cbranch_execnz .LBB151_38
	s_branch .LBB151_39
.LBB151_71:
	s_delay_alu instid0(VALU_DEP_1) | instskip(NEXT) | instid1(VALU_DEP_1)
	v_dual_mov_b32 v21, 0 :: v_dual_add_nc_u32 v20, v19, v9
	v_lshlrev_b64_e32 v[20:21], 1, v[20:21]
	s_wait_kmcnt 0x0
	s_delay_alu instid0(VALU_DEP_1) | instskip(SKIP_1) | instid1(VALU_DEP_2)
	v_add_co_u32 v20, s3, s8, v20
	s_wait_alu 0xf1ff
	v_add_co_ci_u32_e64 v21, null, s9, v21, s3
	global_store_b16 v[20:21], v14, off
	s_wait_alu 0xfffe
	s_or_b32 exec_lo, exec_lo, s5
	s_and_saveexec_b32 s5, s0
	s_cbranch_execz .LBB151_42
.LBB151_72:
	s_delay_alu instid0(VALU_DEP_1) | instskip(NEXT) | instid1(VALU_DEP_1)
	v_dual_mov_b32 v21, 0 :: v_dual_add_nc_u32 v20, v19, v10
	v_lshlrev_b64_e32 v[20:21], 1, v[20:21]
	s_wait_kmcnt 0x0
	s_delay_alu instid0(VALU_DEP_1) | instskip(SKIP_1) | instid1(VALU_DEP_2)
	v_add_co_u32 v20, s3, s8, v20
	s_wait_alu 0xf1ff
	v_add_co_ci_u32_e64 v21, null, s9, v21, s3
	global_store_b16 v[20:21], v18, off
	s_wait_alu 0xfffe
	s_or_b32 exec_lo, exec_lo, s5
	s_and_saveexec_b32 s5, s1
	s_cbranch_execz .LBB151_43
.LBB151_73:
	v_dual_mov_b32 v21, 0 :: v_dual_add_nc_u32 v20, v19, v11
	s_delay_alu instid0(VALU_DEP_1) | instskip(SKIP_1) | instid1(VALU_DEP_1)
	v_lshlrev_b64_e32 v[20:21], 1, v[20:21]
	s_wait_kmcnt 0x0
	v_add_co_u32 v20, s3, s8, v20
	s_wait_alu 0xf1ff
	s_delay_alu instid0(VALU_DEP_2)
	v_add_co_ci_u32_e64 v21, null, s9, v21, s3
	global_store_b16 v[20:21], v17, off
	s_wait_alu 0xfffe
	s_or_b32 exec_lo, exec_lo, s5
	s_and_saveexec_b32 s5, s2
	s_cbranch_execnz .LBB151_44
	s_branch .LBB151_45
.LBB151_74:
	s_delay_alu instid0(VALU_DEP_1) | instskip(NEXT) | instid1(VALU_DEP_1)
	v_dual_mov_b32 v18, 0 :: v_dual_add_nc_u32 v17, v16, v9
	v_lshlrev_b64_e32 v[17:18], 1, v[17:18]
	s_wait_kmcnt 0x0
	s_delay_alu instid0(VALU_DEP_1) | instskip(SKIP_1) | instid1(VALU_DEP_2)
	v_add_co_u32 v17, s3, s8, v17
	s_wait_alu 0xf1ff
	v_add_co_ci_u32_e64 v18, null, s9, v18, s3
	global_store_d16_hi_b16 v[17:18], v14, off
	s_wait_alu 0xfffe
	s_or_b32 exec_lo, exec_lo, s5
	s_and_saveexec_b32 s5, s0
	s_cbranch_execz .LBB151_48
.LBB151_75:
	s_delay_alu instid0(VALU_DEP_1) | instskip(NEXT) | instid1(VALU_DEP_1)
	v_dual_mov_b32 v18, 0 :: v_dual_add_nc_u32 v17, v16, v10
	v_lshlrev_b64_e32 v[17:18], 1, v[17:18]
	s_wait_kmcnt 0x0
	s_delay_alu instid0(VALU_DEP_1) | instskip(SKIP_1) | instid1(VALU_DEP_2)
	v_add_co_u32 v17, s3, s8, v17
	s_wait_alu 0xf1ff
	v_add_co_ci_u32_e64 v18, null, s9, v18, s3
	global_store_b16 v[17:18], v15, off
	s_wait_alu 0xfffe
	s_or_b32 exec_lo, exec_lo, s5
	s_and_saveexec_b32 s5, s1
	s_cbranch_execz .LBB151_49
.LBB151_76:
	v_dual_mov_b32 v15, 0 :: v_dual_add_nc_u32 v14, v16, v11
	s_delay_alu instid0(VALU_DEP_1) | instskip(SKIP_1) | instid1(VALU_DEP_1)
	v_lshlrev_b64_e32 v[14:15], 1, v[14:15]
	s_wait_kmcnt 0x0
	v_add_co_u32 v14, s3, s8, v14
	s_wait_alu 0xf1ff
	s_delay_alu instid0(VALU_DEP_2)
	v_add_co_ci_u32_e64 v15, null, s9, v15, s3
	global_store_b16 v[14:15], v13, off
	s_wait_alu 0xfffe
	s_or_b32 exec_lo, exec_lo, s5
	s_and_saveexec_b32 s5, s2
	s_cbranch_execnz .LBB151_50
	s_branch .LBB151_51
.LBB151_77:
	s_delay_alu instid0(VALU_DEP_1) | instskip(NEXT) | instid1(VALU_DEP_1)
	v_dual_mov_b32 v14, 0 :: v_dual_add_nc_u32 v13, v8, v9
	v_lshlrev_b64_e32 v[13:14], 1, v[13:14]
	s_wait_kmcnt 0x0
	s_delay_alu instid0(VALU_DEP_1) | instskip(SKIP_1) | instid1(VALU_DEP_2)
	v_add_co_u32 v13, s3, s8, v13
	s_wait_alu 0xf1ff
	v_add_co_ci_u32_e64 v14, null, s9, v14, s3
	global_store_b16 v[13:14], v3, off
	s_wait_alu 0xfffe
	s_or_b32 exec_lo, exec_lo, s5
	s_and_saveexec_b32 s5, s0
	s_cbranch_execz .LBB151_54
.LBB151_78:
	s_delay_alu instid0(VALU_DEP_1) | instskip(NEXT) | instid1(VALU_DEP_1)
	v_dual_mov_b32 v14, 0 :: v_dual_add_nc_u32 v13, v8, v10
	v_lshlrev_b64_e32 v[13:14], 1, v[13:14]
	s_wait_kmcnt 0x0
	s_delay_alu instid0(VALU_DEP_1) | instskip(SKIP_1) | instid1(VALU_DEP_2)
	v_add_co_u32 v13, s3, s8, v13
	s_wait_alu 0xf1ff
	v_add_co_ci_u32_e64 v14, null, s9, v14, s3
	global_store_b16 v[13:14], v7, off
	s_wait_alu 0xfffe
	s_or_b32 exec_lo, exec_lo, s5
	s_and_saveexec_b32 s5, s1
	s_cbranch_execz .LBB151_55
.LBB151_79:
	v_dual_mov_b32 v14, 0 :: v_dual_add_nc_u32 v13, v8, v11
	s_delay_alu instid0(VALU_DEP_1) | instskip(SKIP_1) | instid1(VALU_DEP_1)
	v_lshlrev_b64_e32 v[13:14], 1, v[13:14]
	s_wait_kmcnt 0x0
	v_add_co_u32 v13, s3, s8, v13
	s_wait_alu 0xf1ff
	s_delay_alu instid0(VALU_DEP_2)
	v_add_co_ci_u32_e64 v14, null, s9, v14, s3
	global_store_b16 v[13:14], v6, off
	s_wait_alu 0xfffe
	s_or_b32 exec_lo, exec_lo, s5
	s_and_saveexec_b32 s5, s2
	s_cbranch_execnz .LBB151_56
	s_branch .LBB151_57
.LBB151_80:
	s_delay_alu instid0(VALU_DEP_1) | instskip(NEXT) | instid1(VALU_DEP_1)
	v_dual_mov_b32 v6, 0 :: v_dual_add_nc_u32 v5, v4, v9
	v_lshlrev_b64_e32 v[5:6], 1, v[5:6]
	s_wait_kmcnt 0x0
	s_delay_alu instid0(VALU_DEP_1) | instskip(SKIP_1) | instid1(VALU_DEP_2)
	v_add_co_u32 v5, vcc_lo, s8, v5
	s_wait_alu 0xfffd
	v_add_co_ci_u32_e64 v6, null, s9, v6, vcc_lo
	global_store_d16_hi_b16 v[5:6], v3, off
	s_wait_alu 0xfffe
	s_or_b32 exec_lo, exec_lo, s3
	s_and_saveexec_b32 s3, s0
	s_cbranch_execz .LBB151_60
.LBB151_81:
	s_delay_alu instid0(VALU_DEP_1) | instskip(NEXT) | instid1(VALU_DEP_1)
	v_dual_mov_b32 v6, 0 :: v_dual_add_nc_u32 v5, v4, v10
	v_lshlrev_b64_e32 v[5:6], 1, v[5:6]
	s_wait_kmcnt 0x0
	s_delay_alu instid0(VALU_DEP_1) | instskip(SKIP_1) | instid1(VALU_DEP_2)
	v_add_co_u32 v5, vcc_lo, s8, v5
	s_wait_alu 0xfffd
	v_add_co_ci_u32_e64 v6, null, s9, v6, vcc_lo
	global_store_d16_hi_b16 v[5:6], v2, off
	s_wait_alu 0xfffe
	s_or_b32 exec_lo, exec_lo, s3
	s_and_saveexec_b32 s0, s1
	s_cbranch_execz .LBB151_61
.LBB151_82:
	v_dual_mov_b32 v3, 0 :: v_dual_add_nc_u32 v2, v4, v11
	s_delay_alu instid0(VALU_DEP_1) | instskip(SKIP_1) | instid1(VALU_DEP_1)
	v_lshlrev_b64_e32 v[2:3], 1, v[2:3]
	s_wait_kmcnt 0x0
	v_add_co_u32 v2, vcc_lo, s8, v2
	s_wait_alu 0xfffd
	s_delay_alu instid0(VALU_DEP_2) | instskip(SKIP_3) | instid1(SALU_CYCLE_1)
	v_add_co_ci_u32_e64 v3, null, s9, v3, vcc_lo
	global_store_b16 v[2:3], v1, off
	s_wait_alu 0xfffe
	s_or_b32 exec_lo, exec_lo, s0
	s_and_b32 exec_lo, exec_lo, s2
	s_cbranch_execz .LBB151_11
.LBB151_83:
	v_dual_mov_b32 v2, 0 :: v_dual_add_nc_u32 v1, v4, v12
	s_delay_alu instid0(VALU_DEP_1) | instskip(SKIP_1) | instid1(VALU_DEP_1)
	v_lshlrev_b64_e32 v[1:2], 1, v[1:2]
	s_wait_kmcnt 0x0
	v_add_co_u32 v1, vcc_lo, s8, v1
	s_wait_alu 0xfffd
	s_delay_alu instid0(VALU_DEP_2)
	v_add_co_ci_u32_e64 v2, null, s9, v2, vcc_lo
	global_store_b16 v[1:2], v0, off
	s_nop 0
	s_sendmsg sendmsg(MSG_DEALLOC_VGPRS)
	s_endpgm
	.section	.rodata,"a",@progbits
	.p2align	6, 0x0
	.amdhsa_kernel _ZL12mul_mat_q4_KIN3c104HalfELb0EEvPKvS3_PT_iiiii
		.amdhsa_group_segment_fixed_size 28752
		.amdhsa_private_segment_fixed_size 1988
		.amdhsa_kernarg_size 44
		.amdhsa_user_sgpr_count 2
		.amdhsa_user_sgpr_dispatch_ptr 0
		.amdhsa_user_sgpr_queue_ptr 0
		.amdhsa_user_sgpr_kernarg_segment_ptr 1
		.amdhsa_user_sgpr_dispatch_id 0
		.amdhsa_user_sgpr_private_segment_size 0
		.amdhsa_wavefront_size32 1
		.amdhsa_uses_dynamic_stack 0
		.amdhsa_enable_private_segment 1
		.amdhsa_system_sgpr_workgroup_id_x 1
		.amdhsa_system_sgpr_workgroup_id_y 1
		.amdhsa_system_sgpr_workgroup_id_z 0
		.amdhsa_system_sgpr_workgroup_info 0
		.amdhsa_system_vgpr_workitem_id 1
		.amdhsa_next_free_vgpr 256
		.amdhsa_next_free_sgpr 20
		.amdhsa_reserve_vcc 1
		.amdhsa_float_round_mode_32 0
		.amdhsa_float_round_mode_16_64 0
		.amdhsa_float_denorm_mode_32 3
		.amdhsa_float_denorm_mode_16_64 3
		.amdhsa_fp16_overflow 0
		.amdhsa_workgroup_processor_mode 1
		.amdhsa_memory_ordered 1
		.amdhsa_forward_progress 1
		.amdhsa_inst_pref_size 255
		.amdhsa_round_robin_scheduling 0
		.amdhsa_exception_fp_ieee_invalid_op 0
		.amdhsa_exception_fp_denorm_src 0
		.amdhsa_exception_fp_ieee_div_zero 0
		.amdhsa_exception_fp_ieee_overflow 0
		.amdhsa_exception_fp_ieee_underflow 0
		.amdhsa_exception_fp_ieee_inexact 0
		.amdhsa_exception_int_div_zero 0
	.end_amdhsa_kernel
	.section	.text._ZL12mul_mat_q4_KIN3c104HalfELb0EEvPKvS3_PT_iiiii,"axG",@progbits,_ZL12mul_mat_q4_KIN3c104HalfELb0EEvPKvS3_PT_iiiii,comdat
.Lfunc_end151:
	.size	_ZL12mul_mat_q4_KIN3c104HalfELb0EEvPKvS3_PT_iiiii, .Lfunc_end151-_ZL12mul_mat_q4_KIN3c104HalfELb0EEvPKvS3_PT_iiiii
                                        ; -- End function
	.set _ZL12mul_mat_q4_KIN3c104HalfELb0EEvPKvS3_PT_iiiii.num_vgpr, 256
	.set _ZL12mul_mat_q4_KIN3c104HalfELb0EEvPKvS3_PT_iiiii.num_agpr, 0
	.set _ZL12mul_mat_q4_KIN3c104HalfELb0EEvPKvS3_PT_iiiii.numbered_sgpr, 20
	.set _ZL12mul_mat_q4_KIN3c104HalfELb0EEvPKvS3_PT_iiiii.num_named_barrier, 0
	.set _ZL12mul_mat_q4_KIN3c104HalfELb0EEvPKvS3_PT_iiiii.private_seg_size, 1988
	.set _ZL12mul_mat_q4_KIN3c104HalfELb0EEvPKvS3_PT_iiiii.uses_vcc, 1
	.set _ZL12mul_mat_q4_KIN3c104HalfELb0EEvPKvS3_PT_iiiii.uses_flat_scratch, 1
	.set _ZL12mul_mat_q4_KIN3c104HalfELb0EEvPKvS3_PT_iiiii.has_dyn_sized_stack, 0
	.set _ZL12mul_mat_q4_KIN3c104HalfELb0EEvPKvS3_PT_iiiii.has_recursion, 0
	.set _ZL12mul_mat_q4_KIN3c104HalfELb0EEvPKvS3_PT_iiiii.has_indirect_call, 0
	.section	.AMDGPU.csdata,"",@progbits
; Kernel info:
; codeLenInByte = 107964
; TotalNumSgprs: 22
; NumVgprs: 256
; ScratchSize: 1988
; MemoryBound: 0
; FloatMode: 240
; IeeeMode: 1
; LDSByteSize: 28752 bytes/workgroup (compile time only)
; SGPRBlocks: 0
; VGPRBlocks: 31
; NumSGPRsForWavesPerEU: 22
; NumVGPRsForWavesPerEU: 256
; Occupancy: 5
; WaveLimiterHint : 0
; COMPUTE_PGM_RSRC2:SCRATCH_EN: 1
; COMPUTE_PGM_RSRC2:USER_SGPR: 2
; COMPUTE_PGM_RSRC2:TRAP_HANDLER: 0
; COMPUTE_PGM_RSRC2:TGID_X_EN: 1
; COMPUTE_PGM_RSRC2:TGID_Y_EN: 1
; COMPUTE_PGM_RSRC2:TGID_Z_EN: 0
; COMPUTE_PGM_RSRC2:TIDIG_COMP_CNT: 1
	.section	.text._ZL12mul_mat_q4_KIN3c104HalfELb1EEvPKvS3_PT_iiiii,"axG",@progbits,_ZL12mul_mat_q4_KIN3c104HalfELb1EEvPKvS3_PT_iiiii,comdat
	.globl	_ZL12mul_mat_q4_KIN3c104HalfELb1EEvPKvS3_PT_iiiii ; -- Begin function _ZL12mul_mat_q4_KIN3c104HalfELb1EEvPKvS3_PT_iiiii
	.p2align	8
	.type	_ZL12mul_mat_q4_KIN3c104HalfELb1EEvPKvS3_PT_iiiii,@function
_ZL12mul_mat_q4_KIN3c104HalfELb1EEvPKvS3_PT_iiiii: ; @_ZL12mul_mat_q4_KIN3c104HalfELb1EEvPKvS3_PT_iiiii
; %bb.0:
	s_clause 0x1
	s_load_b128 s[4:7], s[0:1], 0x18
	s_load_b32 s14, s[0:1], 0x28
	v_bfe_u32 v32, v0, 10, 10
	v_and_b32_e32 v33, 0x3ff, v0
	s_lshl_b32 s15, ttmp7, 6
	s_wait_kmcnt 0x0
	s_cmp_gt_i32 s4, 0xff
	s_cbranch_scc1 .LBB152_2
; %bb.1:
	v_bfe_u32 v4, v0, 10, 10
	v_and_b32_e32 v9, 0x3ff, v0
	s_mov_b32 s2, 0
	s_delay_alu instid0(VALU_DEP_2)
	v_add_nc_u32_e32 v10, s15, v4
	s_branch .LBB152_3
.LBB152_2:
	s_mov_b32 s2, -1
                                        ; implicit-def: $vgpr4
                                        ; implicit-def: $vgpr9
                                        ; implicit-def: $vgpr10
.LBB152_3:
	s_load_b64 s[8:9], s[0:1], 0x10
	s_lshl_b32 s16, ttmp9, 7
	s_and_not1_b32 vcc_lo, exec_lo, s2
	s_mov_b32 s11, 0
	s_cbranch_vccnz .LBB152_11
; %bb.4:
	s_ashr_i32 s10, s4, 31
	v_lshlrev_b32_e32 v34, 2, v33
	s_lshr_b32 s10, s10, 24
	v_bfe_u32 v35, v0, 5, 5
	s_add_co_i32 s4, s4, s10
	s_not_b32 s10, s16
	v_dual_mov_b32 v50, 0 :: v_dual_add_nc_u32 v21, 16, v32
	s_add_co_i32 s5, s5, s10
	v_and_b32_e32 v2, 0x7c, v34
	v_min_i32_e32 v1, s5, v32
	s_ashr_i32 s17, s4, 8
	v_lshlrev_b32_e32 v29, 5, v32
	v_dual_mov_b32 v143, v50 :: v_dual_add_nc_u32 v20, 8, v32
	v_mov_b32_e32 v51, v50
	v_mad_co_u64_u32 v[3:4], null, 0x84, v1, v[34:35]
	s_clause 0x1
	scratch_store_b32 off, v2, off offset:1876
	scratch_store_b32 off, v29, off offset:1268
	v_mul_lo_u32 v2, v1, s17
	v_add_nc_u32_e32 v16, s15, v32
	v_add_nc_u32_e32 v22, 24, v32
	v_dual_mov_b32 v168, v51 :: v_dual_mov_b32 v167, v50
	v_add_nc_u32_e32 v23, 32, v32
	s_delay_alu instid0(VALU_DEP_4)
	v_add_nc_u32_e32 v9, 24, v16
	v_add_nc_u32_e32 v24, 40, v32
	s_clause 0x1
	scratch_store_b32 off, v2, off offset:1880
	scratch_store_b32 off, v16, off offset:2128
	v_min_i32_e32 v2, s5, v20
	v_add_nc_u32_e32 v25, 48, v32
	v_add_nc_u32_e32 v26, 56, v32
	;; [unrolled: 1-line block ×3, first 2 shown]
	s_ashr_i32 s12, s7, 31
	v_mul_lo_u32 v1, v2, s17
	scratch_store_b64 off, v[3:4], off offset:1884 ; 8-byte Folded Spill
	v_mad_co_u64_u32 v[2:3], null, 0x84, v2, v[34:35]
	v_min_i32_e32 v27, s5, v17
	v_add_nc_u32_e32 v11, 32, v16
	v_add_nc_u32_e32 v13, 40, v16
	s_lshr_b32 s4, s12, 27
	scratch_store_b32 off, v1, off offset:1892 ; 4-byte Folded Spill
	v_min_i32_e32 v1, s5, v21
	scratch_store_b64 off, v[2:3], off offset:1896 ; 8-byte Folded Spill
	v_dual_mov_b32 v44, v50 :: v_dual_add_nc_u32 v7, 16, v16
	v_add_nc_u32_e32 v15, 48, v16
	v_mul_lo_u32 v2, v1, s17
	v_mad_co_u64_u32 v[3:4], null, 0x84, v1, v[34:35]
	v_min_i32_e32 v1, s5, v23
	s_wait_alu 0xfffe
	s_add_co_i32 s4, s7, s4
	s_add_co_i32 s7, s6, -1
	v_add_nc_u32_e32 v28, 0x60, v32
	v_cvt_f64_u32_e32 v[9:10], v9
	s_clause 0x1
	scratch_store_b32 off, v2, off offset:1904
	scratch_store_b64 off, v[3:4], off offset:1908
	v_min_i32_e32 v2, s5, v22
	v_cvt_f64_u32_e32 v[11:12], v11
	v_cvt_f64_u32_e32 v[13:14], v13
	;; [unrolled: 1-line block ×3, first 2 shown]
	v_add_nc_u32_e32 v18, 56, v16
	v_mul_lo_u32 v3, v2, s17
	v_add_nc_u32_e32 v29, v29, v33
	s_wait_alu 0xfffe
	s_ashr_i32 s4, s4, 5
	v_bfe_u32 v36, v0, 3, 7
	v_cvt_f64_u32_e32 v[17:18], v18
	s_load_b128 s[0:3], s[0:1], 0x0
	v_and_b32_e32 v29, 0x7f, v29
	s_mul_i32 s12, s17, s16
	scratch_store_b32 off, v3, off offset:1916 ; 4-byte Folded Spill
	v_mad_co_u64_u32 v[2:3], null, 0x84, v2, v[34:35]
	v_min_i32_e32 v29, s5, v29
	s_ashr_i32 s13, s12, 31
	s_mov_b32 s10, s11
	s_mul_u64 s[12:13], s[12:13], 0x90
	v_mov_b32_e32 v254, v50
	v_mov_b32_e32 v118, v50
	scratch_store_b64 off, v[2:3], off offset:1920 ; 8-byte Folded Spill
	v_mul_lo_u32 v2, v1, s17
	v_mad_co_u64_u32 v[3:4], null, 0x84, v1, v[34:35]
	v_mov_b32_e32 v228, v50
	s_wait_kmcnt 0x0
	s_add_nc_u64 s[0:1], s[0:1], s[12:13]
	scratch_store_b32 off, v2, off offset:1928 ; 4-byte Folded Spill
	v_min_i32_e32 v2, s5, v24
	s_delay_alu instid0(VALU_DEP_1)
	v_mul_lo_u32 v1, v2, s17
	scratch_store_b64 off, v[3:4], off offset:1932 ; 8-byte Folded Spill
	v_mad_co_u64_u32 v[2:3], null, 0x84, v2, v[34:35]
	scratch_store_b32 off, v1, off offset:1940 ; 4-byte Folded Spill
	v_min_i32_e32 v1, s5, v25
	scratch_store_b64 off, v[2:3], off offset:1944 ; 8-byte Folded Spill
	v_min_i32_e32 v2, s5, v26
	v_add_nc_u32_e32 v3, 64, v32
	v_mul_lo_u32 v4, v1, s17
	scratch_store_b32 off, v4, off offset:1952 ; 4-byte Folded Spill
	v_mad_co_u64_u32 v[4:5], null, 0x84, v1, v[34:35]
	v_mul_lo_u32 v1, v2, s17
	scratch_store_b64 off, v[4:5], off offset:1956 ; 8-byte Folded Spill
	v_mad_co_u64_u32 v[4:5], null, 0x84, v2, v[34:35]
	v_add_nc_u32_e32 v2, 0x50, v32
	scratch_store_b32 off, v1, off offset:1964 ; 4-byte Folded Spill
	v_min_i32_e32 v1, s5, v3
	v_add_nc_u32_e32 v3, 0x48, v32
	v_min_i32_e32 v19, s5, v2
	s_delay_alu instid0(VALU_DEP_2) | instskip(NEXT) | instid1(VALU_DEP_2)
	v_min_i32_e32 v3, s5, v3
	v_mad_co_u64_u32 v[30:31], null, 0x84, v19, v[34:35]
	scratch_store_b64 off, v[4:5], off offset:1968 ; 8-byte Folded Spill
	v_mul_lo_u32 v4, v1, s17
	scratch_store_b64 off, v[30:31], off offset:2004 ; 8-byte Folded Spill
	v_mad_co_u64_u32 v[30:31], null, 0x84, v27, v[34:35]
	scratch_store_b32 off, v4, off offset:1976 ; 4-byte Folded Spill
	v_mad_co_u64_u32 v[4:5], null, 0x84, v1, v[34:35]
	v_mul_lo_u32 v1, v3, s17
	scratch_store_b64 off, v[4:5], off offset:1980 ; 8-byte Folded Spill
	v_add_nc_u32_e32 v5, 8, v16
	scratch_store_b32 off, v1, off offset:1988 ; 4-byte Folded Spill
	v_mad_co_u64_u32 v[1:2], null, 0x84, v3, v[34:35]
	v_cvt_f64_u32_e32 v[3:4], v16
	v_cvt_f64_u32_e32 v[5:6], v5
	;; [unrolled: 1-line block ×3, first 2 shown]
	scratch_store_b64 off, v[1:2], off offset:1992 ; 8-byte Folded Spill
	v_mul_lo_u32 v1, v19, s17
	v_mul_lo_u32 v19, v27, s17
	s_clause 0x1
	scratch_store_b32 off, v1, off offset:2000
	scratch_store_b32 off, v19, off offset:2012
	v_cvt_f64_i32_e32 v[1:2], s7
	v_min_i32_e32 v19, s5, v28
	v_add_nc_u32_e32 v28, 0x68, v32
	s_delay_alu instid0(VALU_DEP_2)
	v_mul_lo_u32 v27, v19, s17
	scratch_store_b64 off, v[30:31], off offset:2016 ; 8-byte Folded Spill
	v_mad_co_u64_u32 v[30:31], null, 0x84, v19, v[34:35]
	v_min_i32_e32 v28, s5, v28
	scratch_store_b32 off, v27, off offset:2024 ; 4-byte Folded Spill
	v_add_nc_u32_e32 v27, 0x70, v32
	scratch_store_b64 off, v[30:31], off offset:2028 ; 8-byte Folded Spill
	v_mad_co_u64_u32 v[30:31], null, 0x84, v28, v[34:35]
	v_min_i32_e32 v19, s5, v27
	v_mul_lo_u32 v27, v28, s17
	s_delay_alu instid0(VALU_DEP_2)
	v_mul_lo_u32 v28, v19, s17
	scratch_store_b64 off, v[30:31], off offset:2040 ; 8-byte Folded Spill
	v_mad_co_u64_u32 v[30:31], null, 0x84, v19, v[34:35]
	scratch_store_b32 off, v27, off offset:2036 ; 4-byte Folded Spill
	v_ashrrev_i32_e32 v27, 31, v29
	scratch_store_b32 off, v28, off offset:2048 ; 4-byte Folded Spill
	v_add_nc_u32_e32 v28, 0x78, v32
	v_lshrrev_b32_e32 v27, 27, v27
	scratch_store_b64 off, v[30:31], off offset:2052 ; 8-byte Folded Spill
	v_min_num_f64_e32 v[9:10], v[9:10], v[1:2]
	v_min_num_f64_e32 v[11:12], v[11:12], v[1:2]
	;; [unrolled: 1-line block ×6, first 2 shown]
	v_min_i32_e32 v28, s5, v28
	v_min_num_f64_e32 v[15:16], v[15:16], v[1:2]
	v_add_nc_u32_e32 v19, v29, v27
	v_min_num_f64_e32 v[1:2], v[17:18], v[1:2]
	v_bfe_u32 v27, v0, 2, 8
	v_mul_lo_u32 v30, v28, s17
	v_mad_co_u64_u32 v[17:18], null, 0x84, v28, v[34:35]
	s_delay_alu instid0(VALU_DEP_3) | instskip(SKIP_3) | instid1(VALU_DEP_2)
	v_lshl_add_u32 v27, v32, 3, v27
	scratch_store_b32 off, v30, off offset:2060 ; 4-byte Folded Spill
	v_ashrrev_i32_e32 v30, 5, v19
	v_and_b32_e32 v19, 3, v0
	v_lshlrev_b32_e32 v28, 2, v30
	v_lshlrev_b32_e32 v30, 2, v29
	v_mul_lo_u32 v29, v29, s17
	scratch_store_b64 off, v[17:18], off offset:2064 ; 8-byte Folded Spill
	v_add_nc_u32_e32 v17, 0xfe, v19
	v_and_b32_e32 v18, 0x7f, v27
	v_add3_u32 v28, v28, v30, 0x6e40
	v_cmp_gt_u32_e32 vcc_lo, 2, v19
	s_delay_alu instid0(VALU_DEP_4)
	v_and_b32_e32 v17, 0xff, v17
	scratch_store_b32 off, v29, off offset:2072 ; 4-byte Folded Spill
	v_min_i32_e32 v29, s5, v18
	v_xor_b32_e32 v18, 64, v18
	v_cvt_i32_f64_e32 v9, v[9:10]
	v_cndmask_b32_e32 v17, v17, v19, vcc_lo
	v_cvt_i32_f64_e32 v10, v[11:12]
	v_cvt_i32_f64_e32 v11, v[13:14]
	v_min_i32_e32 v18, s5, v18
	v_cvt_i32_f64_e32 v3, v[3:4]
	v_lshlrev_b32_e32 v13, 1, v17
	scratch_store_b32 off, v28, off offset:2076 ; 4-byte Folded Spill
	v_ashrrev_i32_e32 v28, 31, v29
	v_ashrrev_i32_e32 v31, 31, v18
	v_cvt_i32_f64_e32 v5, v[5:6]
	v_cvt_i32_f64_e32 v7, v[7:8]
	;; [unrolled: 1-line block ×3, first 2 shown]
	v_lshrrev_b32_e32 v28, 29, v28
	v_lshrrev_b32_e32 v8, 29, v31
	v_cvt_i32_f64_e32 v1, v[1:2]
	scratch_store_b32 off, v13, off offset:2084 ; 4-byte Folded Spill
	v_mul_lo_u32 v13, v29, s17
	v_add_nc_u32_e32 v6, v29, v28
	v_add_nc_u32_e32 v8, v18, v8
	v_cmp_ne_u32_e32 vcc_lo, 0, v19
	v_and_b32_e32 v4, 4, v34
	v_lshlrev_b32_e32 v2, 2, v19
	v_ashrrev_i32_e32 v6, 3, v6
	v_ashrrev_i32_e32 v8, 3, v8
	s_wait_alu 0xfffd
	v_add_co_ci_u32_e64 v30, null, 0, v17, vcc_lo
	v_cmp_lt_u32_e32 vcc_lo, 1, v19
	v_lshlrev_b32_e32 v6, 2, v6
	scratch_store_b32 off, v13, off offset:2088 ; 4-byte Folded Spill
	v_and_b32_e32 v13, 63, v27
	v_lshlrev_b32_e32 v8, 2, v8
	v_mul_lo_u32 v15, v18, s17
	s_wait_alu 0xfffd
	v_cndmask_b32_e32 v4, 0, v4, vcc_lo
	v_add3_u32 v6, v6, v2, 0x6200
	v_and_b32_e32 v16, 31, v0
	v_add3_u32 v8, v8, v2, 0x6200
	v_lshl_or_b32 v2, v13, 4, v2
	v_lshlrev_b32_e32 v14, 4, v29
	v_lshlrev_b32_e32 v17, 4, v18
	scratch_store_b32 off, v15, off offset:2092 ; 4-byte Folded Spill
	v_or_b32_e32 v15, s15, v13
	v_add_nc_u32_e32 v2, 0x6a40, v2
	scratch_store_b32 off, v4, off offset:2080 ; 4-byte Folded Spill
	v_lshl_or_b32 v13, v16, 2, 0x4200
	v_and_b32_e32 v18, 28, v34
	v_min_i32_e32 v15, s7, v15
	scratch_store_b32 off, v2, off offset:1780 ; 4-byte Folded Spill
	v_mul_lo_u32 v2, s4, v3
	v_mul_lo_u32 v3, s4, v5
	v_mul_lo_u32 v5, s4, v7
	v_mad_co_u64_u32 v[15:16], null, v15, s4, v[19:20]
	v_mul_lo_u32 v7, s4, v9
	v_mul_lo_u32 v9, s4, v10
	;; [unrolled: 1-line block ×4, first 2 shown]
	v_add_nc_u32_e32 v12, 64, v33
	v_mul_lo_u32 v1, s4, v1
	s_clause 0x2
	scratch_store_b64 off, v[15:16], off offset:2096
	scratch_store_b32 off, v2, off offset:1784
	scratch_store_b32 off, v32, off offset:2120
	v_lshlrev_b32_e32 v19, 2, v35
	v_lshrrev_b32_e32 v28, 3, v12
	v_add_nc_u32_e32 v15, 0x60, v33
	scratch_store_b32 off, v11, off offset:1808 ; 4-byte Folded Spill
	v_add_nc_u32_e32 v11, 32, v33
	v_add3_u32 v0, v19, v34, 0x6e40
	s_clause 0x1
	scratch_store_b32 off, v1, off offset:1812
	scratch_store_b32 off, v28, off offset:1772
	v_and_b32_e32 v28, 60, v28
	v_lshrrev_b32_e32 v158, 3, v11
	scratch_store_b32 off, v0, off offset:1816 ; 4-byte Folded Spill
	v_lshrrev_b32_e32 v29, 3, v15
	v_lshlrev_b32_e32 v1, 7, v26
	s_movk_i32 s4, 0x1080
	v_and_b32_e32 v27, 60, v158
	v_cndmask_b32_e64 v4, 0, 1, vcc_lo
	v_lshlrev_b32_e32 v2, 7, v32
	v_lshlrev_b32_e32 v16, 7, v25
	s_delay_alu instid0(VALU_DEP_4)
	v_add3_u32 v0, v34, v27, 0x6e40
	scratch_store_b32 off, v0, off offset:1820 ; 4-byte Folded Spill
	v_add3_u32 v0, v34, v28, 0x6e40
	scratch_store_b32 off, v0, off offset:1824 ; 4-byte Folded Spill
	v_mov_b32_e32 v0, v34
	scratch_store_b32 off, v29, off offset:1776 ; 4-byte Folded Spill
	v_and_b32_e32 v29, 60, v29
	scratch_store_b64 off, v[0:1], off offset:1764 ; 8-byte Folded Spill
	v_add3_u32 v0, v34, v29, 0x6e40
	scratch_store_b32 off, v0, off offset:1828 ; 4-byte Folded Spill
	v_lshlrev_b32_e32 v0, 5, v20
	scratch_store_b32 off, v3, off offset:1788 ; 4-byte Folded Spill
	v_lshlrev_b32_e32 v3, 7, v20
	;; [unrolled: 2-line block ×11, first 2 shown]
	s_clause 0x1
	scratch_store_b32 off, v35, off offset:1872
	scratch_store_b32 off, v0, off offset:1292
	v_lshlrev_b32_e32 v0, 5, v26
	scratch_store_b32 off, v0, off offset:1296 ; 4-byte Folded Spill
	v_mul_u32_u24_e32 v0, 0x84, v33
	scratch_store_b32 off, v0, off offset:1300 ; 4-byte Folded Spill
	v_lshlrev_b32_e32 v0, 4, v11
	scratch_store_b32 off, v0, off offset:1304 ; 4-byte Folded Spill
	s_wait_alu 0xfffe
	v_mad_u32_u24 v0, 0x84, v33, s4
	s_movk_i32 s4, 0x2100
	scratch_store_b32 off, v0, off offset:1308 ; 4-byte Folded Spill
	v_lshlrev_b32_e32 v0, 4, v12
	scratch_store_b32 off, v0, off offset:1312 ; 4-byte Folded Spill
	s_wait_alu 0xfffe
	v_mad_u32_u24 v0, 0x84, v33, s4
	s_movk_i32 s4, 0x3180
	scratch_store_b32 off, v0, off offset:1316 ; 4-byte Folded Spill
	v_lshlrev_b32_e32 v0, 4, v15
	s_clause 0x1
	scratch_store_b32 off, v0, off offset:1320
	scratch_store_b32 off, v33, off offset:2124
	s_wait_alu 0xfffe
	v_mad_u32_u24 v0, 0x84, v33, s4
	v_add_co_u32 v11, s4, s2, v18
	s_wait_alu 0xf1ff
	v_add_co_ci_u32_e64 v12, null, s3, 0, s4
	scratch_store_b32 off, v0, off offset:1324 ; 4-byte Folded Spill
	v_lshlrev_b32_e32 v0, 2, v30
	scratch_store_b32 off, v0, off offset:2104 ; 4-byte Folded Spill
	v_lshlrev_b32_e32 v0, 2, v4
	scratch_store_b32 off, v0, off offset:2108 ; 4-byte Folded Spill
	v_add_nc_u32_e32 v0, v6, v14
	scratch_store_b32 off, v0, off offset:2112 ; 4-byte Folded Spill
	v_add_nc_u32_e32 v0, v8, v17
	;; [unrolled: 2-line block ×3, first 2 shown]
	s_clause 0x1
	scratch_store_b64 off, v[11:12], off offset:1832
	scratch_store_b32 off, v0, off offset:1840
	v_add_nc_u32_e32 v0, v13, v3
	scratch_store_b32 off, v0, off offset:1844 ; 4-byte Folded Spill
	v_add_nc_u32_e32 v0, v13, v5
	scratch_store_b32 off, v0, off offset:1848 ; 4-byte Folded Spill
	;; [unrolled: 2-line block ×7, first 2 shown]
	v_mov_b32_e32 v0, v50
	s_clause 0x15
	scratch_store_b32 off, v0, off offset:588
	scratch_store_b32 off, v0, off offset:576
	;; [unrolled: 1-line block ×16, first 2 shown]
	scratch_store_b64 off, v[50:51], off offset:564
	scratch_store_b64 off, v[50:51], off offset:556
	;; [unrolled: 1-line block ×4, first 2 shown]
	scratch_store_b32 off, v158, off offset:1756
	scratch_store_b32 off, v36, off offset:1760
.LBB152_5:                              ; =>This Loop Header: Depth=1
                                        ;     Child Loop BB152_6 Depth 2
                                        ;     Child Loop BB152_8 Depth 2
	s_clause 0xa
	scratch_load_b32 v0, off, off offset:1872
	scratch_load_b32 v2, off, off offset:1880
	;; [unrolled: 1-line block ×11, first 2 shown]
	s_mul_u64 s[4:5], s[10:11], 0x90
	s_mov_b32 s13, 0
	s_wait_alu 0xfffe
	s_add_nc_u64 s[4:5], s[0:1], s[4:5]
	s_wait_loadcnt 0xa
	s_wait_alu 0xfffe
	v_mad_co_u64_u32 v[0:1], null, 0x90, v0, s[4:5]
	s_wait_loadcnt 0x9
	s_delay_alu instid0(VALU_DEP_1)
	v_mad_co_i64_i32 v[2:3], null, 0x90, v2, v[0:1]
	s_wait_loadcnt 0x8
	v_mad_co_i64_i32 v[4:5], null, 0x90, v4, v[0:1]
	s_wait_loadcnt 0x7
	;; [unrolled: 2-line block ×4, first 2 shown]
	v_add_co_u32 v2, vcc_lo, v2, v28
	v_mad_co_i64_i32 v[10:11], null, 0x90, v10, v[0:1]
	s_wait_alu 0xfffd
	v_add_co_ci_u32_e64 v3, null, 0, v3, vcc_lo
	v_add_co_u32 v4, vcc_lo, v4, v28
	v_mad_co_i64_i32 v[12:13], null, 0x90, v12, v[0:1]
	s_wait_alu 0xfffd
	v_add_co_ci_u32_e64 v5, null, 0, v5, vcc_lo
	v_add_co_u32 v6, vcc_lo, v6, v28
	s_wait_loadcnt 0x2
	v_mad_co_i64_i32 v[14:15], null, 0x90, v14, v[0:1]
	s_wait_alu 0xfffd
	v_add_co_ci_u32_e64 v7, null, 0, v7, vcc_lo
	v_add_co_u32 v8, vcc_lo, v8, v28
	s_wait_loadcnt 0x1
	v_mad_co_i64_i32 v[16:17], null, 0x90, v16, v[0:1]
	s_wait_alu 0xfffd
	v_add_co_ci_u32_e64 v9, null, 0, v9, vcc_lo
	v_add_co_u32 v10, vcc_lo, v10, v28
	s_wait_alu 0xfffd
	v_add_co_ci_u32_e64 v11, null, 0, v11, vcc_lo
	v_add_co_u32 v12, vcc_lo, v12, v28
	;; [unrolled: 3-line block ×4, first 2 shown]
	s_wait_alu 0xfffd
	v_add_co_ci_u32_e64 v17, null, 0, v17, vcc_lo
	s_clause 0x7
	global_load_b32 v20, v[2:3], off offset:16
	global_load_b32 v21, v[4:5], off offset:16
	global_load_b32 v22, v[6:7], off offset:16
	global_load_b32 v23, v[8:9], off offset:16
	global_load_b32 v24, v[10:11], off offset:16
	global_load_b32 v25, v[12:13], off offset:16
	global_load_b32 v26, v[14:15], off offset:16
	global_load_b32 v27, v[16:17], off offset:16
	s_clause 0x6
	scratch_load_b32 v2, off, off offset:1988
	scratch_load_b32 v6, off, off offset:2000
	scratch_load_b32 v8, off, off offset:2012
	scratch_load_b32 v10, off, off offset:2024
	scratch_load_b32 v12, off, off offset:2036
	scratch_load_b32 v14, off, off offset:2048
	scratch_load_b32 v16, off, off offset:2060
	s_wait_loadcnt 0xf
	v_mad_co_i64_i32 v[18:19], null, 0x90, v18, v[0:1]
	s_delay_alu instid0(VALU_DEP_1) | instskip(SKIP_1) | instid1(VALU_DEP_2)
	v_add_co_u32 v4, vcc_lo, v18, v28
	s_wait_alu 0xfffd
	v_add_co_ci_u32_e64 v5, null, 0, v19, vcc_lo
	s_wait_loadcnt 0x6
	v_mad_co_i64_i32 v[2:3], null, 0x90, v2, v[0:1]
	s_wait_loadcnt 0x5
	v_mad_co_i64_i32 v[6:7], null, 0x90, v6, v[0:1]
	;; [unrolled: 2-line block ×4, first 2 shown]
	s_delay_alu instid0(VALU_DEP_4)
	v_add_co_u32 v2, vcc_lo, v2, v28
	s_wait_loadcnt 0x2
	v_mad_co_i64_i32 v[12:13], null, 0x90, v12, v[0:1]
	s_wait_alu 0xfffd
	v_add_co_ci_u32_e64 v3, null, 0, v3, vcc_lo
	v_add_co_u32 v6, vcc_lo, v6, v28
	s_wait_loadcnt 0x1
	v_mad_co_i64_i32 v[14:15], null, 0x90, v14, v[0:1]
	s_wait_alu 0xfffd
	v_add_co_ci_u32_e64 v7, null, 0, v7, vcc_lo
	;; [unrolled: 5-line block ×3, first 2 shown]
	v_add_co_u32 v10, vcc_lo, v10, v28
	s_wait_alu 0xfffd
	v_add_co_ci_u32_e64 v11, null, 0, v11, vcc_lo
	v_add_co_u32 v12, vcc_lo, v12, v28
	s_wait_alu 0xfffd
	v_add_co_ci_u32_e64 v13, null, 0, v13, vcc_lo
	v_add_co_u32 v14, vcc_lo, v14, v28
	scratch_load_b32 v16, off, off offset:2088 ; 4-byte Folded Reload
	s_wait_alu 0xfffd
	v_add_co_ci_u32_e64 v15, null, 0, v15, vcc_lo
	v_add_co_u32 v0, vcc_lo, v0, v28
	s_wait_alu 0xfffd
	v_add_co_ci_u32_e64 v1, null, 0, v1, vcc_lo
	s_clause 0x7
	global_load_b32 v28, v[4:5], off offset:16
	global_load_b32 v29, v[2:3], off offset:16
	;; [unrolled: 1-line block ×8, first 2 shown]
	s_clause 0x3
	scratch_load_b32 v0, off, off offset:2072
	scratch_load_b32 v2, off, off offset:2092
	;; [unrolled: 1-line block ×4, first 2 shown]
	s_wait_loadcnt 0xc
	v_mad_co_i64_i32 v[16:17], null, 0x90, v16, s[4:5]
	s_wait_loadcnt 0x3
	v_mad_co_i64_i32 v[0:1], null, 0x90, v0, s[4:5]
	;; [unrolled: 2-line block ×3, first 2 shown]
	s_wait_loadcnt 0x1
	s_delay_alu instid0(VALU_DEP_3)
	v_add_co_u32 v4, vcc_lo, v16, v8
	s_wait_alu 0xfffd
	v_add_co_ci_u32_e64 v5, null, 0, v17, vcc_lo
	s_wait_loadcnt 0x0
	v_add_co_u32 v6, vcc_lo, v16, v10
	s_wait_alu 0xfffd
	v_add_co_ci_u32_e64 v7, null, 0, v17, vcc_lo
	v_add_co_u32 v8, vcc_lo, v2, v8
	s_wait_alu 0xfffd
	v_add_co_ci_u32_e64 v9, null, 0, v3, vcc_lo
	v_add_co_u32 v2, vcc_lo, v2, v10
	s_lshl_b32 s4, s10, 3
	s_wait_alu 0xfffd
	v_add_co_ci_u32_e64 v3, null, 0, v3, vcc_lo
	s_wait_alu 0xfffe
	v_add_nc_u32_e32 v12, s4, v36
	scratch_load_b32 v10, off, off offset:1784 ; 4-byte Folded Reload
	s_clause 0x3
	global_load_b32 v36, v[4:5], off offset:4
	global_load_b32 v37, v[6:7], off offset:4
	;; [unrolled: 1-line block ×4, first 2 shown]
	s_clause 0x7
	scratch_load_b64 v[2:3], off, off offset:2096
	scratch_load_b64 v[17:18], off, off offset:1832
	scratch_load_b32 v5, off, off offset:1792
	scratch_load_b32 v7, off, off offset:1796
	;; [unrolled: 1-line block ×6, first 2 shown]
	s_mov_b32 s5, -1
	s_wait_loadcnt 0xc
	v_add_nc_u32_e32 v10, v12, v10
	s_wait_loadcnt 0x7
	v_add_nc_u32_e32 v19, s4, v2
	scratch_load_b32 v2, off, off offset:1788 ; 4-byte Folded Reload
	s_wait_loadcnt 0x6
	v_add_nc_u32_e32 v6, v12, v5
	s_wait_loadcnt 0x5
	v_add_nc_u32_e32 v8, v12, v7
	s_wait_loadcnt 0x3
	v_add_nc_u32_e32 v13, v12, v11
	s_wait_loadcnt 0x2
	v_add_nc_u32_e32 v14, v12, v14
	s_wait_loadcnt 0x1
	v_add_nc_u32_e32 v16, v12, v15
	scratch_store_b32 off, v19, off offset:1688 ; 4-byte Folded Spill
	v_mad_co_i64_i32 v[6:7], null, v6, 36, v[17:18]
	v_mad_co_i64_i32 v[14:15], null, v14, 36, v[17:18]
	s_wait_loadcnt 0x0
	v_add_nc_u32_e32 v4, v12, v2
	v_mad_co_i64_i32 v[2:3], null, v10, 36, v[17:18]
	v_add_nc_u32_e32 v10, v12, v9
	v_mad_co_i64_i32 v[8:9], null, v8, 36, v[17:18]
	s_delay_alu instid0(VALU_DEP_4) | instskip(NEXT) | instid1(VALU_DEP_3)
	v_mad_co_i64_i32 v[4:5], null, v4, 36, v[17:18]
	v_mad_co_i64_i32 v[10:11], null, v10, 36, v[17:18]
	;; [unrolled: 1-line block ×4, first 2 shown]
	v_mad_co_u64_u32 v[18:19], null, v19, 36, s[2:3]
	s_clause 0x7
	global_load_b32 v2, v[2:3], off offset:4
	global_load_b32 v3, v[4:5], off offset:4
	;; [unrolled: 1-line block ×8, first 2 shown]
	global_load_b32 v0, v[0:1], off
	global_load_b32 v1, v[18:19], off
	s_clause 0x2
	scratch_load_b32 v11, off, off offset:2080
	scratch_load_b64 v[14:15], off, off offset:1884
	scratch_load_b32 v13, off, off offset:2084
	s_wait_loadcnt 0x2
	v_ashrrev_i32_e32 v10, v11, v36
	s_wait_loadcnt 0x1
	ds_store_b32 v14, v20
	scratch_load_b64 v[14:15], off, off offset:1896 ; 8-byte Folded Reload
	v_ashrrev_i32_e32 v11, v11, v38
	v_and_b32_e32 v10, 0xf0f0f0f, v10
	s_delay_alu instid0(VALU_DEP_2)
	v_and_b32_e32 v11, 0xf0f0f0f, v11
	s_wait_loadcnt 0x0
	ds_store_b32 v14, v21
	scratch_load_b64 v[14:15], off, off offset:1908 ; 8-byte Folded Reload
	s_wait_loadcnt 0x0
	ds_store_b32 v14, v22
	scratch_load_b64 v[14:15], off, off offset:1920 ; 8-byte Folded Reload
	;; [unrolled: 3-line block ×14, first 2 shown]
	s_wait_loadcnt 0x0
	ds_store_b32 v14, v35
	scratch_load_b32 v14, off, off offset:1840 ; 4-byte Folded Reload
	v_ashrrev_i32_e32 v12, v13, v37
	v_ashrrev_i32_e32 v13, v13, v39
	s_wait_loadcnt 0x0
	ds_store_b32 v14, v2
	scratch_load_b32 v2, off, off offset:1844 ; 4-byte Folded Reload
	s_wait_loadcnt 0x0
	ds_store_b32 v2, v3
	scratch_load_b32 v2, off, off offset:1848 ; 4-byte Folded Reload
	v_and_or_b32 v3, 0x30303030, v13, v11
	s_wait_loadcnt 0x0
	ds_store_b32 v2, v4
	s_clause 0x1
	scratch_load_b32 v2, off, off offset:1852
	scratch_load_b32 v4, off, off offset:1864
	s_wait_loadcnt 0x1
	ds_store_b32 v2, v5
	s_wait_loadcnt 0x0
	ds_store_b32 v4, v8
	s_clause 0x1
	scratch_load_b32 v2, off, off offset:1856
	scratch_load_b32 v4, off, off offset:1868
	s_wait_loadcnt 0x1
	ds_store_b32 v2, v6
	;; [unrolled: 7-line block ×3, first 2 shown]
	s_wait_loadcnt 0x0
	ds_store_b32 v4, v0
	scratch_load_b32 v0, off, off offset:2112 ; 4-byte Folded Reload
	v_and_or_b32 v2, 0x30303030, v12, v10
	s_wait_loadcnt 0x0
	ds_store_b32 v0, v2
	scratch_load_b32 v0, off, off offset:2116 ; 4-byte Folded Reload
	s_wait_loadcnt 0x0
	ds_store_b32 v0, v3
	scratch_load_b32 v0, off, off offset:1780 ; 4-byte Folded Reload
	s_wait_loadcnt 0x0
	ds_store_b32 v0, v1
	s_wait_storecnt_dscnt 0x0
	s_barrier_signal -1
	s_barrier_wait -1
	global_inv scope:SCOPE_SE
	s_clause 0x3
	scratch_load_b32 v0, off, off offset:1816
	scratch_load_b32 v1, off, off offset:1820
	;; [unrolled: 1-line block ×4, first 2 shown]
	s_wait_loadcnt 0x3
	ds_load_b32 v0, v0
	s_wait_loadcnt 0x2
	ds_load_b32 v1, v1 offset:128
	s_wait_loadcnt 0x1
	ds_load_b32 v2, v2 offset:256
	s_wait_loadcnt 0x0
	ds_load_b32 v3, v3 offset:384
	s_wait_dscnt 0x3
	v_cvt_f32_f16_e32 v6, v0
	s_wait_dscnt 0x2
	v_lshrrev_b32_e32 v4, 16, v1
	v_cvt_f32_f16_e32 v1, v1
	s_wait_dscnt 0x1
	v_lshrrev_b32_e32 v5, 16, v2
	v_lshrrev_b32_e32 v0, 16, v0
	scratch_store_b32 off, v1, off offset:1040 ; 4-byte Folded Spill
	v_cvt_f32_f16_e32 v1, v2
	v_cvt_f32_f16_e32 v2, v4
	;; [unrolled: 1-line block ×3, first 2 shown]
	scratch_store_b32 off, v2, off offset:1048 ; 4-byte Folded Spill
	v_cvt_f32_f16_e32 v2, v5
	scratch_store_b32 off, v2, off offset:1052 ; 4-byte Folded Spill
	s_wait_dscnt 0x0
	v_cvt_f32_f16_e32 v2, v3
	scratch_store_b32 off, v1, off offset:1044 ; 4-byte Folded Spill
	v_lshrrev_b32_e32 v1, 16, v3
	scratch_store_b32 off, v2, off offset:488 ; 4-byte Folded Spill
	v_cvt_f32_f16_e32 v1, v1
	s_clause 0x4
	scratch_store_b32 off, v1, off offset:492
	scratch_store_b32 off, v6, off offset:480
	;; [unrolled: 1-line block ×5, first 2 shown]
.LBB152_6:                              ;   Parent Loop BB152_5 Depth=1
                                        ; =>  This Inner Loop Header: Depth=2
	s_clause 0x6
	scratch_store_b64 off, v[167:168], off offset:628
	scratch_store_b64 off, v[50:51], off offset:620
	scratch_store_b32 off, v228, off offset:616
	scratch_store_b32 off, v44, off offset:612
	;; [unrolled: 1-line block ×5, first 2 shown]
	s_clause 0x1
	scratch_load_b32 v0, off, off offset:1268
	scratch_load_b64 v[1:2], off, off offset:1764
	s_wait_alu 0xfffe
	s_lshl_b32 s7, s13, 1
	s_lshr_b32 s12, s13, 2
	s_lshl_b32 s13, s13, 2
	s_wait_alu 0xfffe
	s_addk_co_i32 s12, 0x6200
	s_and_b32 vcc_lo, exec_lo, s5
	s_mov_b32 s5, 0
	s_wait_loadcnt 0x1
	v_or_b32_e32 v0, s7, v0
	s_wait_loadcnt 0x0
	v_lshlrev_b32_e32 v1, 2, v1
	s_delay_alu instid0(VALU_DEP_2)
	v_lshlrev_b32_e32 v14, 2, v0
	v_lshrrev_b32_e32 v0, 1, v0
	ds_load_b64 v[92:93], v0 offset:27200
	scratch_load_b32 v0, off, off offset:1760 ; 4-byte Folded Reload
	s_wait_loadcnt 0x0
	v_lshlrev_b32_e32 v0, 2, v0
	s_clause 0x1
	scratch_store_b32 off, v0, off offset:1328
	scratch_store_b32 off, v1, off offset:1332
	s_wait_alu 0xfffe
	v_add3_u32 v8, s12, v0, v1
	scratch_load_b32 v0, off, off offset:1300 ; 4-byte Folded Reload
	s_wait_loadcnt 0x0
	v_add_nc_u32_e32 v6, s13, v0
	ds_load_2addr_b32 v[0:1], v6 offset1:1
	s_wait_dscnt 0x0
	v_bfe_u32 v28, v1, 8, 4
	v_bfe_u32 v30, v1, 16, 4
	v_and_b32_e32 v27, 15, v1
	v_bfe_u32 v31, v1, 24, 4
	v_bfe_u32 v229, v1, 20, 4
	;; [unrolled: 1-line block ×4, first 2 shown]
	v_lshrrev_b32_e32 v225, 28, v1
	v_mov_b32_e32 v123, v28
	ds_load_2addr_b32 v[2:3], v6 offset0:2 offset1:3
	ds_load_2addr_b32 v[4:5], v6 offset0:4 offset1:5
	;; [unrolled: 1-line block ×3, first 2 shown]
	ds_load_u16 v9, v8
	ds_load_u16 v8, v8 offset:8
	scratch_load_b32 v1, off, off offset:1304 ; 4-byte Folded Reload
	v_bfe_u32 v24, v0, 8, 4
	v_bfe_u32 v145, v0, 16, 4
	v_bfe_u32 v26, v0, 24, 4
	v_bfe_u32 v84, v0, 20, 4
	v_bfe_u32 v115, v0, 4, 4
	v_bfe_u32 v226, v0, 12, 4
	v_lshrrev_b32_e32 v253, 28, v0
	v_dual_mov_b32 v126, v30 :: v_dual_and_b32 v23, 15, v0
	v_dual_mov_b32 v122, v27 :: v_dual_mov_b32 v127, v31
	v_dual_mov_b32 v121, v26 :: v_dual_mov_b32 v118, v24
	s_delay_alu instid0(VALU_DEP_3)
	v_dual_mov_b32 v119, v23 :: v_dual_mov_b32 v146, v84
	s_wait_dscnt 0x4
	v_bfe_u32 v34, v2, 8, 4
	v_and_b32_e32 v37, 15, v3
	s_wait_dscnt 0x1
	v_lshrrev_b16 v10, 8, v9
	v_and_b32_e32 v9, 0xff, v9
	v_bfe_u32 v36, v2, 24, 4
	v_dual_mov_b32 v133, v34 :: v_dual_and_b32 v42, 15, v4
	s_delay_alu instid0(VALU_DEP_4)
	v_and_b32_e32 v0, 0xffff, v10
	scratch_store_b32 off, v9, off offset:244 ; 4-byte Folded Spill
	s_wait_dscnt 0x0
	v_cvt_f32_ubyte0_e32 v9, v8
	v_bfe_u32 v74, v6, 8, 4
	v_mov_b32_e32 v139, v36
	scratch_store_b32 off, v0, off offset:236 ; 4-byte Folded Spill
	v_cvt_f32_ubyte1_e32 v0, v8
	scratch_store_b32 off, v9, off offset:240 ; 4-byte Folded Spill
	v_mov_b32_e32 v149, v42
	v_bfe_u32 v39, v3, 16, 4
	v_bfe_u32 v81, v2, 20, 4
	scratch_store_b32 off, v0, off offset:216 ; 4-byte Folded Spill
	v_lshlrev_b32_e32 v0, 2, v158
	v_mov_b32_e32 v158, v74
	v_mov_b32_e32 v142, v39
	v_lshrrev_b32_e32 v87, 28, v2
	v_bfe_u32 v38, v3, 8, 4
	s_clause 0x1
	scratch_store_b32 off, v0, off offset:1336
	scratch_store_b32 off, v81, off
	v_and_b32_e32 v32, 15, v2
	scratch_store_b32 off, v87, off offset:4 ; 4-byte Folded Spill
	v_bfe_u32 v35, v2, 16, 4
	v_bfe_u32 v40, v3, 24, 4
	;; [unrolled: 1-line block ×5, first 2 shown]
	v_dual_mov_b32 v128, v32 :: v_dual_and_b32 v69, 15, v5
	v_bfe_u32 v70, v5, 8, 4
	v_bfe_u32 v71, v5, 16, 4
	;; [unrolled: 1-line block ×3, first 2 shown]
	v_dual_mov_b32 v134, v35 :: v_dual_and_b32 v73, 15, v6
	v_bfe_u32 v75, v6, 16, 4
	v_bfe_u32 v76, v6, 24, 4
	v_and_b32_e32 v105, 15, v7
	v_bfe_u32 v217, v7, 8, 4
	v_bfe_u32 v218, v7, 16, 4
	;; [unrolled: 1-line block ×8, first 2 shown]
	v_lshrrev_b32_e32 v242, 28, v3
	v_bfe_u32 v162, v4, 20, 4
	v_bfe_u32 v169, v4, 4, 4
	v_bfe_u32 v167, v4, 12, 4
	v_lshrrev_b32_e32 v168, 28, v4
	v_bfe_u32 v155, v5, 20, 4
	v_bfe_u32 v154, v5, 4, 4
	v_bfe_u32 v153, v5, 12, 4
	;; [unrolled: 4-line block ×4, first 2 shown]
	v_lshrrev_b32_e32 v102, 28, v7
	v_mov_b32_e32 v141, v38
	v_mov_b32_e32 v147, v43
	v_dual_mov_b32 v171, v69 :: v_dual_mov_b32 v148, v44
	v_dual_mov_b32 v150, v46 :: v_dual_mov_b32 v193, v71
	v_dual_mov_b32 v182, v70 :: v_dual_mov_b32 v143, v40
	v_mov_b32_e32 v194, v72
	v_mov_b32_e32 v110, v91
	v_dual_mov_b32 v244, v75 :: v_dual_mov_b32 v203, v73
	v_mov_b32_e32 v112, v95
	s_wait_loadcnt 0x0
	v_add3_u32 v0, s12, v0, v1
	scratch_store_b32 off, v0, off offset:660 ; 4-byte Folded Spill
	scratch_load_b32 v0, off, off offset:1308 ; 4-byte Folded Reload
	s_wait_loadcnt 0x0
	v_add_nc_u32_e32 v17, s13, v0
	ds_load_2addr_b32 v[8:9], v17 offset1:1
	s_wait_dscnt 0x0
	v_and_b32_e32 v0, 0xf0f0f0f, v8
	v_bfe_u32 v16, v8, 24, 4
	v_bfe_u32 v41, v9, 24, 4
	v_and_b32_e32 v120, 15, v8
	v_bfe_u32 v106, v8, 16, 4
	v_lshrrev_b16 v15, 8, v0
	ds_load_b128 v[10:13], v14 offset:16896
	ds_load_b128 v[47:50], v14 offset:16912
	;; [unrolled: 1-line block ×4, first 2 shown]
	v_mov_b32_e32 v223, v16
	s_clause 0x4
	scratch_store_b32 off, v41, off offset:652
	scratch_store_b32 off, v155, off offset:852
	;; [unrolled: 1-line block ×5, first 2 shown]
	v_mov_b32_e32 v230, v106
	v_bfe_u32 v201, v9, 16, 4
	v_bfe_u32 v174, v8, 20, 4
	;; [unrolled: 1-line block ×3, first 2 shown]
	v_lshrrev_b32_e32 v198, 28, v9
	v_bfe_u32 v197, v9, 20, 4
	s_clause 0x4
	scratch_store_b32 off, v177, off offset:968
	scratch_store_b32 off, v167, off offset:384
	;; [unrolled: 1-line block ×5, first 2 shown]
	s_wait_dscnt 0x3
	v_lshrrev_b16 v14, 8, v10
	v_bfe_i32 v22, v10, 0, 8
	v_ashrrev_i32_e32 v20, 24, v10
	v_bfe_i32 v21, v10, 16, 8
	v_lshrrev_b16 v18, 8, v11
	v_bfe_i32 v19, v14, 0, 8
	v_mul_i32_i24_e32 v10, v22, v23
	v_mul_i32_i24_e32 v23, v20, v26
	;; [unrolled: 1-line block ×3, first 2 shown]
	v_bfe_i32 v25, v18, 0, 8
	v_bfe_i32 v26, v11, 0, 8
	v_mad_i32_i24 v10, v19, v24, v10
	v_bfe_i32 v24, v11, 16, 8
	v_lshrrev_b16 v29, 8, v12
	v_lshrrev_b16 v33, 8, v13
	s_wait_dscnt 0x2
	v_lshrrev_b16 v45, 8, v49
	v_add3_u32 v10, v10, v14, v23
	v_and_b32_e32 v14, 0xffff, v15
	v_ashrrev_i32_e32 v23, 24, v11
	v_mul_i32_i24_e32 v11, v26, v27
	v_mul_i32_i24_e32 v15, v25, v28
	;; [unrolled: 1-line block ×3, first 2 shown]
	scratch_store_b32 off, v14, off offset:844 ; 4-byte Folded Spill
	v_mul_i32_i24_e32 v51, v14, v19
	v_and_b32_e32 v14, 0xf0f0f0f, v9
	v_add3_u32 v10, v10, v15, v11
	v_and_b32_e32 v15, 15, v9
	v_mul_i32_i24_e32 v27, v23, v31
	v_bfe_i32 v29, v29, 0, 8
	v_lshrrev_b16 v14, 8, v14
	v_bfe_i32 v30, v12, 0, 8
	v_mul_i32_i24_e32 v52, v15, v26
	v_mov_b32_e32 v215, v15
	v_add3_u32 v10, v10, v18, v27
	v_and_b32_e32 v14, 0xffff, v14
	v_ashrrev_i32_e32 v27, 24, v12
	v_bfe_i32 v28, v12, 16, 8
	v_mul_i32_i24_e32 v12, v30, v32
	v_mul_i32_i24_e32 v18, v29, v34
	;; [unrolled: 1-line block ×3, first 2 shown]
	v_mov_b32_e32 v222, v14
	ds_load_2addr_b32 v[14:15], v17 offset0:2 offset1:3
	v_mul_i32_i24_e32 v55, v41, v23
	v_mul_i32_i24_e32 v31, v28, v35
	v_mul_i32_i24_e32 v32, v27, v36
	v_add3_u32 v10, v10, v18, v12
	v_bfe_i32 v33, v33, 0, 8
	v_bfe_i32 v34, v13, 0, 8
	v_mov_b32_e32 v140, v37
	v_bfe_i32 v45, v45, 0, 8
	v_add3_u32 v10, v10, v31, v32
	v_ashrrev_i32_e32 v31, 24, v13
	v_bfe_i32 v32, v13, 16, 8
	v_mul_i32_i24_e32 v13, v33, v38
	v_bfe_i32 v38, v47, 0, 8
	v_lshrrev_b16 v64, 8, v50
	v_mul_i32_i24_e32 v35, v31, v40
	v_mul_i32_i24_e32 v54, v201, v24
	v_mad_i32_i24 v55, v16, v20, v55
	v_mad_i32_i24 v52, v120, v22, v52
	s_wait_dscnt 0x1
	v_bfe_i32 v80, v0, 0, 8
	s_wait_dscnt 0x0
	v_and_b32_e32 v11, 0xf0f0f0f, v14
	v_bfe_u32 v41, v14, 24, 4
	v_bfe_u32 v12, v14, 16, 4
	v_and_b32_e32 v18, 15, v14
	v_bfe_u32 v36, v15, 24, 4
	v_lshrrev_b16 v11, 8, v11
	v_mul_i32_i24_e32 v59, v41, v27
	v_mul_i32_i24_e32 v58, v12, v28
	v_mov_b32_e32 v190, v12
	scratch_store_b32 off, v41, off offset:436 ; 4-byte Folded Spill
	v_and_b32_e32 v11, 0xffff, v11
	v_mul_i32_i24_e32 v12, v34, v37
	s_clause 0x1
	scratch_store_b32 off, v18, off offset:876
	scratch_store_b32 off, v36, off offset:880
	v_mul_i32_i24_e32 v56, v18, v30
	s_clause 0x1
	scratch_store_b32 off, v11, off offset:444
	scratch_store_b32 off, v190, off offset:440
	v_mul_i32_i24_e32 v57, v11, v29
	v_and_b32_e32 v11, 0xf0f0f0f, v15
	v_mul_i32_i24_e32 v18, v32, v39
	v_add3_u32 v10, v10, v13, v12
	v_mul_i32_i24_e32 v63, v36, v31
	v_bfe_i32 v36, v47, 16, 8
	v_lshrrev_b16 v11, 8, v11
	v_lshrrev_b16 v41, 8, v48
	v_add3_u32 v12, v10, v18, v35
	v_bfe_u32 v10, v15, 16, 4
	v_lshrrev_b16 v18, 8, v47
	v_and_b32_e32 v11, 0xffff, v11
	v_ashrrev_i32_e32 v35, 24, v47
	v_mul_i32_i24_e32 v40, v36, v44
	scratch_store_b32 off, v10, off offset:224 ; 4-byte Folded Spill
	v_mul_i32_i24_e32 v62, v10, v32
	v_mul_i32_i24_e32 v61, v11, v33
	v_mov_b32_e32 v216, v11
	ds_load_2addr_b32 v[10:11], v17 offset0:4 offset1:5
	v_bfe_i32 v37, v18, 0, 8
	v_mul_i32_i24_e32 v18, v38, v42
	v_mul_i32_i24_e32 v42, v35, v46
	v_bfe_i32 v41, v41, 0, 8
	v_and_b32_e32 v13, 15, v15
	v_mul_i32_i24_e32 v39, v37, v43
	v_bfe_u32 v187, v15, 20, 4
	v_mad_i32_i24 v54, v106, v21, v54
	v_mul_i32_i24_e32 v43, v41, v70
	s_clause 0x1
	scratch_store_b32 off, v13, off offset:72
	scratch_store_b32 off, v216, off offset:76
	v_add3_u32 v12, v12, v39, v18
	v_mul_i32_i24_e32 v60, v13, v34
	v_add3_u32 v51, v51, v53, v57
	v_add3_u32 v53, v54, v58, v62
	;; [unrolled: 1-line block ×4, first 2 shown]
	v_bfe_i32 v42, v48, 0, 8
	v_bfe_i32 v40, v48, 16, 8
	s_wait_dscnt 0x0
	v_bfe_u32 v18, v10, 16, 4
	v_and_b32_e32 v39, 15, v10
	v_bfe_u32 v47, v11, 24, 4
	v_bfe_u32 v68, v10, 24, 4
	v_mul_i32_i24_e32 v44, v40, v71
	v_mul_i32_i24_e32 v67, v18, v36
	v_mov_b32_e32 v231, v18
	v_mul_i32_i24_e32 v18, v42, v69
	v_mul_i32_i24_e32 v65, v39, v38
	v_mov_b32_e32 v232, v39
	v_ashrrev_i32_e32 v39, 24, v48
	v_mul_i32_i24_e32 v48, v45, v74
	v_add3_u32 v12, v12, v43, v18
	v_and_b32_e32 v43, 15, v11
	v_and_b32_e32 v13, 0xf0f0f0f, v10
	v_mul_i32_i24_e32 v46, v39, v72
	v_mul_i32_i24_e32 v72, v47, v39
	v_add3_u32 v52, v52, v56, v60
	v_mov_b32_e32 v234, v43
	v_lshrrev_b16 v13, 8, v13
	v_add3_u32 v18, v12, v44, v46
	v_bfe_u32 v12, v11, 16, 4
	v_mul_i32_i24_e32 v69, v43, v42
	v_ashrrev_i32_e32 v43, 24, v49
	v_and_b32_e32 v13, 0xffff, v13
	v_bfe_i32 v44, v49, 16, 8
	v_mul_i32_i24_e32 v71, v12, v40
	v_mov_b32_e32 v233, v12
	v_bfe_i32 v46, v49, 0, 8
	scratch_store_b32 off, v13, off offset:868 ; 4-byte Folded Spill
	v_mul_i32_i24_e32 v66, v13, v37
	v_and_b32_e32 v13, 0xf0f0f0f, v11
	v_mul_i32_i24_e32 v49, v44, v75
	v_add3_u32 v52, v52, v65, v69
	v_add3_u32 v53, v53, v67, v71
	;; [unrolled: 1-line block ×3, first 2 shown]
	v_lshrrev_b16 v13, 8, v13
	v_lshrrev_b16 v57, 8, v5
	;; [unrolled: 1-line block ×3, first 2 shown]
	v_lshrrev_b32_e32 v196, 28, v14
	v_bfe_u32 v195, v14, 20, 4
	v_and_b32_e32 v13, 0xffff, v13
	v_bfe_i32 v57, v57, 0, 8
	v_bfe_i32 v60, v60, 0, 8
	v_bfe_u32 v192, v14, 4, 4
	v_lshrrev_b16 v62, 8, v7
	s_clause 0x1
	scratch_store_b32 off, v13, off offset:896
	scratch_store_b32 off, v187, off offset:900
	v_mul_i32_i24_e32 v70, v13, v41
	ds_load_2addr_b32 v[12:13], v17 offset0:6 offset1:7
	v_mov_b32_e32 v245, v76
	v_mul_i32_i24_e32 v61, v57, v227
	v_mul_i32_i24_e32 v67, v60, v160
	v_bfe_i32 v62, v62, 0, 8
	v_bfe_i32 v85, v1, 0, 8
	;; [unrolled: 1-line block ×4, first 2 shown]
	v_bfe_u32 v184, v10, 20, 4
	v_bfe_u32 v186, v10, 4, 4
	v_lshrrev_b32_e32 v191, 28, v15
	v_bfe_u32 v189, v15, 4, 4
	v_mul_i32_i24_e32 v94, v89, v95
	v_bfe_u32 v179, v11, 20, 4
	v_lshrrev_b32_e32 v183, 28, v10
	v_lshrrev_b32_e32 v178, 28, v11
	v_bfe_u32 v181, v11, 4, 4
	v_bfe_i32 v99, v3, 0, 8
	v_ashrrev_i32_e32 v97, 24, v3
	s_clause 0x2
	scratch_store_b32 off, v192, off offset:944
	scratch_store_b32 off, v195, off offset:936
	;; [unrolled: 1-line block ×3, first 2 shown]
	s_wait_dscnt 0x0
	v_bfe_u32 v103, v12, 24, 4
	v_and_b32_e32 v17, 0xf0f0f0f, v12
	s_clause 0x4
	scratch_store_b32 off, v184, off offset:912
	scratch_store_b32 off, v197, off offset:924
	;; [unrolled: 1-line block ×5, first 2 shown]
	v_mul_i32_i24_e32 v75, v103, v43
	v_bfe_u32 v103, v13, 24, 4
	scratch_store_b32 off, v47, off offset:1028 ; 4-byte Folded Spill
	v_mul_i32_i24_e32 v47, v46, v73
	v_lshrrev_b16 v17, 8, v17
	v_mul_i32_i24_e32 v73, v43, v76
	scratch_store_b32 off, v103, off offset:1032 ; 4-byte Folded Spill
	v_mov_b32_e32 v108, v105
	v_add3_u32 v18, v18, v48, v47
	v_bfe_u32 v47, v12, 16, 4
	v_and_b32_e32 v48, 0xffff, v17
	v_lshrrev_b32_e32 v175, 28, v12
	v_bfe_u32 v173, v12, 4, 4
	v_add3_u32 v18, v18, v49, v73
	v_and_b32_e32 v49, 15, v12
	v_mul_i32_i24_e32 v74, v47, v44
	v_mov_b32_e32 v235, v47
	v_and_b32_e32 v47, 0xf0f0f0f, v13
	scratch_store_b32 off, v48, off offset:168 ; 4-byte Folded Spill
	v_mul_i32_i24_e32 v17, v49, v46
	v_mov_b32_e32 v236, v49
	v_mul_i32_i24_e32 v73, v48, v45
	v_lshrrev_b16 v76, 8, v47
	v_ashrrev_i32_e32 v47, 24, v50
	v_bfe_i32 v48, v50, 16, 8
	v_bfe_i32 v49, v64, 0, 8
	;; [unrolled: 1-line block ×3, first 2 shown]
	s_clause 0x2
	scratch_store_b32 off, v234, off offset:144
	scratch_store_b32 off, v68, off offset:152
	;; [unrolled: 1-line block ×3, first 2 shown]
	v_mul_i32_i24_e32 v77, v49, v217
	v_mul_i32_i24_e32 v64, v50, v105
	;; [unrolled: 1-line block ×5, first 2 shown]
	v_and_b32_e32 v76, 0xffff, v76
	v_add3_u32 v18, v18, v77, v64
	v_bfe_u32 v77, v13, 16, 4
	v_add3_u32 v51, v51, v70, v73
	v_add3_u32 v54, v54, v68, v72
	v_mul_i32_i24_e32 v72, v62, v177
	v_add3_u32 v18, v18, v78, v79
	v_mul_i32_i24_e32 v78, v103, v47
	s_clause 0x1
	scratch_store_b32 off, v77, off offset:884
	scratch_store_b32 off, v233, off offset:872
	v_mul_i32_i24_e32 v77, v77, v48
	scratch_store_b32 off, v18, off offset:1104 ; 4-byte Folded Spill
	v_and_b32_e32 v18, 15, v13
	scratch_store_b32 off, v76, off offset:888 ; 4-byte Folded Spill
	v_mul_i32_i24_e32 v76, v76, v49
	v_add3_u32 v53, v53, v74, v77
	v_bfe_i32 v79, v0, 16, 8
	v_mul_i32_i24_e32 v64, v18, v50
	scratch_store_b32 off, v18, off offset:892 ; 4-byte Folded Spill
	v_mov_b32_e32 v202, v203
	v_lshrrev_b16 v77, 8, v3
	v_mul_i32_i24_e32 v82, v79, v162
	v_add3_u32 v17, v52, v17, v64
	v_add3_u32 v52, v54, v75, v78
	v_bfe_i32 v54, v4, 0, 8
	v_lshrrev_b16 v75, 8, v1
	v_ashrrev_i32_e32 v78, 24, v0
	v_bfe_i32 v77, v77, 0, 8
	v_add3_u32 v51, v51, v76, v52
	v_ashrrev_i32_e32 v52, 24, v4
	v_bfe_i32 v75, v75, 0, 8
	v_mul_i32_i24_e32 v83, v78, v168
	v_lshrrev_b16 v76, 8, v2
	v_add3_u32 v16, v17, v53, v51
	v_lshrrev_b32_e32 v51, 4, v8
	v_bfe_i32 v53, v4, 16, 8
	v_mul_i32_i24_e32 v58, v52, v253
	v_mul_i32_i24_e32 v86, v75, v153
	scratch_store_b32 off, v16, off offset:1056 ; 4-byte Folded Spill
	v_lshrrev_b16 v51, 8, v51
	v_lshrrev_b32_e32 v16, 28, v8
	v_mul_i32_i24_e32 v56, v53, v84
	v_bfe_i32 v84, v1, 16, 8
	v_bfe_i32 v76, v76, 0, 8
	v_and_b32_e32 v55, 15, v51
	v_lshrrev_b16 v51, 8, v4
	v_mul_i32_i24_e32 v4, v54, v115
	v_lshrrev_b32_e32 v166, 28, v13
	v_mul_i32_i24_e32 v100, v77, v114
	v_and_b32_e32 v8, 0xffff, v55
	v_bfe_i32 v51, v51, 0, 8
	v_lshrrev_b32_e32 v55, 4, v9
	v_bfe_u32 v165, v13, 4, 4
	v_mov_b32_e32 v203, v158
	scratch_store_b32 off, v8, off offset:920 ; 4-byte Folded Spill
	v_mad_i32_i24 v4, v51, v226, v4
	v_lshrrev_b16 v55, 8, v55
	v_mul_i32_i24_e32 v8, v8, v51
	v_bfe_u32 v170, v12, 20, 4
	v_bfe_u32 v163, v13, 20, 4
	v_add3_u32 v4, v4, v56, v58
	v_bfe_i32 v58, v5, 0, 8
	v_and_b32_e32 v59, 15, v55
	v_ashrrev_i32_e32 v55, 24, v5
	v_bfe_i32 v56, v5, 16, 8
	v_mov_b32_e32 v243, v16
	v_mul_i32_i24_e32 v5, v58, v224
	v_and_b32_e32 v200, 0xffff, v59
	v_mul_i32_i24_e32 v64, v55, v225
	v_mul_i32_i24_e32 v63, v56, v229
	v_bfe_i32 v59, v6, 16, 8
	v_add3_u32 v4, v4, v5, v61
	v_bfe_u32 v5, v9, 4, 4
	v_lshrrev_b32_e32 v9, 4, v14
	v_lshrrev_b32_e32 v14, 4, v15
	v_mul_i32_i24_e32 v68, v59, v81
	v_add3_u32 v4, v4, v63, v64
	scratch_store_b32 off, v5, off offset:928 ; 4-byte Folded Spill
	v_lshrrev_b16 v9, 8, v9
	v_lshrrev_b16 v14, 8, v14
	v_mov_b32_e32 v157, v115
	v_mul_i32_i24_e32 v5, v5, v58
	v_mul_i32_i24_e32 v65, v198, v55
	v_and_b32_e32 v61, 15, v9
	v_ashrrev_i32_e32 v9, 24, v6
	v_bfe_i32 v6, v6, 0, 8
	v_dual_mov_b32 v237, v120 :: v_dual_and_b32 v70, 15, v14
	s_delay_alu instid0(VALU_DEP_4) | instskip(NEXT) | instid1(VALU_DEP_4)
	v_and_b32_e32 v18, 0xffff, v61
	v_mul_i32_i24_e32 v69, v9, v87
	s_delay_alu instid0(VALU_DEP_4)
	v_mul_i32_i24_e32 v66, v6, v98
	v_ashrrev_i32_e32 v14, 24, v7
	v_bfe_i32 v61, v7, 16, 8
	v_bfe_i32 v7, v7, 0, 8
	v_mul_i32_i24_e32 v87, v84, v155
	v_add3_u32 v4, v4, v66, v67
	v_mul_i32_i24_e32 v74, v14, v242
	v_mul_i32_i24_e32 v73, v61, v176
	;; [unrolled: 1-line block ×4, first 2 shown]
	v_add3_u32 v4, v4, v68, v69
	v_mul_i32_i24_e32 v64, v197, v56
	v_dual_mov_b32 v159, v98 :: v_dual_and_b32 v188, 0xffff, v70
	v_mul_i32_i24_e32 v66, v192, v6
	s_delay_alu instid0(VALU_DEP_4)
	v_add3_u32 v4, v4, v71, v72
	v_mul_i32_i24_e32 v67, v18, v60
	v_mul_i32_i24_e32 v69, v196, v9
	;; [unrolled: 1-line block ×4, first 2 shown]
	v_add3_u32 v4, v4, v73, v74
	v_lshrrev_b16 v74, 8, v0
	v_mul_i32_i24_e32 v0, v80, v169
	v_lshrrev_b32_e32 v73, 4, v10
	v_mad_i32_i24 v65, v16, v52, v65
	v_mad_i32_i24 v5, v152, v54, v5
	v_bfe_i32 v74, v74, 0, 8
	scratch_store_b32 off, v18, off offset:940 ; 4-byte Folded Spill
	v_lshrrev_b16 v73, 8, v73
	v_mul_i32_i24_e32 v68, v195, v59
	v_mul_i32_i24_e32 v70, v188, v62
	;; [unrolled: 1-line block ×4, first 2 shown]
	v_dual_mov_b32 v18, v96 :: v_dual_and_b32 v73, 15, v73
	v_bfe_i32 v98, v3, 16, 8
	s_delay_alu instid0(VALU_DEP_4) | instskip(SKIP_1) | instid1(VALU_DEP_4)
	v_add3_u32 v0, v4, v0, v81
	v_mul_i32_i24_e32 v4, v186, v80
	v_and_b32_e32 v185, 0xffff, v73
	scratch_store_b32 off, v186, off offset:904 ; 4-byte Folded Spill
	v_mul_i32_i24_e32 v81, v183, v78
	v_add3_u32 v0, v0, v82, v83
	v_ashrrev_i32_e32 v83, 24, v1
	v_mul_i32_i24_e32 v1, v85, v154
	v_lshrrev_b32_e32 v82, 4, v11
	scratch_store_b32 off, v185, off offset:908 ; 4-byte Folded Spill
	v_mul_i32_i24_e32 v10, v185, v74
	v_mul_i32_i24_e32 v88, v83, v91
	v_add3_u32 v0, v0, v1, v86
	v_mul_i32_i24_e32 v91, v76, v109
	v_lshrrev_b32_e32 v1, 4, v12
	v_lshrrev_b16 v82, 8, v82
	v_mul_i32_i24_e32 v11, v181, v85
	v_add3_u32 v0, v0, v87, v88
	v_ashrrev_i32_e32 v88, 24, v2
	v_mul_i32_i24_e32 v2, v90, v130
	v_lshrrev_b16 v1, 8, v1
	v_and_b32_e32 v82, 15, v82
	v_mul_i32_i24_e32 v87, v178, v83
	v_mul_i32_i24_e32 v95, v88, v96
	v_add3_u32 v0, v0, v2, v91
	v_dual_mov_b32 v158, v157 :: v_dual_and_b32 v1, 15, v1
	v_mul_i32_i24_e32 v3, v99, v113
	v_mad_i32_i24 v64, v174, v53, v64
	s_delay_alu instid0(VALU_DEP_4) | instskip(SKIP_4) | instid1(VALU_DEP_4)
	v_add3_u32 v2, v0, v94, v95
	v_lshrrev_b32_e32 v0, 4, v13
	v_dual_mov_b32 v1, v102 :: v_dual_and_b32 v172, 0xffff, v1
	v_and_b32_e32 v180, 0xffff, v82
	v_add3_u32 v8, v8, v63, v67
	v_lshrrev_b16 v0, 8, v0
	v_add3_u32 v5, v5, v66, v15
	v_add3_u32 v15, v65, v69, v72
	v_mul_i32_i24_e32 v73, v184, v79
	v_mul_i32_i24_e32 v82, v180, v75
	v_and_b32_e32 v96, 15, v0
	v_mul_i32_i24_e32 v86, v179, v84
	v_mul_i32_i24_e32 v12, v173, v90
	;; [unrolled: 1-line block ×4, first 2 shown]
	v_add3_u32 v2, v2, v3, v100
	v_and_b32_e32 v164, 0xffff, v96
	v_mul_i32_i24_e32 v3, v165, v99
	v_mul_i32_i24_e32 v100, v166, v97
	v_add3_u32 v63, v64, v68, v71
	v_add3_u32 v8, v8, v70, v10
	;; [unrolled: 1-line block ×4, first 2 shown]
	v_mul_i32_i24_e32 v94, v170, v89
	v_mul_i32_i24_e32 v13, v164, v77
	;; [unrolled: 1-line block ×3, first 2 shown]
	v_add3_u32 v5, v63, v73, v86
	v_add3_u32 v8, v8, v82, v91
	;; [unrolled: 1-line block ×4, first 2 shown]
	v_mov_b32_e32 v157, v146
	v_add3_u32 v5, v5, v94, v96
	v_mov_b32_e32 v146, v226
	v_mov_b32_e32 v226, v224
	v_add3_u32 v4, v8, v13, v4
	v_mov_b32_e32 v224, v229
	v_mov_b32_e32 v0, v101
	s_clause 0x3
	scratch_store_b32 off, v215, off offset:432
	scratch_store_b32 off, v222, off offset:428
	;; [unrolled: 1-line block ×4, first 2 shown]
	v_add3_u32 v3, v3, v5, v4
	scratch_load_b32 v4, off, off offset:1312 ; 4-byte Folded Reload
	s_clause 0x4
	scratch_store_b32 off, v235, off offset:1112
	scratch_store_b32 off, v198, off offset:1220
	;; [unrolled: 1-line block ×5, first 2 shown]
	scratch_load_b32 v3, off, off offset:1772 ; 4-byte Folded Reload
	s_clause 0x10
	scratch_store_b32 off, v189, off offset:948
	scratch_store_b32 off, v176, off offset:960
	;; [unrolled: 1-line block ×17, first 2 shown]
	v_mul_i32_i24_e32 v238, v98, v101
	v_mul_i32_i24_e32 v239, v97, v102
	v_mov_b32_e32 v229, v159
	s_clause 0x5
	scratch_store_b32 off, v237, off offset:820
	scratch_store_b32 off, v169, off offset:828
	;; [unrolled: 1-line block ×6, first 2 shown]
	s_wait_loadcnt 0x0
	v_lshlrev_b32_e32 v3, 2, v3
	scratch_store_b32 off, v3, off offset:1340 ; 4-byte Folded Spill
	v_add3_u32 v3, s12, v3, v4
	scratch_load_b32 v4, off, off offset:1316 ; 4-byte Folded Reload
	s_wait_loadcnt 0x0
	v_add_nc_u32_e32 v4, s13, v4
	ds_load_2addr_b32 v[10:11], v4 offset1:1
	s_wait_dscnt 0x0
	v_and_b32_e32 v5, 15, v10
	v_bfe_u32 v12, v10, 16, 4
	v_bfe_u32 v13, v10, 24, 4
	;; [unrolled: 1-line block ×3, first 2 shown]
	v_lshrrev_b32_e32 v209, 28, v11
	scratch_store_b32 off, v5, off offset:988 ; 4-byte Folded Spill
	v_mul_i32_i24_e32 v8, v22, v5
	v_bfe_u32 v5, v10, 8, 4
	s_clause 0x5
	scratch_store_b32 off, v12, off offset:1004
	scratch_store_b32 off, v200, off offset:1016
	scratch_store_b32 off, v174, off offset:1012
	scratch_store_b32 off, v13, off offset:1008
	scratch_store_b32 off, v5, off offset:1000
	scratch_store_b32 off, v231, off offset:1024
	v_mul_i32_i24_e32 v12, v21, v12
	v_mul_i32_i24_e32 v13, v20, v13
	v_mad_i32_i24 v8, v19, v5, v8
	v_and_b32_e32 v5, 15, v11
	s_delay_alu instid0(VALU_DEP_2) | instskip(SKIP_3) | instid1(VALU_DEP_1)
	v_add3_u32 v8, v8, v12, v13
	scratch_store_b32 off, v5, off offset:164 ; 4-byte Folded Spill
	v_mul_i32_i24_e32 v12, v26, v5
	v_bfe_u32 v5, v11, 8, 4
	v_mul_i32_i24_e32 v13, v25, v5
	scratch_store_b32 off, v5, off offset:156 ; 4-byte Folded Spill
	v_bfe_u32 v5, v11, 16, 4
	v_add3_u32 v8, v8, v13, v12
	ds_load_2addr_b32 v[12:13], v4 offset0:2 offset1:3
	scratch_store_b32 off, v5, off offset:180 ; 4-byte Folded Spill
	v_mul_i32_i24_e32 v15, v24, v5
	v_bfe_u32 v5, v11, 24, 4
	s_delay_alu instid0(VALU_DEP_1) | instskip(NEXT) | instid1(VALU_DEP_1)
	v_mul_i32_i24_e32 v63, v23, v5
	v_add3_u32 v8, v8, v15, v63
	s_wait_dscnt 0x0
	v_lshrrev_b32_e32 v213, 28, v12
	scratch_store_b32 off, v5, off offset:1260 ; 4-byte Folded Spill
	v_and_b32_e32 v5, 15, v12
	v_bfe_u32 v210, v12, 4, 4
	v_bfe_u32 v211, v12, 12, 4
	;; [unrolled: 1-line block ×4, first 2 shown]
	scratch_store_b32 off, v5, off offset:992 ; 4-byte Folded Spill
	v_mul_i32_i24_e32 v15, v30, v5
	v_bfe_u32 v5, v12, 8, 4
	v_mul_i32_i24_e32 v69, v60, v211
	v_bfe_u32 v138, v13, 20, 4
	v_mul_i32_i24_e32 v71, v7, v214
	v_mul_i32_i24_e32 v72, v62, v137
	scratch_store_b32 off, v5, off offset:212 ; 4-byte Folded Spill
	v_mul_i32_i24_e32 v63, v29, v5
	v_bfe_u32 v5, v12, 16, 4
	v_lshrrev_b32_e32 v136, 28, v13
	v_mul_i32_i24_e32 v73, v61, v138
	s_delay_alu instid0(VALU_DEP_4)
	v_add3_u32 v8, v8, v63, v15
	scratch_store_b32 off, v5, off offset:172 ; 4-byte Folded Spill
	v_mul_i32_i24_e32 v64, v28, v5
	v_bfe_u32 v5, v12, 24, 4
	scratch_store_b32 off, v5, off offset:984 ; 4-byte Folded Spill
	v_mul_i32_i24_e32 v65, v27, v5
	v_and_b32_e32 v5, 15, v13
	s_delay_alu instid0(VALU_DEP_2)
	v_add3_u32 v8, v8, v64, v65
	scratch_store_b32 off, v5, off offset:160 ; 4-byte Folded Spill
	v_mul_i32_i24_e32 v15, v34, v5
	v_bfe_u32 v5, v13, 8, 4
	scratch_store_b32 off, v5, off offset:232 ; 4-byte Folded Spill
	v_mul_i32_i24_e32 v63, v33, v5
	v_bfe_u32 v5, v13, 16, 4
	s_delay_alu instid0(VALU_DEP_2) | instskip(SKIP_4) | instid1(VALU_DEP_2)
	v_add3_u32 v8, v8, v63, v15
	scratch_store_b32 off, v5, off offset:996 ; 4-byte Folded Spill
	v_mul_i32_i24_e32 v64, v32, v5
	v_bfe_u32 v5, v13, 24, 4
	v_mul_i32_i24_e32 v13, v14, v136
	v_mul_i32_i24_e32 v65, v31, v5
	scratch_store_b32 off, v5, off offset:176 ; 4-byte Folded Spill
	v_add3_u32 v8, v8, v64, v65
	ds_load_2addr_b32 v[63:64], v4 offset0:4 offset1:5
	s_wait_dscnt 0x0
	v_and_b32_e32 v5, 15, v63
	v_bfe_u32 v135, v63, 4, 4
	v_bfe_u32 v132, v63, 12, 4
	;; [unrolled: 1-line block ×3, first 2 shown]
	v_lshrrev_b32_e32 v129, 28, v63
	scratch_store_b32 off, v5, off offset:8 ; 4-byte Folded Spill
	v_mul_i32_i24_e32 v15, v38, v5
	v_bfe_u32 v5, v63, 8, 4
	v_mul_i32_i24_e32 v81, v80, v135
	v_mul_i32_i24_e32 v82, v74, v132
	;; [unrolled: 1-line block ×3, first 2 shown]
	v_bfe_u32 v125, v64, 4, 4
	scratch_store_b32 off, v5, off offset:12 ; 4-byte Folded Spill
	v_mul_i32_i24_e32 v65, v37, v5
	v_bfe_u32 v5, v63, 16, 4
	v_bfe_u32 v120, v64, 12, 4
	;; [unrolled: 1-line block ×3, first 2 shown]
	v_mul_i32_i24_e32 v87, v85, v125
	v_add3_u32 v8, v8, v65, v15
	scratch_store_b32 off, v5, off offset:16 ; 4-byte Folded Spill
	v_mul_i32_i24_e32 v66, v36, v5
	v_bfe_u32 v5, v63, 24, 4
	v_mul_i32_i24_e32 v63, v78, v129
	v_mul_i32_i24_e32 v91, v75, v120
	v_lshrrev_b32_e32 v117, 28, v64
	v_mul_i32_i24_e32 v94, v84, v124
	scratch_store_b32 off, v5, off offset:20 ; 4-byte Folded Spill
	v_mul_i32_i24_e32 v67, v35, v5
	v_and_b32_e32 v5, 15, v64
	s_delay_alu instid0(VALU_DEP_2)
	v_add3_u32 v8, v8, v66, v67
	scratch_store_b32 off, v5, off offset:24 ; 4-byte Folded Spill
	v_mul_i32_i24_e32 v15, v42, v5
	v_bfe_u32 v5, v64, 8, 4
	scratch_store_b32 off, v5, off offset:28 ; 4-byte Folded Spill
	v_mul_i32_i24_e32 v65, v41, v5
	v_bfe_u32 v5, v64, 16, 4
	s_delay_alu instid0(VALU_DEP_2) | instskip(SKIP_4) | instid1(VALU_DEP_2)
	v_add3_u32 v8, v8, v65, v15
	scratch_store_b32 off, v5, off offset:32 ; 4-byte Folded Spill
	v_mul_i32_i24_e32 v66, v40, v5
	v_bfe_u32 v5, v64, 24, 4
	v_mul_i32_i24_e32 v64, v83, v117
	v_mul_i32_i24_e32 v67, v39, v5
	s_delay_alu instid0(VALU_DEP_1)
	v_add3_u32 v8, v8, v66, v67
	ds_load_2addr_b32 v[65:66], v4 offset0:6 offset1:7
	s_wait_dscnt 0x0
	v_and_b32_e32 v4, 15, v65
	scratch_store_b32 off, v5, off offset:36 ; 4-byte Folded Spill
	v_bfe_u32 v5, v65, 8, 4
	v_bfe_u32 v208, v65, 24, 4
	v_and_b32_e32 v207, 15, v66
	scratch_store_b32 off, v4, off offset:40 ; 4-byte Folded Spill
	v_mul_i32_i24_e32 v4, v46, v4
	scratch_store_b32 off, v5, off offset:44 ; 4-byte Folded Spill
	v_mul_i32_i24_e32 v15, v45, v5
	v_bfe_u32 v5, v65, 16, 4
	v_mul_i32_i24_e32 v68, v43, v208
	v_bfe_u32 v206, v66, 8, 4
	v_bfe_u32 v205, v66, 16, 4
	v_add3_u32 v4, v8, v15, v4
	v_mul_i32_i24_e32 v67, v44, v5
	v_mul_i32_i24_e32 v8, v50, v207
	;; [unrolled: 1-line block ×3, first 2 shown]
	v_bfe_u32 v204, v66, 24, 4
	scratch_store_b32 off, v5, off offset:48 ; 4-byte Folded Spill
	v_add3_u32 v4, v4, v67, v68
	v_mul_i32_i24_e32 v67, v48, v205
	v_bfe_u32 v115, v65, 20, 4
	v_mul_i32_i24_e32 v68, v47, v204
	scratch_store_b32 off, v232, off offset:816 ; 4-byte Folded Spill
	v_add3_u32 v4, v4, v15, v8
	v_bfe_u32 v8, v66, 12, 4
	s_clause 0x2
	scratch_store_b32 off, v175, off offset:1208
	scratch_store_b32 off, v165, off offset:1204
	;; [unrolled: 1-line block ×3, first 2 shown]
	v_add3_u32 v4, v4, v67, v68
	v_bfe_u32 v5, v10, 12, 4
	v_mul_i32_i24_e32 v67, v56, v212
	v_mul_i32_i24_e32 v68, v6, v210
	v_bfe_u32 v116, v65, 4, 4
	scratch_store_b32 off, v4, off offset:1348 ; 4-byte Folded Spill
	ds_load_u16 v15, v3
	ds_load_u16 v3, v3 offset:8
	v_bfe_u32 v4, v10, 20, 4
	scratch_store_b32 off, v5, off offset:184 ; 4-byte Folded Spill
	v_bfe_u32 v111, v65, 12, 4
	v_mul_i32_i24_e32 v95, v90, v116
	v_lshrrev_b32_e32 v144, 28, v65
	scratch_store_b32 off, v4, off offset:192 ; 4-byte Folded Spill
	v_mul_i32_i24_e32 v100, v89, v115
	v_mul_i32_i24_e32 v96, v76, v111
	v_bfe_u32 v17, v66, 4, 4
	v_mul_i32_i24_e32 v65, v88, v144
	v_mul_i32_i24_e32 v102, v77, v8
	s_clause 0x7
	scratch_store_b32 off, v137, off offset:780
	scratch_store_b32 off, v138, off offset:776
	;; [unrolled: 1-line block ×8, first 2 shown]
	s_wait_dscnt 0x0
	scratch_store_b32 off, v3, off offset:1060 ; 4-byte Folded Spill
	v_lshrrev_b16 v3, 8, v15
	v_and_b32_e32 v151, 0xff, v15
	v_mul_i32_i24_e32 v15, v53, v4
	v_lshrrev_b32_e32 v4, 28, v10
	v_mul_i32_i24_e32 v101, v99, v17
	scratch_store_b32 off, v3, off offset:1068 ; 4-byte Folded Spill
	v_bfe_u32 v3, v10, 4, 4
	scratch_store_b32 off, v151, off offset:864 ; 4-byte Folded Spill
	v_mul_i32_i24_e32 v10, v52, v4
	scratch_store_b32 off, v4, off offset:196 ; 4-byte Folded Spill
	v_bfe_u32 v4, v12, 20, 4
	scratch_store_b32 off, v3, off offset:188 ; 4-byte Folded Spill
	v_mul_i32_i24_e32 v3, v54, v3
	v_mul_i32_i24_e32 v12, v9, v213
	s_clause 0x1
	scratch_store_b32 off, v120, off offset:1656
	scratch_store_b32 off, v116, off offset:1660
	v_mul_i32_i24_e32 v70, v59, v4
	v_mad_i32_i24 v3, v51, v5, v3
	v_bfe_u32 v5, v11, 4, 4
	s_clause 0x2
	scratch_store_b32 off, v4, off offset:772
	scratch_store_b32 off, v117, off offset:752
	;; [unrolled: 1-line block ×3, first 2 shown]
	v_add3_u32 v3, v3, v15, v10
	scratch_store_b32 off, v5, off offset:380 ; 4-byte Folded Spill
	v_mul_i32_i24_e32 v10, v58, v5
	v_bfe_u32 v5, v11, 12, 4
	v_mul_i32_i24_e32 v11, v55, v209
	v_bfe_u32 v4, v66, 20, 4
	s_clause 0x1
	scratch_store_b32 off, v124, off offset:808
	scratch_store_b32 off, v115, off offset:812
	v_mul_i32_i24_e32 v15, v57, v5
	scratch_store_b32 off, v5, off offset:1036 ; 4-byte Folded Spill
	v_mul_i32_i24_e32 v5, v98, v4
	s_clause 0x1
	scratch_store_b32 off, v111, off offset:1192
	scratch_store_b32 off, v8, off offset:1196
	v_add3_u32 v3, v3, v10, v15
	scratch_store_b32 off, v5, off offset:1352 ; 4-byte Folded Spill
	v_mov_b32_e32 v5, v4
	v_lshrrev_b32_e32 v4, 28, v66
	v_add3_u32 v3, v3, v67, v11
	s_clause 0x1
	scratch_store_b32 off, v17, off offset:760
	scratch_store_b32 off, v5, off offset:764
	v_mul_i32_i24_e32 v16, v97, v4
	v_add3_u32 v3, v3, v68, v69
	s_clause 0x1
	scratch_store_b32 off, v16, off offset:1644
	scratch_store_b32 off, v4, off offset:768
	v_add3_u32 v3, v3, v70, v12
	scratch_load_b32 v10, off, off offset:1320 ; 4-byte Folded Reload
	v_add3_u32 v3, v3, v71, v72
	s_delay_alu instid0(VALU_DEP_1) | instskip(NEXT) | instid1(VALU_DEP_1)
	v_add3_u32 v3, v3, v73, v13
	v_add3_u32 v3, v3, v81, v82
	s_delay_alu instid0(VALU_DEP_1) | instskip(NEXT) | instid1(VALU_DEP_1)
	v_add3_u32 v3, v3, v86, v63
	v_add3_u32 v3, v3, v87, v91
	s_delay_alu instid0(VALU_DEP_1) | instskip(NEXT) | instid1(VALU_DEP_1)
	v_add3_u32 v3, v3, v94, v64
	v_add3_u32 v3, v3, v95, v96
	s_delay_alu instid0(VALU_DEP_1) | instskip(NEXT) | instid1(VALU_DEP_1)
	v_add3_u32 v3, v3, v100, v65
	v_add3_u32 v3, v3, v101, v102
	scratch_store_b32 off, v3, off offset:1648 ; 4-byte Folded Spill
	scratch_load_b32 v3, off, off offset:1776 ; 4-byte Folded Reload
	s_wait_loadcnt 0x0
	v_lshlrev_b32_e32 v3, 2, v3
	scratch_store_b32 off, v3, off offset:1344 ; 4-byte Folded Spill
	v_add3_u32 v3, s12, v3, v10
	scratch_load_b32 v10, off, off offset:1324 ; 4-byte Folded Reload
	s_wait_loadcnt 0x0
	v_add_nc_u32_e32 v15, s13, v10
	s_mov_b32 s13, 8
	ds_load_2addr_b32 v[10:11], v15 offset1:1
	s_wait_dscnt 0x0
	v_and_b32_e32 v13, 15, v10
	v_bfe_u32 v16, v10, 24, 4
	s_delay_alu instid0(VALU_DEP_2)
	v_mul_i32_i24_e32 v12, v22, v13
	v_mov_b32_e32 v252, v13
	v_bfe_u32 v22, v10, 8, 4
	v_bfe_u32 v13, v10, 16, 4
	v_mul_i32_i24_e32 v20, v20, v16
	scratch_store_b32 off, v16, off offset:1240 ; 4-byte Folded Spill
	v_mad_i32_i24 v12, v19, v22, v12
	scratch_store_b32 off, v13, off offset:748 ; 4-byte Folded Spill
	v_mul_i32_i24_e32 v13, v21, v13
	v_dual_mov_b32 v246, v22 :: v_dual_and_b32 v19, 15, v11
	v_bfe_u32 v21, v11, 16, 4
	v_bfe_u32 v22, v11, 24, 4
	s_delay_alu instid0(VALU_DEP_4)
	v_add3_u32 v12, v12, v13, v20
	v_bfe_u32 v20, v11, 8, 4
	v_mul_i32_i24_e32 v13, v26, v19
	v_mov_b32_e32 v247, v19
	v_mov_b32_e32 v249, v21
	;; [unrolled: 1-line block ×3, first 2 shown]
	v_mul_i32_i24_e32 v19, v25, v20
	v_mov_b32_e32 v248, v20
	v_mul_i32_i24_e32 v20, v24, v21
	v_mul_i32_i24_e32 v21, v23, v22
	s_delay_alu instid0(VALU_DEP_4) | instskip(NEXT) | instid1(VALU_DEP_1)
	v_add3_u32 v12, v12, v19, v13
	v_add3_u32 v19, v12, v20, v21
	ds_load_2addr_b32 v[12:13], v15 offset0:2 offset1:3
	s_wait_dscnt 0x0
	v_and_b32_e32 v16, 15, v12
	v_lshrrev_b32_e32 v254, 28, v12
	v_bfe_u32 v250, v13, 4, 4
	scratch_store_b32 off, v16, off offset:712 ; 4-byte Folded Spill
	v_mul_i32_i24_e32 v20, v30, v16
	v_bfe_u32 v16, v12, 8, 4
	v_mul_i32_i24_e32 v9, v9, v254
	v_mul_i32_i24_e32 v7, v7, v250
	scratch_store_b32 off, v16, off offset:716 ; 4-byte Folded Spill
	v_mul_i32_i24_e32 v21, v29, v16
	v_bfe_u32 v16, v12, 16, 4
	v_bfe_u32 v29, v12, 20, 4
	s_delay_alu instid0(VALU_DEP_3)
	v_add3_u32 v19, v19, v21, v20
	scratch_store_b32 off, v16, off offset:1232 ; 4-byte Folded Spill
	v_mul_i32_i24_e32 v22, v28, v16
	v_bfe_u32 v16, v12, 24, 4
	v_mul_i32_i24_e32 v28, v59, v29
	scratch_store_b32 off, v16, off offset:720 ; 4-byte Folded Spill
	v_mul_i32_i24_e32 v23, v27, v16
	v_and_b32_e32 v16, 15, v13
	s_delay_alu instid0(VALU_DEP_2)
	v_add3_u32 v19, v19, v22, v23
	scratch_store_b32 off, v16, off offset:1236 ; 4-byte Folded Spill
	v_mul_i32_i24_e32 v20, v34, v16
	v_bfe_u32 v16, v13, 8, 4
	scratch_store_b32 off, v16, off offset:724 ; 4-byte Folded Spill
	v_mul_i32_i24_e32 v21, v33, v16
	v_bfe_u32 v16, v13, 16, 4
	s_delay_alu instid0(VALU_DEP_2) | instskip(SKIP_3) | instid1(VALU_DEP_1)
	v_add3_u32 v19, v19, v21, v20
	scratch_store_b32 off, v16, off offset:728 ; 4-byte Folded Spill
	v_mul_i32_i24_e32 v22, v32, v16
	v_bfe_u32 v16, v13, 24, 4
	v_mul_i32_i24_e32 v23, v31, v16
	scratch_store_b32 off, v16, off offset:732 ; 4-byte Folded Spill
	v_add3_u32 v21, v19, v22, v23
	ds_load_2addr_b32 v[19:20], v15 offset0:4 offset1:5
	s_wait_dscnt 0x0
	v_and_b32_e32 v16, 15, v19
	v_and_b32_e32 v220, 15, v20
	v_bfe_u32 v221, v20, 8, 4
	v_bfe_u32 v30, v19, 12, 4
	scratch_store_b32 off, v16, off offset:736 ; 4-byte Folded Spill
	v_mul_i32_i24_e32 v22, v38, v16
	v_bfe_u32 v16, v19, 8, 4
	scratch_store_b32 off, v16, off offset:740 ; 4-byte Folded Spill
	v_mul_i32_i24_e32 v23, v37, v16
	v_bfe_u32 v16, v19, 16, 4
	s_delay_alu instid0(VALU_DEP_2)
	v_add3_u32 v21, v21, v23, v22
	scratch_store_b32 off, v16, off offset:744 ; 4-byte Folded Spill
	v_mul_i32_i24_e32 v24, v36, v16
	v_bfe_u32 v16, v19, 24, 4
	v_mul_i32_i24_e32 v22, v42, v220
	v_mul_i32_i24_e32 v23, v41, v221
	scratch_store_b32 off, v16, off offset:328 ; 4-byte Folded Spill
	v_mul_i32_i24_e32 v25, v35, v16
	v_bfe_u32 v16, v20, 16, 4
	v_bfe_u32 v35, v20, 20, 4
	s_delay_alu instid0(VALU_DEP_3)
	v_add3_u32 v21, v21, v24, v25
	scratch_store_b32 off, v16, off offset:332 ; 4-byte Folded Spill
	v_mul_i32_i24_e32 v24, v40, v16
	v_bfe_u32 v16, v20, 24, 4
	v_mul_i32_i24_e32 v34, v84, v35
	v_add3_u32 v21, v21, v23, v22
	s_delay_alu instid0(VALU_DEP_3)
	v_mul_i32_i24_e32 v25, v39, v16
	scratch_store_b32 off, v16, off offset:288 ; 4-byte Folded Spill
	v_add3_u32 v23, v21, v24, v25
	ds_load_2addr_b32 v[21:22], v15 offset0:6 offset1:7
	s_wait_dscnt 0x0
	v_bfe_u32 v16, v21, 8, 4
	v_and_b32_e32 v15, 15, v21
	v_bfe_u32 v156, v21, 24, 4
	v_bfe_u32 v255, v22, 24, 4
	;; [unrolled: 1-line block ×3, first 2 shown]
	scratch_store_b32 off, v16, off offset:292 ; 4-byte Folded Spill
	v_mul_i32_i24_e32 v24, v45, v16
	v_bfe_u32 v16, v21, 16, 4
	scratch_store_b32 off, v15, off offset:336 ; 4-byte Folded Spill
	v_mul_i32_i24_e32 v15, v46, v15
	v_mul_i32_i24_e32 v26, v43, v156
	v_bfe_u32 v241, v22, 20, 4
	scratch_store_b32 off, v16, off offset:300 ; 4-byte Folded Spill
	v_mul_i32_i24_e32 v25, v44, v16
	v_and_b32_e32 v16, 15, v22
	v_add3_u32 v15, v23, v24, v15
	v_lshrrev_b32_e32 v240, 28, v22
	v_mul_i32_i24_e32 v40, v98, v241
	scratch_store_b32 off, v16, off offset:304 ; 4-byte Folded Spill
	v_mul_i32_i24_e32 v23, v50, v16
	v_bfe_u32 v16, v22, 8, 4
	v_add3_u32 v15, v15, v25, v26
	v_mul_i32_i24_e32 v26, v47, v255
	scratch_store_b32 off, v16, off offset:308 ; 4-byte Folded Spill
	v_mul_i32_i24_e32 v24, v49, v16
	v_bfe_u32 v16, v22, 16, 4
	s_delay_alu instid0(VALU_DEP_2)
	v_add3_u32 v15, v15, v24, v23
	scratch_store_b32 off, v16, off offset:312 ; 4-byte Folded Spill
	ds_load_u16 v23, v3
	ds_load_u16 v24, v3 offset:8
	v_mul_i32_i24_e32 v25, v48, v16
	v_bfe_u32 v16, v10, 20, 4
	scratch_store_b32 off, v30, off offset:980 ; 4-byte Folded Spill
	v_mul_i32_i24_e32 v30, v74, v30
	scratch_store_b32 off, v241, off offset:220 ; 4-byte Folded Spill
	v_add3_u32 v15, v15, v25, v26
	v_bfe_u32 v26, v10, 12, 4
	scratch_store_b32 off, v240, off offset:228 ; 4-byte Folded Spill
	s_wait_dscnt 0x1
	v_and_b32_e32 v3, 0xff, v23
	v_lshrrev_b16 v25, 8, v23
	v_mul_i32_i24_e32 v23, v53, v16
	s_wait_dscnt 0x0
	v_cvt_f32_ubyte0_e32 v199, v24
	scratch_store_b32 off, v3, off offset:296 ; 4-byte Folded Spill
	v_mul_lo_u32 v3, v15, v3
	v_bfe_u32 v15, v10, 4, 4
	scratch_store_b32 off, v16, off offset:276 ; 4-byte Folded Spill
	v_lshrrev_b32_e32 v10, 28, v10
	v_bfe_u32 v16, v11, 20, 4
	scratch_store_b32 off, v15, off offset:280 ; 4-byte Folded Spill
	v_mul_i32_i24_e32 v15, v54, v15
	scratch_store_b32 off, v10, off offset:284 ; 4-byte Folded Spill
	v_mul_i32_i24_e32 v10, v52, v10
	v_cvt_f32_i32_e32 v3, v3
	v_mad_i32_i24 v15, v51, v26, v15
	s_delay_alu instid0(VALU_DEP_1)
	v_add3_u32 v10, v15, v23, v10
	v_bfe_u32 v23, v11, 12, 4
	scratch_store_b32 off, v16, off offset:260 ; 4-byte Folded Spill
	v_bfe_u32 v15, v11, 4, 4
	v_lshrrev_b32_e32 v11, 28, v11
	s_clause 0x1
	scratch_store_b32 off, v23, off offset:264
	scratch_store_b32 off, v26, off offset:272
	v_mul_i32_i24_e32 v26, v56, v16
	v_bfe_u32 v16, v12, 4, 4
	v_mul_i32_i24_e32 v23, v57, v23
	scratch_store_b32 off, v11, off offset:268 ; 4-byte Folded Spill
	v_mul_i32_i24_e32 v11, v55, v11
	scratch_store_b32 off, v16, off offset:60 ; 4-byte Folded Spill
	v_mul_i32_i24_e32 v6, v6, v16
	v_bfe_u32 v16, v12, 12, 4
	v_bfe_u32 v12, v13, 12, 4
	scratch_store_b32 off, v16, off offset:256 ; 4-byte Folded Spill
	v_mul_i32_i24_e32 v27, v60, v16
	v_bfe_u32 v16, v13, 20, 4
	scratch_store_b32 off, v12, off offset:320 ; 4-byte Folded Spill
	v_mul_i32_i24_e32 v12, v62, v12
	v_lshrrev_b32_e32 v13, 28, v13
	s_clause 0x1
	scratch_store_b32 off, v16, off offset:316
	scratch_store_b32 off, v15, off offset:324
	v_mul_i32_i24_e32 v15, v58, v15
	scratch_store_b32 off, v13, off offset:64 ; 4-byte Folded Spill
	v_mul_i32_i24_e32 v13, v14, v13
	v_bfe_u32 v14, v19, 4, 4
	v_add3_u32 v10, v10, v15, v23
	scratch_store_b32 off, v14, off offset:68 ; 4-byte Folded Spill
	v_mul_i32_i24_e32 v14, v80, v14
	v_add3_u32 v10, v10, v26, v11
	s_delay_alu instid0(VALU_DEP_1) | instskip(NEXT) | instid1(VALU_DEP_1)
	v_add3_u32 v6, v10, v6, v27
	v_add3_u32 v6, v6, v28, v9
	s_delay_alu instid0(VALU_DEP_1)
	v_add3_u32 v6, v6, v7, v12
	v_and_b32_e32 v7, 0xffff, v25
	scratch_store_b32 off, v29, off offset:252 ; 4-byte Folded Spill
	v_mul_i32_i24_e32 v29, v61, v16
	v_bfe_u32 v16, v19, 20, 4
	scratch_store_b32 off, v7, off offset:248 ; 4-byte Folded Spill
	v_add3_u32 v6, v6, v29, v13
	scratch_store_b32 off, v16, off offset:340 ; 4-byte Folded Spill
	v_mul_i32_i24_e32 v31, v79, v16
	v_lshrrev_b32_e32 v16, 28, v19
	v_add3_u32 v6, v6, v14, v30
	scratch_store_b32 off, v16, off offset:344 ; 4-byte Folded Spill
	v_mul_i32_i24_e32 v19, v78, v16
	v_bfe_u32 v16, v20, 4, 4
	scratch_store_b32 off, v35, off offset:352 ; 4-byte Folded Spill
	v_add3_u32 v6, v6, v31, v19
	scratch_store_b32 off, v16, off offset:348 ; 4-byte Folded Spill
	v_mul_i32_i24_e32 v32, v85, v16
	v_bfe_u32 v16, v20, 12, 4
	scratch_store_b32 off, v16, off offset:356 ; 4-byte Folded Spill
	v_mul_i32_i24_e32 v33, v75, v16
	v_lshrrev_b32_e32 v16, 28, v20
	s_delay_alu instid0(VALU_DEP_2) | instskip(SKIP_3) | instid1(VALU_DEP_2)
	v_add3_u32 v6, v6, v32, v33
	scratch_store_b32 off, v16, off offset:360 ; 4-byte Folded Spill
	v_mul_i32_i24_e32 v20, v83, v16
	v_bfe_u32 v16, v21, 4, 4
	v_add3_u32 v6, v6, v34, v20
	scratch_store_b32 off, v16, off offset:364 ; 4-byte Folded Spill
	v_mul_i32_i24_e32 v35, v90, v16
	v_bfe_u32 v16, v21, 12, 4
	scratch_store_b32 off, v37, off offset:52 ; 4-byte Folded Spill
	v_mul_i32_i24_e32 v37, v89, v37
	scratch_store_b32 off, v16, off offset:56 ; 4-byte Folded Spill
	v_mul_i32_i24_e32 v36, v76, v16
	v_lshrrev_b32_e32 v16, 28, v21
	s_delay_alu instid0(VALU_DEP_2) | instskip(SKIP_3) | instid1(VALU_DEP_2)
	v_add3_u32 v6, v6, v35, v36
	scratch_store_b32 off, v16, off offset:368 ; 4-byte Folded Spill
	v_mul_i32_i24_e32 v21, v88, v16
	v_bfe_u32 v16, v22, 4, 4
	v_add3_u32 v6, v6, v37, v21
	scratch_store_b32 off, v16, off offset:372 ; 4-byte Folded Spill
	v_mul_i32_i24_e32 v38, v99, v16
	v_bfe_u32 v16, v22, 12, 4
	v_mul_i32_i24_e32 v22, v97, v240
	s_delay_alu instid0(VALU_DEP_2) | instskip(SKIP_2) | instid1(VALU_DEP_1)
	v_mul_i32_i24_e32 v39, v77, v16
	scratch_store_b32 off, v16, off offset:376 ; 4-byte Folded Spill
	v_add3_u32 v6, v6, v38, v39
	v_add3_u32 v6, v6, v40, v22
	s_delay_alu instid0(VALU_DEP_1) | instskip(SKIP_1) | instid1(VALU_DEP_2)
	v_mul_lo_u32 v6, v6, v7
	v_cvt_f32_ubyte1_e32 v7, v24
	v_cvt_f32_i32_e32 v16, v6
	scratch_load_b32 v6, off, off offset:1272 ; 4-byte Folded Reload
	s_wait_loadcnt 0x0
	v_or_b32_e32 v6, s7, v6
	s_delay_alu instid0(VALU_DEP_1)
	v_lshlrev_b32_e32 v13, 2, v6
	ds_load_b128 v[9:12], v13 offset:16896
	ds_load_b128 v[19:22], v13 offset:16912
	;; [unrolled: 1-line block ×4, first 2 shown]
	v_lshrrev_b32_e32 v6, 1, v6
	s_clause 0x10
	scratch_store_b32 off, v119, off offset:640
	scratch_store_b32 off, v145, off offset:644
	;; [unrolled: 1-line block ×17, first 2 shown]
	s_wait_dscnt 0x3
	v_bfe_i32 v13, v9, 0, 8
	v_bfe_i32 v14, v9, 8, 8
	v_bfe_i32 v15, v9, 16, 8
	v_ashrrev_i32_e32 v9, 24, v9
	v_bfe_i32 v31, v10, 0, 8
	v_mul_i32_i24_e32 v56, v13, v119
	v_bfe_i32 v32, v10, 8, 8
	v_mul_i32_i24_e32 v57, v15, v145
	v_mul_i32_i24_e32 v59, v9, v121
	v_bfe_i32 v33, v10, 16, 8
	v_mad_i32_i24 v56, v14, v118, v56
	v_ashrrev_i32_e32 v10, 24, v10
	v_bfe_i32 v34, v11, 0, 8
	v_bfe_i32 v35, v11, 8, 8
	v_mul_i32_i24_e32 v78, v33, v126
	v_add3_u32 v56, v56, v57, v59
	v_mul_i32_i24_e32 v57, v31, v122
	v_mul_i32_i24_e32 v59, v32, v123
	;; [unrolled: 1-line block ×3, first 2 shown]
	v_bfe_i32 v36, v11, 16, 8
	v_ashrrev_i32_e32 v11, 24, v11
	v_mul_i32_i24_e32 v80, v34, v128
	v_add3_u32 v56, v56, v57, v59
	v_mul_i32_i24_e32 v81, v35, v133
	v_bfe_i32 v37, v12, 0, 8
	v_bfe_i32 v38, v12, 8, 8
	v_mul_i32_i24_e32 v82, v36, v134
	v_add3_u32 v56, v56, v78, v79
	v_mul_i32_i24_e32 v83, v11, v139
	v_bfe_i32 v39, v12, 16, 8
	v_ashrrev_i32_e32 v12, 24, v12
	v_mul_i32_i24_e32 v84, v37, v140
	v_add3_u32 v56, v56, v80, v81
	v_mul_i32_i24_e32 v85, v38, v141
	s_wait_dscnt 0x2
	v_bfe_i32 v40, v19, 0, 8
	v_bfe_i32 v41, v19, 8, 8
	v_mul_i32_i24_e32 v86, v39, v142
	v_add3_u32 v56, v56, v82, v83
	v_mul_i32_i24_e32 v87, v12, v143
	v_bfe_i32 v42, v19, 16, 8
	v_ashrrev_i32_e32 v19, 24, v19
	v_mul_i32_i24_e32 v88, v40, v149
	v_add3_u32 v56, v56, v84, v85
	v_mul_i32_i24_e32 v89, v41, v147
	v_bfe_i32 v43, v20, 0, 8
	v_bfe_i32 v44, v20, 8, 8
	v_mul_i32_i24_e32 v90, v42, v148
	v_add3_u32 v56, v56, v86, v87
	v_mul_i32_i24_e32 v91, v19, v150
	v_bfe_i32 v45, v20, 16, 8
	v_ashrrev_i32_e32 v20, 24, v20
	v_mul_i32_i24_e32 v94, v43, v171
	v_add3_u32 v56, v56, v88, v89
	v_mul_i32_i24_e32 v95, v44, v182
	;; [unrolled: 10-line block ×4, first 2 shown]
	s_wait_dscnt 0x0
	v_bfe_i32 v74, v29, 16, 8
	v_bfe_i32 v75, v30, 0, 8
	;; [unrolled: 1-line block ×3, first 2 shown]
	v_add3_u32 v56, v56, v102, v103
	v_bfe_i32 v77, v30, 16, 8
	v_ashrrev_i32_e32 v30, 24, v30
	v_mul_i32_i24_e32 v106, v51, v218
	v_mul_i32_i24_e32 v107, v22, v219
	v_add3_u32 v56, v56, v104, v105
	s_clause 0x19
	scratch_store_b32 off, v147, off offset:464
	scratch_store_b32 off, v108, off offset:460
	;; [unrolled: 1-line block ×26, first 2 shown]
	ds_load_b64 v[96:97], v6 offset:27200
	v_add3_u32 v56, v56, v106, v107
	s_clause 0x1
	scratch_load_b32 v228, off, off
	scratch_load_b32 v159, off, off offset:4
	v_mul_i32_i24_e32 v103, v74, v112
	v_mul_i32_i24_e32 v107, v77, v0
	;; [unrolled: 1-line block ×3, first 2 shown]
	s_clause 0x1
	scratch_load_b32 v0, off, off offset:244
	scratch_load_b32 v1, off, off offset:1104 th:TH_LOAD_LU
	v_bfe_i32 v72, v29, 0, 8
	v_bfe_i32 v73, v29, 8, 8
	v_ashrrev_i32_e32 v29, 24, v29
	v_bfe_i32 v6, v23, 0, 8
	v_bfe_i32 v52, v23, 8, 8
	;; [unrolled: 1-line block ×3, first 2 shown]
	v_ashrrev_i32_e32 v23, 24, v23
	v_mul_i32_i24_e32 v104, v29, v18
	v_mul_i32_i24_e32 v57, v6, v158
	v_bfe_i32 v54, v24, 0, 8
	v_bfe_i32 v55, v24, 8, 8
	v_mul_i32_i24_e32 v59, v53, v157
	v_mul_i32_i24_e32 v78, v23, v253
	v_mad_i32_i24 v57, v52, v146, v57
	v_bfe_i32 v58, v24, 16, 8
	v_ashrrev_i32_e32 v24, 24, v24
	v_bfe_i32 v60, v25, 0, 8
	v_bfe_i32 v61, v25, 8, 8
	v_add3_u32 v57, v57, v59, v78
	v_mul_i32_i24_e32 v59, v54, v226
	v_mul_i32_i24_e32 v78, v55, v227
	;; [unrolled: 1-line block ×4, first 2 shown]
	v_bfe_i32 v62, v25, 16, 8
	v_ashrrev_i32_e32 v25, 24, v25
	v_add3_u32 v57, v57, v59, v78
	v_mul_i32_i24_e32 v81, v60, v229
	v_mul_i32_i24_e32 v82, v61, v160
	v_bfe_i32 v63, v26, 0, 8
	v_bfe_i32 v64, v26, 8, 8
	v_add3_u32 v57, v57, v79, v80
	v_bfe_i32 v65, v26, 16, 8
	v_ashrrev_i32_e32 v26, 24, v26
	v_mul_i32_i24_e32 v85, v63, v161
	v_mul_i32_i24_e32 v86, v64, v177
	v_add3_u32 v57, v57, v81, v82
	v_bfe_i32 v66, v27, 0, 8
	v_bfe_i32 v67, v27, 8, 8
	v_mul_i32_i24_e32 v87, v65, v176
	v_mul_i32_i24_e32 v88, v26, v242
	v_bfe_i32 v68, v27, 16, 8
	v_ashrrev_i32_e32 v27, 24, v27
	v_mul_i32_i24_e32 v89, v66, v169
	v_mul_i32_i24_e32 v90, v67, v167
	v_bfe_i32 v69, v28, 0, 8
	v_bfe_i32 v70, v28, 8, 8
	v_mul_i32_i24_e32 v91, v68, v162
	v_mul_i32_i24_e32 v94, v27, v168
	v_bfe_i32 v71, v28, 16, 8
	v_ashrrev_i32_e32 v28, 24, v28
	v_mul_i32_i24_e32 v95, v69, v154
	v_mul_i32_i24_e32 v98, v70, v153
	;; [unrolled: 1-line block ×8, first 2 shown]
	v_mov_b32_e32 v109, v7
	s_clause 0x8
	scratch_load_b32 v7, off, off offset:492
	scratch_load_b32 v162, off, off offset:652
	;; [unrolled: 1-line block ×9, first 2 shown]
	v_mul_i32_i24_e32 v82, v232, v40
	scratch_load_b32 v232, off, off offset:868 ; 4-byte Folded Reload
	v_mul_i32_i24_e32 v79, v216, v38
	scratch_load_b32 v216, off, off offset:1032 ; 4-byte Folded Reload
	s_clause 0x5
	scratch_store_b32 off, v109, off offset:676
	scratch_store_b32 off, v204, off offset:708
	;; [unrolled: 1-line block ×6, first 2 shown]
	s_wait_loadcnt 0xe
	v_mul_i32_i24_e32 v83, v62, v228
	s_wait_loadcnt 0xd
	v_mul_i32_i24_e32 v84, v25, v159
	s_wait_loadcnt 0xc
	v_mul_lo_u32 v56, v56, v0
	s_wait_loadcnt 0xb
	v_mul_lo_u32 v18, v1, v0
	scratch_load_b32 v0, off, off offset:240 ; 4-byte Folded Reload
	v_add3_u32 v57, v57, v83, v84
	v_mul_i32_i24_e32 v84, v231, v42
	scratch_load_b32 v231, off, off offset:152 ; 4-byte Folded Reload
	v_add3_u32 v57, v57, v85, v86
	v_cvt_f32_i32_e32 v18, v18
	v_cvt_f32_i32_e32 v56, v56
	v_mul_i32_i24_e32 v86, v234, v43
	scratch_load_b32 v234, off, off offset:896 ; 4-byte Folded Reload
	v_add3_u32 v57, v57, v87, v88
	v_fma_mix_f32 v18, v92, v18, 0 op_sel_hi:[1,0,0]
	s_wait_dscnt 0x0
	v_fma_mix_f32 v56, v96, v56, 0 op_sel_hi:[1,0,0]
	v_mul_i32_i24_e32 v88, v233, v45
	scratch_load_b32 v233, off, off offset:1028 ; 4-byte Folded Reload
	v_add3_u32 v57, v57, v89, v90
	v_mul_i32_i24_e32 v90, v236, v46
	scratch_load_b32 v236, off, off offset:168 ; 4-byte Folded Reload
	v_add3_u32 v57, v57, v91, v94
	;; [unrolled: 3-line block ×3, first 2 shown]
	s_delay_alu instid0(VALU_DEP_1) | instskip(NEXT) | instid1(VALU_DEP_1)
	v_add3_u32 v57, v57, v99, v100
	v_add3_u32 v57, v57, v101, v102
	v_mul_i32_i24_e32 v102, v166, v30
	scratch_load_b32 v166, off, off offset:1008 ; 4-byte Folded Reload
	v_add3_u32 v57, v57, v103, v104
	v_mul_i32_i24_e32 v103, v22, v204
	v_mul_i32_i24_e32 v104, v30, v4
	;; [unrolled: 1-line block ×3, first 2 shown]
	s_delay_alu instid0(VALU_DEP_4)
	v_add3_u32 v57, v57, v105, v106
	scratch_load_b32 v105, off, off offset:940 ; 4-byte Folded Reload
	v_add3_u32 v1, v57, v107, v112
	v_mov_b32_e32 v107, v199
	v_mul_i32_i24_e32 v57, v190, v36
	s_clause 0x1
	scratch_load_b32 v190, off, off offset:888
	scratch_load_b32 v112, off, off offset:40
	s_wait_loadcnt 0x14
	v_mov_b32_e32 v106, v7
	s_wait_loadcnt 0x12
	v_mul_i32_i24_e32 v80, v242, v39
	s_wait_loadcnt 0x11
	v_mul_i32_i24_e32 v98, v110, v49
	;; [unrolled: 2-line block ×4, first 2 shown]
	s_wait_loadcnt 0x9
	v_fma_mix_f32 v59, v0, v96, 0 op_sel:[0,1,0] op_sel_hi:[0,1,0]
	v_fma_mix_f32 v78, v0, v92, 0 op_sel:[0,1,0] op_sel_hi:[0,1,0]
	v_add3_u32 v0, v2, v238, v239
	s_clause 0x2
	scratch_load_b32 v2, off, off offset:236
	scratch_load_b32 v238, off, off offset:844
	;; [unrolled: 1-line block ×3, first 2 shown]
	s_wait_loadcnt 0xb
	v_mul_i32_i24_e32 v85, v231, v19
	s_wait_loadcnt 0xa
	v_mul_i32_i24_e32 v87, v234, v44
	;; [unrolled: 2-line block ×6, first 2 shown]
	s_wait_loadcnt 0x2
	v_mul_lo_u32 v0, v0, v2
	v_mul_lo_u32 v1, v1, v2
	s_delay_alu instid0(VALU_DEP_2) | instskip(NEXT) | instid1(VALU_DEP_2)
	v_cvt_f32_i32_e32 v0, v0
	v_cvt_f32_i32_e32 v1, v1
	s_delay_alu instid0(VALU_DEP_2)
	v_fma_mix_f32 v0, v93, v0, v18 op_sel_hi:[1,0,0]
	scratch_load_b32 v18, off, off offset:216 ; 4-byte Folded Reload
	v_fma_mix_f32 v1, v97, v1, v56 op_sel_hi:[1,0,0]
	scratch_load_b32 v56, off, off offset:500 ; 4-byte Folded Reload
	s_wait_loadcnt 0x1
	v_fma_mix_f32 v2, v18, v93, v78 op_sel:[0,1,0] op_sel_hi:[0,1,0]
	v_fma_mix_f32 v18, v18, v97, v59 op_sel:[0,1,0] op_sel_hi:[0,1,0]
	v_mul_i32_i24_e32 v59, v239, v11
	s_wait_loadcnt 0x0
	s_delay_alu instid0(VALU_DEP_2)
	v_mul_f32_e32 v18, v18, v56
	scratch_load_b32 v56, off, off offset:484 ; 4-byte Folded Reload
	s_wait_loadcnt 0x0
	v_mul_f32_e32 v2, v2, v56
	scratch_load_b32 v56, off, off offset:480 ; 4-byte Folded Reload
	s_wait_loadcnt 0x0
	v_fma_f32 v0, v0, v56, -v2
	scratch_load_b32 v2, off, off offset:496 ; 4-byte Folded Reload
	s_wait_loadcnt 0x0
	v_fma_f32 v1, v1, v2, -v18
	v_fma_mix_f32 v2, v92, v3, 0 op_sel_hi:[1,0,0]
	v_fma_mix_f32 v3, v92, v107, 0 op_sel:[1,0,0] op_sel_hi:[1,0,0]
	s_delay_alu instid0(VALU_DEP_2) | instskip(NEXT) | instid1(VALU_DEP_2)
	v_fma_mix_f32 v2, v93, v16, v2 op_sel_hi:[1,0,0]
	v_fma_mix_f32 v3, v93, v109, v3 op_sel:[1,0,0] op_sel_hi:[1,0,0]
	s_delay_alu instid0(VALU_DEP_1)
	v_mul_f32_e32 v3, v3, v7
	scratch_load_b32 v7, off, off offset:488 ; 4-byte Folded Reload
	s_wait_loadcnt 0x0
	v_fma_f32 v2, v2, v7, -v3
	scratch_load_b32 v3, off, off offset:552 ; 4-byte Folded Reload
	v_mov_b32_e32 v199, v7
	v_mul_i32_i24_e32 v7, v162, v10
	s_wait_loadcnt 0x0
	v_add_f32_e32 v3, v3, v2
	scratch_store_b32 off, v3, off offset:552 ; 4-byte Folded Spill
	scratch_load_b64 v[2:3], off, off offset:564 th:TH_LOAD_LU ; 8-byte Folded Reload
	s_wait_loadcnt 0x0
	v_dual_add_f32 v3, v3, v1 :: v_dual_add_f32 v2, v2, v0
	v_mul_i32_i24_e32 v0, v237, v13
	v_mul_i32_i24_e32 v1, v230, v15
	s_clause 0x1
	scratch_load_b32 v237, off, off offset:876
	scratch_load_b32 v230, off, off offset:880
	scratch_store_b64 off, v[2:3], off offset:564 ; 8-byte Folded Spill
	v_mul_i32_i24_e32 v2, v223, v9
	v_mad_i32_i24 v0, v238, v14, v0
	scratch_load_b32 v223, off, off offset:72 ; 4-byte Folded Reload
	v_mul_i32_i24_e32 v3, v201, v33
	v_mov_b32_e32 v201, v205
	scratch_load_b32 v205, off, off offset:380 ; 4-byte Folded Reload
	v_add3_u32 v0, v0, v1, v2
	v_mul_i32_i24_e32 v2, v222, v32
	scratch_load_b32 v222, off, off offset:444 ; 4-byte Folded Reload
	v_mul_i32_i24_e32 v1, v215, v31
	scratch_load_b32 v215, off, off offset:884 ; 4-byte Folded Reload
	s_clause 0x1
	scratch_store_b32 off, v107, off offset:672
	scratch_store_b32 off, v201, off offset:668
	v_add3_u32 v0, v0, v1, v2
	v_mul_i32_i24_e32 v2, v243, v23
	scratch_load_b32 v243, off, off offset:920 ; 4-byte Folded Reload
	v_mul_i32_i24_e32 v1, v174, v53
	scratch_load_b32 v174, off, off offset:172 ; 4-byte Folded Reload
	v_add3_u32 v0, v0, v3, v7
	scratch_load_b32 v7, off, off offset:928 ; 4-byte Folded Reload
	v_mul_i32_i24_e32 v3, v197, v58
	v_mov_b32_e32 v197, v208
	scratch_load_b32 v208, off, off offset:184 ; 4-byte Folded Reload
	s_wait_loadcnt 0x9
	v_mul_i32_i24_e32 v18, v237, v34
	s_wait_loadcnt 0x8
	v_mul_i32_i24_e32 v81, v230, v12
	;; [unrolled: 2-line block ×5, first 2 shown]
	s_delay_alu instid0(VALU_DEP_2)
	v_add3_u32 v0, v0, v18, v56
	v_mul_i32_i24_e32 v56, v192, v60
	scratch_load_b32 v192, off, off offset:44 ; 4-byte Folded Reload
	v_mul_i32_i24_e32 v18, v198, v24
	v_mov_b32_e32 v198, v207
	v_add3_u32 v0, v0, v57, v59
	v_mul_i32_i24_e32 v59, v195, v62
	s_clause 0x1
	scratch_load_b32 v195, off, off offset:196
	scratch_load_b32 v207, off, off offset:1036
	v_mul_i32_i24_e32 v57, v105, v61
	v_add3_u32 v0, v0, v78, v79
	v_mul_i32_i24_e32 v78, v196, v25
	scratch_load_b32 v196, off, off offset:48 ; 4-byte Folded Reload
	v_mul_i32_i24_e32 v79, v189, v63
	scratch_load_b32 v189, off, off offset:188 ; 4-byte Folded Reload
	v_add3_u32 v0, v0, v80, v81
	v_mul_i32_i24_e32 v80, v188, v64
	v_mul_i32_i24_e32 v81, v187, v65
	s_clause 0x1
	scratch_load_b32 v187, off, off offset:32
	scratch_load_b32 v188, off, off offset:36
	v_add3_u32 v0, v0, v82, v83
	v_mul_i32_i24_e32 v83, v186, v66
	scratch_load_b32 v186, off, off offset:28 ; 4-byte Folded Reload
	v_mul_i32_i24_e32 v82, v191, v26
	scratch_load_b32 v191, off, off offset:192 ; 4-byte Folded Reload
	v_add3_u32 v0, v0, v84, v85
	v_mul_i32_i24_e32 v85, v184, v68
	scratch_load_b32 v184, off, off offset:20 ; 4-byte Folded Reload
	v_mul_i32_i24_e32 v84, v185, v67
	scratch_load_b32 v185, off, off offset:24 ; 4-byte Folded Reload
	;; [unrolled: 5-line block ×8, first 2 shown]
	scratch_store_b32 off, v0, off offset:1356 ; 4-byte Folded Spill
	v_mul_i32_i24_e32 v0, v152, v6
	scratch_store_b32 off, v197, off offset:200 ; 4-byte Folded Spill
	s_wait_loadcnt 0x1a
	v_mad_i32_i24 v0, v243, v52, v0
	s_delay_alu instid0(VALU_DEP_1)
	v_add3_u32 v0, v0, v1, v2
	v_mul_i32_i24_e32 v2, v200, v55
	v_mov_b32_e32 v200, v206
	v_mov_b32_e32 v206, v212
	;; [unrolled: 1-line block ×3, first 2 shown]
	scratch_load_b32 v211, off, off offset:772 ; 4-byte Folded Reload
	s_wait_loadcnt 0x19
	v_mul_i32_i24_e32 v1, v7, v54
	s_clause 0x3
	scratch_store_b32 off, v198, off offset:204
	scratch_store_b32 off, v200, off offset:208
	;; [unrolled: 1-line block ×4, first 2 shown]
	v_add3_u32 v0, v0, v1, v2
	v_mul_i32_i24_e32 v2, v9, v166
	s_delay_alu instid0(VALU_DEP_2) | instskip(SKIP_1) | instid1(VALU_DEP_2)
	v_add3_u32 v0, v0, v3, v18
	v_mul_i32_i24_e32 v3, v33, v169
	v_add3_u32 v0, v0, v56, v57
	s_delay_alu instid0(VALU_DEP_1) | instskip(SKIP_1) | instid1(VALU_DEP_2)
	v_add3_u32 v0, v0, v59, v78
	v_mul_i32_i24_e32 v78, v36, v174
	v_add3_u32 v0, v0, v79, v80
	v_mul_i32_i24_e32 v80, v37, v176
	s_delay_alu instid0(VALU_DEP_2) | instskip(SKIP_1) | instid1(VALU_DEP_2)
	v_add3_u32 v0, v0, v81, v82
	v_mul_i32_i24_e32 v81, v38, v177
	v_add3_u32 v0, v0, v83, v84
	s_delay_alu instid0(VALU_DEP_1) | instskip(NEXT) | instid1(VALU_DEP_1)
	v_add3_u32 v0, v0, v85, v86
	v_add3_u32 v0, v0, v87, v88
	s_delay_alu instid0(VALU_DEP_1) | instskip(NEXT) | instid1(VALU_DEP_1)
	v_add3_u32 v0, v0, v89, v90
	v_add3_u32 v0, v0, v91, v94
	v_mul_i32_i24_e32 v94, v46, v112
	s_delay_alu instid0(VALU_DEP_2) | instskip(NEXT) | instid1(VALU_DEP_1)
	v_add3_u32 v0, v0, v95, v98
	v_add3_u32 v0, v0, v99, v100
	v_mul_i32_i24_e32 v99, v21, v197
	v_mul_i32_i24_e32 v100, v49, v198
	;; [unrolled: 1-line block ×3, first 2 shown]
	s_delay_alu instid0(VALU_DEP_4)
	v_add3_u32 v0, v0, v101, v102
	v_mul_i32_i24_e32 v101, v50, v200
	v_mul_i32_i24_e32 v102, v51, v201
	scratch_store_b32 off, v0, off offset:1652 ; 4-byte Folded Spill
	s_wait_loadcnt 0x17
	v_mul_i32_i24_e32 v95, v47, v192
	s_wait_loadcnt 0x14
	v_mul_i32_i24_e32 v98, v48, v196
	;; [unrolled: 2-line block ×18, first 2 shown]
	s_delay_alu instid0(VALU_DEP_2) | instskip(NEXT) | instid1(VALU_DEP_1)
	v_mad_i32_i24 v0, v14, v165, v0
	v_add3_u32 v0, v0, v1, v2
	v_mul_i32_i24_e32 v1, v31, v167
	v_mul_i32_i24_e32 v2, v32, v168
	s_delay_alu instid0(VALU_DEP_1) | instskip(SKIP_2) | instid1(VALU_DEP_3)
	v_add3_u32 v0, v0, v1, v2
	v_mul_i32_i24_e32 v1, v53, v191
	v_mul_i32_i24_e32 v2, v23, v195
	v_add3_u32 v0, v0, v3, v18
	v_mul_i32_i24_e32 v3, v58, v206
	v_mul_i32_i24_e32 v18, v24, v209
	s_delay_alu instid0(VALU_DEP_3) | instskip(SKIP_1) | instid1(VALU_DEP_2)
	v_add3_u32 v0, v0, v56, v57
	v_mul_i32_i24_e32 v56, v60, v210
	v_add3_u32 v0, v0, v78, v79
	v_mul_i32_i24_e32 v78, v61, v212
	s_wait_loadcnt 0x0
	v_mul_i32_i24_e32 v79, v62, v211
	s_delay_alu instid0(VALU_DEP_3) | instskip(SKIP_2) | instid1(VALU_DEP_3)
	v_add3_u32 v0, v0, v80, v81
	v_mul_i32_i24_e32 v80, v25, v213
	v_mul_i32_i24_e32 v81, v63, v214
	v_add3_u32 v0, v0, v82, v83
	v_mul_i32_i24_e32 v82, v64, v137
	v_mul_i32_i24_e32 v83, v65, v138
	s_delay_alu instid0(VALU_DEP_3) | instskip(SKIP_2) | instid1(VALU_DEP_3)
	v_add3_u32 v0, v0, v84, v85
	v_mul_i32_i24_e32 v84, v26, v136
	v_mul_i32_i24_e32 v85, v66, v135
	v_add3_u32 v0, v0, v86, v87
	v_mul_i32_i24_e32 v86, v67, v132
	;; [unrolled: 7-line block ×5, first 2 shown]
	v_mul_i32_i24_e32 v103, v77, v5
	s_delay_alu instid0(VALU_DEP_3) | instskip(NEXT) | instid1(VALU_DEP_1)
	v_mul_lo_u32 v0, v0, v151
	v_cvt_f32_i32_e32 v0, v0
	s_delay_alu instid0(VALU_DEP_1) | instskip(SKIP_2) | instid1(VALU_DEP_1)
	v_fma_mix_f32 v0, v96, v0, 0 op_sel_hi:[1,0,0]
	scratch_store_b32 off, v0, off offset:1664 ; 4-byte Folded Spill
	v_mul_i32_i24_e32 v0, v6, v189
	v_mad_i32_i24 v0, v52, v208, v0
	s_delay_alu instid0(VALU_DEP_1) | instskip(SKIP_2) | instid1(VALU_DEP_1)
	v_add3_u32 v0, v0, v1, v2
	v_mul_i32_i24_e32 v1, v54, v205
	v_mul_i32_i24_e32 v2, v55, v207
	v_add3_u32 v0, v0, v1, v2
	s_delay_alu instid0(VALU_DEP_1) | instskip(SKIP_1) | instid1(VALU_DEP_2)
	v_add3_u32 v0, v0, v3, v18
	v_mul_i32_i24_e32 v3, v33, v249
	v_add3_u32 v0, v0, v56, v78
	s_delay_alu instid0(VALU_DEP_1) | instskip(NEXT) | instid1(VALU_DEP_1)
	v_add3_u32 v0, v0, v79, v80
	v_add3_u32 v0, v0, v81, v82
	s_delay_alu instid0(VALU_DEP_1) | instskip(NEXT) | instid1(VALU_DEP_1)
	v_add3_u32 v0, v0, v83, v84
	;; [unrolled: 3-line block ×4, first 2 shown]
	v_add3_u32 v0, v0, v95, v98
	s_delay_alu instid0(VALU_DEP_1) | instskip(SKIP_1) | instid1(VALU_DEP_2)
	v_add3_u32 v0, v0, v99, v100
	v_mov_b32_e32 v100, v255
	v_add3_u32 v0, v0, v101, v102
	s_delay_alu instid0(VALU_DEP_2) | instskip(NEXT) | instid1(VALU_DEP_2)
	v_mul_i32_i24_e32 v22, v22, v100
	v_add3_u32 v0, v0, v103, v104
	s_clause 0x1
	scratch_store_b32 off, v0, off offset:1668
	scratch_store_b32 off, v252, off offset:1224
	s_clause 0x1f
	scratch_load_b32 v125, off, off offset:748
	scratch_load_b32 v132, off, off offset:720
	;; [unrolled: 1-line block ×32, first 2 shown]
	s_clause 0x2
	scratch_load_b32 v116, off, off offset:60
	scratch_load_b32 v144, off, off offset:256
	;; [unrolled: 1-line block ×3, first 2 shown]
	v_mul_i32_i24_e32 v0, v13, v252
	scratch_load_b32 v255, off, off offset:260 ; 4-byte Folded Reload
	s_clause 0x3
	scratch_store_b32 off, v248, off offset:1088
	scratch_store_b32 off, v249, off offset:1092
	;; [unrolled: 1-line block ×4, first 2 shown]
	v_mad_i32_i24 v0, v14, v246, v0
	s_clause 0x2
	scratch_store_b32 off, v221, off offset:700
	scratch_store_b32 off, v100, off offset:692
	;; [unrolled: 1-line block ×3, first 2 shown]
	s_wait_loadcnt 0x23
	v_mul_i32_i24_e32 v1, v15, v125
	s_wait_loadcnt 0x22
	v_mul_i32_i24_e32 v11, v11, v132
	;; [unrolled: 2-line block ×6, first 2 shown]
	v_mul_i32_i24_e32 v9, v10, v251
	s_wait_loadcnt 0x1a
	v_mul_i32_i24_e32 v14, v36, v131
	s_wait_loadcnt 0x18
	v_mul_i32_i24_e32 v10, v34, v124
	s_wait_loadcnt 0x17
	v_mul_i32_i24_e32 v13, v35, v129
	v_add3_u32 v0, v0, v1, v2
	v_mul_i32_i24_e32 v1, v31, v247
	v_mul_i32_i24_e32 v2, v32, v248
	;; [unrolled: 1-line block ×6, first 2 shown]
	v_add3_u32 v0, v0, v1, v2
	s_wait_loadcnt 0x16
	v_mul_i32_i24_e32 v19, v19, v135
	v_mul_i32_i24_e32 v35, v43, v220
	v_mul_i32_i24_e32 v36, v44, v221
	s_wait_loadcnt 0x15
	v_mul_i32_i24_e32 v37, v45, v120
	v_add3_u32 v0, v0, v3, v9
	s_wait_loadcnt 0x10
	v_mul_i32_i24_e32 v20, v20, v17
	v_mul_i32_i24_e32 v38, v46, v16
	s_wait_loadcnt 0xf
	v_mul_i32_i24_e32 v39, v47, v136
	s_wait_loadcnt 0xe
	v_mul_i32_i24_e32 v40, v48, v59
	v_add3_u32 v0, v0, v10, v13
	s_wait_loadcnt 0x4
	v_mul_i32_i24_e32 v10, v24, v115
	scratch_load_b32 v24, off, off offset:344 ; 4-byte Folded Reload
	v_mul_i32_i24_e32 v41, v49, v152
	v_mul_i32_i24_e32 v42, v50, v151
	v_add3_u32 v0, v0, v14, v11
	v_mul_i32_i24_e32 v43, v51, v95
	v_mul_i32_i24_e32 v2, v6, v57
	;; [unrolled: 1-line block ×3, first 2 shown]
	scratch_load_b32 v23, off, off offset:340 ; 4-byte Folded Reload
	v_add3_u32 v0, v0, v15, v18
	v_mul_i32_i24_e32 v14, v25, v254
	scratch_load_b32 v25, off, off offset:348 ; 4-byte Folded Reload
	v_mul_i32_i24_e32 v3, v53, v153
	v_mad_i32_i24 v2, v52, v56, v2
	v_add3_u32 v0, v0, v31, v12
	scratch_load_b32 v31, off, off offset:360 ; 4-byte Folded Reload
	s_wait_loadcnt 0x4
	v_mul_i32_i24_e32 v9, v58, v255
	v_mul_i32_i24_e32 v11, v60, v116
	v_add3_u32 v2, v2, v3, v6
	v_add3_u32 v0, v0, v32, v33
	s_clause 0x1
	scratch_load_b32 v32, off, off offset:56
	scratch_load_b32 v33, off, off offset:52
	v_mul_i32_i24_e32 v3, v54, v101
	v_mul_i32_i24_e32 v6, v55, v114
	v_add3_u32 v0, v0, v34, v19
	scratch_load_b32 v34, off, off offset:368 ; 4-byte Folded Reload
	v_mul_i32_i24_e32 v12, v61, v144
	v_mul_i32_i24_e32 v13, v62, v117
	v_add3_u32 v2, v2, v3, v6
	v_add3_u32 v0, v0, v35, v36
	s_clause 0x1
	scratch_load_b32 v35, off, off offset:376
	scratch_load_b32 v3, off, off offset:248
	v_mul_i32_i24_e32 v15, v63, v250
	v_add3_u32 v2, v2, v9, v10
	v_add3_u32 v0, v0, v37, v20
	scratch_load_b32 v20, off, off offset:64 ; 4-byte Folded Reload
	v_mul_i32_i24_e32 v18, v64, v103
	v_mul_i32_i24_e32 v19, v65, v102
	v_add3_u32 v2, v2, v11, v12
	v_add3_u32 v0, v0, v38, v39
	v_mul_i32_i24_e32 v36, v77, v241
	v_fma_mix_f32 v1, v96, v107, 0 op_sel:[1,0,0] op_sel_hi:[1,0,0]
	s_delay_alu instid0(VALU_DEP_4) | instskip(NEXT) | instid1(VALU_DEP_4)
	v_add3_u32 v2, v2, v13, v14
	v_add3_u32 v0, v0, v40, v21
	scratch_load_b32 v21, off, off offset:68 ; 4-byte Folded Reload
	v_fma_mix_f32 v1, v97, v109, v1 op_sel:[1,0,0] op_sel_hi:[1,0,0]
	v_mov_b32_e32 v109, v223
	v_add3_u32 v2, v2, v15, v18
	v_add3_u32 v0, v0, v41, v42
	s_delay_alu instid0(VALU_DEP_4) | instskip(NEXT) | instid1(VALU_DEP_2)
	v_mul_f32_e32 v1, v1, v106
	v_add3_u32 v0, v0, v43, v22
	scratch_load_b32 v22, off, off offset:980 ; 4-byte Folded Reload
	v_mul_lo_u32 v0, v0, v113
	s_delay_alu instid0(VALU_DEP_1) | instskip(NEXT) | instid1(VALU_DEP_1)
	v_cvt_f32_i32_e32 v0, v0
	v_fma_mix_f32 v0, v96, v0, 0 op_sel_hi:[1,0,0]
	s_wait_loadcnt 0xb
	v_mul_i32_i24_e32 v24, v27, v24
	scratch_load_b32 v27, off, off offset:352 ; 4-byte Folded Reload
	s_wait_loadcnt 0xb
	v_mul_i32_i24_e32 v23, v68, v23
	s_wait_loadcnt 0xa
	v_mul_i32_i24_e32 v25, v69, v25
	s_wait_loadcnt 0x9
	v_mul_i32_i24_e32 v28, v28, v31
	scratch_load_b32 v31, off, off offset:364 ; 4-byte Folded Reload
	s_wait_loadcnt 0x9
	v_mul_i32_i24_e32 v32, v73, v32
	s_wait_loadcnt 0x8
	v_mul_i32_i24_e32 v33, v74, v33
	;; [unrolled: 7-line block ×3, first 2 shown]
	scratch_load_b32 v26, off, off offset:356 ; 4-byte Folded Reload
	v_add3_u32 v2, v2, v19, v20
	s_wait_loadcnt 0x5
	v_mul_i32_i24_e32 v21, v66, v21
	s_wait_loadcnt 0x4
	v_mul_i32_i24_e32 v22, v67, v22
	s_delay_alu instid0(VALU_DEP_1) | instskip(NEXT) | instid1(VALU_DEP_1)
	v_add3_u32 v2, v2, v21, v22
	v_add3_u32 v2, v2, v23, v24
	s_wait_loadcnt 0x3
	v_mul_i32_i24_e32 v27, v71, v27
	s_wait_loadcnt 0x2
	v_mul_i32_i24_e32 v31, v72, v31
	;; [unrolled: 2-line block ×4, first 2 shown]
	s_delay_alu instid0(VALU_DEP_1) | instskip(NEXT) | instid1(VALU_DEP_1)
	v_add3_u32 v2, v2, v25, v26
	v_add3_u32 v2, v2, v27, v28
	s_delay_alu instid0(VALU_DEP_1) | instskip(NEXT) | instid1(VALU_DEP_1)
	v_add3_u32 v2, v2, v31, v32
	v_add3_u32 v2, v2, v33, v29
	;; [unrolled: 3-line block ×3, first 2 shown]
	s_delay_alu instid0(VALU_DEP_1) | instskip(NEXT) | instid1(VALU_DEP_1)
	v_mul_lo_u32 v2, v2, v3
	v_cvt_f32_i32_e32 v2, v2
	s_delay_alu instid0(VALU_DEP_1) | instskip(NEXT) | instid1(VALU_DEP_1)
	v_fma_mix_f32 v0, v97, v2, v0 op_sel_hi:[1,0,0]
	v_fma_f32 v0, v0, v199, -v1
	scratch_load_b32 v1, off, off offset:548 ; 4-byte Folded Reload
	s_wait_loadcnt 0x0
	v_add_f32_e32 v1, v1, v0
	scratch_load_b32 v0, off, off offset:1276 ; 4-byte Folded Reload
	s_clause 0x4
	scratch_store_b32 off, v254, off offset:680
	scratch_store_b32 off, v156, off offset:688
	;; [unrolled: 1-line block ×5, first 2 shown]
	s_wait_loadcnt 0x0
	v_or_b32_e32 v0, s7, v0
	s_delay_alu instid0(VALU_DEP_1)
	v_lshlrev_b32_e32 v6, 2, v0
	v_lshrrev_b32_e32 v13, 1, v0
	ds_load_b128 v[9:12], v6 offset:16896
	ds_load_b128 v[18:21], v6 offset:16912
	;; [unrolled: 1-line block ×4, first 2 shown]
	s_clause 0x4
	scratch_load_b32 v241, off, off offset:820
	scratch_load_b32 v240, off, off offset:848
	;; [unrolled: 1-line block ×5, first 2 shown]
	ds_load_b64 v[98:99], v13 offset:27200
	scratch_load_b32 v223, off, off offset:948 ; 4-byte Folded Reload
	s_wait_dscnt 0x4
	v_bfe_i32 v15, v9, 0, 8
	s_wait_dscnt 0x3
	v_bfe_i32 v41, v18, 0, 8
	v_bfe_i32 v42, v18, 8, 8
	;; [unrolled: 1-line block ×3, first 2 shown]
	v_ashrrev_i32_e32 v18, 24, v18
	v_bfe_i32 v44, v19, 0, 8
	v_bfe_i32 v45, v19, 8, 8
	;; [unrolled: 1-line block ×3, first 2 shown]
	v_ashrrev_i32_e32 v19, 24, v19
	v_mul_i32_i24_e32 v75, v18, v150
	scratch_load_b32 v150, off, off offset:80 ; 4-byte Folded Reload
	v_mul_i32_i24_e32 v77, v45, v182
	v_mul_i32_i24_e32 v78, v46, v193
	;; [unrolled: 1-line block ×3, first 2 shown]
	s_clause 0x2
	scratch_load_b32 v194, off, off offset:432
	scratch_load_b32 v193, off, off offset:428
	scratch_load_b32 v182, off, off offset:424
	v_bfe_i32 v50, v21, 0, 8
	v_bfe_i32 v51, v21, 8, 8
	;; [unrolled: 1-line block ×3, first 2 shown]
	v_ashrrev_i32_e32 v21, 24, v21
	v_bfe_i32 v22, v9, 8, 8
	v_bfe_i32 v23, v9, 16, 8
	v_ashrrev_i32_e32 v24, 24, v9
	v_mul_i32_i24_e32 v6, v15, v119
	v_mul_i32_i24_e32 v87, v21, v219
	scratch_load_b32 v219, off, off offset:440 ; 4-byte Folded Reload
	v_bfe_i32 v25, v10, 0, 8
	v_bfe_i32 v26, v10, 8, 8
	;; [unrolled: 1-line block ×3, first 2 shown]
	v_ashrrev_i32_e32 v28, 24, v10
	v_mul_i32_i24_e32 v9, v23, v145
	v_mul_i32_i24_e32 v10, v24, v121
	v_mad_i32_i24 v6, v22, v118, v6
	v_bfe_i32 v29, v11, 0, 8
	v_bfe_i32 v30, v11, 8, 8
	;; [unrolled: 1-line block ×3, first 2 shown]
	v_ashrrev_i32_e32 v36, 24, v11
	v_add3_u32 v6, v6, v9, v10
	v_mul_i32_i24_e32 v9, v25, v122
	v_mul_i32_i24_e32 v10, v26, v123
	v_bfe_i32 v37, v12, 0, 8
	v_bfe_i32 v38, v12, 8, 8
	;; [unrolled: 1-line block ×3, first 2 shown]
	v_ashrrev_i32_e32 v40, 24, v12
	v_mul_i32_i24_e32 v11, v27, v126
	v_mul_i32_i24_e32 v12, v28, v127
	v_add3_u32 v6, v6, v9, v10
	v_mul_i32_i24_e32 v13, v29, v128
	v_mul_i32_i24_e32 v14, v30, v133
	v_mul_i32_i24_e32 v66, v31, v134
	v_mul_i32_i24_e32 v67, v36, v139
	v_add3_u32 v6, v6, v11, v12
	v_mul_i32_i24_e32 v68, v37, v140
	v_mul_i32_i24_e32 v69, v38, v141
	;; [unrolled: 5-line block ×3, first 2 shown]
	v_mul_i32_i24_e32 v74, v43, v148
	v_mul_i32_i24_e32 v76, v44, v171
	v_add3_u32 v6, v6, v66, v67
	v_bfe_i32 v47, v20, 0, 8
	v_bfe_i32 v48, v20, 8, 8
	;; [unrolled: 1-line block ×3, first 2 shown]
	v_ashrrev_i32_e32 v20, 24, v20
	v_add3_u32 v6, v6, v68, v69
	v_mul_i32_i24_e32 v80, v47, v202
	v_mul_i32_i24_e32 v81, v48, v203
	;; [unrolled: 1-line block ×4, first 2 shown]
	v_add3_u32 v6, v6, v70, v71
	v_mul_i32_i24_e32 v84, v50, v108
	v_mul_i32_i24_e32 v85, v51, v217
	;; [unrolled: 1-line block ×3, first 2 shown]
	s_wait_dscnt 0x2
	v_bfe_i32 v53, v0, 0, 8
	v_add3_u32 v6, v6, v72, v73
	v_bfe_i32 v54, v0, 8, 8
	v_bfe_i32 v55, v0, 16, 8
	v_ashrrev_i32_e32 v0, 24, v0
	v_bfe_i32 v58, v1, 0, 8
	v_add3_u32 v6, v6, v74, v75
	v_bfe_i32 v60, v1, 8, 8
	v_mul_i32_i24_e32 v9, v55, v157
	v_mul_i32_i24_e32 v10, v0, v253
	v_bfe_i32 v62, v2, 0, 8
	v_add3_u32 v6, v6, v76, v77
	v_bfe_i32 v61, v1, 16, 8
	v_ashrrev_i32_e32 v1, 24, v1
	v_mul_i32_i24_e32 v11, v60, v227
	v_mul_i32_i24_e32 v14, v62, v229
	v_add3_u32 v6, v6, v78, v79
	s_clause 0x1
	scratch_load_b32 v229, off, off offset:1012
	scratch_load_b32 v157, off, off offset:1120
	v_mul_i32_i24_e32 v12, v61, v224
	v_mul_i32_i24_e32 v13, v1, v225
	v_add3_u32 v6, v6, v80, v81
	scratch_load_b32 v147, off, off offset:1016 ; 4-byte Folded Reload
	v_bfe_i32 v63, v2, 8, 8
	v_dual_mov_b32 v107, v242 :: v_dual_mov_b32 v242, v243
	v_add3_u32 v6, v6, v82, v83
	s_clause 0x1
	scratch_load_b32 v253, off, off offset:924
	scratch_load_b32 v243, off, off offset:1220
	v_bfe_i32 v64, v2, 16, 8
	v_ashrrev_i32_e32 v2, 24, v2
	v_add3_u32 v6, v6, v84, v85
	v_mul_i32_i24_e32 v66, v63, v160
	v_mov_b32_e32 v171, v162
	v_mul_i32_i24_e32 v67, v64, v228
	v_mul_i32_i24_e32 v68, v2, v159
	v_add3_u32 v6, v6, v86, v87
	scratch_load_b32 v108, off, off offset:76 ; 4-byte Folded Reload
	v_mul_i32_i24_e32 v69, v239, v36
	scratch_load_b32 v160, off, off offset:816 ; 4-byte Folded Reload
	v_mov_b32_e32 v228, v105
	scratch_store_b32 off, v6, off offset:1672 ; 4-byte Folded Spill
	v_mul_i32_i24_e32 v6, v53, v158
	s_clause 0x3
	scratch_load_b32 v128, off, off offset:1024
	scratch_load_b32 v140, off, off offset:144
	;; [unrolled: 1-line block ×4, first 2 shown]
	v_mad_i32_i24 v6, v54, v146, v6
	v_mul_i32_i24_e32 v70, v109, v37
	v_mov_b32_e32 v225, v230
	v_mul_i32_i24_e32 v72, v107, v39
	v_mov_b32_e32 v159, v232
	v_add3_u32 v9, v6, v9, v10
	v_mul_i32_i24_e32 v10, v58, v226
	v_dual_mov_b32 v226, v215 :: v_dual_mov_b32 v215, v216
	scratch_load_b32 v216, off, off offset:1116 ; 4-byte Folded Reload
	v_mul_i32_i24_e32 v73, v225, v40
	v_add3_u32 v9, v9, v10, v11
	v_mul_i32_i24_e32 v75, v159, v42
	v_bfe_i32 v65, v3, 0, 8
	v_mov_b32_e32 v227, v190
	v_mul_i32_i24_e32 v94, v21, v204
	v_add3_u32 v9, v9, v12, v13
	v_mul_i32_i24_e32 v83, v236, v48
	v_mul_i32_i24_e32 v6, v65, v161
	v_mov_b32_e32 v202, v235
	v_mov_b32_e32 v142, v110
	v_add3_u32 v9, v9, v14, v66
	v_mul_i32_i24_e32 v14, v171, v28
	v_mul_i32_i24_e32 v66, v237, v29
	;; [unrolled: 1-line block ×4, first 2 shown]
	v_add3_u32 v9, v9, v67, v68
	v_mul_i32_i24_e32 v67, v222, v30
	v_mul_i32_i24_e32 v88, v226, v52
	;; [unrolled: 1-line block ×4, first 2 shown]
	scratch_load_b32 v190, off, off offset:864 ; 4-byte Folded Reload
	v_mul_i32_i24_e32 v90, v51, v200
	v_mul_i32_i24_e32 v91, v52, v201
	v_mov_b32_e32 v203, v7
	s_wait_loadcnt 0x17
	v_mul_i32_i24_e32 v10, v241, v15
	s_wait_loadcnt 0x16
	v_mul_i32_i24_e32 v12, v240, v24
	s_wait_loadcnt 0x15
	v_mul_i32_i24_e32 v84, v199, v49
	v_mad_i32_i24 v10, v238, v22, v10
	s_wait_loadcnt 0x11
	v_mul_i32_i24_e32 v11, v150, v23
	s_delay_alu instid0(VALU_DEP_1)
	v_add3_u32 v10, v10, v11, v12
	s_wait_loadcnt 0x10
	v_mul_i32_i24_e32 v11, v194, v25
	s_wait_loadcnt 0xf
	v_mul_i32_i24_e32 v12, v193, v26
	;; [unrolled: 2-line block ×3, first 2 shown]
	s_delay_alu instid0(VALU_DEP_2) | instskip(SKIP_2) | instid1(VALU_DEP_2)
	v_add3_u32 v10, v10, v11, v12
	s_wait_loadcnt 0xd
	v_mul_i32_i24_e32 v68, v219, v31
	v_add3_u32 v10, v10, v13, v14
	s_delay_alu instid0(VALU_DEP_1) | instskip(NEXT) | instid1(VALU_DEP_1)
	v_add3_u32 v10, v10, v66, v67
	v_add3_u32 v10, v10, v68, v69
	v_mul_i32_i24_e32 v69, v105, v63
	scratch_load_b32 v105, off, off offset:936 ; 4-byte Folded Reload
	v_mul_i32_i24_e32 v68, v104, v62
	s_wait_loadcnt 0xd
	v_mul_i32_i24_e32 v12, v229, v55
	s_wait_loadcnt 0xc
	;; [unrolled: 2-line block ×7, first 2 shown]
	v_mul_i32_i24_e32 v74, v160, v41
	v_mov_b32_e32 v145, v160
	s_delay_alu instid0(VALU_DEP_3)
	v_add3_u32 v10, v10, v70, v71
	v_mul_i32_i24_e32 v71, v106, v2
	s_wait_loadcnt 0x6
	v_mul_i32_i24_e32 v76, v128, v43
	s_wait_loadcnt 0x5
	;; [unrolled: 2-line block ×3, first 2 shown]
	v_mul_i32_i24_e32 v80, v162, v46
	v_add3_u32 v10, v10, v72, v73
	v_mul_i32_i24_e32 v73, v37, v176
	v_dual_mov_b32 v176, v182 :: v_dual_mov_b32 v119, v231
	v_mov_b32_e32 v204, v225
	s_delay_alu instid0(VALU_DEP_4)
	v_add3_u32 v10, v10, v74, v75
	v_mul_i32_i24_e32 v72, v36, v175
	v_mul_i32_i24_e32 v74, v38, v177
	;; [unrolled: 1-line block ×3, first 2 shown]
	s_wait_loadcnt 0x2
	v_mul_i32_i24_e32 v11, v216, v53
	v_mul_i32_i24_e32 v75, v39, v178
	;; [unrolled: 1-line block ×3, first 2 shown]
	v_mov_b32_e32 v178, v194
	v_add3_u32 v10, v10, v76, v77
	v_mad_i32_i24 v11, v242, v54, v11
	v_mul_i32_i24_e32 v76, v40, v179
	v_mul_i32_i24_e32 v77, v41, v180
	v_mov_b32_e32 v180, v219
	s_delay_alu instid0(VALU_DEP_4) | instskip(SKIP_2) | instid1(VALU_DEP_2)
	v_add3_u32 v12, v11, v12, v13
	v_mul_i32_i24_e32 v13, v7, v58
	v_mul_i32_i24_e32 v11, v223, v65
	v_add3_u32 v12, v12, v13, v14
	v_mul_i32_i24_e32 v13, v15, v163
	v_mul_i32_i24_e32 v15, v15, v252
	;; [unrolled: 1-line block ×4, first 2 shown]
	v_add3_u32 v12, v12, v66, v67
	v_mul_i32_i24_e32 v66, v24, v166
	v_mul_i32_i24_e32 v24, v24, v130
	v_mad_i32_i24 v15, v22, v246, v15
	v_mad_i32_i24 v13, v22, v165, v13
	v_mul_i32_i24_e32 v22, v25, v247
	v_mul_i32_i24_e32 v67, v27, v169
	v_add3_u32 v12, v12, v68, v69
	v_add3_u32 v15, v15, v23, v24
	v_mul_i32_i24_e32 v23, v26, v248
	v_add3_u32 v13, v13, v14, v66
	v_mul_i32_i24_e32 v14, v25, v167
	v_mul_i32_i24_e32 v24, v27, v249
	;; [unrolled: 1-line block ×3, first 2 shown]
	v_add3_u32 v15, v15, v22, v23
	v_mul_i32_i24_e32 v66, v26, v168
	v_mul_i32_i24_e32 v26, v29, v124
	;; [unrolled: 1-line block ×4, first 2 shown]
	v_add3_u32 v15, v15, v24, v25
	v_mul_i32_i24_e32 v69, v29, v172
	v_add3_u32 v13, v13, v14, v66
	v_mul_i32_i24_e32 v28, v31, v131
	v_mul_i32_i24_e32 v29, v36, v132
	v_add3_u32 v15, v15, v26, v27
	v_mul_i32_i24_e32 v36, v39, v4
	v_add3_u32 v13, v13, v67, v68
	v_mul_i32_i24_e32 v68, v61, v206
	v_dual_mov_b32 v206, v226 :: v_dual_mov_b32 v139, v234
	v_add3_u32 v15, v15, v28, v29
	v_mov_b32_e32 v161, v233
	v_mul_i32_i24_e32 v39, v42, v111
	v_mul_i32_i24_e32 v22, v63, v144
	;; [unrolled: 1-line block ×3, first 2 shown]
	v_mov_b32_e32 v144, v139
	v_mul_i32_i24_e32 v81, v161, v19
	v_mul_i32_i24_e32 v87, v227, v51
	v_mul_i32_i24_e32 v66, v0, v195
	v_add3_u32 v10, v10, v78, v79
	v_mul_i32_i24_e32 v78, v42, v181
	v_mul_i32_i24_e32 v42, v45, v221
	v_mul_i32_i24_e32 v79, v43, v183
	v_mul_i32_i24_e32 v0, v0, v154
	v_add3_u32 v10, v10, v80, v81
	v_mul_i32_i24_e32 v80, v18, v184
	;; [unrolled: 5-line block ×3, first 2 shown]
	v_mul_i32_i24_e32 v45, v48, v136
	v_mul_i32_i24_e32 v83, v46, v187
	s_wait_dscnt 0x1
	v_bfe_i32 v24, v32, 8, 8
	v_add3_u32 v10, v10, v84, v85
	v_mul_i32_i24_e32 v84, v19, v188
	v_mul_i32_i24_e32 v19, v19, v17
	;; [unrolled: 1-line block ×3, first 2 shown]
	v_bfe_i32 v17, v3, 16, 8
	v_add3_u32 v10, v10, v86, v87
	v_mul_i32_i24_e32 v86, v48, v192
	v_mul_i32_i24_e32 v48, v51, v151
	;; [unrolled: 1-line block ×4, first 2 shown]
	v_add3_u32 v10, v10, v88, v89
	v_mul_i32_i24_e32 v88, v20, v197
	v_mul_i32_i24_e32 v20, v20, v156
	;; [unrolled: 1-line block ×4, first 2 shown]
	v_mov_b32_e32 v181, v222
	s_wait_loadcnt 0x0
	v_mul_i32_i24_e32 v70, v105, v64
	s_delay_alu instid0(VALU_DEP_1)
	v_add3_u32 v12, v12, v70, v71
	v_mul_i32_i24_e32 v70, v30, v173
	v_mul_i32_i24_e32 v71, v31, v174
	;; [unrolled: 1-line block ×8, first 2 shown]
	v_add3_u32 v15, v15, v30, v31
	v_mul_i32_i24_e32 v43, v46, v120
	v_mul_i32_i24_e32 v44, v47, v16
	;; [unrolled: 1-line block ×4, first 2 shown]
	v_add3_u32 v15, v15, v36, v37
	v_mul_i32_i24_e32 v49, v52, v95
	v_add3_u32 v13, v13, v69, v70
	v_mul_i32_i24_e32 v69, v1, v209
	v_mul_i32_i24_e32 v1, v1, v115
	v_add3_u32 v15, v15, v38, v39
	v_mul_i32_i24_e32 v70, v62, v210
	v_add3_u32 v13, v13, v71, v72
	v_mul_i32_i24_e32 v72, v64, v211
	v_mul_i32_i24_e32 v71, v63, v212
	;; [unrolled: 5-line block ×3, first 2 shown]
	v_add3_u32 v15, v15, v41, v42
	v_mov_b32_e32 v137, v241
	v_add3_u32 v13, v13, v75, v76
	v_mov_b32_e32 v174, v238
	s_delay_alu instid0(VALU_DEP_4) | instskip(SKIP_1) | instid1(VALU_DEP_4)
	v_add3_u32 v15, v15, v43, v19
	v_mul_i32_i24_e32 v19, v61, v255
	v_add3_u32 v13, v13, v77, v78
	s_delay_alu instid0(VALU_DEP_3) | instskip(NEXT) | instid1(VALU_DEP_2)
	v_add3_u32 v15, v15, v44, v45
	v_add3_u32 v13, v13, v79, v80
	s_delay_alu instid0(VALU_DEP_2) | instskip(SKIP_1) | instid1(VALU_DEP_3)
	v_add3_u32 v15, v15, v46, v20
	v_mul_i32_i24_e32 v20, v62, v116
	v_add3_u32 v13, v13, v81, v82
	s_delay_alu instid0(VALU_DEP_3) | instskip(NEXT) | instid1(VALU_DEP_2)
	v_add3_u32 v15, v15, v47, v48
	v_add3_u32 v13, v13, v83, v84
	s_delay_alu instid0(VALU_DEP_2) | instskip(SKIP_1) | instid1(VALU_DEP_3)
	v_add3_u32 v15, v15, v49, v21
	v_mul_i32_i24_e32 v21, v65, v250
	v_add3_u32 v13, v13, v85, v86
	s_delay_alu instid0(VALU_DEP_3) | instskip(NEXT) | instid1(VALU_DEP_2)
	v_mul_lo_u32 v15, v15, v113
	v_add3_u32 v13, v13, v87, v88
	s_delay_alu instid0(VALU_DEP_1) | instskip(NEXT) | instid1(VALU_DEP_3)
	v_add3_u32 v13, v13, v89, v90
	v_cvt_f32_i32_e32 v4, v15
	v_mul_i32_i24_e32 v15, v53, v57
	s_delay_alu instid0(VALU_DEP_3)
	v_add3_u32 v13, v13, v91, v94
	scratch_store_b32 off, v4, off offset:1680 ; 4-byte Folded Spill
	v_mad_i32_i24 v15, v54, v56, v15
	scratch_load_b32 v4, off, off offset:660 th:TH_LOAD_LU ; 4-byte Folded Reload
	v_mul_lo_u32 v13, v13, v190
	v_add3_u32 v0, v15, v18, v0
	v_mul_i32_i24_e32 v15, v58, v101
	v_mul_i32_i24_e32 v18, v60, v114
	s_delay_alu instid0(VALU_DEP_4) | instskip(NEXT) | instid1(VALU_DEP_2)
	v_cvt_f32_i32_e32 v7, v13
	v_add3_u32 v0, v0, v15, v18
	v_mul_i32_i24_e32 v13, v53, v189
	scratch_store_b32 off, v7, off offset:1676 ; 4-byte Folded Spill
	v_add3_u32 v0, v0, v19, v1
	v_mad_i32_i24 v13, v54, v208, v13
	v_bfe_i32 v7, v3, 8, 8
	v_ashrrev_i32_e32 v3, 24, v3
	s_delay_alu instid0(VALU_DEP_4) | instskip(NEXT) | instid1(VALU_DEP_4)
	v_add3_u32 v0, v0, v20, v22
	v_add3_u32 v14, v13, v14, v66
	v_mul_i32_i24_e32 v66, v58, v205
	v_mul_i32_i24_e32 v13, v65, v214
	s_delay_alu instid0(VALU_DEP_4) | instskip(SKIP_3) | instid1(VALU_DEP_1)
	v_add3_u32 v30, v0, v23, v2
	scratch_load_b32 v0, off, off offset:1280 ; 4-byte Folded Reload
	v_bfe_i32 v23, v32, 0, 8
	v_add3_u32 v14, v14, v66, v67
	v_add3_u32 v14, v14, v68, v69
	s_delay_alu instid0(VALU_DEP_1) | instskip(NEXT) | instid1(VALU_DEP_1)
	v_add3_u32 v14, v14, v70, v71
	v_add3_u32 v14, v14, v72, v73
	s_wait_loadcnt 0x0
	v_or_b32_e32 v0, s7, v0
	s_delay_alu instid0(VALU_DEP_1) | instskip(SKIP_4) | instid1(VALU_DEP_1)
	v_lshlrev_b32_e32 v19, 2, v0
	v_lshrrev_b32_e32 v20, 1, v0
	scratch_load_b32 v0, off, off offset:1284 ; 4-byte Folded Reload
	s_wait_loadcnt 0x0
	v_or_b32_e32 v0, s7, v0
	v_lshlrev_b32_e32 v18, 2, v0
	v_lshrrev_b32_e32 v53, 1, v0
	scratch_load_b32 v0, off, off offset:1288 ; 4-byte Folded Reload
	s_wait_loadcnt 0x0
	v_or_b32_e32 v0, s7, v0
	s_delay_alu instid0(VALU_DEP_1) | instskip(SKIP_4) | instid1(VALU_DEP_1)
	v_lshlrev_b32_e32 v15, 2, v0
	v_lshrrev_b32_e32 v52, 1, v0
	scratch_load_b32 v0, off, off offset:1292 ; 4-byte Folded Reload
	s_wait_loadcnt 0x0
	v_or_b32_e32 v0, s7, v0
	v_lshlrev_b32_e32 v1, 2, v0
	v_lshrrev_b32_e32 v54, 1, v0
	scratch_load_b32 v0, off, off offset:1296 ; 4-byte Folded Reload
	scratch_store_b32 off, v1, off offset:1628 ; 4-byte Folded Spill
	s_wait_loadcnt 0x0
	v_or_b32_e32 v0, s7, v0
	s_delay_alu instid0(VALU_DEP_1)
	v_lshlrev_b32_e32 v2, 2, v0
	v_lshrrev_b32_e32 v1, 1, v0
	scratch_load_b32 v0, off, off offset:1068 th:TH_LOAD_LU ; 4-byte Folded Reload
	s_wait_loadcnt 0x0
	v_and_b32_e32 v143, 0xffff, v0
	ds_load_u16 v0, v4
	ds_load_u8 v218, v4 offset:1
	ds_load_u16 v8, v4 offset:8
	s_clause 0xd
	scratch_load_b32 v5, off, off offset:1064 th:TH_LOAD_LU
	scratch_load_b32 v231, off, off offset:968
	scratch_load_b32 v125, off, off offset:960
	;; [unrolled: 1-line block ×13, first 2 shown]
	v_mov_b32_e32 v177, v193
	v_mov_b32_e32 v183, v237
	s_wait_dscnt 0x2
	v_lshrrev_b16 v16, 8, v0
	v_and_b32_e32 v4, 0xff, v0
	scratch_load_b32 v0, off, off offset:1056 th:TH_LOAD_LU ; 4-byte Folded Reload
	s_wait_dscnt 0x0
	v_cvt_f32_ubyte0_e32 v221, v8
	v_cvt_f32_ubyte1_e32 v232, v8
	v_and_b32_e32 v16, 0xffff, v16
	v_mov_b32_e32 v166, v4
	v_mov_b32_e32 v238, v218
	scratch_store_b32 off, v166, off offset:660 ; 4-byte Folded Spill
	s_wait_loadcnt 0xe
	v_mul_lo_u32 v5, v5, v16
	s_wait_loadcnt 0xd
	v_mul_i32_i24_e32 v25, v7, v231
	s_wait_loadcnt 0xc
	v_mul_i32_i24_e32 v26, v17, v125
	;; [unrolled: 2-line block ×3, first 2 shown]
	v_add3_u32 v6, v9, v6, v25
	s_wait_loadcnt 0x8
	v_mul_i32_i24_e32 v28, v23, v235
	s_wait_loadcnt 0x7
	v_mul_i32_i24_e32 v29, v24, v158
	;; [unrolled: 2-line block ×3, first 2 shown]
	v_cvt_f32_i32_e32 v5, v5
	v_add3_u32 v6, v6, v26, v27
	scratch_load_b32 v27, off, off offset:1020 ; 4-byte Folded Reload
	v_mul_i32_i24_e32 v26, v173, v24
	v_add3_u32 v64, v6, v28, v29
	v_mul_lo_u32 v6, v10, v166
	s_clause 0x1
	scratch_load_b32 v29, off, off offset:1124
	scratch_load_b32 v28, off, off offset:900
	s_wait_loadcnt 0x3
	v_mul_lo_u32 v0, v0, v4
	s_delay_alu instid0(VALU_DEP_1) | instskip(NEXT) | instid1(VALU_DEP_1)
	v_cvt_f32_i32_e32 v0, v0
	v_fma_mix_f32 v16, v92, v0, 0 op_sel_hi:[1,0,0]
	scratch_load_b32 v0, off, off offset:1356 th:TH_LOAD_LU ; 4-byte Folded Reload
	v_fma_mix_f32 v5, v93, v5, v16 op_sel_hi:[1,0,0]
	s_wait_loadcnt 0x3
	v_mul_i32_i24_e32 v10, v27, v3
	s_wait_loadcnt 0x1
	v_mul_i32_i24_e32 v9, v28, v17
	s_wait_loadcnt 0x0
	v_mul_lo_u32 v0, v0, v4
	v_fma_mix_f32 v4, v92, v221, 0 op_sel:[1,0,0] op_sel_hi:[1,0,0]
	s_delay_alu instid0(VALU_DEP_1) | instskip(NEXT) | instid1(VALU_DEP_3)
	v_fma_mix_f32 v4, v93, v232, v4 op_sel:[1,0,0] op_sel_hi:[1,0,0]
	v_cvt_f32_i32_e32 v0, v0
	s_delay_alu instid0(VALU_DEP_1)
	v_fma_mix_f32 v83, v96, v0, 0 op_sel_hi:[1,0,0]
	v_cvt_f32_i32_e32 v0, v6
	v_mul_i32_i24_e32 v6, v29, v7
	scratch_store_b32 off, v0, off offset:1684 ; 4-byte Folded Spill
	scratch_load_b32 v0, off, off offset:64 ; 4-byte Folded Reload
	v_add3_u32 v6, v12, v11, v6
	v_mul_i32_i24_e32 v11, v23, v210
	v_mul_i32_i24_e32 v12, v24, v211
	s_delay_alu instid0(VALU_DEP_3) | instskip(SKIP_2) | instid1(VALU_DEP_3)
	v_add3_u32 v6, v6, v9, v10
	v_mul_i32_i24_e32 v10, v3, v209
	v_mul_i32_i24_e32 v9, v17, v207
	v_add3_u32 v80, v6, v25, v26
	v_mul_i32_i24_e32 v6, v7, v208
	v_mul_i32_i24_e32 v7, v7, v103
	s_delay_alu instid0(VALU_DEP_2) | instskip(NEXT) | instid1(VALU_DEP_2)
	v_add3_u32 v6, v14, v13, v6
	v_add3_u32 v7, v30, v21, v7
	s_delay_alu instid0(VALU_DEP_2) | instskip(SKIP_1) | instid1(VALU_DEP_2)
	v_add3_u32 v6, v6, v9, v10
	v_mul_i32_i24_e32 v9, v17, v102
	v_add3_u32 v22, v6, v11, v12
	s_wait_loadcnt 0x0
	v_mul_i32_i24_e32 v3, v3, v0
	scratch_load_b32 v0, off, off offset:68 ; 4-byte Folded Reload
	v_add3_u32 v3, v7, v9, v3
	s_wait_loadcnt 0x0
	v_mul_i32_i24_e32 v10, v23, v0
	scratch_load_b32 v0, off, off offset:980 ; 4-byte Folded Reload
	s_wait_loadcnt 0x0
	v_mul_i32_i24_e32 v11, v24, v0
	scratch_load_b32 v0, off, off offset:1048 ; 4-byte Folded Reload
	v_add3_u32 v21, v3, v10, v11
	scratch_load_b32 v3, off, off offset:1060 th:TH_LOAD_LU ; 4-byte Folded Reload
	s_wait_loadcnt 0x1
	v_mul_f32_e32 v4, v4, v0
	v_mov_b32_e32 v217, v0
	v_mov_b32_e32 v175, v171
	;; [unrolled: 1-line block ×3, first 2 shown]
	s_delay_alu instid0(VALU_DEP_4)
	v_fma_f32 v4, v5, v230, -v4
	scratch_load_b64 v[5:6], off, off offset:504 ; 8-byte Folded Reload
	s_wait_loadcnt 0x1
	v_cvt_f32_ubyte0_e32 v234, v3
	v_cvt_f32_ubyte1_e32 v233, v3
	v_mov_b32_e32 v179, v239
	s_wait_loadcnt 0x0
	v_add_f32_e32 v5, v5, v4
	scratch_store_b64 off, v[5:6], off offset:504 ; 8-byte Folded Spill
	ds_load_b128 v[48:51], v19 offset:16896
	ds_load_b128 v[44:47], v19 offset:16912
	ds_load_b128 v[40:43], v19 offset:16928
	ds_load_b128 v[36:39], v19 offset:16944
	ds_load_b64 v[94:95], v20 offset:27200
	ds_load_b128 v[65:68], v18 offset:16896
	ds_load_b128 v[84:87], v18 offset:16912
	ds_load_b128 v[56:59], v18 offset:16928
	ds_load_b128 v[60:63], v18 offset:16944
	ds_load_b64 v[126:127], v53 offset:27200
	;; [unrolled: 5-line block ×3, first 2 shown]
	ds_load_b64 v[3:4], v54 offset:27200
	s_wait_dscnt 0x0
	scratch_store_b64 off, v[3:4], off offset:1620 ; 8-byte Folded Spill
	ds_load_b128 v[7:10], v2 offset:16896
	ds_load_b128 v[11:14], v2 offset:16912
	;; [unrolled: 1-line block ×4, first 2 shown]
	ds_load_b64 v[167:168], v1 offset:27200
	s_clause 0x3
	scratch_load_b32 v248, off, off offset:1140
	scratch_load_b32 v249, off, off offset:1204
	;; [unrolled: 1-line block ×4, first 2 shown]
	s_wait_dscnt 0x4
	v_bfe_i32 v2, v7, 0, 8
	v_bfe_i32 v4, v7, 16, 8
	;; [unrolled: 1-line block ×3, first 2 shown]
	v_ashrrev_i32_e32 v6, 24, v7
	v_bfe_i32 v3, v8, 0, 8
	s_clause 0x1
	scratch_store_b32 off, v2, off offset:1356
	scratch_store_b32 off, v4, off offset:1360
	v_mul_i32_i24_e32 v1, v137, v2
	v_mul_i32_i24_e32 v2, v150, v4
	v_mov_b32_e32 v150, v240
	v_bfe_i32 v5, v8, 8, 8
	s_clause 0x2
	scratch_store_b32 off, v6, off offset:1364
	scratch_store_b32 off, v0, off offset:1372
	scratch_store_b32 off, v3, off offset:1368
	v_mul_i32_i24_e32 v4, v150, v6
	v_mad_i32_i24 v1, v174, v0, v1
	v_bfe_i32 v7, v8, 16, 8
	v_ashrrev_i32_e32 v8, 24, v8
	v_mul_i32_i24_e32 v16, v178, v3
	v_mul_i32_i24_e32 v6, v177, v5
	v_add3_u32 v1, v1, v2, v4
	s_clause 0x1
	scratch_store_b32 off, v5, off offset:1376
	scratch_store_b32 off, v7, off offset:1380
	v_bfe_i32 v15, v9, 0, 8
	v_bfe_i32 v18, v9, 8, 8
	v_mul_i32_i24_e32 v5, v176, v7
	v_mul_i32_i24_e32 v7, v175, v8
	v_add3_u32 v1, v1, v16, v6
	s_clause 0x2
	scratch_store_b32 off, v8, off offset:1384
	scratch_store_b32 off, v15, off offset:1388
	;; [unrolled: 1-line block ×3, first 2 shown]
	v_bfe_i32 v19, v9, 16, 8
	v_ashrrev_i32_e32 v20, 24, v9
	v_mul_i32_i24_e32 v8, v183, v15
	v_mul_i32_i24_e32 v9, v181, v18
	v_add3_u32 v1, v1, v5, v7
	v_bfe_i32 v81, v10, 0, 8
	v_bfe_i32 v82, v10, 8, 8
	;; [unrolled: 1-line block ×3, first 2 shown]
	v_ashrrev_i32_e32 v153, 24, v10
	s_wait_dscnt 0x3
	v_bfe_i32 v152, v11, 0, 8
	v_bfe_i32 v155, v11, 8, 8
	;; [unrolled: 1-line block ×3, first 2 shown]
	v_ashrrev_i32_e32 v163, 24, v11
	v_mul_i32_i24_e32 v10, v180, v19
	v_mul_i32_i24_e32 v11, v179, v20
	v_add3_u32 v1, v1, v8, v9
	v_bfe_i32 v164, v12, 0, 8
	v_bfe_i32 v165, v12, 8, 8
	;; [unrolled: 1-line block ×3, first 2 shown]
	v_ashrrev_i32_e32 v172, 24, v12
	v_bfe_i32 v184, v13, 0, 8
	v_bfe_i32 v185, v13, 8, 8
	;; [unrolled: 1-line block ×3, first 2 shown]
	v_ashrrev_i32_e32 v187, 24, v13
	v_mul_i32_i24_e32 v12, v109, v81
	v_mul_i32_i24_e32 v13, v108, v82
	v_add3_u32 v1, v1, v10, v11
	v_bfe_i32 v191, v14, 0, 8
	v_bfe_i32 v192, v14, 8, 8
	;; [unrolled: 1-line block ×3, first 2 shown]
	v_ashrrev_i32_e32 v195, 24, v14
	v_mul_i32_i24_e32 v14, v107, v151
	v_mul_i32_i24_e32 v15, v204, v153
	v_add3_u32 v1, v1, v12, v13
	s_wait_dscnt 0x2
	v_bfe_i32 v101, v52, 0, 8
	v_bfe_i32 v17, v52, 8, 8
	;; [unrolled: 1-line block ×3, first 2 shown]
	v_ashrrev_i32_e32 v138, 24, v52
	v_bfe_i32 v23, v53, 0, 8
	v_bfe_i32 v24, v53, 8, 8
	;; [unrolled: 1-line block ×3, first 2 shown]
	v_ashrrev_i32_e32 v26, 24, v53
	v_mul_i32_i24_e32 v52, v160, v152
	v_mul_i32_i24_e32 v53, v159, v155
	v_add3_u32 v1, v1, v14, v15
	v_bfe_i32 v30, v54, 0, 8
	v_bfe_i32 v31, v54, 8, 8
	;; [unrolled: 1-line block ×3, first 2 shown]
	v_ashrrev_i32_e32 v70, 24, v54
	v_bfe_i32 v71, v55, 0, 8
	v_bfe_i32 v72, v55, 8, 8
	;; [unrolled: 1-line block ×3, first 2 shown]
	v_ashrrev_i32_e32 v74, 24, v55
	v_mul_i32_i24_e32 v54, v128, v156
	v_mul_i32_i24_e32 v55, v119, v163
	v_add3_u32 v1, v1, v52, v53
	s_wait_dscnt 0x1
	v_bfe_i32 v75, v76, 0, 8
	v_bfe_i32 v88, v76, 8, 8
	;; [unrolled: 1-line block ×3, first 2 shown]
	v_ashrrev_i32_e32 v90, 24, v76
	v_bfe_i32 v91, v77, 0, 8
	v_bfe_i32 v100, v77, 8, 8
	;; [unrolled: 1-line block ×3, first 2 shown]
	v_ashrrev_i32_e32 v103, 24, v77
	v_mul_i32_i24_e32 v76, v140, v164
	v_mul_i32_i24_e32 v77, v139, v165
	v_add3_u32 v1, v1, v54, v55
	v_bfe_i32 v110, v78, 0, 8
	v_bfe_i32 v111, v78, 8, 8
	;; [unrolled: 1-line block ×3, first 2 shown]
	v_ashrrev_i32_e32 v113, 24, v78
	v_bfe_i32 v120, v79, 0, 8
	v_bfe_i32 v130, v79, 8, 8
	;; [unrolled: 1-line block ×3, first 2 shown]
	v_ashrrev_i32_e32 v132, 24, v79
	v_mul_i32_i24_e32 v78, v162, v169
	v_mul_i32_i24_e32 v79, v161, v172
	v_add3_u32 v1, v1, v76, v77
	s_clause 0x7
	scratch_store_b32 off, v19, off offset:1396
	scratch_store_b32 off, v20, off offset:1404
	;; [unrolled: 1-line block ×8, first 2 shown]
	v_mul_i32_i24_e32 v81, v149, v184
	v_mul_i32_i24_e32 v82, v236, v185
	v_add3_u32 v1, v1, v78, v79
	v_mul_i32_i24_e32 v4, v199, v186
	v_mul_i32_i24_e32 v3, v202, v187
	s_clause 0x7
	scratch_store_b32 off, v172, off offset:1496
	scratch_store_b32 off, v184, off offset:1504
	scratch_store_b32 off, v185, off offset:1512
	scratch_store_b32 off, v186, off offset:1520
	scratch_store_b32 off, v25, off offset:1492
	scratch_store_b32 off, v26, off offset:1500
	scratch_store_b32 off, v30, off offset:1508
	scratch_store_b32 off, v31, off offset:1516
	v_add3_u32 v1, v1, v81, v82
	v_mul_i32_i24_e32 v6, v157, v138
	scratch_load_b32 v185, off, off offset:1132 ; 4-byte Folded Reload
	v_mov_b32_e32 v153, v157
	v_mov_b32_e32 v157, v242
	v_add3_u32 v1, v1, v4, v3
	v_mul_i32_i24_e32 v4, v216, v101
	v_mul_i32_i24_e32 v5, v229, v114
	v_mul_i32_i24_e32 v2, v142, v191
	v_dual_mov_b32 v139, v142 :: v_dual_mov_b32 v142, v227
	s_delay_alu instid0(VALU_DEP_4)
	v_mad_i32_i24 v4, v157, v17, v4
	s_clause 0x2
	scratch_load_b32 v159, off, off offset:912
	scratch_load_b32 v161, off, off offset:1216
	;; [unrolled: 1-line block ×3, first 2 shown]
	v_mul_i32_i24_e32 v0, v142, v192
	v_add3_u32 v4, v4, v5, v6
	v_mul_i32_i24_e32 v6, v147, v24
	v_mov_b32_e32 v147, v253
	scratch_load_b32 v253, off, off offset:1136 ; 4-byte Folded Reload
	s_clause 0x7
	scratch_store_b32 off, v187, off offset:1528
	scratch_store_b32 off, v191, off offset:1536
	;; [unrolled: 1-line block ×8, first 2 shown]
	v_mul_i32_i24_e32 v18, v206, v196
	v_add3_u32 v0, v1, v2, v0
	v_mov_b32_e32 v196, v216
	v_mul_i32_i24_e32 v19, v215, v195
	scratch_load_b32 v1, off, off offset:1348 th:TH_LOAD_LU ; 4-byte Folded Reload
	v_dual_mov_b32 v128, v170 :: v_dual_mov_b32 v119, v173
	s_clause 0x7
	scratch_store_b32 off, v156, off offset:1428
	scratch_store_b32 off, v101, off offset:1432
	;; [unrolled: 1-line block ×8, first 2 shown]
	v_add3_u32 v0, v0, v18, v19
	v_mul_i32_i24_e32 v18, v170, v75
	v_mul_i32_i24_e32 v19, v173, v88
	s_clause 0x1
	scratch_load_b32 v173, off, off offset:1212
	scratch_load_b32 v170, off, off offset:840
	s_clause 0x7
	scratch_store_b32 off, v169, off offset:1488
	scratch_store_b32 off, v73, off offset:1460
	;; [unrolled: 1-line block ×8, first 2 shown]
	v_dual_mov_b32 v165, v162 :: v_dual_mov_b32 v156, v228
	v_mov_b32_e32 v151, v203
	s_clause 0x1
	scratch_load_b32 v169, off, off offset:836
	scratch_load_b32 v162, off, off offset:1208
	v_mov_b32_e32 v101, v243
	v_mul_i32_i24_e32 v5, v147, v25
	v_mul_i32_i24_e32 v17, v151, v23
	scratch_load_b32 v184, off, off offset:1128 ; 4-byte Folded Reload
	s_clause 0x7
	scratch_store_b32 off, v89, off offset:1556
	scratch_store_b32 off, v90, off offset:1560
	;; [unrolled: 1-line block ×8, first 2 shown]
	v_mul_i32_i24_e32 v8, v101, v26
	v_add3_u32 v4, v4, v17, v6
	s_clause 0x5
	scratch_store_b32 off, v112, off offset:1588
	scratch_store_b32 off, v113, off offset:1592
	;; [unrolled: 1-line block ×6, first 2 shown]
	v_add3_u32 v4, v4, v5, v8
	s_clause 0x8
	scratch_load_b32 v5, off, off offset:1352 th:TH_LOAD_LU
	scratch_load_b32 v6, off, off offset:1644 th:TH_LOAD_LU
	;; [unrolled: 1-line block ×3, first 2 shown]
	scratch_load_b32 v228, off, off offset:1052
	scratch_load_b32 v189, off, off offset:1144
	;; [unrolled: 1-line block ×6, first 2 shown]
	v_mul_lo_u32 v0, v0, v166
	v_mov_b32_e32 v203, v29
	s_clause 0x7
	scratch_load_b32 v182, off, off offset:1156
	scratch_load_b32 v188, off, off offset:1160
	;; [unrolled: 1-line block ×8, first 2 shown]
	v_mov_b32_e32 v163, v104
	v_mul_i32_i24_e32 v10, v156, v31
	v_dual_mov_b32 v155, v105 :: v_dual_mov_b32 v114, v106
	v_mov_b32_e32 v164, v223
	s_delay_alu instid0(VALU_DEP_4) | instskip(SKIP_1) | instid1(VALU_DEP_4)
	v_mul_i32_i24_e32 v9, v163, v30
	v_mul_i32_i24_e32 v14, v29, v72
	;; [unrolled: 1-line block ×5, first 2 shown]
	v_add3_u32 v4, v4, v9, v10
	v_mul_i32_i24_e32 v15, v28, v73
	v_mul_i32_i24_e32 v16, v27, v74
	v_fma_mix_f32 v3, v92, v234, 0 op_sel:[1,0,0] op_sel_hi:[1,0,0]
	v_cvt_f32_i32_e32 v0, v0
	v_add3_u32 v4, v4, v11, v12
	s_wait_dscnt 0x0
	v_fma_mix_f32 v20, v167, v221, 0 op_sel:[1,0,0] op_sel_hi:[1,0,0]
	s_clause 0x6
	scratch_load_b32 v236, off, off offset:456
	scratch_load_b32 v223, off, off offset:756
	;; [unrolled: 1-line block ×7, first 2 shown]
	v_add3_u32 v4, v4, v13, v14
	v_fma_mix_f32 v0, v167, v0, 0 op_sel_hi:[1,0,0]
	s_clause 0x7
	scratch_load_b32 v237, off, off offset:824
	scratch_load_b32 v212, off, off offset:792
	;; [unrolled: 1-line block ×8, first 2 shown]
	v_add3_u32 v4, v4, v15, v16
	s_clause 0x7
	scratch_load_b32 v242, off, off offset:392
	scratch_load_b32 v243, off, off offset:396
	;; [unrolled: 1-line block ×8, first 2 shown]
	v_add3_u32 v4, v4, v18, v19
	v_ashrrev_i32_e32 v9, 24, v34
	v_bfe_i32 v10, v35, 0, 8
	v_bfe_i32 v11, v35, 8, 8
	;; [unrolled: 1-line block ×3, first 2 shown]
	v_ashrrev_i32_e32 v13, 24, v35
	s_clause 0x2
	scratch_load_b32 v216, off, off offset:1656 th:TH_LOAD_LU
	scratch_load_b32 v222, off, off offset:1192
	scratch_load_b32 v226, off, off offset:1196
	scratch_store_b64 off, v[167:168], off offset:1612 ; 8-byte Folded Spill
	v_bfe_i32 v70, v44, 8, 8
	v_bfe_i32 v71, v44, 16, 8
	;; [unrolled: 1-line block ×4, first 2 shown]
	v_ashrrev_i32_e32 v74, 24, v51
	v_bfe_i32 v72, v46, 8, 8
	v_bfe_i32 v73, v46, 16, 8
	scratch_load_b32 v167, off, off offset:1188 ; 4-byte Folded Reload
	v_bfe_i32 v69, v44, 0, 8
	v_bfe_i32 v30, v40, 0, 8
	v_mov_b32_e32 v140, v28
	v_bfe_i32 v28, v40, 16, 8
	v_ashrrev_i32_e32 v29, 24, v40
	v_bfe_i32 v31, v42, 16, 8
	v_ashrrev_i32_e32 v104, 24, v36
	v_bfe_i32 v105, v37, 0, 8
	v_bfe_i32 v109, v37, 16, 8
	;; [unrolled: 1-line block ×3, first 2 shown]
	scratch_store_b32 off, v238, off offset:1104 ; 4-byte Folded Spill
	s_wait_loadcnt 0x3a
	v_mul_i32_i24_e32 v77, v248, v103
	v_bfe_i32 v103, v39, 0, 8
	s_wait_loadcnt 0x37
	v_mul_i32_i24_e32 v76, v239, v102
	v_bfe_i32 v102, v36, 16, 8
	s_wait_loadcnt 0x36
	v_mul_i32_i24_e32 v2, v185, v131
	scratch_load_b32 v131, off, off offset:856 ; 4-byte Folded Reload
	s_wait_loadcnt 0x36
	v_mul_i32_i24_e32 v52, v159, v89
	s_wait_loadcnt 0x35
	v_mul_i32_i24_e32 v54, v161, v91
	;; [unrolled: 2-line block ×3, first 2 shown]
	v_mul_i32_i24_e32 v91, v249, v120
	v_bfe_i32 v100, v48, 8, 8
	v_bfe_i32 v89, v49, 0, 8
	;; [unrolled: 1-line block ×3, first 2 shown]
	s_wait_loadcnt 0x33
	v_mul_i32_i24_e32 v53, v253, v90
	v_bfe_i32 v90, v49, 8, 8
	s_delay_alu instid0(VALU_DEP_2) | instskip(SKIP_1) | instid1(VALU_DEP_2)
	v_add3_u32 v4, v4, v52, v53
	v_mul_i32_i24_e32 v52, v185, v12
	v_add3_u32 v4, v4, v54, v55
	v_bfe_i32 v54, v50, 16, 8
	v_ashrrev_i32_e32 v55, 24, v50
	s_wait_loadcnt 0x32
	v_mul_lo_u32 v1, v1, v190
	v_add3_u32 v4, v4, v76, v77
	v_ashrrev_i32_e32 v76, 24, v46
	v_bfe_i32 v77, v47, 0, 8
	s_delay_alu instid0(VALU_DEP_4) | instskip(NEXT) | instid1(VALU_DEP_1)
	v_cvt_f32_i32_e32 v1, v1
	v_fma_mix_f32 v7, v92, v1, 0 op_sel_hi:[1,0,0]
	s_wait_loadcnt 0x31
	v_mul_i32_i24_e32 v78, v173, v110
	s_wait_loadcnt 0x30
	v_mul_i32_i24_e32 v79, v170, v111
	v_mul_i32_i24_e32 v92, v251, v130
	scratch_load_b32 v130, off, off offset:420 ; 4-byte Folded Reload
	v_ashrrev_i32_e32 v111, 24, v41
	v_bfe_i32 v110, v38, 0, 8
	v_add3_u32 v4, v4, v78, v79
	v_bfe_i32 v78, v51, 8, 8
	v_bfe_i32 v51, v45, 16, 8
	;; [unrolled: 1-line block ×3, first 2 shown]
	s_wait_loadcnt 0x30
	v_mul_i32_i24_e32 v81, v169, v112
	s_wait_loadcnt 0x2f
	v_mul_i32_i24_e32 v82, v162, v113
	v_bfe_i32 v112, v42, 0, 8
	v_bfe_i32 v113, v36, 8, 8
	s_wait_loadcnt 0x2e
	v_mul_i32_i24_e32 v1, v184, v132
	v_add3_u32 v4, v4, v81, v82
	scratch_load_b32 v132, off, off offset:860 ; 4-byte Folded Reload
	v_mul_i32_i24_e32 v53, v184, v13
	v_bfe_i32 v81, v48, 0, 8
	v_bfe_i32 v82, v48, 16, 8
	v_add3_u32 v4, v4, v91, v92
	v_bfe_i32 v92, v49, 16, 8
	v_bfe_i32 v91, v41, 16, 8
	s_delay_alu instid0(VALU_DEP_3) | instskip(SKIP_1) | instid1(VALU_DEP_2)
	v_add3_u32 v1, v4, v2, v1
	v_bfe_i32 v4, v33, 16, 8
	v_mul_lo_u32 v1, v1, v218
	s_wait_loadcnt 0x2c
	v_add3_u32 v5, v8, v5, v6
	v_bfe_i32 v6, v34, 0, 8
	v_bfe_i32 v8, v34, 16, 8
	s_wait_loadcnt 0x2a
	v_mul_i32_i24_e32 v26, v89, v189
	s_wait_loadcnt 0x29
	v_mul_i32_i24_e32 v24, v90, v191
	v_mul_lo_u32 v2, v5, v143
	v_cvt_f32_i32_e32 v1, v1
	v_ashrrev_i32_e32 v5, 24, v33
	s_wait_loadcnt 0x26
	v_mul_i32_i24_e32 v18, v4, v240
	v_mul_i32_i24_e32 v25, v92, v194
	v_fma_mix_f32 v0, v168, v1, v0 op_sel_hi:[1,0,0]
	v_cvt_f32_i32_e32 v2, v2
	s_delay_alu instid0(VALU_DEP_1)
	v_fma_mix_f32 v1, v93, v2, v7 op_sel_hi:[1,0,0]
	v_fma_mix_f32 v2, v93, v233, v3 op_sel:[1,0,0] op_sel_hi:[1,0,0]
	v_fma_mix_f32 v3, v168, v232, v20 op_sel:[1,0,0] op_sel_hi:[1,0,0]
	v_bfe_i32 v7, v34, 8, 8
	scratch_load_b32 v168, off, off offset:636 ; 4-byte Folded Reload
	v_ashrrev_i32_e32 v93, 24, v49
	v_dual_mul_f32 v2, v2, v228 :: v_dual_mov_b32 v229, v217
	scratch_load_b32 v217, off, off offset:752 ; 4-byte Folded Reload
	v_bfe_i32 v49, v45, 0, 8
	v_fma_f32 v1, v1, v152, -v2
	v_mul_f32_e32 v3, v3, v229
	scratch_load_b32 v2, off, off offset:1664 th:TH_LOAD_LU ; 4-byte Folded Reload
	scratch_store_b32 off, v1, off offset:1348 ; 4-byte Folded Spill
	scratch_load_b32 v1, off, off offset:1652 th:TH_LOAD_LU ; 4-byte Folded Reload
	v_fma_f32 v0, v0, v230, -v3
	v_bfe_i32 v3, v33, 8, 8
	scratch_store_b32 off, v0, off offset:1352 ; 4-byte Folded Spill
	v_fma_mix_f32 v0, v221, v96, 0 op_sel:[0,1,0] op_sel_hi:[0,1,0]
	s_delay_alu instid0(VALU_DEP_1) | instskip(NEXT) | instid1(VALU_DEP_1)
	v_fma_mix_f32 v0, v232, v97, v0 op_sel:[0,1,0] op_sel_hi:[0,1,0]
	v_mul_f32_e32 v0, v0, v229
	s_wait_loadcnt 0x11
	v_mul_i32_i24_e32 v17, v3, v243
	s_wait_loadcnt 0x10
	v_mul_i32_i24_e32 v20, v6, v255
	;; [unrolled: 2-line block ×8, first 2 shown]
	s_wait_loadcnt 0x0
	v_mul_lo_u32 v1, v1, v218
	s_delay_alu instid0(VALU_DEP_1) | instskip(NEXT) | instid1(VALU_DEP_1)
	v_cvt_f32_i32_e32 v1, v1
	v_fma_mix_f32 v1, v97, v1, v83 op_sel_hi:[1,0,0]
	v_bfe_i32 v83, v41, 8, 8
	s_delay_alu instid0(VALU_DEP_2)
	v_fma_f32 v0, v1, v230, -v0
	scratch_load_b32 v1, off, off offset:588 ; 4-byte Folded Reload
	s_wait_loadcnt 0x0
	v_add_f32_e32 v1, v1, v0
	v_fma_mix_f32 v0, v234, v96, 0 op_sel:[0,1,0] op_sel_hi:[0,1,0]
	v_ashrrev_i32_e32 v96, 24, v48
	v_ashrrev_i32_e32 v48, 24, v44
	v_bfe_i32 v44, v40, 8, 8
	scratch_store_b32 off, v1, off offset:588 ; 4-byte Folded Spill
	scratch_load_b32 v1, off, off offset:1668 th:TH_LOAD_LU ; 4-byte Folded Reload
	v_fma_mix_f32 v0, v233, v97, v0 op_sel:[0,1,0] op_sel_hi:[0,1,0]
	v_ashrrev_i32_e32 v40, 24, v43
	s_delay_alu instid0(VALU_DEP_2) | instskip(SKIP_2) | instid1(VALU_DEP_1)
	v_mul_f32_e32 v0, v0, v228
	s_wait_loadcnt 0x0
	v_mul_lo_u32 v1, v1, v143
	v_cvt_f32_i32_e32 v1, v1
	s_delay_alu instid0(VALU_DEP_1) | instskip(SKIP_3) | instid1(VALU_DEP_4)
	v_fma_mix_f32 v1, v97, v1, v2 op_sel_hi:[1,0,0]
	v_bfe_i32 v2, v33, 0, 8
	v_mul_i32_i24_e32 v33, v9, v254
	v_ashrrev_i32_e32 v97, 24, v45
	v_fma_f32 v0, v1, v152, -v0
	scratch_load_b32 v1, off, off offset:596 ; 4-byte Folded Reload
	v_mul_i32_i24_e32 v16, v2, v242
	s_wait_loadcnt 0x0
	v_add_f32_e32 v1, v1, v0
	v_bfe_i32 v0, v32, 16, 8
	scratch_store_b32 off, v1, off offset:596 ; 4-byte Folded Spill
	v_ashrrev_i32_e32 v1, 24, v32
	v_mul_i32_i24_e32 v14, v0, v236
	v_mul_i32_i24_e32 v32, v8, v250
	s_delay_alu instid0(VALU_DEP_3) | instskip(NEXT) | instid1(VALU_DEP_1)
	v_mul_i32_i24_e32 v15, v1, v237
	v_add3_u32 v14, v64, v14, v15
	v_mul_i32_i24_e32 v15, v253, v1
	v_bfe_i32 v64, v41, 0, 8
	v_bfe_i32 v41, v36, 0, 8
	;; [unrolled: 1-line block ×3, first 2 shown]
	v_add3_u32 v14, v14, v16, v17
	v_mul_i32_i24_e32 v16, v161, v2
	v_mul_i32_i24_e32 v17, v160, v3
	v_ashrrev_i32_e32 v37, 24, v37
	s_delay_alu instid0(VALU_DEP_4) | instskip(SKIP_2) | instid1(VALU_DEP_3)
	v_add3_u32 v14, v14, v18, v19
	v_mul_i32_i24_e32 v18, v239, v4
	v_mul_i32_i24_e32 v19, v248, v5
	v_add3_u32 v14, v14, v20, v23
	v_mul_i32_i24_e32 v20, v173, v6
	v_mul_i32_i24_e32 v23, v170, v7
	s_delay_alu instid0(VALU_DEP_3) | instskip(SKIP_2) | instid1(VALU_DEP_3)
	v_add3_u32 v14, v14, v32, v33
	v_mul_i32_i24_e32 v32, v169, v8
	v_mul_i32_i24_e32 v33, v162, v9
	v_add3_u32 v146, v14, v34, v35
	v_mul_i32_i24_e32 v14, v159, v0
	v_mul_i32_i24_e32 v34, v249, v10
	;; [unrolled: 1-line block ×3, first 2 shown]
	s_delay_alu instid0(VALU_DEP_3) | instskip(SKIP_3) | instid1(VALU_DEP_4)
	v_add3_u32 v14, v80, v14, v15
	v_mul_i32_i24_e32 v15, v1, v213
	v_bfe_i32 v80, v47, 16, 8
	v_ashrrev_i32_e32 v47, 24, v47
	v_add3_u32 v14, v14, v16, v17
	v_mul_i32_i24_e32 v16, v2, v214
	v_mul_i32_i24_e32 v17, v3, v216
	s_delay_alu instid0(VALU_DEP_3) | instskip(SKIP_2) | instid1(VALU_DEP_3)
	v_add3_u32 v14, v14, v18, v19
	v_mul_i32_i24_e32 v18, v4, v215
	v_mul_i32_i24_e32 v19, v5, v217
	v_add3_u32 v14, v14, v20, v23
	v_mul_i32_i24_e32 v23, v7, v222
	s_delay_alu instid0(VALU_DEP_2) | instskip(SKIP_2) | instid1(VALU_DEP_3)
	v_add3_u32 v14, v14, v32, v33
	v_mul_i32_i24_e32 v32, v8, v219
	v_mul_i32_i24_e32 v33, v9, v223
	v_add3_u32 v14, v14, v34, v35
	v_mul_i32_i24_e32 v34, v10, v224
	v_mul_i32_i24_e32 v35, v11, v226
	s_delay_alu instid0(VALU_DEP_3) | instskip(SKIP_2) | instid1(VALU_DEP_3)
	v_add3_u32 v14, v14, v52, v53
	v_mul_i32_i24_e32 v52, v12, v225
	v_mul_i32_i24_e32 v53, v13, v227
	v_mul_lo_u32 v14, v14, v218
	scratch_load_b32 v218, off, off offset:1660 th:TH_LOAD_LU ; 4-byte Folded Reload
	v_cvt_f32_i32_e32 v138, v14
	v_mul_i32_i24_e32 v14, v0, v212
	s_delay_alu instid0(VALU_DEP_1) | instskip(SKIP_1) | instid1(VALU_DEP_2)
	v_add3_u32 v14, v22, v14, v15
	v_mul_i32_i24_e32 v15, v74, v167
	v_add3_u32 v14, v14, v16, v17
	v_mul_i32_i24_e32 v17, v78, v193
	v_mul_i32_i24_e32 v16, v88, v166
	s_delay_alu instid0(VALU_DEP_3) | instskip(SKIP_4) | instid1(VALU_DEP_1)
	v_add3_u32 v14, v14, v18, v19
	v_mul_i32_i24_e32 v19, v55, v195
	v_mul_i32_i24_e32 v18, v75, v201
	s_wait_loadcnt 0x0
	v_mul_i32_i24_e32 v20, v6, v218
	v_add3_u32 v14, v14, v20, v23
	v_mul_i32_i24_e32 v23, v93, v182
	v_mul_i32_i24_e32 v20, v54, v220
	s_delay_alu instid0(VALU_DEP_3) | instskip(SKIP_3) | instid1(VALU_DEP_4)
	v_add3_u32 v14, v14, v32, v33
	v_ashrrev_i32_e32 v32, 24, v42
	v_bfe_i32 v33, v43, 0, 8
	v_bfe_i32 v42, v38, 8, 8
	v_add3_u32 v14, v14, v34, v35
	v_bfe_i32 v34, v43, 8, 8
	v_bfe_i32 v35, v43, 16, 8
	;; [unrolled: 1-line block ×3, first 2 shown]
	v_ashrrev_i32_e32 v38, 24, v38
	v_add3_u32 v14, v14, v52, v53
	v_bfe_i32 v52, v50, 0, 8
	v_bfe_i32 v53, v50, 8, 8
	;; [unrolled: 1-line block ×4, first 2 shown]
	v_mul_lo_u32 v14, v14, v143
	v_mul_i32_i24_e32 v22, v52, v188
	v_bfe_i32 v46, v39, 16, 8
	v_ashrrev_i32_e32 v39, 24, v39
	s_delay_alu instid0(VALU_DEP_4)
	v_cvt_f32_i32_e32 v141, v14
	scratch_load_b32 v14, off, off offset:340 ; 4-byte Folded Reload
	s_wait_loadcnt 0x0
	v_mul_i32_i24_e32 v0, v0, v14
	scratch_load_b32 v14, off, off offset:344 ; 4-byte Folded Reload
	s_wait_loadcnt 0x0
	v_mul_i32_i24_e32 v1, v1, v14
	scratch_load_b32 v14, off, off offset:348 ; 4-byte Folded Reload
	v_add3_u32 v0, v21, v0, v1
	scratch_load_b32 v1, off, off offset:248 ; 4-byte Folded Reload
	v_mul_i32_i24_e32 v21, v53, v200
	s_wait_loadcnt 0x1
	v_mul_i32_i24_e32 v2, v2, v14
	scratch_load_b32 v14, off, off offset:356 ; 4-byte Folded Reload
	s_wait_loadcnt 0x0
	v_mul_i32_i24_e32 v3, v3, v14
	scratch_load_b32 v14, off, off offset:352 ; 4-byte Folded Reload
	v_add3_u32 v0, v0, v2, v3
	v_mul_i32_i24_e32 v2, v81, v186
	s_delay_alu instid0(VALU_DEP_1)
	v_mad_i32_i24 v2, v100, v168, v2
	s_wait_loadcnt 0x0
	v_mul_i32_i24_e32 v4, v4, v14
	scratch_load_b32 v14, off, off offset:360 ; 4-byte Folded Reload
	s_wait_loadcnt 0x0
	v_mul_i32_i24_e32 v5, v5, v14
	scratch_load_b32 v14, off, off offset:364 ; 4-byte Folded Reload
	v_add3_u32 v0, v0, v4, v5
	s_wait_loadcnt 0x0
	v_mul_i32_i24_e32 v6, v6, v14
	scratch_load_b32 v14, off, off offset:56 ; 4-byte Folded Reload
	s_wait_loadcnt 0x0
	v_mul_i32_i24_e32 v7, v7, v14
	scratch_load_b32 v14, off, off offset:52 ; 4-byte Folded Reload
	v_add3_u32 v0, v0, v6, v7
	;; [unrolled: 7-line block ×4, first 2 shown]
	s_wait_loadcnt 0x0
	v_mul_i32_i24_e32 v12, v12, v14
	scratch_load_b32 v14, off, off offset:228 ; 4-byte Folded Reload
	s_wait_loadcnt 0x0
	v_mul_i32_i24_e32 v13, v13, v14
	v_mul_i32_i24_e32 v14, v69, v252
	s_delay_alu instid0(VALU_DEP_2) | instskip(NEXT) | instid1(VALU_DEP_1)
	v_add3_u32 v0, v0, v12, v13
	v_mul_lo_u32 v0, v0, v1
	v_mul_i32_i24_e32 v1, v82, v187
	s_delay_alu instid0(VALU_DEP_2) | instskip(SKIP_1) | instid1(VALU_DEP_1)
	v_cvt_f32_i32_e32 v154, v0
	v_mul_i32_i24_e32 v0, v96, v192
	v_add3_u32 v0, v2, v1, v0
	scratch_load_b32 v1, off, off offset:464 ; 4-byte Folded Reload
	v_add3_u32 v0, v0, v26, v24
	v_mul_i32_i24_e32 v24, v43, v250
	v_mul_i32_i24_e32 v26, v103, v131
	s_delay_alu instid0(VALU_DEP_3) | instskip(SKIP_2) | instid1(VALU_DEP_3)
	v_add3_u32 v0, v0, v25, v23
	v_mul_i32_i24_e32 v23, v42, v205
	v_mul_i32_i24_e32 v25, v38, v254
	v_add3_u32 v0, v0, v22, v21
	v_mul_i32_i24_e32 v21, v37, v241
	v_mul_i32_i24_e32 v22, v110, v255
	s_delay_alu instid0(VALU_DEP_3) | instskip(SKIP_2) | instid1(VALU_DEP_3)
	v_add3_u32 v0, v0, v20, v19
	v_mul_i32_i24_e32 v19, v36, v243
	v_mul_i32_i24_e32 v20, v109, v240
	v_add3_u32 v0, v0, v18, v17
	v_mul_i32_i24_e32 v17, v104, v237
	v_mul_i32_i24_e32 v18, v105, v242
	s_delay_alu instid0(VALU_DEP_3)
	v_add3_u32 v0, v0, v16, v15
	v_mul_i32_i24_e32 v15, v113, v158
	v_mul_i32_i24_e32 v16, v102, v236
	s_wait_loadcnt 0x0
	v_mul_i32_i24_e32 v13, v70, v1
	scratch_load_b32 v1, off, off offset:468 ; 4-byte Folded Reload
	v_add3_u32 v0, v0, v14, v13
	v_mul_i32_i24_e32 v13, v40, v129
	v_mul_i32_i24_e32 v14, v41, v235
	s_wait_loadcnt 0x0
	v_mul_i32_i24_e32 v12, v71, v1
	scratch_load_b32 v1, off, off offset:472 ; 4-byte Folded Reload
	s_wait_loadcnt 0x0
	v_mul_i32_i24_e32 v11, v48, v1
	scratch_load_b32 v1, off, off offset:124 ; 4-byte Folded Reload
	v_add3_u32 v0, v0, v12, v11
	v_mul_i32_i24_e32 v11, v34, v231
	v_mul_i32_i24_e32 v12, v35, v125
	s_wait_loadcnt 0x0
	v_mul_i32_i24_e32 v10, v49, v1
	scratch_load_b32 v1, off, off offset:476 ; 4-byte Folded Reload
	s_wait_loadcnt 0x0
	v_mul_i32_i24_e32 v9, v50, v1
	scratch_load_b32 v1, off, off offset:128 ; 4-byte Folded Reload
	v_add3_u32 v0, v0, v10, v9
	s_wait_loadcnt 0x0
	v_mul_i32_i24_e32 v8, v51, v1
	scratch_load_b32 v1, off, off offset:972 ; 4-byte Folded Reload
	s_wait_loadcnt 0x0
	v_mul_i32_i24_e32 v7, v97, v1
	scratch_load_b32 v1, off, off offset:132 ; 4-byte Folded Reload
	v_add3_u32 v0, v0, v8, v7
	;; [unrolled: 7-line block ×4, first 2 shown]
	s_clause 0x1
	scratch_load_b32 v3, off, off offset:108
	scratch_load_b32 v4, off, off offset:96
	s_wait_loadcnt 0x2
	v_mul_i32_i24_e32 v106, v77, v1
	scratch_load_b32 v1, off, off offset:112 ; 4-byte Folded Reload
	s_wait_loadcnt 0x2
	v_mul_i32_i24_e32 v3, v29, v3
	s_wait_loadcnt 0x0
	v_mul_i32_i24_e32 v107, v79, v1
	scratch_load_b32 v1, off, off offset:116 ; 4-byte Folded Reload
	v_add3_u32 v0, v0, v106, v107
	v_mul_i32_i24_e32 v106, v108, v132
	v_mul_i32_i24_e32 v107, v46, v172
	s_wait_loadcnt 0x0
	v_mul_i32_i24_e32 v2, v80, v1
	scratch_load_b32 v1, off, off offset:120 ; 4-byte Folded Reload
	s_wait_loadcnt 0x0
	v_mul_i32_i24_e32 v1, v47, v1
	s_delay_alu instid0(VALU_DEP_1)
	v_add3_u32 v0, v0, v2, v1
	s_clause 0x1
	scratch_load_b32 v1, off, off offset:104
	scratch_load_b32 v2, off, off offset:100
	s_wait_loadcnt 0x1
	v_mul_i32_i24_e32 v1, v30, v1
	s_wait_loadcnt 0x0
	v_mul_i32_i24_e32 v2, v28, v2
	s_delay_alu instid0(VALU_DEP_2) | instskip(NEXT) | instid1(VALU_DEP_1)
	v_mad_i32_i24 v1, v44, v4, v1
	v_add3_u32 v1, v1, v2, v3
	scratch_load_b32 v2, off, off offset:956 ; 4-byte Folded Reload
	s_wait_loadcnt 0x0
	v_mul_i32_i24_e32 v27, v64, v2
	scratch_load_b32 v2, off, off offset:452 ; 4-byte Folded Reload
	s_wait_loadcnt 0x0
	v_mul_i32_i24_e32 v3, v83, v2
	scratch_load_b32 v2, off, off offset:952 ; 4-byte Folded Reload
	v_add3_u32 v1, v1, v27, v3
	v_mul_i32_i24_e32 v27, v206, v80
	s_wait_loadcnt 0x0
	v_mul_i32_i24_e32 v4, v91, v2
	scratch_load_b32 v2, off, off offset:448 ; 4-byte Folded Reload
	s_wait_loadcnt 0x0
	v_mul_i32_i24_e32 v5, v111, v2
	scratch_load_b32 v2, off, off offset:84 ; 4-byte Folded Reload
	v_add3_u32 v1, v1, v4, v5
	s_wait_loadcnt 0x0
	v_mul_i32_i24_e32 v6, v112, v2
	scratch_load_b32 v2, off, off offset:88 ; 4-byte Folded Reload
	s_wait_loadcnt 0x0
	v_mul_i32_i24_e32 v7, v120, v2
	scratch_load_b32 v2, off, off           ; 4-byte Folded Reload
	v_add3_u32 v1, v1, v6, v7
	v_add3_u32 v6, v146, v149, v148
	v_mov_b32_e32 v146, v234
	v_mov_b32_e32 v234, v185
	s_wait_loadcnt 0x0
	v_mul_i32_i24_e32 v8, v31, v2
	scratch_load_b32 v2, off, off offset:4  ; 4-byte Folded Reload
	s_wait_loadcnt 0x0
	v_mul_i32_i24_e32 v9, v32, v2
	s_clause 0x3
	scratch_load_b32 v2, off, off offset:92
	scratch_load_b32 v4, off, off offset:244
	scratch_load_b32 v3, off, off offset:1672 th:TH_LOAD_LU
	scratch_load_b32 v5, off, off offset:240
	scratch_store_b32 off, v221, off offset:1056 ; 4-byte Folded Spill
	v_add3_u32 v1, v1, v8, v9
	s_wait_loadcnt 0x3
	v_mul_i32_i24_e32 v10, v33, v2
	v_mul_i32_i24_e32 v2, v39, v130
	s_wait_loadcnt 0x1
	v_mul_lo_u32 v3, v3, v4
	v_mul_lo_u32 v0, v0, v4
	s_wait_loadcnt 0x0
	v_fma_mix_f32 v4, v5, v94, 0 op_sel:[0,1,0] op_sel_hi:[0,1,0]
	v_add3_u32 v1, v1, v10, v11
	v_fma_mix_f32 v5, v5, v98, 0 op_sel:[0,1,0] op_sel_hi:[0,1,0]
	s_delay_alu instid0(VALU_DEP_2) | instskip(SKIP_3) | instid1(VALU_DEP_4)
	v_add3_u32 v1, v1, v12, v13
	v_cvt_f32_i32_e32 v0, v0
	v_cvt_f32_i32_e32 v3, v3
	v_mul_i32_i24_e32 v12, v204, v74
	v_add3_u32 v1, v1, v14, v15
	s_delay_alu instid0(VALU_DEP_4) | instskip(NEXT) | instid1(VALU_DEP_4)
	v_fma_mix_f32 v0, v94, v0, 0 op_sel_hi:[1,0,0]
	v_fma_mix_f32 v3, v98, v3, 0 op_sel_hi:[1,0,0]
	s_delay_alu instid0(VALU_DEP_3) | instskip(NEXT) | instid1(VALU_DEP_1)
	v_add3_u32 v1, v1, v16, v17
	v_add3_u32 v1, v1, v18, v19
	v_mul_i32_i24_e32 v18, v144, v50
	s_delay_alu instid0(VALU_DEP_2) | instskip(NEXT) | instid1(VALU_DEP_1)
	v_add3_u32 v1, v1, v20, v21
	v_add3_u32 v1, v1, v22, v23
	v_mul_i32_i24_e32 v23, v199, v73
	s_delay_alu instid0(VALU_DEP_2) | instskip(SKIP_1) | instid1(VALU_DEP_2)
	v_add3_u32 v1, v1, v24, v25
	v_mul_i32_i24_e32 v24, v202, v76
	v_add3_u32 v1, v1, v26, v106
	v_mul_i32_i24_e32 v26, v142, v79
	v_mul_i32_i24_e32 v106, v184, v39
	s_delay_alu instid0(VALU_DEP_3)
	v_add3_u32 v1, v1, v107, v2
	scratch_load_b32 v2, off, off offset:236 ; 4-byte Folded Reload
	v_dual_mov_b32 v107, v232 :: v_dual_mov_b32 v232, v251
	v_mul_i32_i24_e32 v25, v139, v77
	s_wait_loadcnt 0x0
	v_mul_lo_u32 v1, v1, v2
	v_mul_lo_u32 v2, v6, v2
	s_delay_alu instid0(VALU_DEP_2) | instskip(NEXT) | instid1(VALU_DEP_2)
	v_cvt_f32_i32_e32 v1, v1
	v_cvt_f32_i32_e32 v2, v2
	s_delay_alu instid0(VALU_DEP_2) | instskip(NEXT) | instid1(VALU_DEP_2)
	v_fma_mix_f32 v0, v95, v1, v0 op_sel_hi:[1,0,0]
	v_fma_mix_f32 v1, v99, v2, v3 op_sel_hi:[1,0,0]
	scratch_load_b32 v3, off, off offset:216 ; 4-byte Folded Reload
	s_wait_loadcnt 0x0
	v_fma_mix_f32 v2, v3, v99, v5 op_sel:[0,1,0] op_sel_hi:[0,1,0]
	v_fma_mix_f32 v3, v3, v95, v4 op_sel:[0,1,0] op_sel_hi:[0,1,0]
	scratch_load_b32 v4, off, off offset:500 ; 4-byte Folded Reload
	s_wait_loadcnt 0x0
	v_mul_f32_e32 v3, v3, v4
	scratch_load_b32 v4, off, off offset:484 ; 4-byte Folded Reload
	s_wait_loadcnt 0x0
	v_mul_f32_e32 v2, v2, v4
	scratch_load_b32 v4, off, off offset:480 ; 4-byte Folded Reload
	v_mov_b32_e32 v250, v175
	v_mul_i32_i24_e32 v19, v165, v51
	s_wait_loadcnt 0x0
	v_fma_f32 v1, v1, v4, -v2
	scratch_load_b32 v2, off, off offset:496 ; 4-byte Folded Reload
	s_wait_loadcnt 0x0
	v_fma_f32 v0, v0, v2, -v3
	s_clause 0x5
	scratch_load_b32 v2, off, off offset:1684 th:TH_LOAD_LU
	scratch_load_b64 v[7:8], off, off offset:556 th:TH_LOAD_LU
	scratch_load_b32 v6, off, off offset:592
	scratch_load_b32 v5, off, off offset:584
	;; [unrolled: 1-line block ×4, first 2 shown]
	v_fma_mix_f32 v3, v221, v98, 0 op_sel:[0,1,0] op_sel_hi:[0,1,0]
	s_clause 0x7
	scratch_load_b32 v158, off, off offset:672
	scratch_load_b32 v131, off, off offset:676
	;; [unrolled: 1-line block ×8, first 2 shown]
	v_fma_mix_f32 v3, v107, v99, v3 op_sel:[0,1,0] op_sel_hi:[0,1,0]
	s_clause 0x8
	scratch_load_b32 v165, off, off offset:1012
	scratch_load_b32 v254, off, off offset:72
	;; [unrolled: 1-line block ×9, first 2 shown]
	v_mul_f32_e32 v3, v3, v229
	s_clause 0x3
	scratch_load_b32 v172, off, off offset:1028
	scratch_load_b32 v149, off, off offset:1036
	;; [unrolled: 1-line block ×4, first 2 shown]
	scratch_store_b32 off, v107, off offset:1060 ; 4-byte Folded Spill
	s_clause 0x2
	scratch_load_b32 v142, off, off offset:180
	scratch_load_b32 v139, off, off offset:232
	;; [unrolled: 1-line block ×3, first 2 shown]
	scratch_store_b32 off, v146, off offset:1064 ; 4-byte Folded Spill
	s_clause 0x1
	scratch_load_b32 v204, off, off offset:248
	scratch_load_b32 v251, off, off offset:972
	s_wait_loadcnt 0x1e
	v_add_f32_e32 v8, v8, v0
	v_mul_i32_i24_e32 v0, v137, v81
	v_add_f32_e32 v7, v7, v1
	v_fma_mix_f32 v2, v98, v2, 0 op_sel_hi:[1,0,0]
	scratch_load_b32 v137, off, off offset:76 ; 4-byte Folded Reload
	v_mul_i32_i24_e32 v14, v171, v70
	v_mad_i32_i24 v0, v174, v100, v0
	scratch_load_b32 v171, off, off offset:1024 ; 4-byte Folded Reload
	v_fma_mix_f32 v2, v99, v138, v2 op_sel_hi:[1,0,0]
	v_mov_b32_e32 v138, v230
	s_clause 0x1
	scratch_load_b32 v230, off, off offset:1016
	scratch_load_b32 v174, off, off offset:148
	scratch_store_b64 off, v[7:8], off offset:556 ; 8-byte Folded Spill
	v_mul_i32_i24_e32 v7, v180, v54
	v_fma_f32 v2, v2, v138, -v3
	v_fma_mix_f32 v3, v146, v98, 0 op_sel:[0,1,0] op_sel_hi:[0,1,0]
	v_mul_i32_i24_e32 v8, v179, v55
	s_wait_loadcnt 0x14
	v_mul_i32_i24_e32 v9, v254, v75
	s_wait_loadcnt 0x13
	v_mul_i32_i24_e32 v11, v241, v88
	v_add_f32_e32 v4, v4, v2
	scratch_load_b32 v2, off, off offset:1676 th:TH_LOAD_LU ; 4-byte Folded Reload
	s_wait_loadcnt 0x13
	v_mul_i32_i24_e32 v17, v255, v49
	s_clause 0x1
	scratch_load_b32 v180, off, off offset:988
	scratch_load_b32 v179, off, off offset:1000
	scratch_store_b32 off, v4, off offset:576 ; 4-byte Folded Spill
	v_mul_i32_i24_e32 v4, v175, v93
	scratch_load_b32 v175, off, off offset:660 ; 4-byte Folded Reload
	s_wait_loadcnt 0x10
	v_mul_i32_i24_e32 v20, v172, v97
	s_wait_loadcnt 0x7
	v_mul_i32_i24_e32 v10, v137, v78
	;; [unrolled: 2-line block ×4, first 2 shown]
	s_wait_loadcnt 0x3
	v_fma_mix_f32 v2, v98, v2, 0 op_sel_hi:[1,0,0]
	s_delay_alu instid0(VALU_DEP_1) | instskip(SKIP_2) | instid1(VALU_DEP_2)
	v_fma_mix_f32 v2, v99, v141, v2 op_sel_hi:[1,0,0]
	v_mov_b32_e32 v141, v233
	v_mov_b32_e32 v233, v253
	v_fma_mix_f32 v3, v141, v99, v3 op_sel:[0,1,0] op_sel_hi:[0,1,0]
	s_delay_alu instid0(VALU_DEP_1) | instskip(NEXT) | instid1(VALU_DEP_1)
	v_mul_f32_e32 v3, v3, v228
	v_fma_f32 v2, v2, v152, -v3
	v_fma_mix_f32 v3, v98, v158, 0 op_sel:[1,0,0] op_sel_hi:[1,0,0]
	s_delay_alu instid0(VALU_DEP_2)
	v_add_f32_e32 v5, v5, v2
	scratch_load_b32 v2, off, off offset:1680 th:TH_LOAD_LU ; 4-byte Folded Reload
	v_fma_mix_f32 v3, v99, v131, v3 op_sel:[1,0,0] op_sel_hi:[1,0,0]
	scratch_store_b32 off, v5, off offset:584 ; 4-byte Folded Spill
	v_mul_i32_i24_e32 v5, v183, v52
	v_mul_f32_e32 v3, v3, v132
	scratch_load_b32 v183, off, off offset:1008 ; 4-byte Folded Reload
	s_wait_loadcnt 0x1
	v_fma_mix_f32 v2, v98, v2, 0 op_sel_hi:[1,0,0]
	v_mul_i32_i24_e32 v98, v144, v47
	s_delay_alu instid0(VALU_DEP_2)
	v_fma_mix_f32 v2, v99, v154, v2 op_sel_hi:[1,0,0]
	scratch_load_b32 v154, off, off offset:80 ; 4-byte Folded Reload
	v_mul_i32_i24_e32 v99, v185, v46
	v_mov_b32_e32 v185, v184
	scratch_load_b32 v184, off, off offset:772 ; 4-byte Folded Reload
	v_fma_f32 v2, v2, v130, -v3
	v_mul_i32_i24_e32 v3, v176, v92
	scratch_load_b32 v176, off, off offset:344 ; 4-byte Folded Reload
	v_add_f32_e32 v6, v6, v2
	v_mul_i32_i24_e32 v2, v150, v96
	scratch_load_b32 v150, off, off offset:152 ; 4-byte Folded Reload
	v_mul_i32_i24_e32 v13, v145, v69
	scratch_load_b32 v145, off, off offset:168 ; 4-byte Folded Reload
	scratch_store_b32 off, v6, off offset:592 ; 4-byte Folded Spill
	v_mul_i32_i24_e32 v6, v181, v53
	scratch_load_b32 v181, off, off offset:1004 ; 4-byte Folded Reload
	s_wait_loadcnt 0x5
	v_mul_i32_i24_e32 v1, v154, v82
	s_delay_alu instid0(VALU_DEP_1)
	v_add3_u32 v0, v0, v1, v2
	v_mul_i32_i24_e32 v1, v178, v89
	v_mul_i32_i24_e32 v2, v177, v90
	s_clause 0x1
	scratch_load_b32 v177, off, off offset:348
	scratch_load_b32 v178, off, off offset:356
	s_wait_loadcnt 0x4
	v_mul_i32_i24_e32 v16, v150, v48
	v_add3_u32 v0, v0, v1, v2
	v_mul_i32_i24_e32 v2, v196, v30
	s_wait_loadcnt 0x3
	v_mul_i32_i24_e32 v22, v145, v72
	v_fma_mix_f32 v1, v221, v94, 0 op_sel:[0,1,0] op_sel_hi:[0,1,0]
	scratch_load_b32 v221, off, off offset:996 ; 4-byte Folded Reload
	v_add3_u32 v0, v0, v3, v4
	v_mul_i32_i24_e32 v3, v165, v28
	v_mul_i32_i24_e32 v4, v153, v29
	v_mad_i32_i24 v2, v157, v44, v2
	v_fma_mix_f32 v1, v107, v95, v1 op_sel:[0,1,0] op_sel_hi:[0,1,0]
	v_add3_u32 v0, v0, v5, v6
	v_mul_i32_i24_e32 v6, v101, v111
	v_mul_i32_i24_e32 v5, v147, v91
	v_add3_u32 v2, v2, v3, v4
	v_mul_i32_i24_e32 v3, v151, v64
	v_mov_b32_e32 v151, v101
	scratch_load_b32 v101, off, off offset:1020 ; 4-byte Folded Reload
	v_mul_i32_i24_e32 v4, v230, v83
	v_add3_u32 v0, v0, v7, v8
	v_mul_i32_i24_e32 v7, v163, v112
	v_mul_i32_i24_e32 v8, v156, v120
	v_mul_f32_e32 v1, v1, v229
	v_add3_u32 v2, v2, v3, v4
	v_add3_u32 v0, v0, v9, v10
	v_mul_i32_i24_e32 v9, v155, v31
	v_mul_i32_i24_e32 v10, v114, v32
	scratch_load_b32 v107, off, off offset:164 ; 4-byte Folded Reload
	v_add3_u32 v2, v2, v5, v6
	v_add3_u32 v0, v0, v11, v12
	v_mul_i32_i24_e32 v11, v164, v33
	v_mul_i32_i24_e32 v12, v203, v34
	scratch_load_b32 v114, off, off offset:196 ; 4-byte Folded Reload
	v_add3_u32 v2, v2, v7, v8
	v_add3_u32 v0, v0, v13, v14
	v_mul_i32_i24_e32 v13, v140, v35
	v_mul_i32_i24_e32 v3, v92, v142
	;; [unrolled: 1-line block ×3, first 2 shown]
	v_add3_u32 v2, v2, v9, v10
	v_add3_u32 v0, v0, v15, v16
	v_mul_i32_i24_e32 v15, v128, v41
	v_mul_i32_i24_e32 v16, v119, v113
	scratch_load_b32 v119, off, off offset:984 ; 4-byte Folded Reload
	v_add3_u32 v2, v2, v11, v12
	v_add3_u32 v0, v0, v17, v18
	v_mul_i32_i24_e32 v17, v159, v102
	v_mul_i32_i24_e32 v18, v253, v104
	v_mov_b32_e32 v253, v248
	v_mul_i32_i24_e32 v6, v53, v235
	v_add3_u32 v0, v0, v19, v20
	v_mul_i32_i24_e32 v19, v161, v105
	v_mul_i32_i24_e32 v20, v160, v36
	;; [unrolled: 1-line block ×4, first 2 shown]
	v_add3_u32 v0, v0, v21, v22
	v_mul_i32_i24_e32 v21, v239, v109
	v_mul_i32_i24_e32 v22, v253, v37
	s_clause 0x1
	scratch_load_b32 v156, off, off offset:1248
	scratch_load_b32 v140, off, off offset:1256
	v_add3_u32 v0, v0, v23, v24
	v_mul_i32_i24_e32 v23, v173, v110
	v_mul_i32_i24_e32 v24, v170, v42
	s_clause 0x1
	scratch_load_b32 v170, off, off offset:172
	scratch_load_b32 v128, off, off offset:1088
	;; [unrolled: 6-line block ×4, first 2 shown]
	v_mul_lo_u32 v0, v0, v175
	s_clause 0x6
	scratch_load_b32 v155, off, off offset:888
	scratch_load_b32 v147, off, off offset:884
	;; [unrolled: 1-line block ×7, first 2 shown]
	v_cvt_f32_i32_e32 v0, v0
	scratch_load_b32 v248, off, off offset:908 ; 4-byte Folded Reload
	v_fma_mix_f32 v0, v94, v0, 0 op_sel_hi:[1,0,0]
	s_wait_loadcnt 0x14
	v_mul_i32_i24_e32 v11, v88, v221
	s_wait_loadcnt 0x13
	v_mul_i32_i24_e32 v14, v101, v40
	s_delay_alu instid0(VALU_DEP_1)
	v_add3_u32 v2, v2, v13, v14
	s_clause 0x1
	scratch_load_b32 v13, off, off offset:8
	scratch_load_b32 v14, off, off offset:12
	v_add3_u32 v2, v2, v15, v16
	s_clause 0x1
	scratch_load_b32 v15, off, off offset:16
	scratch_load_b32 v16, off, off offset:20
	;; [unrolled: 4-line block ×5, first 2 shown]
	s_wait_loadcnt 0x1a
	v_mul_i32_i24_e32 v8, v55, v119
	v_add3_u32 v2, v2, v23, v24
	s_clause 0x1
	scratch_load_b32 v23, off, off offset:48
	scratch_load_b32 v24, off, off offset:200
	v_add3_u32 v2, v2, v25, v26
	s_clause 0x1
	scratch_load_b32 v25, off, off offset:204
	scratch_load_b32 v26, off, off offset:208
	v_add3_u32 v2, v2, v27, v98
	scratch_load_b32 v98, off, off offset:708 ; 4-byte Folded Reload
	v_mul_i32_i24_e32 v27, v80, v243
	v_add3_u32 v2, v2, v99, v106
	s_wait_loadcnt 0x1c
	v_mul_i32_i24_e32 v7, v54, v170
	v_mul_i32_i24_e32 v99, v46, v225
	;; [unrolled: 1-line block ×3, first 2 shown]
	scratch_load_b32 v227, off, off offset:740 ; 4-byte Folded Reload
	v_mul_lo_u32 v2, v2, v238
	s_clause 0x1
	scratch_load_b32 v225, off, off offset:744
	scratch_load_b32 v238, off, off offset:916
	v_cvt_f32_i32_e32 v2, v2
	s_delay_alu instid0(VALU_DEP_1) | instskip(SKIP_1) | instid1(VALU_DEP_2)
	v_fma_mix_f32 v0, v95, v2, v0 op_sel_hi:[1,0,0]
	v_mul_i32_i24_e32 v2, v96, v183
	v_fma_f32 v0, v0, v138, -v1
	scratch_load_b32 v138, off, off offset:160 ; 4-byte Folded Reload
	v_mul_i32_i24_e32 v1, v82, v181
	v_add_f32_e32 v125, v125, v0
	v_mul_i32_i24_e32 v0, v81, v180
	scratch_store_b32 off, v125, off offset:572 ; 4-byte Folded Spill
	scratch_load_b32 v125, off, off offset:1260 th:TH_LOAD_LU ; 4-byte Folded Reload
	v_mad_i32_i24 v0, v100, v179, v0
	s_delay_alu instid0(VALU_DEP_1) | instskip(SKIP_2) | instid1(VALU_DEP_1)
	v_add3_u32 v0, v0, v1, v2
	v_mul_i32_i24_e32 v1, v89, v107
	v_mul_i32_i24_e32 v2, v90, v205
	v_add3_u32 v0, v0, v1, v2
	v_mul_i32_i24_e32 v2, v30, v240
	v_fma_mix_f32 v1, v146, v94, 0 op_sel:[0,1,0] op_sel_hi:[0,1,0]
	scratch_load_b32 v146, off, off offset:1252 ; 4-byte Folded Reload
	v_mad_i32_i24 v2, v44, v206, v2
	v_fma_mix_f32 v1, v141, v95, v1 op_sel:[0,1,0] op_sel_hi:[0,1,0]
	s_wait_loadcnt 0x14
	v_mul_i32_i24_e32 v13, v69, v13
	s_wait_loadcnt 0x13
	v_mul_i32_i24_e32 v14, v70, v14
	;; [unrolled: 2-line block ×17, first 2 shown]
	s_delay_alu instid0(VALU_DEP_1) | instskip(SKIP_2) | instid1(VALU_DEP_3)
	v_add3_u32 v0, v0, v3, v4
	v_mul_i32_i24_e32 v3, v28, v236
	v_mul_i32_i24_e32 v4, v29, v114
	v_add3_u32 v0, v0, v5, v6
	v_mul_i32_i24_e32 v5, v91, v156
	s_delay_alu instid0(VALU_DEP_3)
	v_add3_u32 v2, v2, v3, v4
	scratch_load_b32 v3, off, off offset:380 ; 4-byte Folded Reload
	v_mul_i32_i24_e32 v4, v83, v149
	v_add3_u32 v0, v0, v7, v8
	scratch_load_b32 v7, off, off offset:704 ; 4-byte Folded Reload
	s_wait_loadcnt 0x2
	v_mul_i32_i24_e32 v6, v111, v146
	v_mul_i32_i24_e32 v8, v120, v237
	v_add3_u32 v0, v0, v9, v10
	v_mul_i32_i24_e32 v9, v31, v184
	v_mul_i32_i24_e32 v10, v32, v140
	s_delay_alu instid0(VALU_DEP_3) | instskip(SKIP_2) | instid1(VALU_DEP_3)
	v_add3_u32 v0, v0, v11, v12
	v_mul_i32_i24_e32 v12, v34, v208
	v_mov_b32_e32 v208, v216
	v_add3_u32 v0, v0, v13, v14
	v_mul_i32_i24_e32 v13, v35, v207
	v_mul_i32_i24_e32 v14, v40, v209
	s_clause 0x1
	scratch_load_b32 v207, off, off offset:1072
	scratch_load_b32 v209, off, off offset:1092
	v_add3_u32 v0, v0, v15, v16
	v_mul_i32_i24_e32 v15, v41, v210
	v_mul_i32_i24_e32 v16, v113, v211
	s_clause 0x1
	scratch_load_b32 v210, off, off offset:1096
	scratch_load_b32 v211, off, off offset:712
	v_add3_u32 v0, v0, v17, v18
	v_mul_i32_i24_e32 v17, v102, v212
	v_mul_i32_i24_e32 v18, v104, v213
	s_clause 0x1
	scratch_load_b32 v212, off, off offset:716
	scratch_load_b32 v213, off, off offset:1232 th:TH_LOAD_LU
	v_add3_u32 v0, v0, v19, v20
	v_mul_i32_i24_e32 v19, v105, v214
	v_mul_i32_i24_e32 v20, v36, v216
	s_clause 0x1
	scratch_load_b32 v214, off, off offset:720
	scratch_load_b32 v216, off, off offset:52
	v_add3_u32 v0, v0, v21, v22
	v_mul_i32_i24_e32 v21, v109, v215
	v_mul_i32_i24_e32 v22, v37, v217
	s_clause 0x1
	scratch_load_b32 v215, off, off offset:1236 th:TH_LOAD_LU
	scratch_load_b32 v217, off, off offset:724
	v_add3_u32 v0, v0, v23, v24
	v_mul_i32_i24_e32 v23, v110, v218
	v_mul_i32_i24_e32 v24, v42, v222
	scratch_load_b32 v222, off, off offset:732 ; 4-byte Folded Reload
	v_add3_u32 v0, v0, v25, v26
	v_mul_i32_i24_e32 v25, v43, v219
	v_mul_i32_i24_e32 v26, v38, v223
	s_clause 0x1
	scratch_load_b32 v223, off, off offset:1240 th:TH_LOAD_LU
	scratch_load_b32 v219, off, off offset:728
	v_add3_u32 v0, v0, v27, v98
	v_mul_i32_i24_e32 v27, v103, v224
	v_mul_i32_i24_e32 v98, v108, v226
	s_clause 0x1
	scratch_load_b32 v224, off, off offset:748
	scratch_load_b32 v226, off, off offset:736
	v_mul_lo_u32 v0, v0, v190
	scratch_load_b32 v190, off, off offset:664 ; 4-byte Folded Reload
	v_cvt_f32_i32_e32 v0, v0
	s_delay_alu instid0(VALU_DEP_1) | instskip(SKIP_4) | instid1(VALU_DEP_2)
	v_fma_mix_f32 v0, v94, v0, 0 op_sel_hi:[1,0,0]
	s_wait_loadcnt 0x11
	v_mul_i32_i24_e32 v3, v64, v3
	s_wait_loadcnt 0x10
	v_mul_i32_i24_e32 v7, v112, v7
	v_add3_u32 v2, v2, v3, v4
	s_delay_alu instid0(VALU_DEP_1) | instskip(NEXT) | instid1(VALU_DEP_1)
	v_add3_u32 v2, v2, v5, v6
	v_add3_u32 v2, v2, v7, v8
	s_delay_alu instid0(VALU_DEP_1)
	v_add3_u32 v2, v2, v9, v10
	s_wait_loadcnt 0xe
	v_mul_i32_i24_e32 v3, v92, v209
	s_wait_loadcnt 0xd
	v_mul_i32_i24_e32 v4, v93, v210
	;; [unrolled: 2-line block ×3, first 2 shown]
	scratch_load_b32 v93, off, off offset:360 ; 4-byte Folded Reload
	v_bfe_i32 v52, v60, 0, 8
	s_wait_loadcnt 0xc
	v_mul_i32_i24_e32 v6, v53, v212
	s_wait_loadcnt 0xb
	v_mul_i32_i24_e32 v7, v54, v213
	v_bfe_i32 v53, v60, 8, 8
	v_bfe_i32 v54, v56, 0, 8
	s_wait_loadcnt 0xa
	v_mul_i32_i24_e32 v8, v55, v214
	v_bfe_i32 v55, v56, 16, 8
	s_wait_loadcnt 0x8
	v_mul_i32_i24_e32 v9, v75, v215
	s_wait_loadcnt 0x7
	v_mul_i32_i24_e32 v10, v78, v217
	v_ashrrev_i32_e32 v78, 24, v56
	s_wait_loadcnt 0x1
	v_mul_i32_i24_e32 v11, v33, v190
	s_delay_alu instid0(VALU_DEP_1)
	v_add3_u32 v2, v2, v11, v12
	v_mul_i32_i24_e32 v11, v88, v219
	v_mul_i32_i24_e32 v12, v74, v222
	scratch_load_b32 v74, off, off offset:128 ; 4-byte Folded Reload
	v_add3_u32 v2, v2, v13, v14
	v_mul_i32_i24_e32 v13, v69, v226
	v_mul_i32_i24_e32 v14, v70, v227
	s_clause 0x1
	scratch_load_b32 v69, off, off offset:464
	scratch_load_b32 v70, off, off offset:468
	v_add3_u32 v2, v2, v15, v16
	scratch_load_b32 v16, off, off offset:328 ; 4-byte Folded Reload
	v_mul_i32_i24_e32 v15, v71, v225
	scratch_load_b32 v71, off, off offset:472 ; 4-byte Folded Reload
	v_add3_u32 v2, v2, v17, v18
	s_clause 0x1
	scratch_load_b32 v17, off, off offset:696
	scratch_load_b32 v18, off, off offset:700
	v_add3_u32 v2, v2, v19, v20
	s_clause 0x1
	scratch_load_b32 v19, off, off offset:332
	scratch_load_b32 v20, off, off offset:288
	v_add3_u32 v2, v2, v21, v22
	s_clause 0x1
	scratch_load_b32 v21, off, off offset:336
	scratch_load_b32 v22, off, off offset:292
	v_add3_u32 v2, v2, v23, v24
	s_clause 0x1
	scratch_load_b32 v23, off, off offset:300
	scratch_load_b32 v24, off, off offset:688
	v_add3_u32 v2, v2, v25, v26
	s_clause 0x1
	scratch_load_b32 v25, off, off offset:304
	scratch_load_b32 v26, off, off offset:308
	v_add3_u32 v2, v2, v27, v98
	scratch_load_b32 v27, off, off offset:312 ; 4-byte Folded Reload
	v_add3_u32 v2, v2, v99, v106
	scratch_load_b32 v106, off, off offset:372 ; 4-byte Folded Reload
	v_ashrrev_i32_e32 v99, 24, v86
	v_mul_lo_u32 v2, v2, v143
	s_delay_alu instid0(VALU_DEP_1) | instskip(NEXT) | instid1(VALU_DEP_1)
	v_cvt_f32_i32_e32 v2, v2
	v_fma_mix_f32 v0, v95, v2, v0 op_sel_hi:[1,0,0]
	v_mul_i32_i24_e32 v2, v96, v223
	s_wait_loadcnt 0xd
	v_mul_i32_i24_e32 v16, v48, v16
	v_fma_mix_f32 v48, v94, v158, 0 op_sel:[1,0,0] op_sel_hi:[1,0,0]
	scratch_load_b32 v158, off, off offset:980 th:TH_LOAD_LU ; 4-byte Folded Reload
	v_mul_f32_e32 v1, v1, v228
	scratch_load_b32 v228, off, off offset:976 ; 4-byte Folded Reload
	s_wait_loadcnt 0xd
	v_mul_i32_i24_e32 v17, v49, v17
	s_wait_loadcnt 0xc
	v_mul_i32_i24_e32 v18, v50, v18
	v_fma_f32 v0, v0, v152, -v1
	scratch_load_b32 v152, off, off offset:1224 ; 4-byte Folded Reload
	v_mul_i32_i24_e32 v1, v82, v224
	s_wait_loadcnt 0xc
	v_mul_i32_i24_e32 v19, v51, v19
	s_wait_loadcnt 0xb
	v_mul_i32_i24_e32 v20, v97, v20
	v_add_f32_e32 v129, v129, v0
	scratch_load_b32 v82, off, off offset:112 ; 4-byte Folded Reload
	s_wait_loadcnt 0xb
	v_mul_i32_i24_e32 v21, v45, v21
	scratch_load_b32 v45, off, off offset:692 ; 4-byte Folded Reload
	s_wait_loadcnt 0xb
	v_mul_i32_i24_e32 v22, v72, v22
	scratch_store_b32 off, v129, off offset:580 ; 4-byte Folded Spill
	scratch_load_b32 v129, off, off offset:1228 ; 4-byte Folded Reload
	s_wait_loadcnt 0xb
	v_mul_i32_i24_e32 v23, v73, v23
	s_wait_loadcnt 0xa
	v_mul_i32_i24_e32 v24, v76, v24
	s_clause 0x2
	scratch_load_b32 v72, off, off offset:124
	scratch_load_b32 v73, off, off offset:476
	;; [unrolled: 1-line block ×3, first 2 shown]
	s_wait_loadcnt 0xc
	v_mul_i32_i24_e32 v25, v77, v25
	s_wait_loadcnt 0xb
	v_mul_i32_i24_e32 v26, v79, v26
	s_clause 0x1
	scratch_load_b32 v77, off, off offset:136
	scratch_load_b32 v79, off, off offset:140
	v_bfe_i32 v97, v86, 8, 8
	s_wait_loadcnt 0xc
	v_mul_i32_i24_e32 v27, v80, v27
	s_wait_loadcnt 0x9
	v_mul_i32_i24_e32 v80, v99, v228
	;; [unrolled: 2-line block ×3, first 2 shown]
	scratch_load_b32 v81, off, off offset:460 ; 4-byte Folded Reload
	s_wait_loadcnt 0x7
	v_mul_i32_i24_e32 v45, v47, v45
	s_wait_loadcnt 0x6
	v_mad_i32_i24 v0, v100, v129, v0
	v_bfe_i32 v100, v85, 8, 8
	s_delay_alu instid0(VALU_DEP_2)
	v_add3_u32 v0, v0, v1, v2
	v_mul_i32_i24_e32 v1, v89, v207
	v_mul_i32_i24_e32 v2, v90, v128
	s_wait_loadcnt 0x4
	v_mul_i32_i24_e32 v73, v100, v73
	s_wait_loadcnt 0x2
	v_mul_i32_i24_e32 v77, v97, v77
	v_add3_u32 v0, v0, v1, v2
	s_clause 0x1
	scratch_load_b32 v1, off, off offset:296
	scratch_load_b32 v2, off, off offset:284
	v_add3_u32 v0, v0, v3, v4
	scratch_load_b32 v3, off, off offset:272 ; 4-byte Folded Reload
	v_add3_u32 v0, v0, v5, v6
	s_delay_alu instid0(VALU_DEP_1)
	v_add3_u32 v0, v0, v7, v8
	scratch_load_b32 v8, off, off offset:68 ; 4-byte Folded Reload
	v_add3_u32 v0, v0, v9, v10
	v_mul_i32_i24_e32 v9, v102, v157
	scratch_load_b32 v102, off, off offset:220 ; 4-byte Folded Reload
	v_mul_i32_i24_e32 v10, v104, v176
	scratch_load_b32 v104, off, off offset:312 ; 4-byte Folded Reload
	v_add3_u32 v0, v0, v11, v12
	v_mul_i32_i24_e32 v11, v105, v177
	scratch_load_b32 v105, off, off offset:352 ; 4-byte Folded Reload
	v_mul_i32_i24_e32 v12, v36, v178
	v_bfe_i32 v36, v63, 8, 8
	v_add3_u32 v0, v0, v13, v14
	v_mul_i32_i24_e32 v14, v37, v93
	v_bfe_i32 v37, v63, 16, 8
	s_delay_alu instid0(VALU_DEP_3) | instskip(NEXT) | instid1(VALU_DEP_1)
	v_add3_u32 v0, v0, v15, v16
	v_add3_u32 v0, v0, v17, v18
	v_mul_i32_i24_e32 v17, v43, v216
	v_ashrrev_i32_e32 v43, 24, v57
	s_delay_alu instid0(VALU_DEP_3) | instskip(SKIP_3) | instid1(VALU_DEP_1)
	v_add3_u32 v0, v0, v19, v20
	v_mul_i32_i24_e32 v19, v103, v106
	scratch_load_b32 v103, off, off offset:376 ; 4-byte Folded Reload
	v_add3_u32 v0, v0, v21, v22
	v_add3_u32 v0, v0, v23, v24
	v_ashrrev_i32_e32 v24, 24, v84
	v_bfe_i32 v23, v61, 16, 8
	s_delay_alu instid0(VALU_DEP_3) | instskip(NEXT) | instid1(VALU_DEP_3)
	v_add3_u32 v0, v0, v25, v26
	v_mul_i32_i24_e32 v71, v24, v71
	v_bfe_i32 v26, v87, 0, 8
	v_bfe_i32 v25, v87, 16, 8
	s_delay_alu instid0(VALU_DEP_4) | instskip(SKIP_2) | instid1(VALU_DEP_4)
	v_add3_u32 v0, v0, v27, v45
	v_bfe_i32 v45, v58, 8, 8
	v_ashrrev_i32_e32 v27, 24, v87
	v_mul_i32_i24_e32 v88, v147, v25
	s_delay_alu instid0(VALU_DEP_2)
	v_mul_i32_i24_e32 v89, v144, v27
	v_mov_b32_e32 v144, v196
	scratch_load_b32 v196, off, off offset:804 ; 4-byte Folded Reload
	s_wait_loadcnt 0x9
	v_mul_i32_i24_e32 v81, v26, v81
	s_wait_loadcnt 0x8
	v_mul_lo_u32 v0, v0, v1
	scratch_load_b32 v1, off, off offset:276 ; 4-byte Folded Reload
	s_wait_loadcnt 0x8
	v_mul_i32_i24_e32 v2, v29, v2
	v_bfe_i32 v29, v84, 16, 8
	v_cvt_f32_i32_e32 v0, v0
	s_delay_alu instid0(VALU_DEP_2) | instskip(NEXT) | instid1(VALU_DEP_2)
	v_mul_i32_i24_e32 v70, v29, v70
	v_fma_mix_f32 v47, v94, v0, 0 op_sel_hi:[1,0,0]
	scratch_load_b32 v0, off, off offset:280 ; 4-byte Folded Reload
	s_wait_loadcnt 0x7
	v_mul_i32_i24_e32 v49, v41, v8
	v_mul_i32_i24_e32 v8, v113, v158
	v_bfe_i32 v41, v57, 8, 8
	scratch_load_b32 v113, off, off offset:764 ; 4-byte Folded Reload
	s_wait_loadcnt 0x7
	v_mul_i32_i24_e32 v21, v46, v102
	v_bfe_i32 v46, v58, 16, 8
	s_wait_loadcnt 0x5
	v_mul_i32_i24_e32 v13, v109, v105
	scratch_load_b32 v109, off, off offset:364 ; 4-byte Folded Reload
	s_wait_loadcnt 0x5
	v_mul_i32_i24_e32 v20, v108, v103
	scratch_load_b32 v108, off, off offset:228 ; 4-byte Folded Reload
	s_wait_loadcnt 0x4
	v_mul_i32_i24_e32 v1, v28, v1
	v_bfe_i32 v28, v84, 8, 8
	s_delay_alu instid0(VALU_DEP_1)
	v_mul_i32_i24_e32 v69, v28, v69
	s_wait_loadcnt 0x3
	v_mul_i32_i24_e32 v0, v30, v0
	v_bfe_i32 v30, v84, 0, 8
	scratch_load_b32 v84, off, off offset:116 ; 4-byte Folded Reload
	v_mad_i32_i24 v0, v44, v3, v0
	scratch_load_b32 v3, off, off offset:316 ; 4-byte Folded Reload
	v_bfe_i32 v44, v58, 0, 8
	v_add3_u32 v5, v0, v1, v2
	s_clause 0x1
	scratch_load_b32 v0, off, off offset:324
	scratch_load_b32 v1, off, off offset:684
	s_wait_loadcnt 0x5
	v_mul_i32_i24_e32 v15, v110, v109
	scratch_load_b32 v110, off, off offset:56 ; 4-byte Folded Reload
	s_wait_loadcnt 0x5
	v_mul_i32_i24_e32 v22, v39, v108
	v_bfe_i32 v39, v56, 8, 8
	v_bfe_i32 v56, v62, 0, 8
	s_wait_loadcnt 0x4
	v_mul_i32_i24_e32 v84, v25, v84
	s_wait_loadcnt 0x3
	v_mul_i32_i24_e32 v50, v35, v3
	scratch_load_b32 v3, off, off offset:64 ; 4-byte Folded Reload
	v_bfe_i32 v35, v63, 0, 8
	s_wait_loadcnt 0x3
	v_mul_i32_i24_e32 v96, v64, v0
	scratch_load_b32 v0, off, off offset:264 ; 4-byte Folded Reload
	s_wait_loadcnt 0x3
	v_mul_i32_i24_e32 v51, v33, v1
	scratch_load_b32 v1, off, off offset:320 ; 4-byte Folded Reload
	s_wait_loadcnt 0x3
	v_mul_i32_i24_e32 v16, v42, v110
	v_bfe_i32 v42, v57, 16, 8
	v_bfe_i32 v33, v62, 16, 8
	s_wait_loadcnt 0x2
	v_mul_i32_i24_e32 v3, v40, v3
	v_bfe_i32 v40, v57, 0, 8
	s_wait_loadcnt 0x1
	v_mul_i32_i24_e32 v98, v83, v0
	scratch_load_b32 v0, off, off offset:260 ; 4-byte Folded Reload
	s_wait_loadcnt 0x1
	v_mul_i32_i24_e32 v1, v34, v1
	v_bfe_i32 v83, v85, 0, 8
	v_ashrrev_i32_e32 v34, 24, v62
	v_add3_u32 v5, v5, v96, v98
	v_bfe_i32 v96, v86, 0, 8
	v_bfe_i32 v98, v86, 16, 8
	v_mul_i32_i24_e32 v72, v83, v72
	scratch_load_b32 v86, off, off offset:860 ; 4-byte Folded Reload
	v_mul_i32_i24_e32 v76, v96, v76
	v_mul_i32_i24_e32 v79, v98, v79
	s_wait_loadcnt 0x1
	v_mul_i32_i24_e32 v6, v91, v0
	scratch_load_b32 v0, off, off offset:268 ; 4-byte Folded Reload
	s_wait_loadcnt 0x1
	v_mul_i32_i24_e32 v86, v36, v86
	s_wait_loadcnt 0x0
	v_mul_i32_i24_e32 v7, v111, v0
	s_clause 0x1
	scratch_load_b32 v0, off, off offset:60
	scratch_load_b32 v111, off, off offset:760
	v_add3_u32 v5, v5, v6, v7
	v_bfe_i32 v6, v67, 16, 8
	v_ashrrev_i32_e32 v7, 24, v67
	s_wait_loadcnt 0x1
	v_mul_i32_i24_e32 v4, v112, v0
	s_clause 0x1
	scratch_load_b32 v0, off, off offset:256
	scratch_load_b32 v112, off, off offset:752
	s_wait_loadcnt 0x1
	v_mul_i32_i24_e32 v94, v120, v0
	s_clause 0x1
	scratch_load_b32 v0, off, off offset:252
	scratch_load_b32 v120, off, off offset:788
	v_add3_u32 v4, v5, v4, v94
	v_bfe_i32 v94, v85, 16, 8
	v_bfe_i32 v5, v67, 8, 8
	s_delay_alu instid0(VALU_DEP_2)
	v_mul_i32_i24_e32 v74, v94, v74
	s_wait_loadcnt 0x1
	v_mul_i32_i24_e32 v2, v31, v0
	scratch_load_b32 v0, off, off offset:680 ; 4-byte Folded Reload
	v_bfe_i32 v31, v87, 8, 8
	scratch_load_b32 v87, off, off offset:416 ; 4-byte Folded Reload
	v_mul_i32_i24_e32 v82, v31, v82
	s_wait_loadcnt 0x1
	v_mul_i32_i24_e32 v0, v32, v0
	v_bfe_i32 v32, v62, 8, 8
	v_mul_i32_i24_e32 v62, v6, v220
	s_wait_loadcnt 0x0
	v_mul_i32_i24_e32 v87, v37, v87
	scratch_load_b32 v220, off, off offset:684 ; 4-byte Folded Reload
	v_add3_u32 v0, v4, v2, v0
	v_bfe_i32 v2, v65, 0, 8
	v_bfe_i32 v4, v67, 0, 8
	s_delay_alu instid0(VALU_DEP_3)
	v_add3_u32 v0, v0, v51, v1
	v_fma_mix_f32 v1, v95, v131, v48 op_sel:[1,0,0] op_sel_hi:[1,0,0]
	v_dual_mov_b32 v131, v214 :: v_dual_mov_b32 v214, v219
	scratch_store_b32 off, v141, off offset:1068 ; 4-byte Folded Spill
	scratch_load_b32 v141, off, off offset:368 ; 4-byte Folded Reload
	v_add3_u32 v0, v0, v50, v3
	v_mul_f32_e32 v1, v1, v132
	v_ashrrev_i32_e32 v3, 24, v66
	v_bfe_i32 v48, v59, 0, 8
	v_bfe_i32 v50, v59, 16, 8
	v_add3_u32 v0, v0, v49, v8
	v_bfe_i32 v49, v59, 8, 8
	v_ashrrev_i32_e32 v51, 24, v59
	v_mul_i32_i24_e32 v59, v3, v182
	v_bfe_i32 v8, v68, 0, 8
	v_add3_u32 v0, v0, v9, v10
	v_bfe_i32 v9, v68, 8, 8
	v_bfe_i32 v10, v68, 16, 8
	v_mov_b32_e32 v132, v209
	v_mul_i32_i24_e32 v64, v8, v201
	v_add3_u32 v0, v0, v11, v12
	v_bfe_i32 v12, v66, 0, 8
	v_ashrrev_i32_e32 v11, 24, v68
	v_mul_i32_i24_e32 v68, v30, v252
	scratch_load_b32 v252, off, off offset:956 ; 4-byte Folded Reload
	v_add3_u32 v0, v0, v13, v14
	v_bfe_i32 v13, v66, 8, 8
	v_bfe_i32 v14, v66, 16, 8
	v_mul_i32_i24_e32 v66, v10, v166
	v_mul_i32_i24_e32 v67, v11, v167
	v_add3_u32 v0, v0, v15, v16
	v_bfe_i32 v15, v65, 8, 8
	v_ashrrev_i32_e32 v16, 24, v60
	scratch_load_b32 v167, off, off offset:928 ; 4-byte Folded Reload
	v_dual_mov_b32 v209, v210 :: v_dual_mov_b32 v210, v211
	v_dual_mov_b32 v211, v212 :: v_dual_mov_b32 v212, v213
	v_mov_b32_e32 v213, v217
	v_mov_b32_e32 v217, v226
	s_clause 0x1
	scratch_load_b32 v226, off, off offset:332
	scratch_load_b32 v182, off, off offset:704
	v_mov_b32_e32 v219, v227
	s_clause 0x2
	scratch_load_b32 v227, off, off offset:336
	scratch_load_b32 v166, off, off offset:272
	;; [unrolled: 1-line block ×3, first 2 shown]
	s_wait_loadcnt 0x7
	v_mul_i32_i24_e32 v18, v38, v141
	v_ashrrev_i32_e32 v38, 24, v63
	v_mul_i32_i24_e32 v63, v7, v195
	scratch_load_b32 v195, off, off offset:800 ; 4-byte Folded Reload
	v_add3_u32 v0, v0, v17, v18
	v_mul_i32_i24_e32 v18, v2, v186
	v_ashrrev_i32_e32 v17, 24, v61
	v_mov_b32_e32 v186, v202
	scratch_load_b32 v202, off, off offset:812 ; 4-byte Folded Reload
	v_add3_u32 v0, v0, v19, v20
	v_mad_i32_i24 v18, v15, v168, v18
	v_bfe_i32 v20, v60, 16, 8
	v_mul_i32_i24_e32 v60, v4, v188
	scratch_load_b32 v188, off, off offset:708 ; 4-byte Folded Reload
	v_add3_u32 v0, v0, v21, v22
	v_bfe_i32 v21, v61, 0, 8
	v_bfe_i32 v22, v61, 8, 8
	v_mul_i32_i24_e32 v61, v5, v200
	v_mov_b32_e32 v168, v223
	v_mul_lo_u32 v0, v0, v204
	scratch_load_b32 v223, off, off offset:328 ; 4-byte Folded Reload
	v_cvt_f32_i32_e32 v0, v0
	s_delay_alu instid0(VALU_DEP_1)
	v_fma_mix_f32 v0, v95, v0, v47 op_sel_hi:[1,0,0]
	v_ashrrev_i32_e32 v95, 24, v85
	scratch_load_b32 v85, off, off offset:120 ; 4-byte Folded Reload
	v_ashrrev_i32_e32 v47, 24, v58
	v_mul_i32_i24_e32 v58, v14, v194
	v_fma_f32 v0, v0, v130, -v1
	s_clause 0x1
	scratch_load_b32 v1, off, off offset:536
	scratch_load_b32 v130, off, off offset:768
	v_mul_i32_i24_e32 v75, v95, v251
	v_dual_mov_b32 v194, v253 :: v_dual_mov_b32 v253, v185
	scratch_load_b32 v185, off, off offset:792 ; 4-byte Folded Reload
	v_mul_i32_i24_e32 v90, v253, v38
	s_wait_loadcnt 0x5
	v_mul_i32_i24_e32 v91, v27, v188
	s_wait_loadcnt 0x3
	;; [unrolled: 2-line block ×3, first 2 shown]
	v_add_f32_e32 v1, v1, v0
	v_bfe_i32 v0, v65, 16, 8
	s_wait_loadcnt 0x1
	v_mul_i32_i24_e32 v92, v38, v130
	scratch_store_b32 off, v1, off offset:536 ; 4-byte Folded Spill
	v_ashrrev_i32_e32 v1, 24, v65
	v_mul_i32_i24_e32 v19, v0, v187
	v_mul_i32_i24_e32 v65, v9, v193
	s_clause 0x1
	scratch_load_b32 v187, off, off offset:912
	scratch_load_b32 v193, off, off offset:796
	v_mul_i32_i24_e32 v57, v1, v192
	scratch_load_b32 v192, off, off offset:948 ; 4-byte Folded Reload
	v_add3_u32 v18, v18, v19, v57
	v_mul_i32_i24_e32 v19, v12, v189
	v_mul_i32_i24_e32 v57, v13, v191
	s_clause 0x1
	scratch_load_b32 v191, off, off offset:872
	scratch_load_b32 v189, off, off offset:256
	v_add3_u32 v18, v18, v19, v57
	s_clause 0x1
	scratch_load_b32 v19, off, off offset:100
	scratch_load_b32 v57, off, off offset:108
	v_add3_u32 v18, v18, v58, v59
	;; [unrolled: 4-line block ×4, first 2 shown]
	s_clause 0x1
	scratch_load_b32 v62, off, off
	scratch_load_b32 v63, off, off offset:4
	v_add3_u32 v18, v18, v64, v65
	scratch_load_b32 v64, off, off offset:92 ; 4-byte Folded Reload
	v_add3_u32 v18, v18, v66, v67
	s_delay_alu instid0(VALU_DEP_1)
	v_add3_u32 v18, v18, v68, v69
	s_clause 0x1
	scratch_load_b32 v68, off, off offset:828
	scratch_load_b32 v69, off, off offset:384
	v_add3_u32 v18, v18, v70, v71
	s_clause 0x1
	scratch_load_b32 v70, off, off offset:456
	scratch_load_b32 v71, off, off offset:824
	;; [unrolled: 4-line block ×8, first 2 shown]
	s_clause 0x1
	scratch_store_b32 off, v18, off offset:1644
	scratch_store_b32 off, v87, off offset:1648
	s_clause 0x1
	scratch_load_b32 v18, off, off offset:104
	scratch_load_b32 v87, off, off offset:420
	s_wait_loadcnt 0x1a
	v_mul_i32_i24_e32 v19, v55, v19
	s_wait_loadcnt 0x19
	v_mul_i32_i24_e32 v57, v78, v57
	s_wait_loadcnt 0x17
	v_mul_i32_i24_e32 v59, v43, v59
	s_wait_loadcnt 0x16
	v_mul_i32_i24_e32 v60, v44, v60
	s_wait_loadcnt 0x15
	v_mul_i32_i24_e32 v61, v45, v61
	s_wait_loadcnt 0x14
	v_mul_i32_i24_e32 v62, v46, v62
	s_wait_loadcnt 0x13
	v_mul_i32_i24_e32 v63, v47, v63
	s_wait_loadcnt 0x12
	v_mul_i32_i24_e32 v64, v48, v64
	s_wait_loadcnt 0x11
	v_mul_i32_i24_e32 v68, v52, v68
	s_wait_loadcnt 0x10
	v_mul_i32_i24_e32 v69, v53, v69
	s_wait_loadcnt 0xf
	v_mul_i32_i24_e32 v70, v20, v70
	s_wait_loadcnt 0xe
	v_mul_i32_i24_e32 v71, v16, v71
	s_wait_loadcnt 0xd
	v_mul_i32_i24_e32 v72, v21, v72
	s_wait_loadcnt 0xc
	v_mul_i32_i24_e32 v73, v22, v73
	s_wait_loadcnt 0xb
	v_mul_i32_i24_e32 v74, v23, v74
	s_wait_loadcnt 0xa
	v_mul_i32_i24_e32 v75, v17, v75
	s_wait_loadcnt 0x9
	v_mul_i32_i24_e32 v76, v56, v76
	s_wait_loadcnt 0x8
	v_mul_i32_i24_e32 v77, v32, v77
	s_wait_loadcnt 0x7
	v_mul_i32_i24_e32 v65, v49, v80
	s_wait_loadcnt 0x6
	v_mul_i32_i24_e32 v79, v33, v79
	s_wait_loadcnt 0x5
	v_mul_i32_i24_e32 v66, v50, v81
	s_wait_loadcnt 0x4
	v_mul_i32_i24_e32 v67, v51, v82
	s_wait_loadcnt 0x3
	v_mul_i32_i24_e32 v84, v34, v84
	s_wait_loadcnt 0x2
	v_mul_i32_i24_e32 v85, v35, v85
	s_wait_loadcnt 0x1
	v_mul_i32_i24_e32 v18, v54, v18
	s_wait_loadcnt 0x0
	v_mul_i32_i24_e32 v87, v38, v87
	s_delay_alu instid0(VALU_DEP_2)
	v_mad_i32_i24 v18, v39, v58, v18
	v_mul_i32_i24_e32 v58, v42, v229
	scratch_store_b32 off, v87, off offset:1652 ; 4-byte Folded Spill
	v_mul_i32_i24_e32 v87, v155, v31
	v_add3_u32 v18, v18, v19, v57
	scratch_load_b32 v57, off, off offset:452 ; 4-byte Folded Reload
	v_mul_i32_i24_e32 v19, v40, v252
	s_wait_loadcnt 0x0
	v_mul_i32_i24_e32 v57, v41, v57
	s_delay_alu instid0(VALU_DEP_1)
	v_add3_u32 v18, v18, v19, v57
	scratch_load_b32 v57, off, off offset:848 ; 4-byte Folded Reload
	v_mul_i32_i24_e32 v19, v154, v0
	scratch_load_b32 v154, off, off offset:784 ; 4-byte Folded Reload
	v_add3_u32 v18, v18, v58, v59
	scratch_load_b32 v58, off, off offset:844 ; 4-byte Folded Reload
	v_mul_i32_i24_e32 v59, v250, v3
	scratch_load_b32 v250, off, off offset:868 ; 4-byte Folded Reload
	v_add3_u32 v18, v18, v60, v61
	scratch_load_b32 v61, off, off offset:444 ; 4-byte Folded Reload
	v_add3_u32 v18, v18, v62, v63
	s_clause 0x1
	scratch_load_b32 v62, off, off offset:440
	scratch_load_b32 v63, off, off offset:436
	v_add3_u32 v18, v18, v64, v65
	v_mul_i32_i24_e32 v64, v254, v8
	v_mul_i32_i24_e32 v65, v137, v9
	scratch_load_b32 v137, off, off offset:944 ; 4-byte Folded Reload
	v_mov_b32_e32 v254, v199
	v_add3_u32 v18, v18, v66, v67
	v_mul_i32_i24_e32 v66, v241, v10
	scratch_load_b32 v241, off, off offset:880 ; 4-byte Folded Reload
	v_mov_b32_e32 v199, v128
	scratch_load_b32 v128, off, off offset:264 ; 4-byte Folded Reload
	v_add3_u32 v18, v18, v68, v69
	scratch_load_b32 v68, off, off offset:816 ; 4-byte Folded Reload
	v_add3_u32 v18, v18, v70, v71
	v_mul_i32_i24_e32 v70, v171, v29
	scratch_load_b32 v171, off, off offset:936 ; 4-byte Folded Reload
	v_mul_i32_i24_e32 v71, v150, v24
	v_mov_b32_e32 v150, v143
	v_add3_u32 v18, v18, v72, v73
	v_mul_i32_i24_e32 v72, v255, v83
	v_mul_i32_i24_e32 v73, v164, v100
	scratch_load_b32 v255, off, off offset:1212 th:TH_LOAD_LU ; 4-byte Folded Reload
	v_mov_b32_e32 v143, v103
	v_add3_u32 v18, v18, v74, v75
	v_mul_i32_i24_e32 v74, v191, v94
	v_mul_i32_i24_e32 v75, v172, v95
	scratch_load_b32 v172, off, off offset:1216 th:TH_LOAD_LU ; 4-byte Folded Reload
	v_add3_u32 v18, v18, v76, v77
	v_mul_i32_i24_e32 v77, v145, v97
	scratch_load_b32 v145, off, off offset:904 ; 4-byte Folded Reload
	v_mul_i32_i24_e32 v76, v174, v96
	v_mov_b32_e32 v174, v102
	v_add3_u32 v18, v18, v79, v84
	scratch_load_b32 v79, off, off offset:876 ; 4-byte Folded Reload
	v_mul_i32_i24_e32 v84, v254, v98
	scratch_load_b32 v102, off, off offset:120 ; 4-byte Folded Reload
	v_add3_u32 v18, v18, v85, v86
	v_mul_i32_i24_e32 v85, v186, v99
	v_mul_i32_i24_e32 v86, v161, v26
	scratch_store_b32 off, v18, off offset:1664 ; 4-byte Folded Spill
	scratch_load_b32 v18, off, off offset:820 ; 4-byte Folded Reload
	s_wait_loadcnt 0x11
	v_mul_i32_i24_e32 v57, v57, v1
	s_wait_loadcnt 0xe
	v_mul_i32_i24_e32 v69, v250, v28
	;; [unrolled: 2-line block ×9, first 2 shown]
	s_delay_alu instid0(VALU_DEP_1)
	v_mad_i32_i24 v18, v58, v15, v18
	scratch_load_b32 v58, off, off offset:424 ; 4-byte Folded Reload
	v_add3_u32 v18, v18, v19, v57
	s_clause 0x1
	scratch_load_b32 v19, off, off offset:432
	scratch_load_b32 v57, off, off offset:428
	s_wait_loadcnt 0x2
	v_mul_i32_i24_e32 v58, v58, v14
	s_wait_loadcnt 0x1
	v_mul_i32_i24_e32 v19, v19, v12
	s_wait_loadcnt 0x0
	v_mul_i32_i24_e32 v57, v57, v13
	s_delay_alu instid0(VALU_DEP_1)
	v_add3_u32 v18, v18, v19, v57
	v_mul_i32_i24_e32 v19, v165, v55
	scratch_load_b32 v165, off, off offset:60 ; 4-byte Folded Reload
	v_add3_u32 v18, v18, v58, v59
	v_mul_i32_i24_e32 v58, v160, v42
	v_mul_i32_i24_e32 v59, v151, v43
	v_mov_b32_e32 v151, v233
	scratch_load_b32 v233, off, off offset:296 ; 4-byte Folded Reload
	v_add3_u32 v18, v18, v60, v61
	v_mul_i32_i24_e32 v60, v137, v44
	v_mul_i32_i24_e32 v61, v173, v45
	s_delay_alu instid0(VALU_DEP_3) | instskip(SKIP_2) | instid1(VALU_DEP_3)
	v_add3_u32 v18, v18, v62, v63
	v_mul_i32_i24_e32 v62, v171, v46
	v_mul_i32_i24_e32 v63, v169, v47
	v_add3_u32 v18, v18, v64, v65
	v_mul_i32_i24_e32 v64, v192, v48
	s_delay_alu instid0(VALU_DEP_2)
	v_add3_u32 v18, v18, v66, v67
	v_mul_i32_i24_e32 v66, v239, v50
	v_mul_i32_i24_e32 v67, v101, v51
	scratch_load_b32 v101, off, off offset:116 ; 4-byte Folded Reload
	v_add3_u32 v18, v18, v68, v69
	v_mul_i32_i24_e32 v68, v145, v52
	v_mul_i32_i24_e32 v69, v248, v53
	s_delay_alu instid0(VALU_DEP_3) | instskip(SKIP_2) | instid1(VALU_DEP_3)
	v_add3_u32 v18, v18, v70, v71
	v_mul_i32_i24_e32 v70, v187, v20
	v_mul_i32_i24_e32 v71, v151, v16
	v_add3_u32 v18, v18, v72, v73
	scratch_load_b32 v73, off, off offset:832 ; 4-byte Folded Reload
	v_mul_i32_i24_e32 v72, v172, v21
	v_add3_u32 v18, v18, v74, v75
	v_mul_i32_i24_e32 v74, v238, v23
	v_mul_i32_i24_e32 v75, v194, v17
	s_delay_alu instid0(VALU_DEP_3) | instskip(SKIP_1) | instid1(VALU_DEP_2)
	v_add3_u32 v18, v18, v76, v77
	v_mul_i32_i24_e32 v76, v255, v56
	v_add3_u32 v18, v18, v84, v85
	s_clause 0x1
	scratch_load_b32 v84, off, off offset:840
	scratch_load_b32 v85, off, off offset:836
	v_add3_u32 v18, v18, v86, v87
	v_mul_i32_i24_e32 v87, v249, v35
	v_mov_b32_e32 v249, v125
	v_mov_b32_e32 v159, v153
	v_mul_i32_i24_e32 v86, v162, v34
	v_add3_u32 v18, v18, v88, v89
	v_mov_b32_e32 v162, v234
	v_mov_b32_e32 v200, v203
	v_mul_i32_i24_e32 v57, v159, v78
	v_mul_i32_i24_e32 v88, v232, v36
	v_mul_lo_u32 v18, v18, v175
	v_mul_i32_i24_e32 v89, v162, v37
	v_mul_i32_i24_e32 v65, v200, v49
	s_clause 0x2
	scratch_load_b32 v153, off, off offset:864
	scratch_load_b32 v234, off, off offset:300
	;; [unrolled: 1-line block ×3, first 2 shown]
	v_dual_mov_b32 v175, v176 :: v_dual_mov_b32 v176, v177
	v_cvt_f32_i32_e32 v77, v18
	v_mul_i32_i24_e32 v18, v144, v54
	scratch_load_b32 v232, off, off offset:824 th:TH_LOAD_LU ; 4-byte Folded Reload
	v_mad_i32_i24 v18, v163, v39, v18
	s_delay_alu instid0(VALU_DEP_1)
	v_add3_u32 v18, v18, v19, v57
	v_mul_i32_i24_e32 v19, v167, v40
	v_mul_i32_i24_e32 v57, v230, v41
	scratch_load_b32 v230, off, off offset:288 ; 4-byte Folded Reload
	v_add3_u32 v18, v18, v19, v57
	scratch_load_b32 v19, off, off offset:1104 ; 4-byte Folded Reload
	v_mul_i32_i24_e32 v57, v1, v183
	scratch_load_b32 v183, off, off offset:252 ; 4-byte Folded Reload
	v_mul_i32_i24_e32 v1, v1, v168
	v_add3_u32 v18, v18, v58, v59
	v_mul_i32_i24_e32 v58, v14, v142
	v_mul_i32_i24_e32 v59, v3, v125
	scratch_load_b32 v125, off, off offset:316 ; 4-byte Folded Reload
	v_mul_i32_i24_e32 v3, v3, v209
	v_add3_u32 v18, v18, v60, v61
	v_mul_i32_i24_e32 v60, v4, v231
	v_mul_i32_i24_e32 v61, v5, v235
	v_mov_b32_e32 v235, v215
	v_mov_b32_e32 v215, v222
	v_add3_u32 v18, v18, v62, v63
	v_mul_i32_i24_e32 v62, v6, v170
	v_mul_i32_i24_e32 v63, v7, v119
	v_mov_b32_e32 v222, v225
	scratch_load_b32 v225, off, off offset:700 ; 4-byte Folded Reload
	v_add3_u32 v18, v18, v64, v65
	v_mul_i32_i24_e32 v64, v8, v138
	v_mul_i32_i24_e32 v65, v9, v139
	s_clause 0x1
	scratch_load_b32 v231, off, off offset:292
	scratch_load_b32 v119, off, off offset:260
	v_add3_u32 v18, v18, v66, v67
	v_mul_i32_i24_e32 v66, v10, v221
	v_mul_i32_i24_e32 v67, v11, v242
	v_mov_b32_e32 v242, v237
	scratch_load_b32 v221, off, off offset:324 ; 4-byte Folded Reload
	v_add3_u32 v18, v18, v68, v69
	s_clause 0x1
	scratch_load_b32 v68, off, off offset:8
	scratch_load_b32 v69, off, off offset:12
	v_mov_b32_e32 v170, v184
	scratch_load_b32 v138, off, off offset:320 ; 4-byte Folded Reload
	v_add3_u32 v18, v18, v70, v71
	s_clause 0x1
	scratch_load_b32 v70, off, off offset:16
	scratch_load_b32 v71, off, off offset:20
	v_mul_i32_i24_e32 v4, v4, v210
	v_mul_i32_i24_e32 v5, v5, v211
	;; [unrolled: 1-line block ×8, first 2 shown]
	v_dual_mov_b32 v139, v216 :: v_dual_mov_b32 v142, v106
	s_wait_loadcnt 0x13
	v_mul_i32_i24_e32 v73, v73, v22
	s_delay_alu instid0(VALU_DEP_1)
	v_add3_u32 v18, v18, v72, v73
	s_clause 0x1
	scratch_load_b32 v72, off, off offset:24
	scratch_load_b32 v73, off, off offset:28
	v_add3_u32 v18, v18, v74, v75
	s_clause 0x1
	scratch_load_b32 v74, off, off offset:32
	scratch_load_b32 v75, off, off offset:36
	s_wait_loadcnt 0x16
	v_mul_i32_i24_e32 v84, v84, v32
	s_wait_loadcnt 0x15
	v_mul_i32_i24_e32 v85, v85, v33
	s_delay_alu instid0(VALU_DEP_2)
	v_add3_u32 v18, v18, v76, v84
	scratch_load_b32 v84, off, off offset:40 ; 4-byte Folded Reload
	v_add3_u32 v18, v18, v85, v86
	s_clause 0x1
	scratch_load_b32 v85, off, off offset:44
	scratch_load_b32 v86, off, off offset:48
	v_add3_u32 v18, v18, v87, v88
	s_clause 0x1
	scratch_load_b32 v87, off, off offset:200
	scratch_load_b32 v88, off, off offset:204
	v_add3_u32 v18, v18, v89, v90
	scratch_load_b32 v89, off, off offset:208 ; 4-byte Folded Reload
	v_mul_i32_i24_e32 v90, v25, v243
	scratch_load_b32 v243, off, off offset:1196 th:TH_LOAD_LU ; 4-byte Folded Reload
	v_mul_i32_i24_e32 v25, v25, v104
	s_wait_loadcnt 0x16
	v_mul_lo_u32 v18, v18, v19
	v_mul_i32_i24_e32 v19, v0, v181
	scratch_load_b32 v181, off, off offset:68 ; 4-byte Folded Reload
	v_cvt_f32_i32_e32 v76, v18
	v_mul_i32_i24_e32 v18, v2, v180
	v_mul_i32_i24_e32 v2, v2, v152
	v_mov_b32_e32 v152, v224
	scratch_load_b32 v224, off, off offset:696 ; 4-byte Folded Reload
	v_mov_b32_e32 v180, v109
	v_mad_i32_i24 v18, v15, v179, v18
	v_mad_i32_i24 v2, v15, v129, v2
	scratch_load_b32 v129, off, off offset:64 ; 4-byte Folded Reload
	v_mul_i32_i24_e32 v0, v0, v152
	v_mul_i32_i24_e32 v15, v29, v222
	v_add3_u32 v18, v18, v19, v57
	v_mul_i32_i24_e32 v19, v12, v107
	v_mul_i32_i24_e32 v57, v13, v205
	s_clause 0x1
	scratch_load_b32 v107, off, off offset:692
	scratch_load_b32 v205, off, off offset:280
	v_add3_u32 v0, v2, v0, v1
	v_mul_i32_i24_e32 v1, v12, v207
	v_add3_u32 v18, v18, v19, v57
	v_mul_i32_i24_e32 v57, v55, v236
	scratch_load_b32 v236, off, off offset:688 ; 4-byte Folded Reload
	v_mul_i32_i24_e32 v2, v13, v199
	s_wait_loadcnt 0x15
	v_mul_i32_i24_e32 v68, v30, v68
	v_add3_u32 v18, v18, v58, v59
	s_wait_loadcnt 0x14
	v_mul_i32_i24_e32 v69, v28, v69
	v_mul_i32_i24_e32 v58, v78, v114
	;; [unrolled: 1-line block ×3, first 2 shown]
	s_wait_loadcnt 0x12
	v_mul_i32_i24_e32 v70, v29, v70
	v_add3_u32 v18, v18, v60, v61
	s_wait_loadcnt 0x11
	v_mul_i32_i24_e32 v71, v24, v71
	v_mul_i32_i24_e32 v60, v43, v146
	scratch_load_b32 v146, off, off offset:268 ; 4-byte Folded Reload
	v_add3_u32 v0, v0, v1, v2
	v_add3_u32 v18, v18, v62, v63
	v_mul_i32_i24_e32 v62, v45, v237
	scratch_load_b32 v237, off, off offset:304 ; 4-byte Folded Reload
	v_mul_i32_i24_e32 v63, v46, v184
	scratch_load_b32 v184, off, off offset:780 ; 4-byte Folded Reload
	v_add3_u32 v18, v18, v64, v65
	v_mul_i32_i24_e32 v65, v48, v190
	scratch_load_b32 v190, off, off offset:276 ; 4-byte Folded Reload
	v_add3_u32 v0, v0, v12, v3
	v_mul_i32_i24_e32 v13, v30, v217
	v_add3_u32 v18, v18, v66, v67
	v_mul_i32_i24_e32 v14, v28, v219
	v_mul_i32_i24_e32 v24, v24, v223
	v_add3_u32 v0, v0, v4, v5
	v_mul_i32_i24_e32 v29, v100, v225
	v_add3_u32 v18, v18, v68, v69
	v_mul_i32_i24_e32 v59, v42, v156
	v_mul_i32_i24_e32 v30, v94, v226
	v_add3_u32 v0, v0, v6, v7
	v_mul_i32_i24_e32 v61, v44, v182
	v_add3_u32 v18, v18, v70, v71
	v_mul_i32_i24_e32 v3, v42, v119
	v_mul_i32_i24_e32 v64, v47, v140
	v_add3_u32 v0, v0, v8, v9
	v_mul_i32_i24_e32 v5, v44, v165
	v_mul_i32_i24_e32 v6, v45, v189
	v_mul_i32_i24_e32 v7, v46, v183
	v_mul_i32_i24_e32 v8, v47, v201
	v_add3_u32 v0, v0, v10, v11
	v_mul_i32_i24_e32 v68, v51, v154
	v_mul_i32_i24_e32 v9, v48, v220
	v_mul_i32_i24_e32 v10, v49, v138
	v_mul_i32_i24_e32 v69, v52, v120
	;; [unrolled: 5-line block ×3, first 2 shown]
	v_add3_u32 v0, v0, v15, v24
	v_mul_i32_i24_e32 v15, v20, v157
	scratch_load_b32 v156, off, off offset:1192 th:TH_LOAD_LU ; 4-byte Folded Reload
	v_mov_b32_e32 v177, v105
	v_mul_i32_i24_e32 v20, v21, v176
	v_mov_b32_e32 v179, v93
	v_bfe_i32 v53, v121, 8, 8
	v_mov_b32_e32 v140, v110
	scratch_load_b32 v114, off, off offset:756 ; 4-byte Folded Reload
	v_bfe_i32 v42, v134, 16, 8
	v_bfe_i32 v44, v135, 0, 8
	;; [unrolled: 1-line block ×4, first 2 shown]
	v_ashrrev_i32_e32 v47, 24, v135
	v_bfe_i32 v48, v136, 0, 8
	s_clause 0x2
	scratch_load_b32 v135, off, off offset:1176 th:TH_LOAD_LU
	scratch_load_b32 v93, off, off offset:128
	scratch_load_b64 v[105:106], off, off offset:540 th:TH_LOAD_LU
	s_wait_loadcnt 0x19
	v_mul_i32_i24_e32 v72, v83, v72
	s_wait_loadcnt 0x18
	v_mul_i32_i24_e32 v73, v100, v73
	scratch_load_b32 v100, off, off offset:112 ; 4-byte Folded Reload
	s_wait_loadcnt 0x18
	v_mul_i32_i24_e32 v74, v94, v74
	s_wait_loadcnt 0x17
	v_mul_i32_i24_e32 v75, v95, v75
	v_add3_u32 v18, v18, v72, v73
	v_mul_i32_i24_e32 v72, v16, v195
	v_mul_i32_i24_e32 v16, v16, v175
	;; [unrolled: 1-line block ×4, first 2 shown]
	v_add3_u32 v18, v18, v74, v75
	v_mul_i32_i24_e32 v74, v22, v208
	v_mul_i32_i24_e32 v75, v23, v203
	s_wait_loadcnt 0x16
	v_mul_i32_i24_e32 v84, v96, v84
	v_mul_i32_i24_e32 v22, v23, v177
	;; [unrolled: 1-line block ×3, first 2 shown]
	s_wait_loadcnt 0x15
	v_mul_i32_i24_e32 v85, v97, v85
	s_wait_loadcnt 0x14
	v_mul_i32_i24_e32 v86, v98, v86
	;; [unrolled: 2-line block ×3, first 2 shown]
	v_add3_u32 v18, v18, v84, v85
	s_wait_loadcnt 0x12
	v_mul_i32_i24_e32 v88, v26, v88
	v_mul_i32_i24_e32 v85, v56, v218
	v_bfe_i32 v56, v122, 0, 8
	s_wait_loadcnt 0x11
	v_mul_i32_i24_e32 v89, v31, v89
	v_add3_u32 v18, v18, v86, v87
	v_mul_i32_i24_e32 v84, v17, v112
	v_mul_i32_i24_e32 v17, v17, v179
	;; [unrolled: 1-line block ×3, first 2 shown]
	s_delay_alu instid0(VALU_DEP_4) | instskip(SKIP_1) | instid1(VALU_DEP_2)
	v_add3_u32 v18, v18, v88, v89
	v_mul_i32_i24_e32 v89, v35, v111
	v_add3_u32 v18, v18, v90, v91
	s_wait_loadcnt 0x10
	v_mul_i32_i24_e32 v90, v36, v243
	v_mul_i32_i24_e32 v91, v37, v113
	s_delay_alu instid0(VALU_DEP_3) | instskip(SKIP_3) | instid1(VALU_DEP_3)
	v_mul_lo_u32 v18, v18, v153
	s_wait_loadcnt 0xf
	v_mul_i32_i24_e32 v13, v52, v181
	v_bfe_i32 v52, v121, 0, 8
	v_cvt_f32_i32_e32 v19, v18
	v_mul_i32_i24_e32 v18, v54, v240
	scratch_load_b32 v240, off, off offset:308 ; 4-byte Folded Reload
	v_fma_mix_f32 v19, v126, v19, 0 op_sel_hi:[1,0,0]
	v_mad_i32_i24 v18, v39, v206, v18
	scratch_load_b32 v206, off, off offset:284 ; 4-byte Folded Reload
	s_wait_loadcnt 0x10
	v_mul_i32_i24_e32 v28, v83, v224
	v_add3_u32 v18, v18, v57, v58
	v_mul_i32_i24_e32 v58, v41, v149
	scratch_load_b32 v149, off, off offset:776 ; 4-byte Folded Reload
	v_mul_i32_i24_e32 v57, v40, v148
	v_add3_u32 v0, v0, v28, v29
	s_wait_loadcnt 0x10
	v_mul_i32_i24_e32 v12, v51, v129
	v_mul_i32_i24_e32 v29, v36, v143
	s_wait_loadcnt 0xf
	v_mul_i32_i24_e32 v27, v27, v107
	v_add3_u32 v18, v18, v57, v58
	v_mul_i32_i24_e32 v57, v95, v230
	v_mul_i32_i24_e32 v58, v96, v227
	v_bfe_i32 v36, v133, 0, 8
	v_ashrrev_i32_e32 v51, 24, v136
	v_add3_u32 v18, v18, v59, v60
	v_mul_i32_i24_e32 v59, v97, v231
	v_add3_u32 v0, v0, v30, v57
	v_mul_i32_i24_e32 v60, v98, v234
	v_bfe_i32 v57, v122, 8, 8
	v_add3_u32 v18, v18, v61, v62
	s_wait_loadcnt 0xd
	v_mul_i32_i24_e32 v61, v99, v236
	v_add3_u32 v0, v0, v58, v59
	v_bfe_i32 v58, v122, 16, 8
	v_ashrrev_i32_e32 v59, 24, v122
	v_add3_u32 v18, v18, v63, v64
	s_wait_loadcnt 0xc
	v_mul_i32_i24_e32 v4, v43, v146
	v_add3_u32 v0, v0, v60, v61
	scratch_load_b32 v122, off, off offset:1156 th:TH_LOAD_LU ; 4-byte Folded Reload
	v_bfe_i32 v60, v123, 0, 8
	s_wait_loadcnt 0xc
	v_mul_i32_i24_e32 v26, v26, v237
	v_bfe_i32 v61, v123, 8, 8
	s_wait_loadcnt 0xb
	v_mul_i32_i24_e32 v66, v49, v184
	v_bfe_i32 v62, v123, 16, 8
	v_ashrrev_i32_e32 v63, 24, v123
	s_wait_loadcnt 0xa
	v_mul_i32_i24_e32 v1, v55, v190
	v_ashrrev_i32_e32 v55, 24, v121
	v_add3_u32 v18, v18, v65, v66
	v_bfe_i32 v64, v124, 0, 8
	v_bfe_i32 v65, v124, 8, 8
	;; [unrolled: 1-line block ×3, first 2 shown]
	scratch_load_b32 v123, off, off offset:1160 th:TH_LOAD_LU ; 4-byte Folded Reload
	v_mul_i32_i24_e32 v30, v37, v174
	v_bfe_i32 v37, v133, 8, 8
	v_ashrrev_i32_e32 v43, 24, v134
	v_bfe_i32 v49, v136, 8, 8
	v_mul_i32_i24_e32 v28, v35, v142
	s_clause 0x3
	scratch_load_b32 v95, off, off offset:132
	scratch_load_b32 v96, off, off offset:136
	;; [unrolled: 1-line block ×4, first 2 shown]
	v_ashrrev_i32_e32 v35, 24, v247
	s_delay_alu instid0(VALU_DEP_1)
	v_mul_i32_i24_e32 v102, v35, v102
	s_wait_loadcnt 0xe
	v_mul_i32_i24_e32 v86, v32, v156
	s_wait_loadcnt 0xd
	;; [unrolled: 2-line block ×3, first 2 shown]
	v_mul_i32_i24_e32 v31, v31, v240
	s_delay_alu instid0(VALU_DEP_1)
	v_add3_u32 v0, v0, v26, v31
	s_wait_loadcnt 0x7
	v_mul_i32_i24_e32 v2, v78, v206
	v_mul_i32_i24_e32 v31, v38, v108
	v_bfe_i32 v38, v133, 16, 8
	v_mul_i32_i24_e32 v26, v33, v139
	v_add3_u32 v0, v0, v25, v27
	s_wait_loadcnt 0x6
	v_mul_i32_i24_e32 v67, v50, v149
	v_mul_i32_i24_e32 v25, v32, v140
	;; [unrolled: 1-line block ×3, first 2 shown]
	v_bfe_i32 v50, v136, 16, 8
	v_mul_lo_u32 v0, v0, v233
	v_add3_u32 v18, v18, v67, v68
	scratch_load_b32 v68, off, off offset:640 ; 4-byte Folded Reload
	v_ashrrev_i32_e32 v67, 24, v124
	s_clause 0x1
	scratch_load_b32 v124, off, off offset:1164 th:TH_LOAD_LU
	scratch_load_b32 v136, off, off offset:1180 th:TH_LOAD_LU
	v_add3_u32 v18, v18, v69, v70
	s_clause 0x1
	scratch_load_b32 v69, off, off offset:644
	scratch_load_b32 v70, off, off offset:648
	v_cvt_f32_i32_e32 v24, v0
	v_mul_i32_i24_e32 v0, v54, v205
	v_add3_u32 v18, v18, v71, v72
	scratch_load_b32 v71, off, off offset:636 ; 4-byte Folded Reload
	v_bfe_i32 v54, v121, 16, 8
	scratch_load_b32 v121, off, off offset:1152 th:TH_LOAD_LU ; 4-byte Folded Reload
	v_mad_i32_i24 v0, v39, v166, v0
	v_ashrrev_i32_e32 v39, 24, v133
	scratch_load_b32 v133, off, off offset:1168 th:TH_LOAD_LU ; 4-byte Folded Reload
	v_add3_u32 v18, v18, v73, v74
	v_bfe_i32 v32, v247, 0, 8
	v_add3_u32 v0, v0, v1, v2
	v_mul_i32_i24_e32 v1, v40, v221
	v_mul_i32_i24_e32 v2, v41, v128
	v_bfe_i32 v40, v134, 0, 8
	v_bfe_i32 v41, v134, 8, 8
	scratch_load_b32 v134, off, off offset:1172 th:TH_LOAD_LU ; 4-byte Folded Reload
	v_add3_u32 v18, v18, v75, v84
	v_add3_u32 v0, v0, v1, v2
	v_bfe_i32 v1, v116, 0, 8
	v_bfe_i32 v2, v116, 8, 8
	;; [unrolled: 1-line block ×3, first 2 shown]
	v_add3_u32 v18, v18, v85, v86
	v_add3_u32 v0, v0, v3, v4
	v_bfe_i32 v3, v116, 16, 8
	v_ashrrev_i32_e32 v4, 24, v116
	v_mul_i32_i24_e32 v100, v33, v100
	v_add3_u32 v18, v18, v87, v88
	v_add3_u32 v0, v0, v5, v6
	v_bfe_i32 v5, v117, 0, 8
	v_bfe_i32 v6, v117, 8, 8
	s_wait_loadcnt 0xe
	v_mul_i32_i24_e32 v72, v4, v122
	s_clause 0x1
	scratch_load_b32 v87, off, off offset:656
	scratch_load_b32 v88, off, off offset:464
	v_add3_u32 v0, v0, v7, v8
	v_bfe_i32 v7, v117, 16, 8
	v_bfe_i32 v8, v115, 0, 8
	s_wait_loadcnt 0xf
	v_mul_i32_i24_e32 v73, v5, v123
	v_add3_u32 v18, v18, v89, v90
	v_add3_u32 v0, v0, v9, v10
	v_bfe_i32 v9, v115, 16, 8
	v_ashrrev_i32_e32 v10, 24, v115
	s_clause 0x1
	scratch_load_b32 v89, off, off offset:468
	scratch_load_b32 v90, off, off offset:472
	v_add3_u32 v0, v0, v11, v12
	v_ashrrev_i32_e32 v11, 24, v117
	v_bfe_i32 v12, v118, 0, 8
	scratch_load_b32 v117, off, off offset:1144 th:TH_LOAD_LU ; 4-byte Folded Reload
	v_add3_u32 v18, v18, v91, v92
	v_add3_u32 v0, v0, v13, v14
	v_bfe_i32 v13, v118, 8, 8
	v_bfe_i32 v14, v118, 16, 8
	v_mul_i32_i24_e32 v83, v12, v135
	s_clause 0x1
	scratch_load_b32 v91, off, off offset:124
	scratch_load_b32 v92, off, off offset:476
	v_add3_u32 v0, v0, v15, v16
	v_ashrrev_i32_e32 v15, 24, v118
	scratch_load_b32 v118, off, off offset:1148 th:TH_LOAD_LU ; 4-byte Folded Reload
	v_bfe_i32 v16, v244, 0, 8
	s_wait_loadcnt 0x11
	v_mul_i32_i24_e32 v99, v32, v99
	v_add3_u32 v0, v0, v20, v21
	v_bfe_i32 v20, v244, 16, 8
	v_ashrrev_i32_e32 v21, 24, v244
	v_bfe_i32 v34, v247, 16, 8
	scratch_load_b32 v247, off, off offset:856 th:TH_LOAD_LU ; 4-byte Folded Reload
	v_add3_u32 v0, v0, v22, v17
	v_bfe_i32 v17, v244, 8, 8
	v_bfe_i32 v22, v245, 0, 8
	scratch_load_b32 v244, off, off offset:1188 th:TH_LOAD_LU ; 4-byte Folded Reload
	v_mul_i32_i24_e32 v101, v34, v101
	v_add3_u32 v0, v0, v23, v25
	v_bfe_i32 v23, v245, 8, 8
	v_mul_lo_u32 v18, v18, v150
	s_delay_alu instid0(VALU_DEP_3)
	v_add3_u32 v0, v0, v26, v27
	v_bfe_i32 v26, v245, 16, 8
	v_ashrrev_i32_e32 v27, 24, v245
	scratch_load_b32 v245, off, off offset:1184 th:TH_LOAD_LU ; 4-byte Folded Reload
	v_add3_u32 v0, v0, v28, v29
	v_mul_i32_i24_e32 v93, v26, v93
	v_mul_i32_i24_e32 v94, v27, v251
	v_bfe_i32 v28, v246, 0, 8
	v_bfe_i32 v29, v246, 8, 8
	v_add3_u32 v0, v0, v30, v31
	v_bfe_i32 v30, v246, 16, 8
	v_ashrrev_i32_e32 v31, 24, v246
	v_mul_i32_i24_e32 v95, v28, v95
	v_mul_i32_i24_e32 v96, v29, v96
	v_mul_lo_u32 v0, v0, v204
	v_mul_i32_i24_e32 v97, v30, v97
	v_mul_i32_i24_e32 v98, v31, v228
	s_clause 0x2
	scratch_load_b32 v246, off, off offset:828 th:TH_LOAD_LU
	scratch_load_b32 v228, off, off offset:852 th:TH_LOAD_LU
	;; [unrolled: 1-line block ×3, first 2 shown]
	v_cvt_f32_i32_e32 v18, v18
	v_cvt_f32_i32_e32 v25, v0
	v_bfe_i32 v0, v115, 8, 8
	s_delay_alu instid0(VALU_DEP_3)
	v_fma_mix_f32 v18, v127, v18, v19 op_sel_hi:[1,0,0]
	s_wait_loadcnt 0x16
	v_mul_i32_i24_e32 v68, v8, v68
	s_wait_loadcnt 0x15
	v_mul_i32_i24_e32 v74, v6, v124
	;; [unrolled: 2-line block ×5, first 2 shown]
	s_wait_loadcnt 0x11
	v_mad_i32_i24 v68, v0, v71, v68
	s_wait_loadcnt 0x10
	v_mul_i32_i24_e32 v71, v3, v121
	s_delay_alu instid0(VALU_DEP_2)
	v_add3_u32 v68, v68, v69, v70
	s_wait_loadcnt 0xf
	v_mul_i32_i24_e32 v75, v7, v133
	s_wait_loadcnt 0xe
	v_mul_i32_i24_e32 v78, v11, v134
	;; [unrolled: 2-line block ×10, first 2 shown]
	s_delay_alu instid0(VALU_DEP_1)
	v_add3_u32 v68, v68, v69, v70
	s_clause 0x1
	scratch_load_b32 v69, off, off offset:104
	scratch_load_b32 v70, off, off offset:100
	v_add3_u32 v68, v68, v71, v72
	s_wait_loadcnt 0x6
	v_mul_i32_i24_e32 v86, v15, v244
	s_clause 0x1
	scratch_load_b32 v71, off, off offset:108
	scratch_load_b32 v72, off, off offset:96
	v_add3_u32 v68, v68, v73, v74
	s_clause 0x1
	scratch_load_b32 v73, off, off offset:448
	scratch_load_b32 v74, off, off offset:84
	v_add3_u32 v68, v68, v75, v78
	s_wait_loadcnt 0x9
	v_mul_i32_i24_e32 v85, v14, v245
	s_clause 0x1
	scratch_load_b32 v75, off, off offset:88
	scratch_load_b32 v78, off, off
	v_add3_u32 v68, v68, v83, v84
	s_clause 0x1
	scratch_load_b32 v83, off, off offset:4
	scratch_load_b32 v84, off, off offset:92
	v_add3_u32 v68, v68, v85, v86
	v_mul_i32_i24_e32 v85, v49, v80
	scratch_load_b32 v80, off, off offset:384 ; 4-byte Folded Reload
	v_mul_i32_i24_e32 v86, v50, v81
	v_add3_u32 v68, v68, v87, v88
	v_mul_i32_i24_e32 v87, v51, v82
	s_wait_loadcnt 0xd
	v_mul_i32_i24_e32 v88, v52, v246
	v_mul_i32_i24_e32 v82, v164, v23
	v_add3_u32 v68, v68, v89, v90
	s_delay_alu instid0(VALU_DEP_1) | instskip(SKIP_1) | instid1(VALU_DEP_2)
	v_add3_u32 v68, v68, v91, v92
	v_mul_i32_i24_e32 v91, v55, v232
	v_add3_u32 v68, v68, v93, v94
	s_wait_loadcnt 0xc
	v_mul_i32_i24_e32 v94, v58, v228
	s_delay_alu instid0(VALU_DEP_2) | instskip(NEXT) | instid1(VALU_DEP_1)
	v_add3_u32 v68, v68, v95, v96
	v_add3_u32 v68, v68, v97, v98
	s_delay_alu instid0(VALU_DEP_1) | instskip(SKIP_1) | instid1(VALU_DEP_2)
	v_add3_u32 v68, v68, v99, v100
	v_mul_i32_i24_e32 v100, v64, v247
	v_add3_u32 v68, v68, v101, v102
	s_wait_loadcnt 0xb
	v_mul_i32_i24_e32 v101, v65, v251
	s_wait_loadcnt 0xa
	v_mul_i32_i24_e32 v69, v36, v69
	;; [unrolled: 2-line block ×4, first 2 shown]
	s_wait_loadcnt 0x7
	v_mad_i32_i24 v69, v37, v72, v69
	v_mul_i32_i24_e32 v72, v42, v229
	s_wait_loadcnt 0x6
	v_mul_i32_i24_e32 v73, v43, v73
	s_wait_loadcnt 0x5
	v_mul_i32_i24_e32 v74, v44, v74
	v_add3_u32 v69, v69, v70, v71
	scratch_load_b32 v71, off, off offset:452 ; 4-byte Folded Reload
	v_mul_i32_i24_e32 v70, v40, v252
	s_wait_loadcnt 0x5
	v_mul_i32_i24_e32 v75, v45, v75
	s_wait_loadcnt 0x4
	;; [unrolled: 2-line block ×5, first 2 shown]
	v_mul_i32_i24_e32 v89, v53, v80
	scratch_load_b32 v80, off, off offset:456 ; 4-byte Folded Reload
	s_wait_loadcnt 0x1
	v_mul_i32_i24_e32 v71, v41, v71
	s_delay_alu instid0(VALU_DEP_1) | instskip(NEXT) | instid1(VALU_DEP_1)
	v_add3_u32 v69, v69, v70, v71
	v_add3_u32 v69, v69, v72, v73
	s_wait_loadcnt 0x0
	v_mul_i32_i24_e32 v90, v54, v80
	scratch_load_b32 v80, off, off offset:392 ; 4-byte Folded Reload
	v_add3_u32 v69, v69, v74, v75
	s_delay_alu instid0(VALU_DEP_1) | instskip(SKIP_2) | instid1(VALU_DEP_3)
	v_add3_u32 v69, v69, v78, v83
	v_mul_i32_i24_e32 v78, v250, v17
	v_mul_i32_i24_e32 v83, v191, v26
	v_add3_u32 v69, v69, v84, v85
	s_delay_alu instid0(VALU_DEP_1) | instskip(SKIP_1) | instid1(VALU_DEP_2)
	v_add3_u32 v69, v69, v86, v87
	v_mul_i32_i24_e32 v87, v254, v30
	v_add3_u32 v69, v69, v88, v89
	v_mul_i32_i24_e32 v88, v186, v31
	v_mul_i32_i24_e32 v89, v161, v32
	s_delay_alu instid0(VALU_DEP_3)
	v_add3_u32 v69, v69, v90, v91
	v_mul_i32_i24_e32 v91, v147, v34
	v_mul_i32_i24_e32 v90, v155, v33
	s_wait_loadcnt 0x0
	v_mul_i32_i24_e32 v92, v56, v80
	scratch_load_b32 v80, off, off offset:396 ; 4-byte Folded Reload
	s_wait_loadcnt 0x0
	v_mul_i32_i24_e32 v93, v57, v80
	scratch_load_b32 v80, off, off offset:388 ; 4-byte Folded Reload
	v_add3_u32 v69, v69, v92, v93
	s_wait_loadcnt 0x0
	v_mul_i32_i24_e32 v95, v59, v80
	scratch_load_b32 v80, off, off offset:408 ; 4-byte Folded Reload
	v_add3_u32 v69, v69, v94, v95
	v_mul_i32_i24_e32 v94, v253, v67
	s_wait_loadcnt 0x0
	v_mul_i32_i24_e32 v96, v60, v80
	scratch_load_b32 v80, off, off offset:412 ; 4-byte Folded Reload
	s_wait_loadcnt 0x0
	v_mul_i32_i24_e32 v97, v61, v80
	scratch_load_b32 v80, off, off offset:400 ; 4-byte Folded Reload
	v_add3_u32 v69, v69, v96, v97
	s_wait_loadcnt 0x0
	v_mul_i32_i24_e32 v98, v62, v80
	scratch_load_b32 v80, off, off offset:404 ; 4-byte Folded Reload
	s_wait_loadcnt 0x0
	v_mul_i32_i24_e32 v99, v63, v80
	scratch_load_b32 v80, off, off offset:416 ; 4-byte Folded Reload
	v_add3_u32 v69, v69, v98, v99
	s_delay_alu instid0(VALU_DEP_1)
	v_add3_u32 v69, v69, v100, v101
	s_wait_loadcnt 0x0
	v_mul_i32_i24_e32 v102, v66, v80
	s_clause 0x1f
	scratch_load_b32 v80, off, off offset:420
	scratch_load_b32 v71, off, off offset:244
	scratch_load_b32 v70, off, off offset:1644 th:TH_LOAD_LU
	scratch_load_b32 v72, off, off offset:240
	scratch_load_b32 v73, off, off offset:1648 th:TH_LOAD_LU
	scratch_load_b32 v74, off, off offset:1652 th:TH_LOAD_LU
	;; [unrolled: 1-line block ×3, first 2 shown]
	scratch_load_b32 v93, off, off offset:1056
	scratch_load_b32 v98, off, off offset:1060
	;; [unrolled: 1-line block ×5, first 2 shown]
	scratch_load_b32 v110, off, off offset:848 th:TH_LOAD_LU
	scratch_load_b32 v101, off, off offset:820 th:TH_LOAD_LU
	;; [unrolled: 1-line block ×3, first 2 shown]
	scratch_load_b32 v96, off, off offset:1068
	scratch_load_b32 v216, off, off offset:1252 th:TH_LOAD_LU
	scratch_load_b32 v95, off, off offset:672
	scratch_load_b32 v115, off, off offset:676
	scratch_load_b32 v229, off, off offset:816 th:TH_LOAD_LU
	scratch_load_b32 v109, off, off offset:488
	scratch_load_b32 v86, off, off offset:168
	;; [unrolled: 1-line block ×4, first 2 shown]
	scratch_load_b32 v147, off, off offset:1016 th:TH_LOAD_LU
	scratch_load_b32 v155, off, off offset:1220 th:TH_LOAD_LU
	;; [unrolled: 1-line block ×8, first 2 shown]
	s_wait_loadcnt 0x1f
	v_mul_i32_i24_e32 v103, v67, v80
	s_wait_loadcnt 0x1d
	v_mul_lo_u32 v70, v70, v71
	v_mul_lo_u32 v68, v68, v71
	s_wait_loadcnt 0x19
	v_add3_u32 v73, v75, v73, v74
	s_clause 0x1
	scratch_load_b32 v74, off, off offset:236
	scratch_load_b32 v75, off, off offset:224
	v_add3_u32 v69, v69, v102, v103
	v_fma_mix_f32 v71, v72, v197, 0 op_sel:[0,1,0] op_sel_hi:[0,1,0]
	v_fma_mix_f32 v72, v72, v126, 0 op_sel:[0,1,0] op_sel_hi:[0,1,0]
	v_cvt_f32_i32_e32 v70, v70
	v_cvt_f32_i32_e32 v68, v68
	s_clause 0x2
	scratch_load_b32 v102, off, off offset:1064
	scratch_load_b32 v103, off, off offset:1044
	;; [unrolled: 1-line block ×3, first 2 shown]
	v_fma_mix_f32 v70, v126, v70, 0 op_sel_hi:[1,0,0]
	v_fma_mix_f32 v68, v197, v68, 0 op_sel_hi:[1,0,0]
	s_wait_loadcnt 0xf
	v_mul_i32_i24_e32 v86, v86, v29
	s_wait_loadcnt 0xe
	v_mul_i32_i24_e32 v81, v81, v22
	s_wait_loadcnt 0xd
	v_mul_i32_i24_e32 v85, v85, v28
	s_wait_loadcnt 0x9
	v_mul_i32_i24_e32 v84, v191, v27
	s_wait_loadcnt 0x8
	v_mul_i32_i24_e32 v92, v186, v35
	s_wait_loadcnt 0x4
	v_mul_lo_u32 v69, v69, v74
	v_mul_lo_u32 v73, v73, v74
	scratch_load_b32 v74, off, off offset:76 ; 4-byte Folded Reload
	s_wait_loadcnt 0x4
	v_mul_i32_i24_e32 v75, v75, v14
	v_cvt_f32_i32_e32 v69, v69
	v_cvt_f32_i32_e32 v73, v73
	s_wait_loadcnt 0x1
	v_mul_i32_i24_e32 v80, v80, v21
	s_delay_alu instid0(VALU_DEP_3) | instskip(NEXT) | instid1(VALU_DEP_3)
	v_fma_mix_f32 v68, v198, v69, v68 op_sel_hi:[1,0,0]
	v_fma_mix_f32 v69, v127, v73, v70 op_sel_hi:[1,0,0]
	scratch_load_b32 v73, off, off offset:216 ; 4-byte Folded Reload
	s_wait_loadcnt 0x1
	v_mul_i32_i24_e32 v74, v74, v13
	s_wait_loadcnt 0x0
	v_fma_mix_f32 v70, v73, v127, v72 op_sel:[0,1,0] op_sel_hi:[0,1,0]
	scratch_load_b32 v72, off, off offset:500 ; 4-byte Folded Reload
	v_fma_mix_f32 v71, v73, v198, v71 op_sel:[0,1,0] op_sel_hi:[0,1,0]
	scratch_load_b32 v73, off, off offset:72 ; 4-byte Folded Reload
	s_wait_loadcnt 0x1
	v_mul_f32_e32 v71, v71, v72
	scratch_load_b32 v72, off, off offset:484 ; 4-byte Folded Reload
	s_wait_loadcnt 0x1
	v_mul_i32_i24_e32 v73, v73, v12
	s_wait_loadcnt 0x0
	v_mul_f32_e32 v70, v70, v72
	scratch_load_b32 v72, off, off offset:480 ; 4-byte Folded Reload
	s_wait_loadcnt 0x0
	v_fma_f32 v69, v69, v72, -v70
	s_clause 0x1
	scratch_load_b32 v70, off, off offset:496
	scratch_load_b32 v72, off, off offset:436
	v_add_f32_e32 v105, v105, v69
	v_mul_i32_i24_e32 v69, v79, v5
	v_mul_i32_i24_e32 v79, v250, v20
	s_wait_loadcnt 0x1
	v_fma_f32 v68, v68, v70, -v71
	v_fma_mix_f32 v71, v93, v126, 0 op_sel:[0,1,0] op_sel_hi:[0,1,0]
	v_fma_mix_f32 v70, v126, v77, 0 op_sel_hi:[1,0,0]
	s_wait_loadcnt 0x0
	v_mul_i32_i24_e32 v72, v72, v11
	v_mul_i32_i24_e32 v77, v229, v16
	v_add_f32_e32 v106, v106, v68
	v_fma_mix_f32 v71, v98, v127, v71 op_sel:[0,1,0] op_sel_hi:[0,1,0]
	v_fma_mix_f32 v70, v127, v76, v70 op_sel_hi:[1,0,0]
	scratch_load_b32 v68, off, off offset:652 ; 4-byte Folded Reload
	v_mul_i32_i24_e32 v76, v241, v15
	scratch_store_b64 off, v[105:106], off offset:540 ; 8-byte Folded Spill
	v_mul_f32_e32 v71, v71, v100
	v_mov_b32_e32 v241, v134
	s_delay_alu instid0(VALU_DEP_2)
	v_fma_f32 v70, v70, v99, -v71
	scratch_load_b32 v71, off, off offset:516 ; 4-byte Folded Reload
	s_wait_loadcnt 0x1
	v_mul_i32_i24_e32 v68, v68, v4
	s_wait_loadcnt 0x0
	v_add_f32_e32 v71, v71, v70
	v_fma_mix_f32 v70, v102, v126, 0 op_sel:[0,1,0] op_sel_hi:[0,1,0]
	scratch_store_b32 off, v71, off offset:516 ; 4-byte Folded Spill
	v_fma_mix_f32 v19, v96, v127, v70 op_sel:[0,1,0] op_sel_hi:[0,1,0]
	s_clause 0x1
	scratch_load_b32 v70, off, off offset:444
	scratch_load_b32 v71, off, off offset:440
	v_mul_f32_e32 v19, v19, v97
	s_delay_alu instid0(VALU_DEP_1)
	v_fma_f32 v18, v18, v103, -v19
	scratch_load_b32 v19, off, off offset:524 ; 4-byte Folded Reload
	s_wait_loadcnt 0x2
	v_mul_i32_i24_e32 v70, v70, v6
	s_wait_loadcnt 0x1
	v_mul_i32_i24_e32 v71, v71, v7
	s_wait_loadcnt 0x0
	v_add_f32_e32 v19, v19, v18
	v_fma_mix_f32 v18, v126, v24, 0 op_sel_hi:[1,0,0]
	v_mul_i32_i24_e32 v24, v110, v10
	scratch_store_b32 off, v19, off offset:524 ; 4-byte Folded Spill
	v_fma_mix_f32 v19, v126, v95, 0 op_sel:[1,0,0] op_sel_hi:[1,0,0]
	v_fma_mix_f32 v18, v127, v25, v18 op_sel_hi:[1,0,0]
	s_clause 0x1
	scratch_load_b32 v25, off, off offset:424
	scratch_load_b32 v126, off, off offset:1012 th:TH_LOAD_LU
	v_fma_mix_f32 v19, v127, v115, v19 op_sel:[1,0,0] op_sel_hi:[1,0,0]
	scratch_load_b32 v127, off, off offset:492 ; 4-byte Folded Reload
	s_wait_loadcnt 0x2
	v_mul_i32_i24_e32 v25, v25, v3
	s_wait_loadcnt 0x0
	v_mul_f32_e32 v19, v19, v127
	s_delay_alu instid0(VALU_DEP_1)
	v_fma_f32 v18, v18, v109, -v19
	scratch_load_b32 v19, off, off offset:532 ; 4-byte Folded Reload
	s_wait_loadcnt 0x0
	v_add_f32_e32 v19, v19, v18
	v_mul_i32_i24_e32 v18, v101, v8
	scratch_store_b32 off, v19, off offset:532 ; 4-byte Folded Spill
	scratch_load_b32 v19, off, off offset:80 ; 4-byte Folded Reload
	v_mad_i32_i24 v18, v116, v0, v18
	s_wait_loadcnt 0x0
	v_mul_i32_i24_e32 v19, v19, v9
	s_delay_alu instid0(VALU_DEP_1)
	v_add3_u32 v18, v18, v19, v24
	s_clause 0x1
	scratch_load_b32 v19, off, off offset:432
	scratch_load_b32 v24, off, off offset:428
	s_wait_loadcnt 0x1
	v_mul_i32_i24_e32 v19, v19, v1
	s_wait_loadcnt 0x0
	v_mul_i32_i24_e32 v24, v24, v2
	s_delay_alu instid0(VALU_DEP_1)
	v_add3_u32 v18, v18, v19, v24
	v_mul_i32_i24_e32 v24, v144, v36
	scratch_load_b32 v19, off, off offset:660 ; 4-byte Folded Reload
	v_add3_u32 v18, v18, v25, v68
	v_mad_i32_i24 v24, v163, v37, v24
	scratch_load_b32 v163, off, off offset:840 th:TH_LOAD_LU ; 4-byte Folded Reload
	v_mul_i32_i24_e32 v25, v126, v38
	v_add3_u32 v18, v18, v69, v70
	v_mul_i32_i24_e32 v69, v160, v42
	scratch_load_b32 v160, off, off offset:832 th:TH_LOAD_LU ; 4-byte Folded Reload
	v_mul_i32_i24_e32 v70, v155, v43
	v_add3_u32 v18, v18, v71, v72
	v_mul_i32_i24_e32 v71, v137, v44
	scratch_load_b32 v137, off, off offset:1020 th:TH_LOAD_LU ; 4-byte Folded Reload
	v_mul_i32_i24_e32 v72, v173, v45
	scratch_load_b32 v173, off, off offset:1008 th:TH_LOAD_LU ; 4-byte Folded Reload
	v_add3_u32 v18, v18, v73, v74
	v_mul_i32_i24_e32 v74, v169, v47
	scratch_load_b32 v169, off, off offset:1200 th:TH_LOAD_LU ; 4-byte Folded Reload
	v_mul_i32_i24_e32 v73, v171, v46
	v_add3_u32 v18, v18, v75, v76
	v_mul_i32_i24_e32 v76, v200, v49
	v_mov_b32_e32 v200, v249
	v_mul_i32_i24_e32 v68, v159, v39
	v_mov_b32_e32 v159, v172
	scratch_load_b32 v172, off, off offset:836 th:TH_LOAD_LU ; 4-byte Folded Reload
	v_mul_i32_i24_e32 v75, v192, v48
	scratch_load_b32 v192, off, off offset:1104 th:TH_LOAD_LU ; 4-byte Folded Reload
	v_add3_u32 v24, v24, v25, v68
	v_mul_i32_i24_e32 v25, v167, v40
	v_mul_i32_i24_e32 v68, v147, v41
	v_add3_u32 v18, v18, v77, v78
	v_mul_i32_i24_e32 v77, v239, v50
	scratch_load_b32 v239, off, off offset:992 th:TH_LOAD_LU ; 4-byte Folded Reload
	v_add3_u32 v24, v24, v25, v68
	v_add3_u32 v18, v18, v79, v80
	v_mul_i32_i24_e32 v79, v145, v52
	v_mul_i32_i24_e32 v80, v248, v53
	scratch_load_b32 v25, off, off offset:180 ; 4-byte Folded Reload
	v_add3_u32 v24, v24, v69, v70
	v_add3_u32 v18, v18, v81, v82
	v_mul_i32_i24_e32 v81, v187, v54
	v_mul_i32_i24_e32 v82, v151, v55
	v_mov_b32_e32 v151, v255
	v_add3_u32 v24, v24, v71, v72
	v_add3_u32 v18, v18, v83, v84
	v_mul_i32_i24_e32 v83, v159, v56
	s_clause 0x1
	scratch_load_b32 v187, off, off offset:1004 th:TH_LOAD_LU
	scratch_load_b32 v70, off, off offset:212
	v_add3_u32 v24, v24, v73, v74
	v_add3_u32 v18, v18, v85, v86
	v_mul_i32_i24_e32 v85, v238, v58
	v_mul_i32_i24_e32 v86, v194, v59
	scratch_load_b32 v194, off, off offset:1000 th:TH_LOAD_LU ; 4-byte Folded Reload
	v_add3_u32 v24, v24, v75, v76
	v_add3_u32 v18, v18, v87, v88
	v_mul_i32_i24_e32 v87, v151, v60
	s_clause 0x3
	scratch_load_b32 v71, off, off offset:172
	scratch_load_b32 v238, off, off offset:984 th:TH_LOAD_LU
	scratch_load_b32 v73, off, off offset:160
	scratch_load_b32 v74, off, off offset:232
	v_add3_u32 v18, v18, v89, v90
	v_mul_i32_i24_e32 v90, v164, v63
	scratch_load_b32 v76, off, off offset:176 ; 4-byte Folded Reload
	v_mul_i32_i24_e32 v68, v4, v200
	v_mul_i32_i24_e32 v75, v14, v253
	v_add3_u32 v18, v18, v91, v92
	v_mul_i32_i24_e32 v91, v161, v64
	s_wait_loadcnt 0x11
	s_delay_alu instid0(VALU_DEP_2)
	v_mul_lo_u32 v18, v18, v19
	v_fma_mix_f32 v19, v93, v197, 0 op_sel:[0,1,0] op_sel_hi:[0,1,0]
	v_mul_i32_i24_e32 v93, v162, v66
	scratch_load_b32 v162, off, off offset:988 th:TH_LOAD_LU ; 4-byte Folded Reload
	s_wait_loadcnt 0x11
	v_mul_i32_i24_e32 v88, v163, v61
	v_fma_mix_f32 v19, v98, v198, v19 op_sel:[0,1,0] op_sel_hi:[0,1,0]
	v_cvt_f32_i32_e32 v18, v18
	s_wait_loadcnt 0x10
	v_mul_i32_i24_e32 v84, v160, v57
	s_delay_alu instid0(VALU_DEP_3) | instskip(NEXT) | instid1(VALU_DEP_3)
	v_mul_f32_e32 v19, v19, v100
	v_fma_mix_f32 v18, v197, v18, 0 op_sel_hi:[1,0,0]
	s_wait_loadcnt 0xf
	v_mul_i32_i24_e32 v78, v137, v51
	s_delay_alu instid0(VALU_DEP_1)
	v_add3_u32 v24, v24, v77, v78
	s_wait_loadcnt 0xd
	v_mul_i32_i24_e32 v92, v169, v65
	s_clause 0x1
	scratch_load_b32 v77, off, off offset:8
	scratch_load_b32 v78, off, off offset:12
	v_add3_u32 v24, v24, v79, v80
	s_clause 0x1
	scratch_load_b32 v79, off, off offset:16
	scratch_load_b32 v80, off, off offset:20
	s_wait_loadcnt 0x10
	v_mul_i32_i24_e32 v89, v172, v62
	v_add3_u32 v24, v24, v81, v82
	s_clause 0x1
	scratch_load_b32 v81, off, off offset:24
	scratch_load_b32 v82, off, off offset:28
	v_add3_u32 v24, v24, v83, v84
	s_clause 0x1
	scratch_load_b32 v83, off, off offset:32
	scratch_load_b32 v84, off, off offset:36
	s_wait_loadcnt 0x12
	v_mul_i32_i24_e32 v69, v5, v239
	v_mul_i32_i24_e32 v5, v5, v210
	v_add3_u32 v24, v24, v85, v86
	s_clause 0x1
	scratch_load_b32 v85, off, off offset:40
	scratch_load_b32 v86, off, off offset:44
	s_wait_loadcnt 0x13
	v_mul_i32_i24_e32 v25, v3, v25
	v_mul_i32_i24_e32 v3, v3, v132
	v_add3_u32 v24, v24, v87, v88
	s_clause 0x1
	scratch_load_b32 v87, off, off offset:48
	scratch_load_b32 v88, off, off offset:200
	v_add3_u32 v24, v24, v89, v90
	s_clause 0x1
	scratch_load_b32 v89, off, off offset:204
	scratch_load_b32 v90, off, off offset:208
	s_wait_loadcnt 0x15
	v_mul_i32_i24_e32 v70, v6, v70
	v_add3_u32 v24, v24, v91, v92
	scratch_load_b32 v91, off, off offset:668 ; 4-byte Folded Reload
	v_mul_i32_i24_e32 v92, v35, v188
	v_mov_b32_e32 v188, v239
	v_add3_u32 v24, v24, v93, v94
	s_wait_loadcnt 0x14
	v_mul_i32_i24_e32 v71, v7, v71
	s_wait_loadcnt 0x13
	v_mul_i32_i24_e32 v72, v11, v238
	;; [unrolled: 2-line block ×4, first 2 shown]
	v_mul_lo_u32 v24, v24, v192
	v_mul_i32_i24_e32 v94, v67, v130
	s_wait_loadcnt 0x10
	v_mul_i32_i24_e32 v76, v15, v76
	scratch_load_b32 v130, off, off offset:1228 th:TH_LOAD_LU ; 4-byte Folded Reload
	v_mul_i32_i24_e32 v93, v66, v113
	v_mul_i32_i24_e32 v7, v7, v212
	v_cvt_f32_i32_e32 v24, v24
	s_delay_alu instid0(VALU_DEP_1) | instskip(SKIP_2) | instid1(VALU_DEP_3)
	v_fma_mix_f32 v18, v198, v24, v18 op_sel_hi:[1,0,0]
	v_mul_i32_i24_e32 v24, v10, v173
	v_mul_i32_i24_e32 v10, v10, v168
	v_fma_f32 v18, v18, v99, -v19
	scratch_load_b32 v19, off, off offset:512 ; 4-byte Folded Reload
	s_wait_loadcnt 0x10
	v_mul_i32_i24_e32 v77, v16, v77
	s_wait_loadcnt 0xf
	v_mul_i32_i24_e32 v78, v17, v78
	;; [unrolled: 2-line block ×15, first 2 shown]
	s_wait_loadcnt 0x0
	v_add_f32_e32 v19, v19, v18
	v_mul_i32_i24_e32 v18, v8, v162
	scratch_store_b32 off, v19, off offset:512 ; 4-byte Folded Spill
	v_mul_i32_i24_e32 v19, v9, v187
	v_mad_i32_i24 v18, v0, v194, v18
	v_mul_i32_i24_e32 v9, v9, v152
	v_mov_b32_e32 v152, v168
	s_delay_alu instid0(VALU_DEP_3)
	v_add3_u32 v18, v18, v19, v24
	s_clause 0x1
	scratch_load_b32 v19, off, off offset:164
	scratch_load_b32 v24, off, off offset:156
	s_wait_loadcnt 0x1
	v_mul_i32_i24_e32 v19, v1, v19
	s_wait_loadcnt 0x0
	v_mul_i32_i24_e32 v24, v2, v24
	v_mul_i32_i24_e32 v1, v1, v207
	s_delay_alu instid0(VALU_DEP_2)
	v_add3_u32 v18, v18, v19, v24
	scratch_load_b32 v24, off, off offset:188 ; 4-byte Folded Reload
	v_fma_mix_f32 v19, v102, v197, 0 op_sel:[0,1,0] op_sel_hi:[0,1,0]
	v_mov_b32_e32 v102, v251
	v_mul_i32_i24_e32 v2, v2, v199
	v_add3_u32 v18, v18, v25, v68
	s_clause 0x1
	scratch_load_b32 v25, off, off offset:192
	scratch_load_b32 v68, off, off offset:196
	v_fma_mix_f32 v19, v96, v198, v19 op_sel:[0,1,0] op_sel_hi:[0,1,0]
	v_mov_b32_e32 v199, v212
	v_add3_u32 v18, v18, v69, v70
	scratch_load_b32 v69, off, off offset:184 ; 4-byte Folded Reload
	v_mul_i32_i24_e32 v70, v43, v216
	v_mul_f32_e32 v19, v19, v97
	v_add3_u32 v18, v18, v71, v72
	v_mul_i32_i24_e32 v72, v45, v242
	scratch_load_b32 v242, off, off offset:1256 th:TH_LOAD_LU ; 4-byte Folded Reload
	v_mul_i32_i24_e32 v71, v44, v182
	v_mov_b32_e32 v182, v173
	v_add3_u32 v18, v18, v73, v74
	v_mul_i32_i24_e32 v73, v46, v170
	v_mov_b32_e32 v170, v187
	v_mul_i32_i24_e32 v4, v4, v209
	v_mul_i32_i24_e32 v6, v6, v211
	v_add3_u32 v18, v18, v75, v76
	scratch_load_b32 v75, off, off offset:664 ; 4-byte Folded Reload
	v_mul_i32_i24_e32 v76, v49, v184
	v_mov_b32_e32 v173, v194
	v_mov_b32_e32 v187, v200
	v_add3_u32 v18, v18, v77, v78
	v_mul_i32_i24_e32 v77, v50, v149
	v_mul_i32_i24_e32 v78, v51, v154
	v_dual_mov_b32 v149, v208 :: v_dual_mov_b32 v154, v243
	s_delay_alu instid0(VALU_DEP_4) | instskip(SKIP_2) | instid1(VALU_DEP_3)
	v_add3_u32 v18, v18, v79, v80
	v_mul_i32_i24_e32 v79, v52, v120
	v_mul_i32_i24_e32 v80, v53, v193
	v_add3_u32 v18, v18, v81, v82
	v_mul_i32_i24_e32 v81, v54, v185
	v_mul_i32_i24_e32 v82, v55, v195
	s_delay_alu instid0(VALU_DEP_3)
	v_add3_u32 v18, v18, v83, v84
	v_mul_i32_i24_e32 v83, v56, v196
	v_mul_i32_i24_e32 v84, v57, v208
	v_mov_b32_e32 v196, v253
	v_mov_b32_e32 v208, v244
	v_add3_u32 v18, v18, v85, v86
	v_mul_i32_i24_e32 v85, v58, v203
	v_mul_i32_i24_e32 v86, v59, v112
	s_delay_alu instid0(VALU_DEP_3) | instskip(SKIP_2) | instid1(VALU_DEP_3)
	v_add3_u32 v18, v18, v87, v88
	v_mul_i32_i24_e32 v87, v60, v218
	v_mul_i32_i24_e32 v88, v61, v156
	v_add3_u32 v18, v18, v89, v90
	v_mul_i32_i24_e32 v90, v63, v114
	scratch_load_b32 v114, off, off offset:1224 th:TH_LOAD_LU ; 4-byte Folded Reload
	v_mul_i32_i24_e32 v89, v62, v202
	v_mov_b32_e32 v202, v218
	v_add3_u32 v18, v18, v91, v92
	v_mul_i32_i24_e32 v91, v64, v111
	v_mul_i32_i24_e32 v92, v65, v243
	s_delay_alu instid0(VALU_DEP_3) | instskip(SKIP_2) | instid1(VALU_DEP_1)
	v_mul_lo_u32 v18, v18, v153
	scratch_load_b32 v153, off, off offset:1248 th:TH_LOAD_LU ; 4-byte Folded Reload
	v_cvt_f32_i32_e32 v18, v18
	v_fma_mix_f32 v18, v197, v18, 0 op_sel_hi:[1,0,0]
	s_wait_loadcnt 0x7
	v_mul_i32_i24_e32 v24, v36, v24
	s_wait_loadcnt 0x6
	v_mul_i32_i24_e32 v25, v38, v25
	;; [unrolled: 2-line block ×3, first 2 shown]
	s_wait_loadcnt 0x4
	v_mad_i32_i24 v24, v37, v69, v24
	s_delay_alu instid0(VALU_DEP_1)
	v_add3_u32 v24, v24, v25, v68
	v_mul_i32_i24_e32 v25, v40, v148
	scratch_load_b32 v148, off, off offset:1036 th:TH_LOAD_LU ; 4-byte Folded Reload
	s_wait_loadcnt 0x4
	v_mul_i32_i24_e32 v74, v47, v242
	s_wait_loadcnt 0x3
	v_mul_i32_i24_e32 v75, v48, v75
	s_wait_loadcnt 0x2
	v_mul_i32_i24_e32 v8, v8, v114
	s_delay_alu instid0(VALU_DEP_1)
	v_mad_i32_i24 v0, v0, v130, v8
	v_mul_i32_i24_e32 v8, v11, v131
	v_mul_i32_i24_e32 v11, v14, v214
	;; [unrolled: 1-line block ×3, first 2 shown]
	s_wait_loadcnt 0x1
	v_mul_i32_i24_e32 v69, v42, v153
	v_add3_u32 v0, v0, v9, v10
	v_mul_i32_i24_e32 v9, v12, v235
	v_mul_i32_i24_e32 v10, v13, v213
	;; [unrolled: 1-line block ×4, first 2 shown]
	v_add3_u32 v0, v0, v1, v2
	v_mul_i32_i24_e32 v2, v36, v205
	v_mul_i32_i24_e32 v29, v66, v174
	v_mov_b32_e32 v174, v153
	v_mul_i32_i24_e32 v12, v15, v215
	v_add3_u32 v0, v0, v3, v4
	v_mul_i32_i24_e32 v3, v38, v190
	v_mul_i32_i24_e32 v4, v39, v206
	v_mad_i32_i24 v2, v37, v166, v2
	v_mul_i32_i24_e32 v13, v16, v217
	v_add3_u32 v0, v0, v5, v6
	v_mul_i32_i24_e32 v5, v42, v119
	v_mul_i32_i24_e32 v6, v43, v146
	v_add3_u32 v2, v2, v3, v4
	v_mul_i32_i24_e32 v3, v40, v221
	;; [unrolled: 3-line block ×3, first 2 shown]
	v_mul_i32_i24_e32 v8, v45, v189
	v_mul_i32_i24_e32 v15, v20, v222
	v_add3_u32 v2, v2, v3, v4
	v_add3_u32 v0, v0, v9, v10
	v_mul_i32_i24_e32 v9, v46, v183
	v_mul_i32_i24_e32 v10, v47, v201
	v_mul_i32_i24_e32 v16, v21, v223
	v_add3_u32 v2, v2, v5, v6
	v_add3_u32 v0, v0, v11, v12
	v_mul_i32_i24_e32 v11, v48, v220
	;; [unrolled: 5-line block ×4, first 2 shown]
	v_mul_i32_i24_e32 v16, v53, v158
	v_mul_i32_i24_e32 v27, v34, v104
	v_add3_u32 v2, v2, v11, v12
	v_mul_i32_i24_e32 v28, v35, v107
	v_fma_mix_f32 v1, v197, v95, 0 op_sel:[1,0,0] op_sel_hi:[1,0,0]
	v_dual_mov_b32 v222, v121 :: v_dual_mov_b32 v231, v124
	s_delay_alu instid0(VALU_DEP_4) | instskip(SKIP_1) | instid1(VALU_DEP_4)
	v_add3_u32 v2, v2, v13, v14
	v_mov_b32_e32 v227, v136
	v_fma_mix_f32 v1, v198, v115, v1 op_sel:[1,0,0] op_sel_hi:[1,0,0]
	v_mov_b32_e32 v131, v204
	v_mov_b32_e32 v217, v118
	v_add3_u32 v2, v2, v15, v16
	v_mov_b32_e32 v223, v122
	v_mul_f32_e32 v1, v1, v127
	v_mov_b32_e32 v206, v245
	v_dual_mov_b32 v230, v158 :: v_dual_mov_b32 v49, v228
	v_mov_b32_e32 v104, v232
	s_wait_loadcnt 0x0
	v_mul_i32_i24_e32 v68, v41, v148
	s_delay_alu instid0(VALU_DEP_1) | instskip(SKIP_1) | instid1(VALU_DEP_2)
	v_add3_u32 v24, v24, v25, v68
	v_mul_i32_i24_e32 v25, v32, v237
	v_add3_u32 v24, v24, v69, v70
	s_delay_alu instid0(VALU_DEP_1) | instskip(NEXT) | instid1(VALU_DEP_1)
	v_add3_u32 v24, v24, v71, v72
	v_add3_u32 v24, v24, v73, v74
	s_delay_alu instid0(VALU_DEP_1) | instskip(NEXT) | instid1(VALU_DEP_1)
	v_add3_u32 v24, v24, v75, v76
	;; [unrolled: 3-line block ×6, first 2 shown]
	v_add3_u32 v24, v24, v93, v94
	s_delay_alu instid0(VALU_DEP_1) | instskip(NEXT) | instid1(VALU_DEP_1)
	v_mul_lo_u32 v24, v24, v150
	v_cvt_f32_i32_e32 v24, v24
	s_delay_alu instid0(VALU_DEP_1) | instskip(SKIP_2) | instid1(VALU_DEP_3)
	v_fma_mix_f32 v18, v198, v24, v18 op_sel_hi:[1,0,0]
	v_mul_i32_i24_e32 v24, v31, v236
	v_mov_b32_e32 v236, v133
	v_fma_f32 v18, v18, v103, -v19
	scratch_load_b32 v19, off, off offset:520 ; 4-byte Folded Reload
	s_wait_loadcnt 0x0
	v_add_f32_e32 v19, v19, v18
	v_mul_i32_i24_e32 v18, v23, v225
	v_mul_i32_i24_e32 v23, v30, v234
	;; [unrolled: 1-line block ×3, first 2 shown]
	v_mov_b32_e32 v225, v123
	scratch_store_b32 off, v19, off offset:520 ; 4-byte Folded Spill
	v_mul_i32_i24_e32 v19, v26, v226
	v_add3_u32 v0, v0, v17, v18
	v_mul_i32_i24_e32 v17, v54, v157
	v_mul_i32_i24_e32 v18, v55, v175
	v_dual_mov_b32 v175, v148 :: v_dual_mov_b32 v148, v150
	s_delay_alu instid0(VALU_DEP_4)
	v_add3_u32 v0, v0, v19, v20
	v_mul_i32_i24_e32 v19, v56, v176
	v_mul_i32_i24_e32 v20, v57, v178
	v_add3_u32 v2, v2, v17, v18
	v_mul_i32_i24_e32 v26, v33, v240
	v_add3_u32 v0, v0, v21, v22
	v_mul_i32_i24_e32 v21, v58, v177
	v_mul_i32_i24_e32 v22, v59, v179
	v_add3_u32 v2, v2, v19, v20
	v_mov_b32_e32 v226, v135
	v_add3_u32 v0, v0, v23, v24
	v_mul_i32_i24_e32 v23, v60, v180
	v_mul_i32_i24_e32 v24, v61, v140
	v_add3_u32 v2, v2, v21, v22
	v_mov_b32_e32 v176, v216
	;; [unrolled: 5-line block ×4, first 2 shown]
	v_mul_lo_u32 v0, v0, v233
	s_delay_alu instid0(VALU_DEP_3) | instskip(NEXT) | instid1(VALU_DEP_1)
	v_add3_u32 v2, v2, v27, v28
	v_add3_u32 v2, v2, v29, v30
	s_delay_alu instid0(VALU_DEP_3) | instskip(NEXT) | instid1(VALU_DEP_2)
	v_cvt_f32_i32_e32 v0, v0
	v_mul_lo_u32 v2, v2, v204
	s_delay_alu instid0(VALU_DEP_2) | instskip(NEXT) | instid1(VALU_DEP_2)
	v_fma_mix_f32 v0, v197, v0, 0 op_sel_hi:[1,0,0]
	v_cvt_f32_i32_e32 v2, v2
	s_delay_alu instid0(VALU_DEP_1) | instskip(NEXT) | instid1(VALU_DEP_1)
	v_fma_mix_f32 v0, v198, v2, v0 op_sel_hi:[1,0,0]
	v_fma_f32 v0, v0, v109, -v1
	scratch_load_b32 v1, off, off offset:528 ; 4-byte Folded Reload
	s_wait_loadcnt 0x0
	v_add_f32_e32 v1, v1, v0
	scratch_load_b32 v0, off, off offset:1628 th:TH_LOAD_LU ; 4-byte Folded Reload
	scratch_store_b32 off, v1, off offset:528 ; 4-byte Folded Spill
	s_wait_loadcnt 0x0
	ds_load_b128 v[16:19], v0 offset:16896
	ds_load_b128 v[32:35], v0 offset:16912
	;; [unrolled: 1-line block ×4, first 2 shown]
	s_clause 0x1f
	scratch_load_b32 v207, off, off offset:640 th:TH_LOAD_LU
	scratch_load_b32 v211, off, off offset:644 th:TH_LOAD_LU
	;; [unrolled: 1-line block ×32, first 2 shown]
	s_clause 0x13
	scratch_load_b32 v240, off, off offset:132 th:TH_LOAD_LU
	scratch_load_b32 v255, off, off offset:140 th:TH_LOAD_LU
	;; [unrolled: 1-line block ×20, first 2 shown]
	s_wait_dscnt 0x3
	v_bfe_i32 v5, v16, 0, 8
	v_bfe_i32 v111, v16, 8, 8
	v_bfe_i32 v9, v16, 16, 8
	v_ashrrev_i32_e32 v11, 24, v16
	v_bfe_i32 v6, v17, 0, 8
	v_bfe_i32 v7, v17, 8, 8
	;; [unrolled: 1-line block ×3, first 2 shown]
	v_ashrrev_i32_e32 v106, 24, v17
	v_bfe_i32 v10, v18, 0, 8
	v_bfe_i32 v105, v18, 8, 8
	;; [unrolled: 1-line block ×3, first 2 shown]
	v_mul_i32_i24_e32 v56, v8, v222
	v_mul_i32_i24_e32 v57, v106, v223
	v_ashrrev_i32_e32 v13, 24, v18
	v_mul_i32_i24_e32 v58, v10, v225
	v_mul_i32_i24_e32 v60, v105, v231
	v_bfe_i32 v14, v19, 0, 8
	v_bfe_i32 v15, v19, 8, 8
	v_mul_i32_i24_e32 v61, v12, v236
	v_mul_i32_i24_e32 v62, v13, v241
	v_bfe_i32 v16, v19, 16, 8
	v_ashrrev_i32_e32 v17, 24, v19
	v_mul_i32_i24_e32 v63, v14, v226
	v_mul_i32_i24_e32 v64, v15, v227
	s_wait_dscnt 0x2
	v_bfe_i32 v18, v32, 0, 8
	v_bfe_i32 v19, v32, 8, 8
	v_mul_i32_i24_e32 v65, v16, v206
	v_mul_i32_i24_e32 v66, v17, v208
	v_bfe_i32 v20, v32, 16, 8
	v_ashrrev_i32_e32 v21, 24, v32
	v_bfe_i32 v22, v33, 0, 8
	v_bfe_i32 v23, v33, 8, 8
	v_bfe_i32 v24, v33, 16, 8
	v_ashrrev_i32_e32 v25, 24, v33
	v_bfe_i32 v26, v34, 0, 8
	v_bfe_i32 v27, v34, 8, 8
	;; [unrolled: 4-line block ×3, first 2 shown]
	v_bfe_i32 v32, v35, 16, 8
	v_ashrrev_i32_e32 v33, 24, v35
	s_wait_dscnt 0x1
	v_bfe_i32 v100, v44, 0, 8
	v_bfe_i32 v248, v44, 8, 8
	;; [unrolled: 1-line block ×3, first 2 shown]
	v_ashrrev_i32_e32 v51, 24, v44
	s_clause 0x8
	scratch_load_b32 v183, off, off th:TH_LOAD_LU
	scratch_load_b32 v132, off, off offset:4 th:TH_LOAD_LU
	scratch_load_b32 v40, off, off offset:80 th:TH_LOAD_LU
	scratch_load_b32 v198, off, off offset:8 th:TH_LOAD_LU
	scratch_load_b32 v201, off, off offset:16 th:TH_LOAD_LU
	scratch_load_b32 v220, off, off offset:20 th:TH_LOAD_LU
	scratch_load_b32 v221, off, off offset:24 th:TH_LOAD_LU
	scratch_load_b32 v233, off, off offset:32 th:TH_LOAD_LU
	scratch_load_b32 v228, off, off offset:412 th:TH_LOAD_LU
	v_bfe_i32 v139, v46, 0, 8
	v_bfe_i32 v128, v46, 8, 8
	;; [unrolled: 1-line block ×3, first 2 shown]
	v_ashrrev_i32_e32 v143, 24, v46
	s_wait_dscnt 0x0
	v_bfe_i32 v59, v0, 0, 8
	v_bfe_i32 v88, v0, 8, 8
	v_bfe_i32 v46, v0, 16, 8
	v_ashrrev_i32_e32 v4, 24, v0
	v_bfe_i32 v0, v3, 16, 8
	v_bfe_i32 v98, v3, 0, 8
	v_bfe_i32 v99, v3, 8, 8
	v_ashrrev_i32_e32 v3, 24, v3
	;; [unrolled: 4-line block ×4, first 2 shown]
	v_mov_b32_e32 v35, v246
	v_bfe_i32 v90, v1, 0, 8
	v_bfe_i32 v91, v1, 8, 8
	;; [unrolled: 1-line block ×3, first 2 shown]
	v_ashrrev_i32_e32 v1, 24, v1
	v_bfe_i32 v95, v2, 0, 8
	v_bfe_i32 v96, v2, 8, 8
	;; [unrolled: 1-line block ×3, first 2 shown]
	v_ashrrev_i32_e32 v2, 24, v2
	v_mul_i32_i24_e32 v83, v99, v102
	v_mul_i32_i24_e32 v86, v186, v33
	s_clause 0x15
	scratch_load_b32 v186, off, off offset:180 th:TH_LOAD_LU
	scratch_load_b32 v194, off, off offset:160 th:TH_LOAD_LU
	;; [unrolled: 1-line block ×22, first 2 shown]
	s_wait_loadcnt 0x3e
	v_mul_i32_i24_e32 v53, v5, v207
	v_mul_i32_i24_e32 v54, v9, v211
	;; [unrolled: 1-line block ×4, first 2 shown]
	s_delay_alu instid0(VALU_DEP_4)
	v_mad_i32_i24 v53, v111, v234, v53
	v_mul_i32_i24_e32 v68, v19, v209
	v_mul_i32_i24_e32 v69, v20, v210
	;; [unrolled: 1-line block ×4, first 2 shown]
	v_add3_u32 v53, v53, v54, v55
	v_mul_i32_i24_e32 v54, v6, v117
	v_mul_i32_i24_e32 v55, v7, v217
	;; [unrolled: 1-line block ×6, first 2 shown]
	v_add3_u32 v53, v53, v54, v55
	v_mul_i32_i24_e32 v82, v33, v129
	s_wait_loadcnt 0x3c
	v_mul_i32_i24_e32 v55, v51, v145
	s_wait_loadcnt 0x3a
	v_mul_i32_i24_e32 v74, v25, v237
	v_add3_u32 v53, v53, v56, v57
	s_wait_loadcnt 0x39
	v_mul_i32_i24_e32 v78, v29, v190
	v_mov_b32_e32 v57, v247
	s_wait_loadcnt 0x36
	v_mul_i32_i24_e32 v56, v113, v158
	scratch_load_b32 v247, off, off offset:200 th:TH_LOAD_LU ; 4-byte Folded Reload
	v_add3_u32 v53, v53, v58, v60
	v_mul_i32_i24_e32 v58, v112, v171
	s_wait_loadcnt 0x33
	v_mul_i32_i24_e32 v75, v26, v240
	s_wait_loadcnt 0x32
	v_mul_i32_i24_e32 v77, v28, v255
	v_mul_i32_i24_e32 v60, v109, v146
	v_add3_u32 v53, v53, v61, v62
	v_mul_i32_i24_e32 v61, v107, v157
	s_delay_alu instid0(VALU_DEP_2)
	v_add3_u32 v53, v53, v63, v64
	s_wait_loadcnt 0x2b
	v_mul_i32_i24_e32 v76, v27, v121
	s_wait_loadcnt 0x2a
	v_mul_i32_i24_e32 v79, v30, v124
	;; [unrolled: 2-line block ×3, first 2 shown]
	v_add3_u32 v53, v53, v65, v66
	s_wait_loadcnt 0x26
	v_mul_i32_i24_e32 v36, v0, v37
	v_mul_i32_i24_e32 v66, v120, v89
	s_delay_alu instid0(VALU_DEP_3)
	v_add3_u32 v53, v53, v67, v68
	scratch_store_b32 off, v36, off offset:1628 ; 4-byte Folded Spill
	v_mul_i32_i24_e32 v36, v3, v38
	v_mul_i32_i24_e32 v67, v249, v52
	;; [unrolled: 1-line block ×3, first 2 shown]
	v_add3_u32 v53, v53, v69, v70
	v_mul_i32_i24_e32 v69, v103, v138
	scratch_store_b32 off, v36, off offset:1644 ; 4-byte Folded Spill
	scratch_load_b32 v36, off, off offset:432 th:TH_LOAD_LU ; 4-byte Folded Reload
	v_mul_i32_i24_e32 v70, v59, v35
	v_add3_u32 v53, v53, v71, v72
	s_wait_loadcnt 0x26
	v_mul_i32_i24_e32 v71, v88, v168
	s_delay_alu instid0(VALU_DEP_2) | instskip(SKIP_3) | instid1(VALU_DEP_3)
	v_add3_u32 v53, v53, v73, v74
	v_mul_i32_i24_e32 v73, v4, v104
	s_wait_loadcnt 0x25
	v_mul_i32_i24_e32 v74, v90, v203
	v_add3_u32 v53, v53, v75, v76
	s_wait_loadcnt 0x24
	v_mul_i32_i24_e32 v75, v91, v165
	v_mul_i32_i24_e32 v76, v94, v49
	s_delay_alu instid0(VALU_DEP_3) | instskip(SKIP_3) | instid1(VALU_DEP_3)
	v_add3_u32 v53, v53, v77, v78
	s_wait_loadcnt 0x21
	v_mul_i32_i24_e32 v77, v1, v193
	v_mul_i32_i24_e32 v78, v95, v254
	v_add3_u32 v53, v53, v79, v80
	v_mul_i32_i24_e32 v80, v97, v167
	s_delay_alu instid0(VALU_DEP_2)
	v_add3_u32 v34, v53, v81, v82
	v_mul_i32_i24_e32 v53, v100, v144
	v_mul_i32_i24_e32 v81, v2, v243
	v_mul_i32_i24_e32 v82, v98, v57
	scratch_store_b32 off, v34, off offset:1648 ; 4-byte Folded Spill
	v_mad_i32_i24 v53, v248, v136, v53
	scratch_load_b32 v34, off, off offset:456 th:TH_LOAD_LU ; 4-byte Folded Reload
	v_add3_u32 v55, v53, v54, v55
	s_clause 0x1
	scratch_load_b32 v53, off, off offset:84 th:TH_LOAD_LU
	scratch_load_b32 v54, off, off offset:88 th:TH_LOAD_LU
	s_wait_loadcnt 0x23
	v_mul_i32_i24_e32 v64, v252, v183
	s_wait_loadcnt 0x22
	v_mul_i32_i24_e32 v65, v143, v132
	v_add3_u32 v55, v55, v56, v58
	s_wait_loadcnt 0x21
	v_mul_i32_i24_e32 v58, v40, v9
	scratch_load_b32 v40, off, off offset:652 th:TH_LOAD_LU ; 4-byte Folded Reload
	v_add3_u32 v55, v55, v60, v61
	s_wait_loadcnt 0x1c
	v_mul_i32_i24_e32 v79, v96, v228
	v_mul_i32_i24_e32 v60, v110, v11
	scratch_load_b32 v110, off, off offset:708 th:TH_LOAD_LU ; 4-byte Folded Reload
	s_wait_loadcnt 0xd
	v_mul_i32_i24_e32 v93, v3, v142
	s_wait_loadcnt 0x4
	v_mul_i32_i24_e32 v72, v46, v34
	;; [unrolled: 2-line block ×4, first 2 shown]
	s_delay_alu instid0(VALU_DEP_1)
	v_add3_u32 v55, v55, v62, v63
	s_wait_loadcnt 0x1
	v_mul_i32_i24_e32 v62, v40, v106
	scratch_load_b32 v40, off, off offset:72 th:TH_LOAD_LU ; 4-byte Folded Reload
	v_add3_u32 v55, v55, v64, v65
	s_wait_loadcnt 0x1
	v_mul_i32_i24_e32 v92, v33, v110
	s_delay_alu instid0(VALU_DEP_2) | instskip(NEXT) | instid1(VALU_DEP_1)
	v_add3_u32 v55, v55, v66, v67
	v_add3_u32 v55, v55, v68, v69
	s_delay_alu instid0(VALU_DEP_1) | instskip(SKIP_1) | instid1(VALU_DEP_2)
	v_add3_u32 v55, v55, v70, v71
	v_mul_i32_i24_e32 v71, v229, v18
	v_add3_u32 v55, v55, v72, v73
	v_mul_i32_i24_e32 v73, v250, v20
	scratch_load_b32 v250, off, off offset:204 th:TH_LOAD_LU ; 4-byte Folded Reload
	v_add3_u32 v55, v55, v74, v75
	s_delay_alu instid0(VALU_DEP_1) | instskip(NEXT) | instid1(VALU_DEP_1)
	v_add3_u32 v55, v55, v76, v77
	v_add3_u32 v55, v55, v78, v79
	v_mul_i32_i24_e32 v78, v191, v25
	scratch_load_b32 v191, off, off offset:172 th:TH_LOAD_LU ; 4-byte Folded Reload
	v_add3_u32 v55, v55, v80, v81
	s_delay_alu instid0(VALU_DEP_1)
	v_add3_u32 v56, v55, v82, v83
	v_mul_i32_i24_e32 v55, v101, v5
	v_mov_b32_e32 v101, v149
	scratch_load_b32 v149, off, off offset:760 th:TH_LOAD_LU ; 4-byte Folded Reload
	v_mad_i32_i24 v55, v116, v111, v55
	scratch_load_b32 v116, off, off offset:776 th:TH_LOAD_LU ; 4-byte Folded Reload
	v_add3_u32 v55, v55, v58, v60
	v_mul_i32_i24_e32 v58, v36, v6
	scratch_load_b32 v36, off, off offset:428 th:TH_LOAD_LU ; 4-byte Folded Reload
	s_wait_loadcnt 0x5
	v_mul_i32_i24_e32 v67, v40, v14
	scratch_load_b32 v40, off, off offset:76 th:TH_LOAD_LU ; 4-byte Folded Reload
	s_wait_loadcnt 0x1
	v_mul_i32_i24_e32 v60, v36, v7
	scratch_load_b32 v36, off, off offset:424 th:TH_LOAD_LU ; 4-byte Folded Reload
	v_add3_u32 v55, v55, v58, v60
	v_mul_i32_i24_e32 v60, v126, v50
	v_mov_b32_e32 v126, v230
	s_wait_loadcnt 0x1
	v_mul_i32_i24_e32 v68, v40, v15
	scratch_load_b32 v40, off, off offset:152 th:TH_LOAD_LU ; 4-byte Folded Reload
	s_wait_loadcnt 0x1
	v_mul_i32_i24_e32 v61, v36, v8
	scratch_load_b32 v36, off, off offset:876 th:TH_LOAD_LU ; 4-byte Folded Reload
	v_add3_u32 v55, v55, v61, v62
	s_wait_loadcnt 0x1
	v_mul_i32_i24_e32 v74, v40, v21
	scratch_load_b32 v40, off, off offset:144 th:TH_LOAD_LU ; 4-byte Folded Reload
	s_wait_loadcnt 0x1
	v_mul_i32_i24_e32 v63, v36, v10
	scratch_load_b32 v36, off, off offset:444 th:TH_LOAD_LU ; 4-byte Folded Reload
	;; [unrolled: 3-line block ×4, first 2 shown]
	v_add3_u32 v55, v55, v63, v64
	v_mul_i32_i24_e32 v63, v155, v107
	scratch_load_b32 v155, off, off offset:308 th:TH_LOAD_LU ; 4-byte Folded Reload
	s_wait_loadcnt 0x2
	v_mul_i32_i24_e32 v79, v40, v26
	scratch_load_b32 v40, off, off offset:168 th:TH_LOAD_LU ; 4-byte Folded Reload
	s_wait_loadcnt 0x2
	;; [unrolled: 3-line block ×4, first 2 shown]
	v_mul_i32_i24_e32 v66, v36, v13
	scratch_load_b32 v36, off, off offset:224 th:TH_LOAD_LU ; 4-byte Folded Reload
	v_add3_u32 v55, v55, v65, v66
	s_delay_alu instid0(VALU_DEP_1)
	v_add3_u32 v55, v55, v67, v68
	s_wait_loadcnt 0x0
	v_mul_i32_i24_e32 v69, v36, v16
	scratch_load_b32 v36, off, off offset:880 th:TH_LOAD_LU ; 4-byte Folded Reload
	s_wait_loadcnt 0x0
	v_mul_i32_i24_e32 v70, v36, v17
	scratch_load_b32 v36, off, off offset:868 th:TH_LOAD_LU ; 4-byte Folded Reload
	v_add3_u32 v55, v55, v69, v70
	s_wait_loadcnt 0x0
	v_mul_i32_i24_e32 v72, v36, v19
	scratch_load_b32 v36, off, off offset:896 th:TH_LOAD_LU ; 4-byte Folded Reload
	v_add3_u32 v55, v55, v71, v72
	v_mul_i32_i24_e32 v71, v137, v103
	scratch_load_b32 v137, off, off offset:296 th:TH_LOAD_LU ; 4-byte Folded Reload
	v_add3_u32 v55, v55, v73, v74
	s_wait_loadcnt 0x1
	v_mul_i32_i24_e32 v76, v36, v23
	scratch_load_b32 v36, off, off offset:872 th:TH_LOAD_LU ; 4-byte Folded Reload
	v_add3_u32 v55, v55, v75, v76
	v_mul_i32_i24_e32 v76, v159, v90
	scratch_load_b32 v159, off, off offset:692 th:TH_LOAD_LU ; 4-byte Folded Reload
	s_wait_loadcnt 0x1
	v_mul_i32_i24_e32 v77, v36, v24
	scratch_load_b32 v36, off, off offset:1112 th:TH_LOAD_LU ; 4-byte Folded Reload
	v_add3_u32 v55, v55, v77, v78
	v_mul_i32_i24_e32 v77, v160, v91
	v_mov_b32_e32 v160, v114
	scratch_load_b32 v114, off, off offset:292 th:TH_LOAD_LU ; 4-byte Folded Reload
	s_wait_loadcnt 0x2
	v_mul_i32_i24_e32 v33, v33, v159
	v_add3_u32 v55, v55, v79, v80
	v_mul_i32_i24_e32 v80, v151, v95
	scratch_load_b32 v151, off, off offset:688 th:TH_LOAD_LU ; 4-byte Folded Reload
	s_wait_loadcnt 0x2
	v_mul_i32_i24_e32 v81, v36, v28
	scratch_load_b32 v36, off, off offset:1108 th:TH_LOAD_LU ; 4-byte Folded Reload
	s_wait_loadcnt 0x0
	v_mul_i32_i24_e32 v82, v36, v29
	scratch_load_b32 v36, off, off offset:892 th:TH_LOAD_LU ; 4-byte Folded Reload
	v_add3_u32 v55, v55, v81, v82
	v_mul_i32_i24_e32 v81, v163, v96
	v_mul_i32_i24_e32 v82, v172, v97
	s_clause 0x1
	scratch_load_b32 v163, off, off offset:188 th:TH_LOAD_LU
	scratch_load_b32 v172, off, off offset:380 th:TH_LOAD_LU
	s_wait_loadcnt 0x2
	v_mul_i32_i24_e32 v83, v36, v30
	scratch_load_b32 v36, off, off offset:888 th:TH_LOAD_LU ; 4-byte Folded Reload
	s_wait_loadcnt 0x0
	v_mul_i32_i24_e32 v84, v36, v31
	scratch_load_b32 v36, off, off offset:884 th:TH_LOAD_LU ; 4-byte Folded Reload
	v_add3_u32 v55, v55, v83, v84
	v_mul_i32_i24_e32 v83, v164, v2
	v_mul_i32_i24_e32 v84, v161, v98
	s_clause 0x1
	scratch_load_b32 v164, off, off offset:192 th:TH_LOAD_LU
	scratch_load_b32 v161, off, off offset:748 th:TH_LOAD_LU
	s_wait_loadcnt 0x2
	v_mul_i32_i24_e32 v85, v36, v32
	scratch_load_b32 v36, off, off offset:1116 th:TH_LOAD_LU ; 4-byte Folded Reload
	v_add3_u32 v55, v55, v85, v86
	v_mul_i32_i24_e32 v85, v169, v99
	v_dual_mov_b32 v169, v162 :: v_dual_mov_b32 v162, v152
	scratch_load_b32 v152, off, off offset:304 th:TH_LOAD_LU ; 4-byte Folded Reload
	v_mul_lo_u32 v55, v55, v40
	v_mov_b32_e32 v40, v156
	scratch_load_b32 v156, off, off offset:312 th:TH_LOAD_LU ; 4-byte Folded Reload
	v_cvt_f32_i32_e32 v55, v55
	s_wait_loadcnt 0x2
	v_mul_i32_i24_e32 v58, v36, v100
	scratch_load_b32 v36, off, off offset:1120 th:TH_LOAD_LU ; 4-byte Folded Reload
	s_wait_loadcnt 0x0
	v_mul_i32_i24_e32 v61, v36, v51
	scratch_load_b32 v36, off, off offset:920 th:TH_LOAD_LU ; 4-byte Folded Reload
	s_wait_loadcnt 0x0
	v_mad_i32_i24 v58, v36, v248, v58
	scratch_load_b32 v36, off, off offset:928 th:TH_LOAD_LU ; 4-byte Folded Reload
	v_add3_u32 v58, v58, v60, v61
	v_mul_i32_i24_e32 v61, v147, v112
	scratch_load_b32 v147, off, off offset:184 th:TH_LOAD_LU ; 4-byte Folded Reload
	s_wait_loadcnt 0x1
	v_mul_i32_i24_e32 v60, v36, v113
	scratch_load_b32 v36, off, off offset:924 th:TH_LOAD_LU ; 4-byte Folded Reload
	v_add3_u32 v58, v58, v60, v61
	v_mul_i32_i24_e32 v60, v5, v169
	v_mul_i32_i24_e32 v61, v9, v170
	;; [unrolled: 1-line block ×4, first 2 shown]
	s_delay_alu instid0(VALU_DEP_4)
	v_mad_i32_i24 v60, v111, v173, v60
	s_wait_loadcnt 0x0
	v_mul_i32_i24_e32 v62, v36, v109
	scratch_load_b32 v36, off, off offset:944 th:TH_LOAD_LU ; 4-byte Folded Reload
	v_add3_u32 v58, v58, v62, v63
	v_mul_i32_i24_e32 v62, v11, v182
	v_mul_i32_i24_e32 v63, v8, v186
	;; [unrolled: 1-line block ×3, first 2 shown]
	s_delay_alu instid0(VALU_DEP_3) | instskip(SKIP_2) | instid1(VALU_DEP_1)
	v_add3_u32 v60, v60, v61, v62
	v_mul_i32_i24_e32 v61, v6, v184
	v_mul_i32_i24_e32 v62, v7, v185
	v_add3_u32 v60, v60, v61, v62
	v_mul_i32_i24_e32 v61, v50, v164
	v_mul_i32_i24_e32 v62, v51, v166
	s_wait_loadcnt 0x0
	v_mul_i32_i24_e32 v64, v36, v139
	scratch_load_b32 v36, off, off offset:940 th:TH_LOAD_LU ; 4-byte Folded Reload
	s_wait_loadcnt 0x0
	v_mul_i32_i24_e32 v65, v36, v128
	scratch_load_b32 v36, off, off offset:936 th:TH_LOAD_LU ; 4-byte Folded Reload
	v_add3_u32 v58, v58, v64, v65
	v_mul_i32_i24_e32 v64, v106, v187
	v_mul_i32_i24_e32 v65, v10, v188
	s_delay_alu instid0(VALU_DEP_2)
	v_add3_u32 v60, v60, v63, v64
	v_mul_i32_i24_e32 v63, v109, v174
	s_wait_loadcnt 0x0
	v_mul_i32_i24_e32 v66, v36, v252
	scratch_load_b32 v36, off, off offset:932 th:TH_LOAD_LU ; 4-byte Folded Reload
	s_wait_loadcnt 0x0
	v_mul_i32_i24_e32 v67, v36, v143
	scratch_load_b32 v36, off, off offset:948 th:TH_LOAD_LU ; 4-byte Folded Reload
	v_add3_u32 v58, v58, v66, v67
	v_mul_i32_i24_e32 v66, v105, v189
	v_mul_i32_i24_e32 v67, v12, v191
	s_delay_alu instid0(VALU_DEP_2)
	v_add3_u32 v60, v60, v65, v66
	v_mul_i32_i24_e32 v65, v107, v176
	v_mul_i32_i24_e32 v66, v139, v177
	s_wait_loadcnt 0x0
	v_mul_i32_i24_e32 v68, v36, v120
	scratch_load_b32 v36, off, off offset:1124 th:TH_LOAD_LU ; 4-byte Folded Reload
	s_wait_loadcnt 0x0
	v_mul_i32_i24_e32 v69, v36, v249
	scratch_load_b32 v36, off, off offset:900 th:TH_LOAD_LU ; 4-byte Folded Reload
	v_add3_u32 v58, v58, v68, v69
	v_mul_i32_i24_e32 v69, v14, v194
	s_wait_loadcnt 0x0
	v_mul_i32_i24_e32 v70, v36, v108
	scratch_load_b32 v36, off, off offset:904 th:TH_LOAD_LU ; 4-byte Folded Reload
	v_add3_u32 v58, v58, v70, v71
	v_mul_i32_i24_e32 v70, v15, v195
	v_mul_i32_i24_e32 v71, v16, v196
	s_wait_loadcnt 0x0
	v_mul_i32_i24_e32 v72, v36, v59
	scratch_load_b32 v36, off, off offset:908 th:TH_LOAD_LU ; 4-byte Folded Reload
	s_wait_loadcnt 0x0
	v_mul_i32_i24_e32 v73, v36, v88
	scratch_load_b32 v36, off, off offset:912 th:TH_LOAD_LU ; 4-byte Folded Reload
	v_add3_u32 v58, v58, v72, v73
	v_mul_i32_i24_e32 v72, v17, v197
	v_mul_i32_i24_e32 v73, v18, v198
	s_wait_loadcnt 0x0
	v_mul_i32_i24_e32 v74, v36, v46
	scratch_load_b32 v36, off, off offset:1136 th:TH_LOAD_LU ; 4-byte Folded Reload
	s_wait_loadcnt 0x0
	v_mul_i32_i24_e32 v75, v36, v4
	scratch_load_b32 v36, off, off offset:916 th:TH_LOAD_LU ; 4-byte Folded Reload
	v_add3_u32 v58, v58, v74, v75
	v_mul_i32_i24_e32 v74, v19, v200
	v_mul_i32_i24_e32 v75, v20, v201
	s_delay_alu instid0(VALU_DEP_3)
	v_add3_u32 v58, v58, v76, v77
	v_mul_i32_i24_e32 v76, v21, v220
	v_mul_i32_i24_e32 v77, v22, v221
	s_wait_loadcnt 0x0
	v_mul_i32_i24_e32 v78, v36, v94
	scratch_load_b32 v36, off, off offset:1140 th:TH_LOAD_LU ; 4-byte Folded Reload
	s_wait_loadcnt 0x0
	v_mul_i32_i24_e32 v79, v36, v1
	scratch_load_b32 v36, off, off offset:1132 th:TH_LOAD_LU ; 4-byte Folded Reload
	v_add3_u32 v58, v58, v78, v79
	v_mul_i32_i24_e32 v78, v23, v232
	v_mul_i32_i24_e32 v79, v24, v233
	s_delay_alu instid0(VALU_DEP_3) | instskip(SKIP_1) | instid1(VALU_DEP_2)
	v_add3_u32 v58, v58, v80, v81
	v_mul_i32_i24_e32 v81, v26, v239
	v_add3_u32 v58, v58, v82, v83
	v_mul_i32_i24_e32 v82, v27, v245
	v_mul_i32_i24_e32 v83, v28, v246
	;; [unrolled: 1-line block ×4, first 2 shown]
	v_add3_u32 v58, v58, v84, v85
	v_mul_i32_i24_e32 v84, v29, v247
	v_mul_i32_i24_e32 v85, v30, v250
	;; [unrolled: 1-line block ×4, first 2 shown]
	s_wait_loadcnt 0x0
	v_mul_i32_i24_e32 v86, v36, v0
	scratch_load_b32 v36, off, off offset:1128 th:TH_LOAD_LU ; 4-byte Folded Reload
	s_wait_loadcnt 0x0
	v_mul_i32_i24_e32 v87, v36, v3
	scratch_load_b32 v36, off, off offset:784 th:TH_LOAD_LU ; 4-byte Folded Reload
	v_add3_u32 v58, v58, v86, v87
	v_mul_i32_i24_e32 v86, v31, v253
	v_mul_i32_i24_e32 v87, v32, v115
	;; [unrolled: 1-line block ×4, first 2 shown]
	v_mul_lo_u32 v58, v58, v192
	v_mov_b32_e32 v192, v238
	scratch_load_b32 v238, off, off offset:36 th:TH_LOAD_LU ; 4-byte Folded Reload
	v_mul_i32_i24_e32 v68, v13, v192
	v_cvt_f32_i32_e32 v58, v58
	s_delay_alu instid0(VALU_DEP_2) | instskip(SKIP_2) | instid1(VALU_DEP_3)
	v_add3_u32 v60, v60, v67, v68
	v_mul_i32_i24_e32 v67, v128, v179
	v_mul_i32_i24_e32 v68, v252, v178
	v_add3_u32 v60, v60, v69, v70
	v_mul_i32_i24_e32 v69, v143, v180
	v_mul_i32_i24_e32 v70, v120, v181
	s_delay_alu instid0(VALU_DEP_3) | instskip(SKIP_2) | instid1(VALU_DEP_3)
	v_add3_u32 v60, v60, v71, v72
	v_mul_i32_i24_e32 v71, v249, v44
	v_mul_i32_i24_e32 v72, v108, v116
	v_add3_u32 v60, v60, v73, v74
	v_mul_i32_i24_e32 v74, v59, v122
	s_delay_alu instid0(VALU_DEP_2) | instskip(SKIP_2) | instid1(VALU_DEP_3)
	v_add3_u32 v60, v60, v75, v76
	v_mul_i32_i24_e32 v75, v88, v41
	v_mul_i32_i24_e32 v76, v46, v39
	v_add3_u32 v60, v60, v77, v78
	v_mul_i32_i24_e32 v77, v4, v42
	v_mul_i32_i24_e32 v78, v90, v43
	s_wait_loadcnt 0x1
	v_mul_i32_i24_e32 v73, v103, v36
	s_wait_loadcnt 0x0
	v_mul_i32_i24_e32 v80, v25, v238
	s_delay_alu instid0(VALU_DEP_1) | instskip(SKIP_2) | instid1(VALU_DEP_3)
	v_add3_u32 v60, v60, v79, v80
	v_mul_i32_i24_e32 v79, v91, v101
	v_mul_i32_i24_e32 v80, v94, v45
	v_add3_u32 v60, v60, v81, v82
	v_mul_i32_i24_e32 v81, v1, v204
	v_mul_i32_i24_e32 v82, v95, v202
	s_delay_alu instid0(VALU_DEP_3) | instskip(SKIP_2) | instid1(VALU_DEP_3)
	v_add3_u32 v60, v60, v83, v84
	v_mul_i32_i24_e32 v83, v96, v40
	v_mul_i32_i24_e32 v84, v97, v47
	v_add3_u32 v60, v60, v85, v86
	v_mul_i32_i24_e32 v85, v2, v244
	v_mul_i32_i24_e32 v86, v98, v149
	s_delay_alu instid0(VALU_DEP_3) | instskip(SKIP_2) | instid1(VALU_DEP_3)
	v_add3_u32 v60, v60, v87, v92
	v_mul_i32_i24_e32 v87, v99, v141
	v_mul_i32_i24_e32 v92, v0, v140
	v_mul_lo_u32 v60, v60, v48
	s_delay_alu instid0(VALU_DEP_1) | instskip(SKIP_1) | instid1(VALU_DEP_1)
	v_cvt_f32_i32_e32 v64, v60
	v_mul_i32_i24_e32 v60, v100, v163
	v_mad_i32_i24 v60, v248, v147, v60
	s_delay_alu instid0(VALU_DEP_1) | instskip(SKIP_2) | instid1(VALU_DEP_1)
	v_add3_u32 v60, v60, v61, v62
	v_mul_i32_i24_e32 v61, v113, v172
	v_mul_i32_i24_e32 v62, v112, v175
	v_add3_u32 v60, v60, v61, v62
	s_delay_alu instid0(VALU_DEP_1) | instskip(NEXT) | instid1(VALU_DEP_1)
	v_add3_u32 v60, v60, v63, v65
	v_add3_u32 v60, v60, v66, v67
	s_delay_alu instid0(VALU_DEP_1)
	v_add3_u32 v60, v60, v68, v69
	s_clause 0x1
	scratch_load_b32 v68, off, off offset:280 th:TH_LOAD_LU
	scratch_load_b32 v69, off, off offset:276 th:TH_LOAD_LU
	v_add3_u32 v60, v60, v70, v71
	scratch_load_b32 v70, off, off offset:284 th:TH_LOAD_LU ; 4-byte Folded Reload
	v_mov_b32_e32 v71, v130
	v_add3_u32 v60, v60, v72, v73
	s_clause 0x1
	scratch_load_b32 v72, off, off offset:1072 th:TH_LOAD_LU
	scratch_load_b32 v73, off, off offset:1088 th:TH_LOAD_LU
	v_mad_i32_i24 v5, v111, v71, v5
	scratch_load_b32 v111, off, off offset:288 th:TH_LOAD_LU ; 4-byte Folded Reload
	v_add3_u32 v60, v60, v74, v75
	s_clause 0x1
	scratch_load_b32 v74, off, off offset:1092 th:TH_LOAD_LU
	scratch_load_b32 v75, off, off offset:1096 th:TH_LOAD_LU
	v_add3_u32 v5, v5, v9, v11
	v_add3_u32 v60, v60, v76, v77
	s_clause 0x1
	scratch_load_b32 v76, off, off offset:712 th:TH_LOAD_LU
	scratch_load_b32 v77, off, off offset:716 th:TH_LOAD_LU
	v_add3_u32 v60, v60, v78, v79
	scratch_load_b32 v79, off, off offset:720 th:TH_LOAD_LU ; 4-byte Folded Reload
	v_mov_b32_e32 v78, v199
	v_add3_u32 v60, v60, v80, v81
	scratch_load_b32 v81, off, off offset:724 th:TH_LOAD_LU ; 4-byte Folded Reload
	v_mul_i32_i24_e32 v12, v12, v78
	v_mov_b32_e32 v80, v235
	v_add3_u32 v60, v60, v82, v83
	s_clause 0x1
	scratch_load_b32 v82, off, off offset:728 th:TH_LOAD_LU
	scratch_load_b32 v83, off, off offset:732 th:TH_LOAD_LU
	v_mul_i32_i24_e32 v14, v14, v80
	v_add3_u32 v60, v60, v84, v85
	s_clause 0x1
	scratch_load_b32 v84, off, off offset:736 th:TH_LOAD_LU
	scratch_load_b32 v85, off, off offset:740 th:TH_LOAD_LU
	v_add3_u32 v60, v60, v86, v87
	s_clause 0x1
	scratch_load_b32 v86, off, off offset:744 th:TH_LOAD_LU
	scratch_load_b32 v87, off, off offset:328 th:TH_LOAD_LU
	;; [unrolled: 4-line block ×3, first 2 shown]
	v_mul_lo_u32 v60, v60, v148
	s_delay_alu instid0(VALU_DEP_1)
	v_cvt_f32_i32_e32 v60, v60
	s_wait_loadcnt 0x10
	v_mul_i32_i24_e32 v6, v6, v72
	s_wait_loadcnt 0xf
	v_mul_i32_i24_e32 v7, v7, v73
	;; [unrolled: 2-line block ×5, first 2 shown]
	scratch_load_b32 v106, off, off offset:336 th:TH_LOAD_LU ; 4-byte Folded Reload
	v_add3_u32 v5, v5, v6, v7
	v_mul_i32_i24_e32 v7, v50, v69
	s_wait_loadcnt 0xc
	v_mul_i32_i24_e32 v10, v10, v76
	s_wait_loadcnt 0xb
	v_mul_i32_i24_e32 v11, v105, v77
	scratch_load_b32 v105, off, off offset:332 th:TH_LOAD_LU ; 4-byte Folded Reload
	v_add3_u32 v5, v5, v8, v9
	v_mul_i32_i24_e32 v8, v51, v70
	s_clause 0x6
	scratch_load_b64 v[50:51], off, off offset:620 th:TH_LOAD_LU
	scratch_load_b32 v67, off, off offset:272 th:TH_LOAD_LU
	scratch_load_b32 v61, off, off offset:324 th:TH_LOAD_LU
	;; [unrolled: 1-line block ×6, first 2 shown]
	s_wait_loadcnt 0x12
	v_mul_i32_i24_e32 v13, v13, v79
	v_add3_u32 v5, v5, v10, v11
	s_wait_loadcnt 0x11
	v_mul_i32_i24_e32 v15, v15, v81
	v_mul_i32_i24_e32 v6, v100, v68
	s_wait_loadcnt 0x10
	v_mul_i32_i24_e32 v16, v16, v82
	s_wait_loadcnt 0xf
	v_mul_i32_i24_e32 v17, v17, v83
	v_add3_u32 v5, v5, v12, v13
	s_wait_loadcnt 0xe
	v_mul_i32_i24_e32 v18, v18, v84
	s_wait_loadcnt 0xd
	v_mul_i32_i24_e32 v19, v19, v85
	v_add3_u32 v5, v5, v14, v15
	;; [unrolled: 5-line block ×4, first 2 shown]
	s_delay_alu instid0(VALU_DEP_1) | instskip(NEXT) | instid1(VALU_DEP_1)
	v_add3_u32 v5, v5, v20, v21
	v_add3_u32 v5, v5, v22, v23
	s_wait_loadcnt 0x8
	v_mul_i32_i24_e32 v26, v26, v106
	s_wait_loadcnt 0x7
	v_mul_i32_i24_e32 v24, v24, v105
	s_wait_loadcnt 0x5
	v_mad_i32_i24 v6, v248, v67, v6
	s_wait_loadcnt 0x4
	v_mul_i32_i24_e32 v11, v113, v61
	v_add3_u32 v5, v5, v24, v25
	s_wait_loadcnt 0x2
	v_mul_i32_i24_e32 v14, v107, v154
	s_wait_loadcnt 0x1
	v_mul_i32_i24_e32 v13, v109, v134
	v_add3_u32 v10, v6, v7, v8
	scratch_load_b32 v6, off, off offset:60 ; 4-byte Folded Reload
	v_add3_u32 v5, v5, v26, v27
	s_wait_loadcnt 0x1
	v_mul_i32_i24_e32 v16, v128, v63
	v_mul_i32_i24_e32 v12, v112, v62
	;; [unrolled: 1-line block ×3, first 2 shown]
	v_add3_u32 v5, v5, v28, v29
	s_delay_alu instid0(VALU_DEP_1)
	v_add3_u32 v5, v5, v30, v31
	s_clause 0x5
	scratch_load_b32 v31, off, off offset:1756
	scratch_load_b32 v107, off, off offset:252 th:TH_LOAD_LU
	scratch_load_b32 v100, off, off offset:600 th:TH_LOAD_LU
	;; [unrolled: 1-line block ×5, first 2 shown]
	v_add3_u32 v5, v5, v32, v33
	s_delay_alu instid0(VALU_DEP_1) | instskip(NEXT) | instid1(VALU_DEP_1)
	v_mul_lo_u32 v5, v5, v137
	v_cvt_f32_i32_e32 v5, v5
	s_wait_loadcnt 0x6
	v_mul_i32_i24_e32 v15, v139, v6
	s_wait_loadcnt 0x4
	v_mul_i32_i24_e32 v17, v252, v107
	;; [unrolled: 2-line block ×3, first 2 shown]
	s_clause 0xb
	scratch_load_b32 v143, off, off offset:608 th:TH_LOAD_LU
	scratch_load_b32 v33, off, off offset:320 th:TH_LOAD_LU
	;; [unrolled: 1-line block ×12, first 2 shown]
	s_wait_loadcnt 0xc
	v_mul_i32_i24_e32 v19, v120, v66
	s_clause 0xb
	scratch_load_b32 v120, off, off offset:372 th:TH_LOAD_LU
	scratch_load_b32 v252, off, off offset:376 th:TH_LOAD_LU
	;; [unrolled: 1-line block ×12, first 2 shown]
	s_wait_loadcnt 0x16
	v_mul_i32_i24_e32 v20, v249, v33
	s_clause 0x1
	scratch_load_b32 v249, off, off offset:360 th:TH_LOAD_LU
	scratch_load_b32 v242, off, off offset:352 th:TH_LOAD_LU
	s_wait_loadcnt 0x17
	v_mul_i32_i24_e32 v21, v108, v32
	s_wait_loadcnt 0x16
	v_mul_i32_i24_e32 v22, v103, v229
	;; [unrolled: 2-line block ×7, first 2 shown]
	v_mul_i32_i24_e32 v8, v95, v251
	v_mul_i32_i24_e32 v7, v2, v128
	scratch_load_b32 v103, off, off offset:1524 th:TH_LOAD_LU ; 4-byte Folded Reload
	s_wait_loadcnt 0xe
	v_mul_i32_i24_e32 v2, v98, v120
	s_wait_loadcnt 0xd
	v_mul_i32_i24_e32 v4, v99, v252
	s_clause 0x6
	scratch_load_b32 v90, off, off offset:1460 th:TH_LOAD_LU
	scratch_load_b32 v59, off, off offset:1440 th:TH_LOAD_LU
	;; [unrolled: 1-line block ×7, first 2 shown]
	s_wait_loadcnt 0x9
	v_mul_i32_i24_e32 v30, v1, v249
	scratch_load_b32 v1, off, off offset:56 ; 4-byte Folded Reload
	s_wait_loadcnt 0x9
	v_mul_i32_i24_e32 v29, v94, v242
	scratch_load_b32 v94, off, off offset:1468 th:TH_LOAD_LU ; 4-byte Folded Reload
	s_wait_loadcnt 0x1
	v_mul_i32_i24_e32 v9, v96, v1
	s_clause 0x1
	scratch_load_b32 v1, off, off offset:52
	scratch_load_b32 v96, off, off offset:1492 th:TH_LOAD_LU
	s_wait_loadcnt 0x1
	v_mul_i32_i24_e32 v6, v97, v1
	s_clause 0x1
	scratch_load_b32 v1, off, off offset:220
	scratch_load_b32 v97, off, off offset:1500 th:TH_LOAD_LU
	s_wait_loadcnt 0x1
	v_mul_i32_i24_e32 v0, v0, v1
	scratch_load_b32 v1, off, off offset:228 ; 4-byte Folded Reload
	s_wait_loadcnt 0x0
	v_mul_i32_i24_e32 v1, v3, v1
	v_add3_u32 v3, v10, v11, v12
	s_delay_alu instid0(VALU_DEP_1) | instskip(NEXT) | instid1(VALU_DEP_1)
	v_add3_u32 v3, v3, v13, v14
	v_add3_u32 v3, v3, v15, v16
	s_delay_alu instid0(VALU_DEP_1) | instskip(NEXT) | instid1(VALU_DEP_1)
	v_add3_u32 v3, v3, v17, v18
	;; [unrolled: 3-line block ×4, first 2 shown]
	v_add3_u32 v3, v3, v27, v28
	s_delay_alu instid0(VALU_DEP_1)
	v_add3_u32 v3, v3, v29, v30
	v_mul_i32_i24_e32 v29, v139, v127
	v_mul_i32_i24_e32 v30, v46, v129
	s_clause 0x1
	scratch_load_b32 v127, off, off offset:1568 th:TH_LOAD_LU
	scratch_load_b32 v129, off, off offset:1572 th:TH_LOAD_LU
	v_add3_u32 v3, v3, v8, v9
	s_delay_alu instid0(VALU_DEP_1)
	v_add3_u32 v3, v3, v6, v7
	v_mul_i32_i24_e32 v6, v215, v223
	scratch_load_b32 v223, off, off offset:1396 th:TH_LOAD_LU ; 4-byte Folded Reload
	v_add3_u32 v2, v3, v2, v4
	v_mul_i32_i24_e32 v3, v235, v213
	scratch_load_b32 v213, off, off offset:1380 th:TH_LOAD_LU ; 4-byte Folded Reload
	;; [unrolled: 3-line block ×3, first 2 shown]
	v_mul_i32_i24_e32 v2, v218, v211
	scratch_load_b32 v211, off, off offset:1376 th:TH_LOAD_LU ; 4-byte Folded Reload
	v_mul_lo_u32 v0, v0, v131
	v_mad_i32_i24 v1, v230, v234, v1
	s_clause 0x1
	scratch_load_b32 v234, off, off offset:1496 th:TH_LOAD_LU
	scratch_load_b32 v131, off, off offset:1600 th:TH_LOAD_LU
	v_add3_u32 v1, v1, v2, v3
	v_cvt_f32_i32_e32 v0, v0
	s_wait_loadcnt 0x5
	v_mul_i32_i24_e32 v9, v223, v236
	scratch_load_b32 v236, off, off offset:1504 th:TH_LOAD_LU ; 4-byte Folded Reload
	s_wait_loadcnt 0x5
	v_mul_i32_i24_e32 v4, v213, v222
	scratch_load_b32 v222, off, off offset:1392 th:TH_LOAD_LU ; 4-byte Folded Reload
	s_wait_loadcnt 0x5
	v_mul_i32_i24_e32 v2, v207, v117
	scratch_load_b32 v117, off, off offset:1420 th:TH_LOAD_LU ; 4-byte Folded Reload
	s_wait_loadcnt 0x5
	v_mul_i32_i24_e32 v3, v211, v217
	scratch_load_b32 v217, off, off offset:1388 th:TH_LOAD_LU ; 4-byte Folded Reload
	s_wait_loadcnt 0x5
	v_mul_i32_i24_e32 v22, v234, v237
	scratch_load_b32 v237, off, off offset:1512 th:TH_LOAD_LU ; 4-byte Folded Reload
	v_add3_u32 v1, v1, v2, v3
	v_mul_i32_i24_e32 v2, v199, v144
	scratch_load_b32 v144, off, off offset:1588 th:TH_LOAD_LU ; 4-byte Folded Reload
	v_add3_u32 v1, v1, v4, v6
	v_mul_i32_i24_e32 v6, v96, v146
	scratch_load_b32 v146, off, off offset:1596 th:TH_LOAD_LU ; 4-byte Folded Reload
	s_wait_loadcnt 0x6
	v_mul_i32_i24_e32 v23, v236, v240
	scratch_load_b32 v240, off, off offset:1520 th:TH_LOAD_LU ; 4-byte Folded Reload
	s_wait_loadcnt 0x6
	;; [unrolled: 3-line block ×5, first 2 shown]
	v_mul_i32_i24_e32 v24, v237, v121
	scratch_load_b32 v121, off, off offset:1544 th:TH_LOAD_LU ; 4-byte Folded Reload
	v_add3_u32 v1, v1, v7, v8
	v_mul_i32_i24_e32 v7, v97, v157
	v_mul_i32_i24_e32 v8, v98, v53
	scratch_load_b32 v157, off, off offset:1608 th:TH_LOAD_LU ; 4-byte Folded Reload
	s_wait_loadcnt 0x5
	v_mul_i32_i24_e32 v25, v240, v255
	scratch_load_b32 v255, off, off offset:1536 th:TH_LOAD_LU ; 4-byte Folded Reload
	s_wait_loadcnt 0x5
	;; [unrolled: 3-line block ×4, first 2 shown]
	v_mul_i32_i24_e32 v11, v225, v226
	scratch_load_b32 v226, off, off offset:1408 th:TH_LOAD_LU ; 4-byte Folded Reload
	v_add3_u32 v1, v1, v9, v10
	v_mul_i32_i24_e32 v9, v99, v54
	v_mul_i32_i24_e32 v10, v103, v183
	s_wait_loadcnt 0x5
	v_mul_i32_i24_e32 v28, v121, v125
	scratch_load_b32 v125, off, off offset:1564 th:TH_LOAD_LU ; 4-byte Folded Reload
	v_mov_b32_e32 v54, v88
	s_wait_loadcnt 0x4
	v_mul_i32_i24_e32 v27, v255, v124
	scratch_load_b32 v124, off, off offset:1560 th:TH_LOAD_LU ; 4-byte Folded Reload
	s_wait_loadcnt 0x4
	v_mul_i32_i24_e32 v26, v241, v190
	scratch_load_b32 v190, off, off offset:1480 th:TH_LOAD_LU ; 4-byte Folded Reload
	s_wait_loadcnt 0x4
	v_mul_i32_i24_e32 v16, v212, v209
	scratch_load_b32 v209, off, off offset:1428 th:TH_LOAD_LU ; 4-byte Folded Reload
	s_wait_loadcnt 0x4
	v_mul_i32_i24_e32 v12, v226, v227
	scratch_load_b32 v227, off, off offset:1412 th:TH_LOAD_LU ; 4-byte Folded Reload
	v_add3_u32 v1, v1, v11, v12
	v_mul_i32_i24_e32 v11, v112, v132
	v_mul_i32_i24_e32 v12, v113, v89
	s_clause 0x1
	scratch_load_b32 v89, off, off offset:1456 th:TH_LOAD_LU
	scratch_load_b32 v132, off, off offset:1604 th:TH_LOAD_LU
	s_wait_loadcnt 0x4
	v_mad_i32_i24 v2, v190, v136, v2
	scratch_load_b32 v136, off, off offset:1580 th:TH_LOAD_LU ; 4-byte Folded Reload
	s_wait_loadcnt 0x4
	v_mul_i32_i24_e32 v17, v209, v210
	scratch_load_b32 v210, off, off offset:1452 th:TH_LOAD_LU ; 4-byte Folded Reload
	s_wait_loadcnt 0x4
	v_mul_i32_i24_e32 v13, v227, v206
	scratch_load_b32 v206, off, off offset:1448 th:TH_LOAD_LU ; 4-byte Folded Reload
	v_add3_u32 v1, v1, v13, v14
	v_mul_i32_i24_e32 v14, v90, v119
	scratch_load_b32 v119, off, off offset:1556 th:TH_LOAD_LU ; 4-byte Folded Reload
	s_wait_loadcnt 0x5
	v_mul_i32_i24_e32 v13, v89, v52
	v_add3_u32 v1, v1, v15, v16
	v_mul_i32_i24_e32 v15, v91, v138
	v_mul_i32_i24_e32 v16, v94, v35
	scratch_load_b32 v138, off, off offset:1584 th:TH_LOAD_LU ; 4-byte Folded Reload
	s_wait_loadcnt 0x3
	v_mul_i32_i24_e32 v18, v210, v214
	scratch_load_b32 v214, off, off offset:1476 th:TH_LOAD_LU ; 4-byte Folded Reload
	s_wait_loadcnt 0x3
	v_mul_i32_i24_e32 v4, v206, v145
	scratch_load_b32 v145, off, off offset:1592 th:TH_LOAD_LU ; 4-byte Folded Reload
	v_add3_u32 v1, v1, v17, v18
	v_mul_i32_i24_e32 v17, v95, v168
	s_wait_loadcnt 0x3
	v_mul_i32_i24_e32 v18, v119, v34
	s_wait_loadcnt 0x2
	v_mov_b32_e32 v108, v138
	s_wait_loadcnt 0x1
	v_mul_i32_i24_e32 v19, v214, v219
	scratch_load_b32 v219, off, off offset:1484 th:TH_LOAD_LU ; 4-byte Folded Reload
	s_wait_loadcnt 0x0
	v_mul_i32_i24_e32 v20, v219, v224
	scratch_load_b32 v224, off, off offset:1488 th:TH_LOAD_LU ; 4-byte Folded Reload
	v_add3_u32 v1, v1, v19, v20
	v_mul_i32_i24_e32 v19, v124, v104
	v_mul_i32_i24_e32 v20, v125, v203
	s_wait_loadcnt 0x0
	v_mul_i32_i24_e32 v21, v224, v205
	scratch_load_b32 v205, off, off offset:1436 th:TH_LOAD_LU ; 4-byte Folded Reload
	v_add3_u32 v1, v1, v21, v22
	v_mul_i32_i24_e32 v21, v127, v165
	v_mul_i32_i24_e32 v22, v129, v49
	s_delay_alu instid0(VALU_DEP_3) | instskip(SKIP_1) | instid1(VALU_DEP_2)
	v_add3_u32 v1, v1, v23, v24
	v_mul_i32_i24_e32 v24, v136, v254
	v_add3_u32 v1, v1, v25, v26
	v_mul_i32_i24_e32 v25, v138, v228
	v_mul_i32_i24_e32 v26, v144, v167
	s_delay_alu instid0(VALU_DEP_3) | instskip(SKIP_3) | instid1(VALU_DEP_4)
	v_add3_u32 v1, v1, v27, v28
	v_mul_i32_i24_e32 v27, v145, v243
	v_mul_i32_i24_e32 v28, v146, v57
	v_mov_b32_e32 v57, v91
	v_add3_u32 v1, v1, v29, v30
	v_mul_i32_i24_e32 v29, v131, v102
	v_mul_i32_i24_e32 v30, v132, v37
	s_wait_loadcnt 0x0
	v_mul_i32_i24_e32 v3, v205, v135
	scratch_load_b32 v135, off, off offset:1576 th:TH_LOAD_LU ; 4-byte Folded Reload
	v_add3_u32 v2, v2, v3, v4
	v_mul_i32_i24_e32 v3, v59, v158
	v_mul_i32_i24_e32 v4, v88, v171
	v_mov_b32_e32 v158, v31
	v_mul_i32_i24_e32 v31, v157, v38
	s_delay_alu instid0(VALU_DEP_3)
	v_add3_u32 v2, v2, v3, v4
	s_clause 0x2
	scratch_load_b32 v4, off, off offset:244 th:TH_LOAD_LU
	scratch_load_b32 v3, off, off offset:1648 th:TH_LOAD_LU
	scratch_load_b64 v[34:35], off, off offset:1612 th:TH_LOAD_LU
	v_add3_u32 v2, v2, v6, v7
	scratch_load_b32 v6, off, off offset:240 th:TH_LOAD_LU ; 4-byte Folded Reload
	v_add3_u32 v2, v2, v8, v9
	scratch_load_b64 v[8:9], off, off offset:1620 th:TH_LOAD_LU ; 8-byte Folded Reload
	v_add3_u32 v2, v2, v10, v11
	s_clause 0x9
	scratch_load_b32 v7, off, off offset:1628 th:TH_LOAD_LU
	scratch_load_b32 v10, off, off offset:1644 th:TH_LOAD_LU
	;; [unrolled: 1-line block ×3, first 2 shown]
	scratch_load_b32 v165, off, off offset:1052
	scratch_load_b32 v38, off, off offset:1044
	scratch_load_b64 v[167:168], off, off offset:628 th:TH_LOAD_LU
	scratch_load_b32 v37, off, off offset:672 th:TH_LOAD_LU
	scratch_load_b32 v104, off, off offset:676 th:TH_LOAD_LU
	scratch_load_b32 v49, off, off offset:492
	scratch_load_b32 v52, off, off offset:488
	v_add3_u32 v2, v2, v12, v13
	v_mul_i32_i24_e32 v11, v227, v196
	v_mul_i32_i24_e32 v12, v117, v197
	;; [unrolled: 1-line block ×3, first 2 shown]
	s_delay_alu instid0(VALU_DEP_4) | instskip(SKIP_2) | instid1(VALU_DEP_3)
	v_add3_u32 v2, v2, v14, v15
	v_mul_i32_i24_e32 v14, v212, v200
	v_mul_i32_i24_e32 v15, v209, v201
	v_add3_u32 v2, v2, v16, v17
	v_mul_i32_i24_e32 v16, v210, v220
	v_mul_i32_i24_e32 v17, v214, v221
	s_delay_alu instid0(VALU_DEP_3) | instskip(SKIP_2) | instid1(VALU_DEP_3)
	v_add3_u32 v2, v2, v18, v19
	v_mul_i32_i24_e32 v18, v219, v232
	v_mul_i32_i24_e32 v19, v224, v233
	v_add3_u32 v2, v2, v20, v21
	v_mul_i32_i24_e32 v20, v234, v238
	v_mul_i32_i24_e32 v21, v236, v239
	s_wait_loadcnt 0xf
	v_mul_i32_i24_e32 v23, v135, v193
	s_delay_alu instid0(VALU_DEP_1) | instskip(SKIP_2) | instid1(VALU_DEP_3)
	v_add3_u32 v2, v2, v22, v23
	v_mul_i32_i24_e32 v22, v237, v245
	v_mul_i32_i24_e32 v23, v240, v246
	v_add3_u32 v2, v2, v24, v25
	s_wait_loadcnt 0xe
	v_mul_lo_u32 v1, v1, v4
	s_wait_loadcnt 0xd
	v_mul_lo_u32 v3, v3, v4
	v_mul_i32_i24_e32 v24, v241, v247
	v_mul_i32_i24_e32 v25, v255, v250
	v_add3_u32 v2, v2, v26, v27
	v_mul_i32_i24_e32 v26, v121, v253
	s_wait_loadcnt 0xb
	v_fma_mix_f32 v4, v6, v34, 0 op_sel:[0,1,0] op_sel_hi:[0,1,0]
	v_mul_i32_i24_e32 v27, v139, v115
	v_cvt_f32_i32_e32 v1, v1
	v_add3_u32 v2, v2, v28, v29
	v_cvt_f32_i32_e32 v3, v3
	s_wait_loadcnt 0xa
	v_fma_mix_f32 v6, v6, v8, 0 op_sel:[0,1,0] op_sel_hi:[0,1,0]
	scratch_load_b32 v29, off, off offset:1064 th:TH_LOAD_LU ; 4-byte Folded Reload
	v_fma_mix_f32 v1, v34, v1, 0 op_sel_hi:[1,0,0]
	v_add3_u32 v2, v2, v30, v31
	v_fma_mix_f32 v3, v8, v3, 0 op_sel_hi:[1,0,0]
	s_wait_loadcnt 0x9
	v_add3_u32 v7, v56, v7, v10
	scratch_load_b32 v10, off, off offset:236 th:TH_LOAD_LU ; 4-byte Folded Reload
	v_mul_i32_i24_e32 v28, v46, v110
	v_mul_i32_i24_e32 v30, v157, v142
	v_dual_mov_b32 v31, v59 :: v_dual_mov_b32 v56, v90
	v_dual_mov_b32 v110, v145 :: v_dual_mov_b32 v115, v132
	s_wait_loadcnt 0x0
	v_mul_lo_u32 v2, v2, v10
	v_mul_lo_u32 v7, v7, v10
	v_mul_i32_i24_e32 v10, v226, v195
	s_delay_alu instid0(VALU_DEP_3) | instskip(NEXT) | instid1(VALU_DEP_3)
	v_cvt_f32_i32_e32 v2, v2
	v_cvt_f32_i32_e32 v7, v7
	s_delay_alu instid0(VALU_DEP_2) | instskip(NEXT) | instid1(VALU_DEP_2)
	v_fma_mix_f32 v1, v35, v2, v1 op_sel_hi:[1,0,0]
	v_fma_mix_f32 v2, v9, v7, v3 op_sel_hi:[1,0,0]
	scratch_load_b32 v7, off, off offset:216 th:TH_LOAD_LU ; 4-byte Folded Reload
	s_wait_loadcnt 0x0
	v_fma_mix_f32 v3, v7, v9, v6 op_sel:[0,1,0] op_sel_hi:[0,1,0]
	scratch_load_b32 v6, off, off offset:500 ; 4-byte Folded Reload
	v_fma_mix_f32 v4, v7, v35, v4 op_sel:[0,1,0] op_sel_hi:[0,1,0]
	s_wait_loadcnt 0x0
	s_delay_alu instid0(VALU_DEP_1)
	v_mul_f32_e32 v4, v4, v6
	scratch_load_b32 v6, off, off offset:484 ; 4-byte Folded Reload
	s_wait_loadcnt 0x0
	v_mul_f32_e32 v3, v3, v6
	scratch_load_b32 v6, off, off offset:480 ; 4-byte Folded Reload
	s_wait_loadcnt 0x0
	v_fma_f32 v2, v2, v6, -v3
	s_clause 0x1
	scratch_load_b32 v3, off, off offset:496
	scratch_load_b32 v6, off, off offset:1060 th:TH_LOAD_LU
	v_add_f32_e32 v167, v167, v2
	v_mul_i32_i24_e32 v2, v235, v182
	s_wait_loadcnt 0x1
	v_fma_f32 v1, v1, v3, -v4
	scratch_load_b32 v4, off, off offset:1056 th:TH_LOAD_LU ; 4-byte Folded Reload
	v_fma_mix_f32 v3, v8, v55, 0 op_sel_hi:[1,0,0]
	v_dual_mov_b32 v55, v89 :: v_dual_add_f32 v168, v168, v1
	v_mul_i32_i24_e32 v1, v218, v170
	s_delay_alu instid0(VALU_DEP_3) | instskip(SKIP_3) | instid1(VALU_DEP_1)
	v_fma_mix_f32 v3, v9, v58, v3 op_sel_hi:[1,0,0]
	v_mov_b32_e32 v58, v94
	s_wait_loadcnt 0x0
	v_fma_mix_f32 v4, v4, v8, 0 op_sel:[0,1,0] op_sel_hi:[0,1,0]
	v_fma_mix_f32 v4, v6, v9, v4 op_sel:[0,1,0] op_sel_hi:[0,1,0]
	scratch_load_b32 v6, off, off offset:1048 ; 4-byte Folded Reload
	s_wait_loadcnt 0x0
	v_mul_f32_e32 v4, v4, v6
	scratch_load_b32 v6, off, off offset:1040 ; 4-byte Folded Reload
	s_wait_loadcnt 0x0
	v_fma_f32 v3, v3, v6, -v4
	v_dual_mov_b32 v6, v8 :: v_dual_mov_b32 v7, v9
	v_mul_i32_i24_e32 v8, v231, v192
	v_mul_i32_i24_e32 v9, v225, v194
	s_delay_alu instid0(VALU_DEP_4) | instskip(NEXT) | instid1(VALU_DEP_4)
	v_add_f32_e32 v254, v100, v3
	v_fma_mix_f32 v4, v29, v6, 0 op_sel:[0,1,0] op_sel_hi:[0,1,0]
	v_fma_mix_f32 v3, v6, v64, 0 op_sel_hi:[1,0,0]
	v_mov_b32_e32 v64, v97
	v_mov_b32_e32 v100, v135
	s_delay_alu instid0(VALU_DEP_4) | instskip(NEXT) | instid1(VALU_DEP_4)
	v_fma_mix_f32 v4, v102, v7, v4 op_sel:[0,1,0] op_sel_hi:[0,1,0]
	v_fma_mix_f32 v3, v7, v60, v3 op_sel_hi:[1,0,0]
	v_mov_b32_e32 v60, v96
	s_delay_alu instid0(VALU_DEP_3) | instskip(NEXT) | instid1(VALU_DEP_1)
	v_mul_f32_e32 v4, v4, v165
	v_fma_f32 v3, v3, v38, -v4
	v_fma_mix_f32 v4, v6, v37, 0 op_sel:[1,0,0] op_sel_hi:[1,0,0]
	s_delay_alu instid0(VALU_DEP_2) | instskip(SKIP_3) | instid1(VALU_DEP_3)
	v_add_f32_e32 v143, v143, v3
	v_fma_mix_f32 v3, v6, v5, 0 op_sel_hi:[1,0,0]
	v_mul_i32_i24_e32 v5, v217, v188
	v_mul_i32_i24_e32 v6, v222, v189
	v_fma_mix_f32 v0, v7, v0, v3 op_sel_hi:[1,0,0]
	v_fma_mix_f32 v3, v7, v104, v4 op_sel:[1,0,0] op_sel_hi:[1,0,0]
	v_mul_i32_i24_e32 v4, v215, v187
	v_mul_i32_i24_e32 v7, v223, v191
	s_delay_alu instid0(VALU_DEP_3) | instskip(NEXT) | instid1(VALU_DEP_1)
	v_mul_f32_e32 v3, v3, v49
	v_fma_f32 v0, v0, v52, -v3
	v_mul_i32_i24_e32 v3, v213, v186
	s_delay_alu instid0(VALU_DEP_2)
	v_add_f32_e32 v228, v109, v0
	scratch_load_b32 v0, off, off offset:1352 th:TH_LOAD_LU ; 4-byte Folded Reload
	v_mov_b32_e32 v109, v144
	s_wait_loadcnt 0x0
	v_add_f32_e32 v51, v51, v0
	scratch_load_b32 v0, off, off offset:1348 th:TH_LOAD_LU ; 4-byte Folded Reload
	s_wait_loadcnt 0x0
	v_add_f32_e32 v50, v50, v0
	v_mul_i32_i24_e32 v0, v123, v169
	s_delay_alu instid0(VALU_DEP_1) | instskip(NEXT) | instid1(VALU_DEP_1)
	v_mad_i32_i24 v0, v230, v173, v0
	v_add3_u32 v0, v0, v1, v2
	v_mul_i32_i24_e32 v1, v207, v184
	v_mul_i32_i24_e32 v2, v211, v185
	s_delay_alu instid0(VALU_DEP_1) | instskip(SKIP_3) | instid1(VALU_DEP_4)
	v_add3_u32 v0, v0, v1, v2
	v_mul_i32_i24_e32 v2, v199, v163
	v_fma_mix_f32 v1, v29, v34, 0 op_sel:[0,1,0] op_sel_hi:[0,1,0]
	v_mul_i32_i24_e32 v29, v132, v140
	v_add3_u32 v0, v0, v3, v4
	v_mul_i32_i24_e32 v3, v205, v164
	v_mul_i32_i24_e32 v4, v206, v166
	v_mad_i32_i24 v2, v190, v147, v2
	v_fma_mix_f32 v1, v102, v35, v1 op_sel:[0,1,0] op_sel_hi:[0,1,0]
	v_add3_u32 v0, v0, v5, v6
	v_mul_i32_i24_e32 v5, v96, v174
	v_mul_i32_i24_e32 v6, v97, v176
	v_add3_u32 v2, v2, v3, v4
	v_mul_i32_i24_e32 v3, v59, v172
	v_mul_i32_i24_e32 v4, v88, v175
	;; [unrolled: 3-line block ×3, first 2 shown]
	v_mul_f32_e32 v1, v1, v165
	v_add3_u32 v2, v2, v3, v4
	v_add3_u32 v0, v0, v9, v10
	v_mul_i32_i24_e32 v9, v103, v178
	v_mul_i32_i24_e32 v10, v112, v180
	v_mul_i32_i24_e32 v3, v213, v74
	v_add3_u32 v2, v2, v5, v6
	v_add3_u32 v0, v0, v11, v12
	v_mul_i32_i24_e32 v11, v113, v181
	v_mul_i32_i24_e32 v12, v89, v44
	v_mul_i32_i24_e32 v4, v215, v75
	;; [unrolled: 5-line block ×10, first 2 shown]
	v_add3_u32 v2, v2, v23, v24
	v_mul_lo_u32 v0, v0, v48
	v_mul_i32_i24_e32 v13, v208, v84
	v_mul_i32_i24_e32 v14, v212, v85
	;; [unrolled: 1-line block ×3, first 2 shown]
	v_add3_u32 v2, v2, v25, v26
	v_mul_i32_i24_e32 v16, v210, v87
	v_mul_i32_i24_e32 v17, v214, v92
	;; [unrolled: 1-line block ×3, first 2 shown]
	v_cvt_f32_i32_e32 v0, v0
	v_add3_u32 v2, v2, v27, v28
	v_mul_i32_i24_e32 v19, v224, v105
	v_mul_i32_i24_e32 v20, v234, v111
	;; [unrolled: 1-line block ×3, first 2 shown]
	v_fma_mix_f32 v0, v34, v0, 0 op_sel_hi:[1,0,0]
	v_add3_u32 v2, v2, v29, v30
	v_mul_i32_i24_e32 v22, v237, v114
	v_mul_i32_i24_e32 v23, v240, v150
	;; [unrolled: 1-line block ×4, first 2 shown]
	v_mul_lo_u32 v2, v2, v148
	v_mul_i32_i24_e32 v26, v121, v155
	v_mul_i32_i24_e32 v27, v139, v156
	;; [unrolled: 1-line block ×3, first 2 shown]
	v_mov_b32_e32 v88, v98
	v_mul_i32_i24_e32 v29, v31, v61
	v_mul_i32_i24_e32 v30, v54, v62
	v_mov_b32_e32 v96, v99
	v_cvt_f32_i32_e32 v2, v2
	v_dual_mov_b32 v97, v103 :: v_dual_mov_b32 v98, v112
	v_mov_b32_e32 v99, v113
	v_mov_b32_e32 v59, v95
	s_delay_alu instid0(VALU_DEP_4) | instskip(SKIP_3) | instid1(VALU_DEP_4)
	v_fma_mix_f32 v0, v35, v2, v0 op_sel_hi:[1,0,0]
	v_mul_i32_i24_e32 v2, v235, v162
	v_dual_mov_b32 v89, v119 :: v_dual_mov_b32 v90, v124
	v_mov_b32_e32 v91, v125
	v_fma_f32 v0, v0, v38, -v1
	v_mul_i32_i24_e32 v1, v218, v161
	v_dual_mov_b32 v94, v127 :: v_dual_mov_b32 v95, v129
	s_delay_alu instid0(VALU_DEP_3)
	v_dual_mov_b32 v103, v136 :: v_dual_add_f32 v118, v118, v0
	v_mul_i32_i24_e32 v0, v123, v160
	v_dual_mov_b32 v112, v146 :: v_dual_mov_b32 v113, v131
	v_mov_b32_e32 v116, v157
	scratch_load_b32 v44, off, off offset:612 th:TH_LOAD_LU ; 4-byte Folded Reload
	v_mad_i32_i24 v0, v230, v71, v0
	s_delay_alu instid0(VALU_DEP_1) | instskip(SKIP_2) | instid1(VALU_DEP_1)
	v_add3_u32 v0, v0, v1, v2
	v_mul_i32_i24_e32 v1, v207, v72
	v_mul_i32_i24_e32 v2, v211, v73
	v_add3_u32 v0, v0, v1, v2
	v_mul_i32_i24_e32 v2, v199, v68
	s_delay_alu instid0(VALU_DEP_2) | instskip(SKIP_2) | instid1(VALU_DEP_4)
	v_add3_u32 v0, v0, v3, v4
	v_mul_i32_i24_e32 v3, v205, v69
	v_mul_i32_i24_e32 v4, v206, v70
	v_mad_i32_i24 v2, v190, v67, v2
	s_delay_alu instid0(VALU_DEP_4) | instskip(SKIP_1) | instid1(VALU_DEP_2)
	v_add3_u32 v0, v0, v5, v6
	v_mul_i32_i24_e32 v5, v113, v252
	v_add3_u32 v0, v0, v7, v8
	v_mul_i32_i24_e32 v8, v103, v251
	v_mul_i32_i24_e32 v7, v110, v128
	s_delay_alu instid0(VALU_DEP_3) | instskip(SKIP_1) | instid1(VALU_DEP_2)
	v_add3_u32 v0, v0, v9, v10
	v_mul_i32_i24_e32 v10, v95, v242
	v_add3_u32 v0, v0, v11, v12
	v_mul_i32_i24_e32 v12, v91, v216
	v_mul_i32_i24_e32 v11, v100, v249
	s_delay_alu instid0(VALU_DEP_3) | instskip(SKIP_2) | instid1(VALU_DEP_3)
	v_add3_u32 v0, v0, v13, v14
	v_mul_i32_i24_e32 v14, v89, v130
	v_mul_i32_i24_e32 v13, v94, v248
	v_add3_u32 v0, v0, v15, v16
	v_mul_i32_i24_e32 v16, v58, v133
	v_mul_i32_i24_e32 v15, v90, v153
	s_delay_alu instid0(VALU_DEP_3) | instskip(SKIP_2) | instid1(VALU_DEP_3)
	v_add3_u32 v0, v0, v17, v18
	v_mul_i32_i24_e32 v18, v56, v32
	;; [unrolled: 7-line block ×3, first 2 shown]
	v_mul_i32_i24_e32 v21, v55, v33
	v_add3_u32 v0, v0, v23, v24
	v_mul_i32_i24_e32 v23, v98, v65
	s_delay_alu instid0(VALU_DEP_2) | instskip(SKIP_2) | instid1(VALU_DEP_3)
	v_add3_u32 v0, v0, v25, v26
	v_mul_i32_i24_e32 v26, v60, v134
	v_mul_i32_i24_e32 v25, v96, v63
	v_add3_u32 v0, v0, v27, v28
	v_add3_u32 v28, v2, v3, v4
	s_clause 0x1
	scratch_load_b32 v2, off, off offset:60 th:TH_LOAD_LU
	scratch_load_b32 v3, off, off offset:228 th:TH_LOAD_LU
	v_mul_i32_i24_e32 v27, v64, v154
	v_mul_i32_i24_e32 v4, v112, v120
	v_add3_u32 v28, v28, v29, v30
	v_mul_lo_u32 v0, v0, v137
	s_delay_alu instid0(VALU_DEP_2) | instskip(NEXT) | instid1(VALU_DEP_2)
	v_add3_u32 v26, v28, v26, v27
	v_cvt_f32_i32_e32 v0, v0
	s_delay_alu instid0(VALU_DEP_1) | instskip(SKIP_1) | instid1(VALU_DEP_1)
	v_fma_mix_f32 v1, v34, v0, 0 op_sel_hi:[1,0,0]
	v_fma_mix_f32 v0, v34, v37, 0 op_sel:[1,0,0] op_sel_hi:[1,0,0]
	v_fma_mix_f32 v0, v35, v104, v0 op_sel:[1,0,0] op_sel_hi:[1,0,0]
	s_delay_alu instid0(VALU_DEP_1)
	v_mul_f32_e32 v0, v0, v49
	s_wait_loadcnt 0x1
	v_mul_i32_i24_e32 v24, v88, v2
	scratch_load_b32 v2, off, off offset:56 th:TH_LOAD_LU ; 4-byte Folded Reload
	s_wait_loadcnt 0x1
	v_mul_i32_i24_e32 v3, v116, v3
	v_add3_u32 v24, v26, v24, v25
	s_delay_alu instid0(VALU_DEP_1) | instskip(NEXT) | instid1(VALU_DEP_1)
	v_add3_u32 v22, v24, v22, v23
	v_add3_u32 v20, v22, v20, v21
	s_delay_alu instid0(VALU_DEP_1) | instskip(NEXT) | instid1(VALU_DEP_1)
	v_add3_u32 v18, v20, v18, v19
	;; [unrolled: 3-line block ×3, first 2 shown]
	v_add3_u32 v12, v14, v12, v13
	s_delay_alu instid0(VALU_DEP_1)
	v_add3_u32 v10, v12, v10, v11
	s_wait_loadcnt 0x0
	v_mul_i32_i24_e32 v9, v108, v2
	scratch_load_b32 v2, off, off offset:52 th:TH_LOAD_LU ; 4-byte Folded Reload
	v_add3_u32 v8, v10, v8, v9
	s_wait_loadcnt 0x0
	v_mul_i32_i24_e32 v6, v109, v2
	scratch_load_b32 v2, off, off offset:220 th:TH_LOAD_LU ; 4-byte Folded Reload
	v_add3_u32 v6, v8, v6, v7
	s_delay_alu instid0(VALU_DEP_1) | instskip(SKIP_2) | instid1(VALU_DEP_1)
	v_add3_u32 v4, v6, v4, v5
	s_wait_loadcnt 0x0
	v_mul_i32_i24_e32 v2, v115, v2
	v_add3_u32 v2, v4, v2, v3
	scratch_load_b32 v3, off, off offset:248 th:TH_LOAD_LU ; 4-byte Folded Reload
	s_wait_loadcnt 0x0
	v_mul_lo_u32 v2, v2, v3
	s_delay_alu instid0(VALU_DEP_1) | instskip(NEXT) | instid1(VALU_DEP_1)
	v_cvt_f32_i32_e32 v2, v2
	v_fma_mix_f32 v1, v35, v2, v1 op_sel_hi:[1,0,0]
	s_delay_alu instid0(VALU_DEP_1) | instskip(NEXT) | instid1(VALU_DEP_1)
	v_fma_f32 v0, v1, v52, -v0
	v_add_f32_e32 v44, v44, v0
	s_cbranch_vccnz .LBB152_6
; %bb.7:                                ;   in Loop: Header=BB152_5 Depth=1
	s_wait_storecnt 0x0
	s_barrier_signal -1
	s_barrier_wait -1
	scratch_load_b32 v0, off, off offset:1784 ; 4-byte Folded Reload
	s_wait_loadcnt 0x0
	global_inv scope:SCOPE_SE
	s_clause 0x4
	scratch_load_b32 v1, off, off offset:1788
	scratch_load_b64 v[17:18], off, off offset:1832
	scratch_load_b32 v5, off, off offset:1796
	scratch_load_b32 v12, off, off offset:1804
	;; [unrolled: 1-line block ×3, first 2 shown]
	v_add_nc_u32_e32 v10, s4, v158
	s_mov_b32 s4, 16
	s_clause 0x1
	scratch_load_b32 v7, off, off offset:1800
	scratch_load_b32 v9, off, off offset:1812
	v_add_nc_u32_e32 v0, v10, v0
	s_wait_loadcnt 0x4
	v_add_nc_u32_e32 v6, v10, v5
	s_wait_loadcnt 0x3
	;; [unrolled: 2-line block ×3, first 2 shown]
	v_add_nc_u32_e32 v14, v10, v13
	scratch_load_b32 v13, off, off offset:1688 th:TH_LOAD_LU ; 4-byte Folded Reload
	v_add_nc_u32_e32 v2, v10, v1
	scratch_load_b32 v1, off, off offset:1792 ; 4-byte Folded Reload
	s_wait_loadcnt 0x2
	v_add_nc_u32_e32 v11, v10, v9
	v_add_nc_u32_e32 v8, v10, v7
	v_mad_co_i64_i32 v[6:7], null, v6, 36, v[17:18]
	v_mad_co_i64_i32 v[2:3], null, v2, 36, v[17:18]
	;; [unrolled: 1-line block ×3, first 2 shown]
	s_delay_alu instid0(VALU_DEP_4)
	v_mad_co_i64_i32 v[8:9], null, v8, 36, v[17:18]
	s_wait_loadcnt 0x1
	v_add_nc_u32_e32 v16, 4, v13
	v_mad_co_i64_i32 v[12:13], null, v12, 36, v[17:18]
	s_wait_loadcnt 0x0
	v_add_nc_u32_e32 v4, v10, v1
	v_mad_co_i64_i32 v[10:11], null, v11, 36, v[17:18]
	v_mad_co_i64_i32 v[0:1], null, v0, 36, v[17:18]
	s_delay_alu instid0(VALU_DEP_3)
	v_mad_co_i64_i32 v[4:5], null, v4, 36, v[17:18]
	v_mad_co_u64_u32 v[16:17], null, v16, 36, s[2:3]
	s_clause 0x8
	global_load_b32 v10, v[10:11], off offset:4
	global_load_b32 v0, v[0:1], off offset:4
	;; [unrolled: 1-line block ×8, first 2 shown]
	global_load_b32 v7, v[16:17], off
	scratch_load_b32 v8, off, off offset:1868 ; 4-byte Folded Reload
	s_wait_loadcnt 0x0
	ds_store_b32 v8, v10
	scratch_load_b32 v8, off, off offset:1840 ; 4-byte Folded Reload
	s_wait_loadcnt 0x0
	ds_store_b32 v8, v0
	;; [unrolled: 3-line block ×9, first 2 shown]
	s_wait_dscnt 0x0
	s_barrier_signal -1
	s_barrier_wait -1
	global_inv scope:SCOPE_SE
	s_clause 0x3
	scratch_load_b32 v0, off, off offset:1816
	scratch_load_b32 v1, off, off offset:1820
	;; [unrolled: 1-line block ×4, first 2 shown]
	s_wait_loadcnt 0x3
	ds_load_b32 v0, v0
	s_wait_loadcnt 0x2
	ds_load_b32 v1, v1 offset:128
	s_wait_loadcnt 0x1
	ds_load_b32 v2, v2 offset:256
	;; [unrolled: 2-line block ×3, first 2 shown]
	s_wait_dscnt 0x3
	v_cvt_f32_f16_e32 v6, v0
	s_wait_dscnt 0x2
	v_lshrrev_b32_e32 v4, 16, v1
	v_cvt_f32_f16_e32 v1, v1
	s_wait_dscnt 0x1
	v_lshrrev_b32_e32 v5, 16, v2
	v_lshrrev_b32_e32 v0, 16, v0
	scratch_store_b32 off, v1, off offset:916 ; 4-byte Folded Spill
	v_cvt_f32_f16_e32 v1, v2
	v_cvt_f32_f16_e32 v2, v4
	;; [unrolled: 1-line block ×3, first 2 shown]
	scratch_store_b32 off, v2, off offset:924 ; 4-byte Folded Spill
	v_cvt_f32_f16_e32 v2, v5
	scratch_store_b32 off, v2, off offset:928 ; 4-byte Folded Spill
	s_wait_dscnt 0x0
	v_cvt_f32_f16_e32 v2, v3
	scratch_store_b32 off, v1, off offset:920 ; 4-byte Folded Spill
	v_lshrrev_b32_e32 v1, 16, v3
	scratch_store_b32 off, v2, off offset:424 ; 4-byte Folded Spill
	v_cvt_f32_f16_e32 v1, v1
	s_clause 0x4
	scratch_store_b32 off, v1, off offset:428
	scratch_store_b32 off, v6, off offset:416
	;; [unrolled: 1-line block ×5, first 2 shown]
.LBB152_8:                              ;   Parent Loop BB152_5 Depth=1
                                        ; =>  This Inner Loop Header: Depth=2
	s_clause 0x6
	scratch_store_b64 off, v[167:168], off offset:628
	scratch_store_b64 off, v[50:51], off offset:620
	scratch_store_b32 off, v228, off offset:616
	scratch_store_b32 off, v44, off offset:612
	;; [unrolled: 1-line block ×5, first 2 shown]
	scratch_load_b32 v0, off, off offset:1268 ; 4-byte Folded Reload
	s_wait_alu 0xfffe
	s_lshr_b32 s5, s4, 2
	s_lshl_b32 s12, s4, 2
	s_wait_alu 0xfffe
	s_and_b32 s7, s5, 0x3ffffffe
	s_lshl_b32 s5, s4, 1
	s_wait_alu 0xfffe
	s_addk_co_i32 s7, 0x6200
	s_and_b32 s5, s5, 16
	s_wait_loadcnt 0x0
	s_wait_alu 0xfffe
	v_or_b32_e32 v0, s5, v0
	s_delay_alu instid0(VALU_DEP_1)
	v_lshlrev_b32_e32 v15, 2, v0
	v_lshrrev_b32_e32 v209, 1, v0
	s_clause 0x1
	scratch_load_b32 v0, off, off offset:1328
	scratch_load_b32 v1, off, off offset:1332
	s_wait_loadcnt 0x0
	v_add3_u32 v8, s7, v0, v1
	scratch_load_b32 v0, off, off offset:1300 ; 4-byte Folded Reload
	s_wait_loadcnt 0x0
	v_add_nc_u32_e32 v6, s12, v0
	ds_load_2addr_b32 v[0:1], v6 offset1:1
	s_wait_dscnt 0x0
	v_bfe_u32 v30, v0, 16, 4
	v_bfe_u32 v28, v0, 8, 4
	;; [unrolled: 1-line block ×3, first 2 shown]
	v_and_b32_e32 v27, 15, v0
	v_bfe_u32 v91, v0, 20, 4
	v_mov_b32_e32 v187, v30
	ds_load_2addr_b32 v[2:3], v6 offset0:2 offset1:3
	ds_load_2addr_b32 v[4:5], v6 offset0:4 offset1:5
	;; [unrolled: 1-line block ×3, first 2 shown]
	ds_load_u16 v9, v8
	ds_load_u16 v8, v8 offset:8
	v_bfe_u32 v250, v0, 4, 4
	v_bfe_u32 v169, v0, 12, 4
	v_lshrrev_b32_e32 v118, 28, v0
	v_bfe_u32 v34, v1, 16, 4
	v_bfe_u32 v33, v1, 8, 4
	;; [unrolled: 1-line block ×3, first 2 shown]
	v_and_b32_e32 v31, 15, v1
	v_bfe_u32 v82, v1, 20, 4
	v_bfe_u32 v99, v1, 4, 4
	;; [unrolled: 1-line block ×3, first 2 shown]
	v_lshrrev_b32_e32 v95, 28, v1
	v_mov_b32_e32 v194, v35
	v_mov_b32_e32 v190, v31
	;; [unrolled: 1-line block ×3, first 2 shown]
	v_dual_mov_b32 v186, v27 :: v_dual_mov_b32 v179, v28
	s_wait_dscnt 0x4
	v_and_b32_e32 v17, 15, v2
	s_wait_dscnt 0x3
	v_bfe_u32 v52, v4, 8, 4
	s_wait_dscnt 0x2
	v_bfe_u32 v78, v6, 8, 4
	s_wait_dscnt 0x1
	v_lshrrev_b16 v10, 8, v9
	v_and_b32_e32 v233, 0xff, v9
	s_wait_dscnt 0x0
	v_cvt_f32_ubyte0_e32 v9, v8
	v_bfe_u32 v0, v7, 20, 4
	v_mov_b32_e32 v193, v34
	v_mov_b32_e32 v163, v52
	v_bfe_u32 v39, v2, 8, 4
	s_clause 0x1
	scratch_store_b32 off, v9, off offset:340
	scratch_store_b32 off, v0, off offset:336
	v_lshrrev_b32_e32 v0, 28, v7
	v_bfe_u32 v41, v2, 16, 4
	v_bfe_u32 v176, v2, 24, 4
	v_bfe_u32 v45, v3, 8, 4
	v_bfe_u32 v174, v3, 16, 4
	scratch_store_b32 off, v0, off offset:344 ; 4-byte Folded Spill
	v_and_b32_e32 v0, 0xffff, v10
	v_bfe_u32 v47, v3, 24, 4
	v_and_b32_e32 v173, 15, v3
	v_bfe_u32 v172, v4, 16, 4
	v_bfe_u32 v54, v4, 24, 4
	scratch_store_b32 off, v0, off offset:260 ; 4-byte Folded Spill
	v_cvt_f32_ubyte1_e32 v0, v8
	v_and_b32_e32 v56, 15, v5
	v_and_b32_e32 v175, 15, v4
	v_bfe_u32 v72, v5, 8, 4
	v_bfe_u32 v73, v5, 16, 4
	scratch_store_b32 off, v0, off offset:256 ; 4-byte Folded Spill
	s_clause 0x1
	scratch_load_b32 v0, off, off offset:1336
	scratch_load_b32 v1, off, off offset:1304
	v_bfe_u32 v74, v5, 24, 4
	v_and_b32_e32 v77, 15, v6
	v_bfe_u32 v75, v6, 16, 4
	v_bfe_u32 v76, v6, 24, 4
	v_dual_mov_b32 v191, v33 :: v_dual_and_b32 v80, 15, v7
	v_bfe_u32 v81, v7, 8, 4
	v_bfe_u32 v84, v7, 16, 4
	;; [unrolled: 1-line block ×6, first 2 shown]
	v_lshrrev_b32_e32 v92, 28, v2
	v_bfe_u32 v87, v3, 20, 4
	v_bfe_u32 v104, v3, 4, 4
	v_bfe_u32 v108, v3, 12, 4
	v_lshrrev_b32_e32 v93, 28, v3
	v_bfe_u32 v88, v4, 20, 4
	v_bfe_u32 v109, v4, 4, 4
	v_bfe_u32 v183, v4, 12, 4
	;; [unrolled: 4-line block ×4, first 2 shown]
	v_lshrrev_b32_e32 v144, 28, v6
	v_bfe_u32 v218, v7, 4, 4
	v_bfe_u32 v223, v7, 12, 4
	v_mov_b32_e32 v160, v47
	v_mov_b32_e32 v162, v56
	v_dual_mov_b32 v248, v74 :: v_dual_mov_b32 v113, v89
	v_mov_b32_e32 v195, v17
	v_mov_b32_e32 v197, v39
	v_dual_mov_b32 v199, v41 :: v_dual_mov_b32 v216, v76
	v_mov_b32_e32 v166, v81
	v_mov_b32_e32 v240, v99
	;; [unrolled: 1-line block ×11, first 2 shown]
	s_wait_loadcnt 0x0
	v_add3_u32 v0, s7, v0, v1
	scratch_store_b32 off, v0, off offset:836 ; 4-byte Folded Spill
	scratch_load_b32 v0, off, off offset:1308 ; 4-byte Folded Reload
	s_wait_loadcnt 0x0
	v_add_nc_u32_e32 v16, s12, v0
	ds_load_2addr_b32 v[8:9], v16 offset1:1
	s_wait_dscnt 0x0
	v_and_b32_e32 v0, 0xf0f0f0f, v8
	v_and_b32_e32 v112, 15, v8
	v_bfe_u32 v198, v8, 24, 4
	v_bfe_u32 v196, v8, 16, 4
	v_lshrrev_b32_e32 v184, 28, v8
	v_lshrrev_b16 v24, 8, v0
	ds_load_b128 v[10:13], v15 offset:16896
	ds_load_b128 v[18:21], v15 offset:16912
	;; [unrolled: 1-line block ×4, first 2 shown]
	ds_load_i8 v14, v15 offset:16959
	v_bfe_u32 v182, v8, 20, 4
	v_bfe_u32 v180, v8, 4, 4
	;; [unrolled: 1-line block ×4, first 2 shown]
	s_clause 0x5
	scratch_store_b32 off, v160, off offset:716
	scratch_store_b32 off, v166, off offset:1220
	;; [unrolled: 1-line block ×6, first 2 shown]
	s_wait_dscnt 0x4
	v_lshrrev_b16 v15, 8, v10
	v_bfe_i32 v26, v10, 0, 8
	v_lshrrev_b16 v29, 8, v11
	v_ashrrev_i32_e32 v23, 24, v10
	v_bfe_i32 v25, v10, 16, 8
	v_bfe_i32 v22, v15, 0, 8
	v_mul_i32_i24_e32 v10, v26, v27
	v_bfe_i32 v29, v29, 0, 8
	v_mul_i32_i24_e32 v27, v23, v36
	v_mul_i32_i24_e32 v15, v25, v30
	v_bfe_i32 v30, v11, 0, 8
	v_mad_i32_i24 v10, v22, v28, v10
	v_bfe_i32 v28, v11, 16, 8
	s_wait_dscnt 0x0
	scratch_store_b32 off, v14, off offset:1620 ; 4-byte Folded Spill
	v_lshrrev_b16 v32, 8, v12
	v_and_b32_e32 v14, 0xffff, v24
	v_add3_u32 v10, v10, v15, v27
	v_and_b32_e32 v15, 0xf0f0f0f, v9
	v_ashrrev_i32_e32 v27, 24, v11
	v_mul_i32_i24_e32 v11, v30, v31
	v_mul_i32_i24_e32 v31, v29, v33
	;; [unrolled: 1-line block ×3, first 2 shown]
	v_lshrrev_b16 v15, 8, v15
	v_mul_i32_i24_e32 v34, v27, v35
	scratch_store_b32 off, v14, off offset:912 ; 4-byte Folded Spill
	v_add3_u32 v10, v10, v31, v11
	v_mul_i32_i24_e32 v24, v14, v22
	v_bfe_u32 v14, v9, 24, 4
	v_and_b32_e32 v11, 0xffff, v15
	v_bfe_i32 v35, v12, 0, 8
	v_add3_u32 v36, v10, v33, v34
	v_bfe_u32 v10, v9, 16, 4
	v_bfe_i32 v34, v32, 0, 8
	scratch_store_b32 off, v14, off offset:272 ; 4-byte Folded Spill
	v_and_b32_e32 v15, 15, v9
	scratch_store_b32 off, v11, off offset:276 ; 4-byte Folded Spill
	v_mul_i32_i24_e32 v58, v11, v29
	v_mul_i32_i24_e32 v59, v10, v28
	v_mov_b32_e32 v189, v10
	ds_load_2addr_b32 v[10:11], v16 offset0:2 offset1:3
	v_ashrrev_i32_e32 v31, 24, v12
	v_bfe_i32 v33, v12, 16, 8
	v_mul_i32_i24_e32 v12, v35, v17
	v_mul_i32_i24_e32 v32, v34, v39
	v_lshrrev_b16 v38, 8, v13
	v_mul_i32_i24_e32 v39, v31, v176
	v_mul_i32_i24_e32 v37, v33, v41
	;; [unrolled: 1-line block ×3, first 2 shown]
	v_add3_u32 v12, v36, v32, v12
	v_bfe_i32 v38, v38, 0, 8
	v_ashrrev_i32_e32 v36, 24, v13
	v_mul_i32_i24_e32 v60, v14, v27
	v_bfe_i32 v43, v18, 0, 8
	v_add3_u32 v12, v12, v37, v39
	v_bfe_i32 v39, v13, 0, 8
	v_bfe_i32 v37, v13, 16, 8
	v_mul_i32_i24_e32 v40, v38, v45
	v_mul_i32_i24_e32 v42, v36, v47
	s_wait_dscnt 0x0
	v_dual_mov_b32 v159, v45 :: v_dual_and_b32 v214, 15, v11
	v_mul_i32_i24_e32 v13, v39, v173
	v_bfe_u32 v14, v10, 16, 4
	scratch_store_b32 off, v15, off offset:280 ; 4-byte Folded Spill
	v_and_b32_e32 v15, 0xf0f0f0f, v10
	v_mul_i32_i24_e32 v41, v37, v174
	v_add3_u32 v12, v12, v40, v13
	v_and_b32_e32 v17, 15, v10
	v_ashrrev_i32_e32 v40, 24, v18
	v_lshrrev_b16 v15, 8, v15
	v_lshrrev_b16 v46, 8, v19
	v_add3_u32 v44, v12, v41, v42
	ds_load_2addr_b32 v[12:13], v16 offset0:4 offset1:5
	v_lshrrev_b16 v42, 8, v18
	v_and_b32_e32 v15, 0xffff, v15
	scratch_store_b32 off, v14, off offset:284 ; 4-byte Folded Spill
	v_bfe_i32 v41, v18, 16, 8
	v_mul_i32_i24_e32 v18, v43, v175
	v_bfe_i32 v42, v42, 0, 8
	scratch_store_b32 off, v15, off offset:288 ; 4-byte Folded Spill
	v_mul_i32_i24_e32 v61, v15, v34
	v_and_b32_e32 v15, 0xf0f0f0f, v11
	v_mul_i32_i24_e32 v47, v41, v172
	v_mul_i32_i24_e32 v45, v42, v52
	;; [unrolled: 1-line block ×3, first 2 shown]
	v_bfe_i32 v46, v46, 0, 8
	v_lshrrev_b16 v15, 8, v15
	v_lshrrev_b16 v50, 8, v20
	v_add3_u32 v18, v44, v45, v18
	v_ashrrev_i32_e32 v44, 24, v19
	v_bfe_i32 v45, v19, 16, 8
	v_and_b32_e32 v103, 0xffff, v15
	s_wait_dscnt 0x0
	v_and_b32_e32 v15, 0xf0f0f0f, v12
	v_add3_u32 v18, v18, v47, v48
	v_bfe_i32 v47, v19, 0, 8
	v_mul_i32_i24_e32 v48, v46, v72
	v_mul_i32_i24_e32 v49, v45, v73
	v_lshrrev_b16 v15, 8, v15
	v_mul_i32_i24_e32 v51, v44, v74
	v_mul_i32_i24_e32 v19, v47, v56
	v_bfe_i32 v50, v50, 0, 8
	v_lshrrev_b16 v55, 8, v21
	v_and_b32_e32 v115, 0xffff, v15
	v_and_b32_e32 v15, 0xf0f0f0f, v13
	v_add3_u32 v18, v18, v48, v19
	v_mul_i32_i24_e32 v53, v50, v78
	v_bfe_u32 v215, v10, 24, 4
	v_bfe_u32 v105, v11, 24, 4
	v_lshrrev_b16 v15, 8, v15
	v_mov_b32_e32 v167, v54
	v_add3_u32 v18, v18, v49, v51
	v_bfe_i32 v51, v20, 0, 8
	v_bfe_i32 v49, v20, 16, 8
	v_and_b32_e32 v140, 0xffff, v15
	ds_load_2addr_b32 v[15:16], v16 offset0:6 offset1:7
	v_mov_b32_e32 v129, v73
	v_mov_b32_e32 v251, v75
	v_mul_i32_i24_e32 v56, v49, v75
	v_bfe_i32 v55, v55, 0, 8
	s_clause 0x2
	scratch_store_b32 off, v17, off offset:292
	scratch_store_b32 off, v215, off offset:296
	;; [unrolled: 1-line block ×3, first 2 shown]
	v_mul_i32_i24_e32 v32, v17, v35
	v_mul_i32_i24_e32 v63, v215, v31
	v_bfe_u32 v211, v11, 16, 4
	v_mul_i32_i24_e32 v64, v214, v39
	v_mul_i32_i24_e32 v67, v105, v36
	v_bfe_u32 v133, v12, 24, 4
	v_and_b32_e32 v106, 15, v12
	v_bfe_u32 v210, v13, 24, 4
	v_dual_mov_b32 v161, v72 :: v_dual_and_b32 v134, 15, v13
	v_mov_b32_e32 v253, v77
	v_ashrrev_i32_e32 v17, 24, v21
	s_wait_dscnt 0x0
	v_and_b32_e32 v48, 0xf0f0f0f, v15
	v_and_b32_e32 v208, 15, v15
	v_bfe_u32 v54, v16, 24, 4
	v_mad_i32_i24 v60, v198, v23, v60
	v_mad_i32_i24 v57, v112, v26, v57
	v_lshrrev_b16 v52, 8, v48
	v_ashrrev_i32_e32 v48, 24, v20
	v_mul_i32_i24_e32 v20, v51, v77
	v_mul_i32_i24_e32 v62, v14, v33
	;; [unrolled: 1-line block ×3, first 2 shown]
	v_and_b32_e32 v207, 0xffff, v52
	v_mul_i32_i24_e32 v75, v48, v76
	v_add3_u32 v18, v18, v53, v20
	v_and_b32_e32 v20, 0xf0f0f0f, v16
	v_bfe_i32 v53, v21, 16, 8
	v_mov_b32_e32 v52, v80
	v_mul_i32_i24_e32 v66, v211, v37
	v_add3_u32 v18, v18, v56, v75
	v_bfe_i32 v56, v21, 0, 8
	v_lshrrev_b16 v79, 8, v20
	v_bfe_u32 v128, v12, 16, 4
	v_mul_i32_i24_e32 v68, v106, v43
	v_mul_i32_i24_e32 v69, v115, v42
	;; [unrolled: 1-line block ×4, first 2 shown]
	v_bfe_u32 v81, v16, 16, 4
	v_mul_i32_i24_e32 v71, v133, v40
	v_bfe_u32 v141, v13, 16, 4
	v_mul_i32_i24_e32 v19, v134, v47
	v_mul_i32_i24_e32 v74, v210, v44
	v_bfe_u32 v204, v15, 24, 4
	scratch_store_b32 off, v134, off offset:108 ; 4-byte Folded Spill
	v_bfe_u32 v205, v15, 16, 4
	s_clause 0x5
	scratch_store_b32 off, v208, off offset:124
	scratch_store_b32 off, v207, off offset:120
	;; [unrolled: 1-line block ×6, first 2 shown]
	v_dual_mov_b32 v165, v84 :: v_dual_and_b32 v192, 0xffff, v79
	v_add3_u32 v21, v18, v80, v21
	s_clause 0x1
	scratch_store_b32 off, v81, off offset:128
	scratch_store_b32 off, v205, off offset:116
	v_mul_i32_i24_e32 v80, v81, v53
	v_mul_i32_i24_e32 v81, v54, v17
	v_mad_i32_i24 v59, v196, v25, v59
	v_add3_u32 v24, v24, v58, v61
	v_add3_u32 v32, v57, v32, v64
	v_add3_u32 v57, v60, v63, v67
	v_ashrrev_i32_e32 v54, 24, v4
	v_and_b32_e32 v18, 15, v16
	v_mul_i32_i24_e32 v70, v128, v41
	v_mul_i32_i24_e32 v72, v140, v46
	;; [unrolled: 1-line block ×3, first 2 shown]
	v_mov_b32_e32 v14, v78
	v_mul_i32_i24_e32 v75, v208, v51
	v_mul_i32_i24_e32 v76, v207, v50
	;; [unrolled: 1-line block ×3, first 2 shown]
	v_add3_u32 v58, v59, v62, v66
	v_add3_u32 v24, v24, v65, v69
	v_add3_u32 v57, v57, v71, v74
	v_add3_u32 v19, v32, v68, v19
	v_mov_b32_e32 v85, v54
	s_clause 0x1
	scratch_store_b32 off, v18, off offset:136
	scratch_store_b32 off, v192, off offset:132
	v_mul_i32_i24_e32 v18, v18, v56
	v_mul_i32_i24_e32 v77, v205, v49
	;; [unrolled: 1-line block ×3, first 2 shown]
	v_add3_u32 v32, v58, v70, v73
	v_add3_u32 v24, v24, v72, v76
	;; [unrolled: 1-line block ×4, first 2 shown]
	v_mul_i32_i24_e32 v20, v53, v84
	v_add3_u32 v32, v32, v77, v80
	v_mul_i32_i24_e32 v60, v54, v118
	v_bfe_i32 v63, v5, 0, 8
	v_add3_u32 v19, v24, v79, v19
	v_lshrrev_b16 v24, 8, v4
	v_bfe_i32 v61, v5, 16, 8
	v_lshrrev_b32_e32 v54, 28, v9
	scratch_store_b32 off, v159, off offset:1224 ; 4-byte Folded Spill
	v_add3_u32 v18, v18, v32, v19
	v_lshrrev_b32_e32 v19, 4, v8
	v_bfe_i32 v59, v24, 0, 8
	v_bfe_i32 v24, v4, 0, 8
	v_lshrrev_b16 v32, 8, v5
	scratch_store_b32 off, v18, off offset:932 ; 4-byte Folded Spill
	v_lshrrev_b16 v19, 8, v19
	v_bfe_i32 v18, v4, 16, 8
	v_mul_i32_i24_e32 v4, v24, v250
	v_lshrrev_b32_e32 v8, 4, v9
	s_delay_alu instid0(VALU_DEP_4) | instskip(NEXT) | instid1(VALU_DEP_4)
	v_dual_mov_b32 v84, v24 :: v_dual_and_b32 v19, 15, v19
	v_mul_i32_i24_e32 v24, v18, v91
	s_delay_alu instid0(VALU_DEP_4) | instskip(NEXT) | instid1(VALU_DEP_4)
	v_mad_i32_i24 v4, v59, v169, v4
	v_lshrrev_b16 v8, 8, v8
	v_bfe_i32 v62, v32, 0, 8
	v_mov_b32_e32 v79, v18
	v_and_b32_e32 v181, 0xffff, v19
	v_add3_u32 v4, v4, v24, v60
	v_and_b32_e32 v8, 15, v8
	v_ashrrev_i32_e32 v60, 24, v5
	v_mul_i32_i24_e32 v5, v63, v99
	v_mul_i32_i24_e32 v19, v62, v100
	;; [unrolled: 1-line block ×5, first 2 shown]
	v_and_b32_e32 v177, 0xffff, v8
	v_add3_u32 v4, v4, v5, v19
	s_clause 0xb
	scratch_store_b32 off, v214, off offset:312
	scratch_store_b32 off, v103, off offset:308
	;; [unrolled: 1-line block ×12, first 2 shown]
	v_add3_u32 v4, v4, v24, v32
	v_mul_i32_i24_e32 v8, v156, v61
	v_mul_i32_i24_e32 v5, v54, v60
	v_mov_b32_e32 v24, v85
	v_mul_i32_i24_e32 v9, v177, v62
	v_mov_b32_e32 v126, v129
	s_clause 0x2
	scratch_store_b32 off, v161, off offset:724
	scratch_store_b32 off, v18, off offset:1232
	;; [unrolled: 1-line block ×3, first 2 shown]
	v_mul_i32_i24_e32 v18, v178, v63
	v_lshrrev_b16 v57, 8, v6
	s_clause 0x7
	scratch_store_b32 off, v54, off offset:160
	scratch_store_b32 off, v18, off offset:1240
	;; [unrolled: 1-line block ×8, first 2 shown]
	v_lshrrev_b32_e32 v5, 4, v10
	v_bfe_i32 v57, v57, 0, 8
	v_bfe_i32 v66, v6, 0, 8
	v_ashrrev_i32_e32 v64, 24, v6
	v_bfe_i32 v65, v6, 16, 8
	v_lshrrev_b16 v5, 8, v5
	v_mul_i32_i24_e32 v8, v57, v102
	v_mul_i32_i24_e32 v6, v66, v101
	;; [unrolled: 1-line block ×4, first 2 shown]
	v_dual_mov_b32 v254, v14 :: v_dual_and_b32 v5, 15, v5
	v_mov_b32_e32 v227, v118
	v_add3_u32 v4, v4, v6, v8
	v_bfe_u32 v155, v10, 20, 4
	s_delay_alu instid0(VALU_DEP_4)
	v_and_b32_e32 v152, 0xffff, v5
	v_bfe_u32 v153, v10, 4, 4
	v_lshrrev_b32_e32 v154, 28, v10
	v_add3_u32 v4, v4, v9, v19
	v_mul_i32_i24_e32 v5, v155, v65
	v_mul_i32_i24_e32 v8, v152, v57
	;; [unrolled: 1-line block ×3, first 2 shown]
	s_clause 0x5
	scratch_store_b32 off, v9, off offset:1260
	scratch_store_b32 off, v153, off offset:188
	;; [unrolled: 1-line block ×6, first 2 shown]
	v_mul_i32_i24_e32 v5, v154, v64
	v_lshrrev_b16 v58, 8, v7
	s_clause 0x1
	scratch_store_b32 off, v5, off offset:1352
	scratch_store_b32 off, v154, off offset:176
	v_lshrrev_b32_e32 v5, 4, v11
	v_bfe_i32 v58, v58, 0, 8
	v_bfe_i32 v69, v7, 0, 8
	v_ashrrev_i32_e32 v67, 24, v7
	v_bfe_i32 v68, v7, 16, 8
	v_lshrrev_b16 v5, 8, v5
	v_mul_i32_i24_e32 v7, v58, v108
	v_mul_i32_i24_e32 v6, v69, v104
	v_mul_i32_i24_e32 v9, v67, v93
	v_mul_i32_i24_e32 v8, v68, v87
	v_and_b32_e32 v5, 15, v5
	v_bfe_u32 v149, v11, 20, 4
	v_add3_u32 v4, v4, v6, v7
	v_bfe_u32 v146, v11, 4, 4
	v_lshrrev_b32_e32 v147, 28, v11
	v_and_b32_e32 v145, 0xffff, v5
	v_mul_i32_i24_e32 v5, v149, v68
	v_add3_u32 v4, v4, v8, v9
	v_mul_i32_i24_e32 v8, v146, v69
	scratch_store_b32 off, v164, off offset:672 ; 4-byte Folded Spill
	v_mul_i32_i24_e32 v7, v145, v58
	s_clause 0x5
	scratch_store_b32 off, v8, off offset:1368
	scratch_store_b32 off, v146, off offset:204
	;; [unrolled: 1-line block ×6, first 2 shown]
	v_mul_i32_i24_e32 v5, v147, v67
	s_clause 0x1
	scratch_store_b32 off, v5, off offset:1372
	scratch_store_b32 off, v147, off offset:192
	v_lshrrev_b32_e32 v5, 4, v12
	v_lshrrev_b16 v6, 8, v0
	v_bfe_i32 v73, v0, 0, 8
	v_ashrrev_i32_e32 v70, 24, v0
	v_bfe_i32 v71, v0, 16, 8
	v_lshrrev_b16 v5, 8, v5
	v_bfe_i32 v72, v6, 0, 8
	v_mul_i32_i24_e32 v0, v73, v109
	v_mov_b32_e32 v102, v92
	v_lshrrev_b32_e32 v185, 28, v12
	v_and_b32_e32 v5, 15, v5
	v_mul_i32_i24_e32 v6, v72, v183
	v_mul_i32_i24_e32 v9, v71, v88
	;; [unrolled: 1-line block ×3, first 2 shown]
	v_bfe_u32 v239, v12, 20, 4
	v_dual_mov_b32 v158, v102 :: v_dual_and_b32 v107, 0xffff, v5
	v_add3_u32 v0, v4, v0, v6
	v_bfe_u32 v119, v12, 4, 4
	s_delay_alu instid0(VALU_DEP_4) | instskip(NEXT) | instid1(VALU_DEP_4)
	v_mul_i32_i24_e32 v5, v239, v71
	v_mul_i32_i24_e32 v6, v107, v72
	v_mul_i32_i24_e32 v4, v185, v70
	v_add3_u32 v0, v0, v9, v10
	v_mul_i32_i24_e32 v9, v119, v73
	v_lshrrev_b16 v7, 8, v1
	s_clause 0x9
	scratch_store_b32 off, v232, off offset:960
	scratch_store_b32 off, v124, off offset:968
	;; [unrolled: 1-line block ×10, first 2 shown]
	v_lshrrev_b32_e32 v4, 4, v13
	v_bfe_i32 v76, v7, 0, 8
	v_bfe_i32 v77, v1, 0, 8
	v_ashrrev_i32_e32 v74, 24, v1
	v_bfe_i32 v75, v1, 16, 8
	v_lshrrev_b16 v4, 8, v4
	v_mov_b32_e32 v241, v100
	v_mul_i32_i24_e32 v1, v77, v142
	v_mul_i32_i24_e32 v5, v76, v143
	v_lshrrev_b32_e32 v18, 28, v13
	v_dual_mov_b32 v243, v101 :: v_dual_and_b32 v4, 15, v4
	v_mul_i32_i24_e32 v6, v75, v89
	v_mul_i32_i24_e32 v7, v74, v138
	v_add3_u32 v0, v0, v1, v5
	v_bfe_u32 v118, v13, 20, 4
	v_and_b32_e32 v120, 0xffff, v4
	v_bfe_u32 v121, v13, 4, 4
	v_lshrrev_b16 v8, 8, v2
	v_add3_u32 v0, v0, v6, v7
	v_mul_i32_i24_e32 v4, v118, v75
	v_mul_i32_i24_e32 v5, v120, v76
	;; [unrolled: 1-line block ×4, first 2 shown]
	s_clause 0xb
	scratch_store_b32 off, v143, off offset:680
	scratch_store_b32 off, v113, off offset:484
	;; [unrolled: 1-line block ×12, first 2 shown]
	v_lshrrev_b32_e32 v1, 4, v15
	v_ashrrev_i32_e32 v13, 24, v2
	v_bfe_i32 v78, v2, 16, 8
	v_bfe_i32 v80, v8, 0, 8
	;; [unrolled: 1-line block ×3, first 2 shown]
	v_lshrrev_b16 v1, 8, v1
	v_mul_i32_i24_e32 v7, v13, v144
	v_mul_i32_i24_e32 v6, v78, v90
	;; [unrolled: 1-line block ×4, first 2 shown]
	v_and_b32_e32 v1, 15, v1
	v_mov_b32_e32 v247, v104
	v_lshrrev_b32_e32 v212, 28, v15
	v_bfe_u32 v213, v15, 20, 4
	v_add3_u32 v0, v0, v4, v5
	v_and_b32_e32 v206, 0xffff, v1
	v_bfe_u32 v125, v15, 4, 4
	s_clause 0x2
	scratch_store_b32 off, v116, off offset:488
	scratch_store_b32 off, v114, off offset:684
	;; [unrolled: 1-line block ×3, first 2 shown]
	v_add3_u32 v0, v0, v6, v7
	scratch_store_b32 off, v148, off offset:688 ; 4-byte Folded Spill
	v_mul_i32_i24_e32 v5, v125, v2
	v_mul_i32_i24_e32 v4, v206, v80
	;; [unrolled: 1-line block ×3, first 2 shown]
	scratch_store_b32 off, v0, off offset:944 ; 4-byte Folded Spill
	v_mul_i32_i24_e32 v0, v212, v13
	s_clause 0x7
	scratch_store_b32 off, v5, off offset:1412
	scratch_store_b32 off, v125, off offset:252
	;; [unrolled: 1-line block ×8, first 2 shown]
	s_clause 0x1
	scratch_load_b32 v0, off, off offset:1340
	scratch_load_b32 v1, off, off offset:1312
	v_mov_b32_e32 v129, v52
	v_mov_b32_e32 v157, v247
	s_wait_loadcnt 0x0
	v_add3_u32 v0, s7, v0, v1
	scratch_store_b32 off, v0, off offset:940 ; 4-byte Folded Spill
	scratch_load_b32 v0, off, off offset:1316 ; 4-byte Folded Reload
	s_wait_loadcnt 0x0
	v_dual_mov_b32 v245, v87 :: v_dual_add_nc_u32 v0, s12, v0
	ds_load_2addr_b32 v[4:5], v0 offset1:1
	s_wait_dscnt 0x0
	v_and_b32_e32 v222, 15, v4
	v_bfe_u32 v8, v4, 8, 4
	v_bfe_u32 v6, v4, 16, 4
	;; [unrolled: 1-line block ×4, first 2 shown]
	v_mul_i32_i24_e32 v1, v26, v222
	s_clause 0x1
	scratch_store_b32 off, v8, off offset:4
	scratch_store_b32 off, v6, off offset:60
	v_mul_i32_i24_e32 v6, v25, v6
	s_clause 0x1
	scratch_store_b32 off, v7, off offset:8
	scratch_store_b32 off, v9, off offset:24
	v_mul_i32_i24_e32 v7, v23, v7
	v_mad_i32_i24 v1, v22, v8, v1
	v_bfe_u32 v8, v5, 16, 4
	v_mul_i32_i24_e32 v9, v27, v9
	v_lshrrev_b32_e32 v255, 28, v4
	s_delay_alu instid0(VALU_DEP_4)
	v_add3_u32 v1, v1, v6, v7
	v_and_b32_e32 v6, 15, v5
	v_bfe_u32 v7, v5, 8, 4
	scratch_store_b32 off, v8, off offset:20 ; 4-byte Folded Spill
	v_mul_i32_i24_e32 v8, v28, v8
	s_clause 0x1
	scratch_store_b32 off, v6, off offset:12
	scratch_store_b32 off, v7, off offset:16
	v_mul_i32_i24_e32 v6, v30, v6
	v_mul_i32_i24_e32 v7, v29, v7
	s_delay_alu instid0(VALU_DEP_1)
	v_add3_u32 v1, v1, v7, v6
	ds_load_2addr_b32 v[6:7], v0 offset0:2 offset1:3
	v_add3_u32 v1, v1, v8, v9
	s_wait_dscnt 0x0
	v_and_b32_e32 v8, 15, v6
	v_bfe_u32 v9, v6, 8, 4
	v_bfe_u32 v10, v6, 16, 4
	;; [unrolled: 1-line block ×3, first 2 shown]
	v_and_b32_e32 v221, 15, v7
	scratch_store_b32 off, v8, off offset:28 ; 4-byte Folded Spill
	v_mul_i32_i24_e32 v8, v35, v8
	s_clause 0x1
	scratch_store_b32 off, v9, off offset:32
	scratch_store_b32 off, v10, off offset:36
	v_mul_i32_i24_e32 v9, v34, v9
	v_mul_i32_i24_e32 v10, v33, v10
	;; [unrolled: 1-line block ×3, first 2 shown]
	v_bfe_u32 v229, v7, 8, 4
	v_bfe_u32 v230, v7, 16, 4
	v_add3_u32 v1, v1, v9, v8
	v_mul_i32_i24_e32 v8, v39, v221
	v_bfe_u32 v231, v7, 24, 4
	v_mul_i32_i24_e32 v9, v38, v229
	v_bfe_u32 v139, v7, 12, 4
	v_add3_u32 v1, v1, v10, v11
	v_mul_i32_i24_e32 v10, v37, v230
	v_mul_i32_i24_e32 v11, v36, v231
	v_bfe_u32 v32, v6, 20, 4
	v_mul_i32_i24_e32 v87, v58, v139
	v_add3_u32 v1, v1, v9, v8
	ds_load_2addr_b32 v[8:9], v0 offset0:4 offset1:5
	v_mul_i32_i24_e32 v82, v65, v32
	v_add3_u32 v1, v1, v10, v11
	s_wait_dscnt 0x0
	v_and_b32_e32 v234, 15, v8
	v_bfe_u32 v235, v8, 8, 4
	v_bfe_u32 v236, v8, 16, 4
	;; [unrolled: 1-line block ×3, first 2 shown]
	v_and_b32_e32 v238, 15, v9
	v_mul_i32_i24_e32 v10, v43, v234
	v_mul_i32_i24_e32 v11, v42, v235
	;; [unrolled: 1-line block ×4, first 2 shown]
	v_bfe_u32 v135, v9, 4, 4
	v_bfe_u32 v123, v9, 20, 4
	v_add3_u32 v1, v1, v11, v10
	v_bfe_u32 v11, v9, 8, 4
	v_mul_i32_i24_e32 v10, v47, v238
	v_lshrrev_b32_e32 v136, 28, v8
	v_bfe_u32 v151, v8, 20, 4
	v_add3_u32 v1, v1, v12, v15
	v_bfe_u32 v12, v9, 16, 4
	v_bfe_u32 v15, v9, 24, 4
	scratch_store_b32 off, v11, off offset:88 ; 4-byte Folded Spill
	v_mul_i32_i24_e32 v11, v46, v11
	v_mul_i32_i24_e32 v91, v71, v151
	scratch_store_b32 off, v12, off offset:44 ; 4-byte Folded Spill
	v_mul_i32_i24_e32 v12, v45, v12
	scratch_store_b32 off, v15, off offset:92 ; 4-byte Folded Spill
	v_mul_i32_i24_e32 v15, v44, v15
	v_add3_u32 v1, v1, v11, v10
	v_bfe_u32 v127, v9, 12, 4
	v_mul_i32_i24_e32 v92, v77, v135
	v_lshrrev_b32_e32 v122, 28, v9
	v_mul_i32_i24_e32 v94, v75, v123
	v_add3_u32 v10, v1, v12, v15
	ds_load_2addr_b32 v[0:1], v0 offset0:6 offset1:7
	v_mul_i32_i24_e32 v93, v76, v127
	v_mul_i32_i24_e32 v9, v74, v122
	s_wait_dscnt 0x0
	v_and_b32_e32 v249, 15, v0
	v_bfe_u32 v242, v0, 8, 4
	v_bfe_u32 v54, v0, 16, 4
	;; [unrolled: 1-line block ×4, first 2 shown]
	v_mul_i32_i24_e32 v11, v51, v249
	v_mul_i32_i24_e32 v12, v50, v242
	;; [unrolled: 1-line block ×4, first 2 shown]
	v_mov_b32_e32 v201, v54
	v_bfe_u32 v54, v6, 12, 4
	v_add3_u32 v10, v10, v12, v11
	v_and_b32_e32 v12, 15, v1
	scratch_store_b32 off, v200, off offset:48 ; 4-byte Folded Spill
	v_and_b32_e32 v11, 15, v1
	v_bfe_u32 v86, v0, 12, 4
	v_add3_u32 v10, v10, v15, v81
	v_bfe_u32 v15, v1, 8, 4
	v_mul_i32_i24_e32 v81, v57, v54
	v_mul_i32_i24_e32 v11, v56, v11
	v_bfe_u32 v85, v0, 20, 4
	v_mul_i32_i24_e32 v95, v2, v117
	scratch_store_b32 off, v15, off         ; 4-byte Folded Spill
	v_bfe_u32 v15, v1, 16, 4
	v_mul_i32_i24_e32 v96, v80, v86
	v_mul_i32_i24_e32 v97, v78, v85
	s_delay_alu instid0(VALU_DEP_3)
	v_mul_i32_i24_e32 v19, v53, v15
	v_bfe_u32 v15, v1, 16, 4
	scratch_store_b32 off, v12, off offset:52 ; 4-byte Folded Spill
	v_bfe_u32 v12, v1, 8, 4
	s_clause 0x1
	scratch_store_b32 off, v19, off offset:1604
	scratch_store_b32 off, v15, off offset:56
	v_bfe_u32 v15, v1, 24, 4
	v_mul_i32_i24_e32 v12, v55, v12
	v_mov_b32_e32 v19, v84
	v_lshrrev_b32_e32 v84, 28, v0
	scratch_store_b32 off, v15, off offset:72 ; 4-byte Folded Spill
	v_add3_u32 v10, v10, v12, v11
	v_bfe_u32 v11, v4, 20, 4
	v_bfe_u32 v15, v4, 12, 4
	scratch_store_b32 off, v19, off offset:1428 ; 4-byte Folded Spill
	v_mul_i32_i24_e32 v0, v13, v84
	scratch_store_b32 off, v10, off offset:1608 ; 4-byte Folded Spill
	v_bfe_u32 v10, v4, 4, 4
	scratch_store_b32 off, v11, off offset:348 ; 4-byte Folded Spill
	v_mul_i32_i24_e32 v11, v79, v11
	v_mul_i32_i24_e32 v4, v24, v255
	scratch_store_b32 off, v10, off offset:384 ; 4-byte Folded Spill
	v_mul_i32_i24_e32 v10, v19, v10
	s_clause 0x4
	scratch_store_b32 off, v15, off offset:352
	scratch_store_b32 off, v79, off offset:1432
	;; [unrolled: 1-line block ×5, first 2 shown]
	v_mad_i32_i24 v10, v59, v15, v10
	v_bfe_u32 v15, v5, 20, 4
	s_clause 0x4
	scratch_store_b32 off, v127, off offset:1676
	scratch_store_b32 off, v122, off offset:1680
	;; [unrolled: 1-line block ×5, first 2 shown]
	v_add3_u32 v4, v10, v11, v4
	scratch_store_b32 off, v15, off offset:1208 ; 4-byte Folded Spill
	v_bfe_u32 v10, v5, 4, 4
	v_bfe_u32 v11, v5, 12, 4
	v_mul_i32_i24_e32 v12, v61, v15
	v_bfe_u32 v15, v6, 4, 4
	v_lshrrev_b32_e32 v6, 28, v6
	s_clause 0x3
	scratch_store_b32 off, v24, off offset:1436
	scratch_store_b32 off, v32, off offset:1216
	scratch_store_b32 off, v11, off offset:904
	scratch_store_b32 off, v136, off offset:1060
	v_mul_i32_i24_e32 v11, v62, v11
	v_lshrrev_b32_e32 v5, 28, v5
	scratch_store_b32 off, v54, off offset:40 ; 4-byte Folded Spill
	v_bfe_u32 v54, v7, 20, 4
	v_bfe_u32 v32, v7, 4, 4
	s_clause 0x2
	scratch_store_b32 off, v6, off offset:64
	scratch_store_b32 off, v10, off offset:388
	;; [unrolled: 1-line block ×3, first 2 shown]
	v_mul_i32_i24_e32 v10, v63, v10
	v_mul_i32_i24_e32 v5, v60, v5
	scratch_store_b32 off, v15, off offset:1212 ; 4-byte Folded Spill
	v_mul_i32_i24_e32 v15, v66, v15
	v_mul_i32_i24_e32 v6, v64, v6
	v_add3_u32 v4, v4, v10, v11
	scratch_store_b32 off, v32, off offset:68 ; 4-byte Folded Spill
	v_mul_i32_i24_e32 v83, v69, v32
	v_bfe_u32 v32, v8, 4, 4
	v_lshrrev_b32_e32 v7, 28, v7
	v_add3_u32 v4, v4, v12, v5
	scratch_store_b32 off, v54, off offset:392 ; 4-byte Folded Spill
	v_mul_i32_i24_e32 v88, v68, v54
	scratch_store_b32 off, v32, off offset:1200 ; 4-byte Folded Spill
	v_mul_i32_i24_e32 v89, v73, v32
	v_add3_u32 v4, v4, v15, v81
	v_bfe_u32 v32, v8, 12, 4
	v_mul_i32_i24_e32 v8, v70, v136
	s_delay_alu instid0(VALU_DEP_3)
	v_add3_u32 v4, v4, v82, v6
	scratch_store_b32 off, v32, off offset:1204 ; 4-byte Folded Spill
	v_mul_i32_i24_e32 v90, v72, v32
	v_bfe_u32 v32, v1, 20, 4
	scratch_store_b32 off, v7, off offset:396 ; 4-byte Folded Spill
	v_mul_i32_i24_e32 v7, v67, v7
	v_add3_u32 v4, v4, v83, v87
	scratch_store_b32 off, v32, off offset:784 ; 4-byte Folded Spill
	v_add3_u32 v4, v4, v88, v7
	s_delay_alu instid0(VALU_DEP_1) | instskip(NEXT) | instid1(VALU_DEP_1)
	v_add3_u32 v4, v4, v89, v90
	v_add3_u32 v4, v4, v91, v8
	s_delay_alu instid0(VALU_DEP_1) | instskip(NEXT) | instid1(VALU_DEP_1)
	v_add3_u32 v4, v4, v92, v93
	;; [unrolled: 3-line block ×3, first 2 shown]
	v_add3_u32 v0, v4, v97, v0
	s_clause 0x1
	scratch_store_b32 off, v117, off offset:1656
	scratch_store_b32 off, v0, off offset:1612
	s_clause 0x1
	scratch_load_b32 v0, off, off offset:1344
	scratch_load_b32 v4, off, off offset:1320
	scratch_store_b32 off, v17, off offset:1648 ; 4-byte Folded Spill
	s_wait_loadcnt 0x0
	v_add3_u32 v0, s7, v0, v4
	scratch_load_b32 v4, off, off offset:1324 ; 4-byte Folded Reload
	s_wait_loadcnt 0x0
	v_add_nc_u32_e32 v4, s12, v4
	ds_load_2addr_b32 v[5:6], v4 offset1:1
	s_wait_dscnt 0x0
	v_and_b32_e32 v7, 15, v5
	v_bfe_u32 v10, v5, 8, 4
	v_bfe_u32 v8, v5, 16, 4
	;; [unrolled: 1-line block ×4, first 2 shown]
	s_clause 0x1
	scratch_store_b32 off, v7, off offset:1048
	scratch_store_b32 off, v10, off offset:1052
	v_mul_i32_i24_e32 v7, v26, v7
	scratch_store_b32 off, v8, off offset:820 ; 4-byte Folded Spill
	v_mul_i32_i24_e32 v8, v25, v8
	scratch_store_b32 off, v9, off offset:792 ; 4-byte Folded Spill
	v_mul_i32_i24_e32 v9, v23, v9
	v_mad_i32_i24 v7, v22, v10, v7
	v_bfe_u32 v10, v6, 16, 4
	scratch_store_b32 off, v11, off offset:1056 ; 4-byte Folded Spill
	v_mul_i32_i24_e32 v11, v27, v11
	v_add3_u32 v7, v7, v8, v9
	v_and_b32_e32 v8, 15, v6
	v_bfe_u32 v9, v6, 8, 4
	scratch_store_b32 off, v10, off offset:804 ; 4-byte Folded Spill
	v_mul_i32_i24_e32 v10, v28, v10
	s_clause 0x1
	scratch_store_b32 off, v8, off offset:796
	scratch_store_b32 off, v9, off offset:800
	v_mul_i32_i24_e32 v8, v30, v8
	v_mul_i32_i24_e32 v9, v29, v9
	s_delay_alu instid0(VALU_DEP_1) | instskip(NEXT) | instid1(VALU_DEP_1)
	v_add3_u32 v7, v7, v9, v8
	v_add3_u32 v9, v7, v10, v11
	ds_load_2addr_b32 v[7:8], v4 offset0:2 offset1:3
	s_wait_dscnt 0x0
	v_and_b32_e32 v10, 15, v7
	v_bfe_u32 v11, v7, 8, 4
	v_bfe_u32 v12, v7, 16, 4
	v_bfe_u32 v15, v7, 24, 4
	v_lshrrev_b32_e32 v217, 28, v8
	s_clause 0x2
	scratch_store_b32 off, v10, off offset:808
	scratch_store_b32 off, v11, off offset:812
	;; [unrolled: 1-line block ×3, first 2 shown]
	v_mul_i32_i24_e32 v10, v35, v10
	v_mul_i32_i24_e32 v11, v34, v11
	;; [unrolled: 1-line block ×3, first 2 shown]
	s_delay_alu instid0(VALU_DEP_2)
	v_add3_u32 v9, v9, v11, v10
	v_and_b32_e32 v10, 15, v8
	scratch_store_b32 off, v15, off offset:1124 ; 4-byte Folded Spill
	v_mul_i32_i24_e32 v15, v31, v15
	v_bfe_u32 v11, v8, 8, 4
	scratch_store_b32 off, v10, off offset:1128 ; 4-byte Folded Spill
	v_mul_i32_i24_e32 v10, v39, v10
	v_add3_u32 v9, v9, v12, v15
	v_bfe_u32 v12, v8, 16, 4
	scratch_store_b32 off, v11, off offset:1132 ; 4-byte Folded Spill
	v_mul_i32_i24_e32 v11, v38, v11
	v_bfe_u32 v15, v8, 24, 4
	scratch_store_b32 off, v12, off offset:1136 ; 4-byte Folded Spill
	v_mul_i32_i24_e32 v12, v37, v12
	v_add3_u32 v9, v9, v11, v10
	scratch_store_b32 off, v15, off offset:1140 ; 4-byte Folded Spill
	v_mul_i32_i24_e32 v15, v36, v15
	s_delay_alu instid0(VALU_DEP_1)
	v_add3_u32 v11, v9, v12, v15
	ds_load_2addr_b32 v[9:10], v4 offset0:4 offset1:5
	s_wait_dscnt 0x0
	v_and_b32_e32 v12, 15, v9
	v_bfe_u32 v15, v9, 8, 4
	v_bfe_u32 v22, v9, 16, 4
	v_bfe_u32 v23, v9, 24, 4
	v_bfe_u32 v150, v9, 20, 4
	s_clause 0x1
	scratch_store_b32 off, v12, off offset:1144
	scratch_store_b32 off, v15, off offset:1148
	v_mul_i32_i24_e32 v12, v43, v12
	v_mul_i32_i24_e32 v15, v42, v15
	s_clause 0x1
	scratch_store_b32 off, v22, off offset:1152
	scratch_store_b32 off, v23, off offset:1156
	v_mul_i32_i24_e32 v22, v41, v22
	v_mul_i32_i24_e32 v23, v40, v23
	v_add3_u32 v11, v11, v15, v12
	v_and_b32_e32 v12, 15, v10
	v_bfe_u32 v15, v10, 8, 4
	v_lshrrev_b32_e32 v137, 28, v9
	v_mul_i32_i24_e32 v35, v71, v150
	v_add3_u32 v11, v11, v22, v23
	s_clause 0x1
	scratch_store_b32 off, v12, off offset:896
	scratch_store_b32 off, v15, off offset:892
	v_mul_i32_i24_e32 v12, v47, v12
	v_mul_i32_i24_e32 v15, v46, v15
	v_bfe_u32 v22, v10, 16, 4
	v_bfe_u32 v23, v10, 24, 4
	;; [unrolled: 1-line block ×4, first 2 shown]
	v_add3_u32 v11, v11, v15, v12
	s_clause 0x1
	scratch_store_b32 off, v22, off offset:1160
	scratch_store_b32 off, v23, off offset:1164
	v_mul_i32_i24_e32 v22, v45, v22
	v_mul_i32_i24_e32 v23, v44, v23
	v_bfe_u32 v130, v10, 20, 4
	v_mul_i32_i24_e32 v36, v77, v132
	v_mul_i32_i24_e32 v37, v76, v131
	v_lshrrev_b32_e32 v111, 28, v10
	v_add3_u32 v15, v11, v22, v23
	ds_load_2addr_b32 v[11:12], v4 offset0:6 offset1:7
	v_mul_i32_i24_e32 v38, v75, v130
	v_mul_i32_i24_e32 v10, v74, v111
	s_wait_dscnt 0x0
	v_and_b32_e32 v4, 15, v11
	v_bfe_u32 v22, v11, 8, 4
	v_bfe_u32 v23, v11, 16, 4
	;; [unrolled: 1-line block ×4, first 2 shown]
	s_clause 0x3
	scratch_store_b32 off, v4, off offset:1168
	scratch_store_b32 off, v22, off offset:1172
	;; [unrolled: 1-line block ×4, first 2 shown]
	v_mul_i32_i24_e32 v4, v51, v4
	v_mul_i32_i24_e32 v22, v50, v22
	;; [unrolled: 1-line block ×5, first 2 shown]
	v_lshrrev_b32_e32 v108, 28, v12
	v_add3_u32 v4, v15, v22, v4
	v_and_b32_e32 v15, 15, v12
	v_bfe_u32 v22, v12, 8, 4
	s_delay_alu instid0(VALU_DEP_3)
	v_add3_u32 v4, v4, v23, v25
	v_bfe_u32 v23, v12, 16, 4
	v_bfe_u32 v25, v12, 24, 4
	s_clause 0x1
	scratch_store_b32 off, v15, off offset:1184
	scratch_store_b32 off, v22, off offset:1188
	v_mul_i32_i24_e32 v15, v56, v15
	v_mul_i32_i24_e32 v22, v55, v22
	s_clause 0x1
	scratch_store_b32 off, v23, off offset:1192
	scratch_store_b32 off, v25, off offset:1196
	v_mul_i32_i24_e32 v23, v53, v23
	v_mul_i32_i24_e32 v25, v17, v25
	v_add3_u32 v4, v4, v22, v15
	ds_load_u16 v15, v0
	ds_load_u16 v22, v0 offset:8
	s_clause 0x4
	scratch_store_b32 off, v137, off offset:1040
	scratch_store_b32 off, v132, off offset:1696
	;; [unrolled: 1-line block ×5, first 2 shown]
	v_add3_u32 v4, v4, v23, v25
	s_wait_dscnt 0x1
	v_and_b32_e32 v0, 0xff, v15
	v_lshrrev_b16 v23, 8, v15
	v_bfe_u32 v15, v5, 20, 4
	s_wait_dscnt 0x0
	v_cvt_f32_ubyte1_e32 v54, v22
	v_cvt_f32_ubyte0_e32 v104, v22
	scratch_store_b32 off, v0, off offset:1120 ; 4-byte Folded Spill
	v_mul_lo_u32 v0, v4, v0
	v_and_b32_e32 v110, 0xffff, v23
	s_clause 0x1
	scratch_store_b32 off, v108, off offset:464
	scratch_store_b32 off, v110, off offset:468
	v_cvt_f32_i32_e32 v4, v0
	v_bfe_u32 v0, v5, 4, 4
	scratch_store_b32 off, v0, off offset:840 ; 4-byte Folded Spill
	v_mul_i32_i24_e32 v0, v19, v0
	v_bfe_u32 v19, v5, 12, 4
	v_lshrrev_b32_e32 v5, 28, v5
	scratch_store_b32 off, v15, off offset:884 ; 4-byte Folded Spill
	v_mul_i32_i24_e32 v15, v79, v15
	v_bfe_u32 v79, v11, 4, 4
	s_clause 0x1
	scratch_store_b32 off, v19, off offset:880
	scratch_store_b32 off, v5, off offset:888
	v_mul_i32_i24_e32 v5, v24, v5
	v_mad_i32_i24 v0, v59, v19, v0
	v_bfe_u32 v19, v6, 20, 4
	v_bfe_u32 v24, v7, 20, 4
	v_mul_i32_i24_e32 v2, v2, v79
	s_delay_alu instid0(VALU_DEP_4)
	v_add3_u32 v0, v0, v15, v5
	v_bfe_u32 v5, v6, 4, 4
	v_bfe_u32 v15, v6, 12, 4
	scratch_store_b32 off, v19, off offset:844 ; 4-byte Folded Spill
	v_mul_i32_i24_e32 v25, v61, v19
	v_lshrrev_b32_e32 v6, 28, v6
	v_bfe_u32 v19, v7, 4, 4
	scratch_store_b32 off, v15, off offset:848 ; 4-byte Folded Spill
	v_mul_i32_i24_e32 v15, v62, v15
	v_mul_i32_i24_e32 v28, v65, v24
	s_clause 0x1
	scratch_store_b32 off, v6, off offset:852
	scratch_store_b32 off, v19, off offset:856
	v_mul_i32_i24_e32 v26, v66, v19
	v_bfe_u32 v19, v7, 12, 4
	v_lshrrev_b32_e32 v7, 28, v7
	scratch_store_b32 off, v24, off offset:1108 ; 4-byte Folded Spill
	v_mul_i32_i24_e32 v6, v60, v6
	v_bfe_u32 v24, v8, 20, 4
	scratch_store_b32 off, v19, off offset:860 ; 4-byte Folded Spill
	v_mul_i32_i24_e32 v27, v57, v19
	v_bfe_u32 v19, v8, 4, 4
	s_clause 0x1
	scratch_store_b32 off, v7, off offset:1112
	scratch_store_b32 off, v24, off offset:1104
	v_mul_i32_i24_e32 v7, v64, v7
	v_mul_i32_i24_e32 v31, v68, v24
	scratch_store_b32 off, v19, off offset:1116 ; 4-byte Folded Spill
	v_mul_i32_i24_e32 v29, v69, v19
	v_bfe_u32 v19, v8, 12, 4
	scratch_store_b32 off, v5, off offset:868 ; 4-byte Folded Spill
	v_mul_i32_i24_e32 v5, v63, v5
	v_mul_i32_i24_e32 v8, v67, v217
	v_bfe_u32 v24, v11, 20, 4
	scratch_store_b32 off, v19, off offset:864 ; 4-byte Folded Spill
	v_mul_i32_i24_e32 v30, v58, v19
	v_add3_u32 v0, v0, v5, v15
	v_bfe_u32 v19, v9, 4, 4
	v_mul_i32_i24_e32 v40, v78, v24
	s_clause 0x3
	scratch_store_b32 off, v79, off offset:1024
	scratch_store_b32 off, v150, off offset:1036
	;; [unrolled: 1-line block ×4, first 2 shown]
	v_add3_u32 v0, v0, v25, v6
	scratch_store_b32 off, v19, off offset:1088 ; 4-byte Folded Spill
	v_mul_i32_i24_e32 v33, v73, v19
	v_bfe_u32 v19, v9, 12, 4
	v_mul_i32_i24_e32 v9, v70, v137
	v_add3_u32 v0, v0, v26, v27
	s_delay_alu instid0(VALU_DEP_3) | instskip(SKIP_3) | instid1(VALU_DEP_2)
	v_mul_i32_i24_e32 v34, v72, v19
	scratch_store_b32 off, v19, off offset:1092 ; 4-byte Folded Spill
	v_add3_u32 v0, v0, v28, v7
	v_lshrrev_b32_e32 v19, 28, v11
	v_add3_u32 v0, v0, v29, v30
	s_delay_alu instid0(VALU_DEP_2)
	v_mul_i32_i24_e32 v11, v13, v19
	v_bfe_u32 v13, v12, 20, 4
	scratch_store_b32 off, v19, off offset:768 ; 4-byte Folded Spill
	v_add3_u32 v0, v0, v31, v8
	scratch_store_b32 off, v13, off offset:1228 ; 4-byte Folded Spill
	v_bfe_u32 v13, v12, 4, 4
	v_add3_u32 v0, v0, v33, v34
	scratch_store_b32 off, v13, off offset:872 ; 4-byte Folded Spill
	v_bfe_u32 v13, v12, 12, 4
	v_add3_u32 v0, v0, v35, v9
	scratch_store_b32 off, v13, off offset:876 ; 4-byte Folded Spill
	v_add3_u32 v0, v0, v36, v37
	s_delay_alu instid0(VALU_DEP_1) | instskip(NEXT) | instid1(VALU_DEP_1)
	v_add3_u32 v0, v0, v38, v10
	v_add3_u32 v0, v0, v2, v39
	scratch_load_b32 v2, off, off offset:1272 ; 4-byte Folded Reload
	v_add3_u32 v0, v0, v40, v11
	scratch_store_b32 off, v0, off offset:948 ; 4-byte Folded Spill
	s_wait_loadcnt 0x0
	v_or_b32_e32 v2, s5, v2
	s_delay_alu instid0(VALU_DEP_1)
	v_lshlrev_b32_e32 v13, 2, v2
	ds_load_b128 v[5:8], v13 offset:16896
	ds_load_b128 v[9:12], v13 offset:16912
	;; [unrolled: 1-line block ×4, first 2 shown]
	v_lshrrev_b32_e32 v2, 1, v2
	s_clause 0x12
	scratch_store_b32 off, v186, off offset:1000
	scratch_store_b32 off, v187, off offset:1004
	;; [unrolled: 1-line block ×19, first 2 shown]
	s_wait_dscnt 0x3
	v_bfe_i32 v42, v5, 0, 8
	v_bfe_i32 v43, v5, 8, 8
	;; [unrolled: 1-line block ×3, first 2 shown]
	v_ashrrev_i32_e32 v45, 24, v5
	s_wait_dscnt 0x1
	v_bfe_i32 v26, v27, 0, 8
	v_bfe_i32 v5, v27, 8, 8
	;; [unrolled: 1-line block ×3, first 2 shown]
	v_ashrrev_i32_e32 v37, 24, v27
	v_mul_i32_i24_e32 v27, v42, v186
	v_bfe_i32 v46, v6, 0, 8
	v_bfe_i32 v47, v6, 8, 8
	v_bfe_i32 v48, v6, 16, 8
	v_ashrrev_i32_e32 v49, 24, v6
	v_bfe_i32 v50, v7, 0, 8
	v_bfe_i32 v51, v7, 8, 8
	v_bfe_i32 v55, v7, 16, 8
	v_ashrrev_i32_e32 v56, 24, v7
	;; [unrolled: 4-line block ×9, first 2 shown]
	v_mul_i32_i24_e32 v28, v44, v187
	v_mul_i32_i24_e32 v29, v45, v188
	v_mad_i32_i24 v27, v43, v179, v27
	v_bfe_i32 v15, v30, 0, 8
	v_bfe_i32 v22, v30, 8, 8
	;; [unrolled: 1-line block ×3, first 2 shown]
	v_ashrrev_i32_e32 v25, 24, v30
	v_add3_u32 v27, v27, v28, v29
	v_mul_i32_i24_e32 v28, v46, v190
	v_mul_i32_i24_e32 v29, v47, v191
	;; [unrolled: 1-line block ×6, first 2 shown]
	v_add3_u32 v27, v27, v28, v29
	v_mul_i32_i24_e32 v53, v55, v199
	v_mul_i32_i24_e32 v59, v56, v176
	;; [unrolled: 1-line block ×4, first 2 shown]
	v_add3_u32 v27, v27, v30, v31
	v_mul_i32_i24_e32 v28, v26, v250
	v_mul_i32_i24_e32 v62, v63, v174
	;; [unrolled: 1-line block ×4, first 2 shown]
	v_add3_u32 v27, v27, v33, v34
	v_mul_i32_i24_e32 v30, v37, v227
	v_mad_i32_i24 v28, v5, v169, v28
	v_mul_i32_i24_e32 v83, v65, v175
	v_mul_i32_i24_e32 v87, v66, v163
	v_add3_u32 v27, v27, v53, v59
	v_mul_i32_i24_e32 v88, v67, v172
	v_add3_u32 v28, v28, v29, v30
	v_mul_i32_i24_e32 v29, v6, v240
	v_mul_i32_i24_e32 v30, v7, v241
	v_add3_u32 v27, v27, v60, v61
	v_mul_i32_i24_e32 v89, v68, v167
	v_mul_i32_i24_e32 v31, v8, v228
	;; [unrolled: 1-line block ×3, first 2 shown]
	v_add3_u32 v28, v28, v29, v30
	v_add3_u32 v27, v27, v62, v82
	v_mul_i32_i24_e32 v90, v69, v162
	v_mul_i32_i24_e32 v91, v70, v161
	;; [unrolled: 1-line block ×4, first 2 shown]
	v_add3_u32 v27, v27, v83, v87
	v_mov_b32_e32 v163, v227
	v_dual_mov_b32 v167, v240 :: v_dual_mov_b32 v168, v241
	v_mov_b32_e32 v165, v228
	s_delay_alu instid0(VALU_DEP_4)
	v_add3_u32 v27, v27, v88, v89
	v_mov_b32_e32 v166, v170
	v_mul_i32_i24_e32 v34, v10, v243
	v_mov_b32_e32 v159, v101
	v_mul_i32_i24_e32 v53, v11, v244
	;; [unrolled: 2-line block ×3, first 2 shown]
	v_dual_mov_b32 v161, v245 :: v_dual_mov_b32 v162, v246
	v_mov_b32_e32 v164, v109
	v_add3_u32 v28, v28, v31, v33
	v_mul_i32_i24_e32 v92, v71, v126
	v_mul_i32_i24_e32 v93, v72, v248
	v_add3_u32 v27, v27, v90, v91
	s_clause 0xf
	scratch_store_b32 off, v173, off offset:1724
	scratch_store_b32 off, v253, off offset:1064
	;; [unrolled: 1-line block ×16, first 2 shown]
	v_add3_u32 v28, v28, v34, v53
	v_mov_b32_e32 v53, v183
	s_clause 0x2
	scratch_store_b32 off, v164, off offset:976
	scratch_store_b32 off, v175, off offset:988
	scratch_store_b32 off, v250, off offset:984
	v_add3_u32 v27, v27, v92, v93
	ds_load_b64 v[92:93], v209 offset:27200
	ds_load_b64 v[90:91], v2 offset:27200
	s_clause 0x7
	scratch_load_b32 v209, off, off offset:340
	scratch_load_b32 v0, off, off offset:256
	;; [unrolled: 1-line block ×8, first 2 shown]
	v_mul_i32_i24_e32 v94, v73, v253
	v_mul_i32_i24_e32 v95, v74, v254
	;; [unrolled: 1-line block ×6, first 2 shown]
	v_add3_u32 v27, v27, v94, v95
	v_mul_i32_i24_e32 v61, v15, v247
	v_add3_u32 v28, v28, v59, v60
	v_mul_i32_i24_e32 v98, v77, v129
	v_mul_i32_i24_e32 v82, v23, v245
	v_add3_u32 v27, v27, v96, v97
	v_mul_i32_i24_e32 v83, v25, v246
	v_add3_u32 v28, v28, v61, v62
	v_mul_i32_i24_e32 v2, v17, v220
	s_wait_dscnt 0x2
	v_bfe_i32 v35, v38, 0, 8
	v_add3_u32 v27, v27, v98, v99
	v_bfe_i32 v14, v38, 8, 8
	v_add3_u32 v30, v28, v82, v83
	v_mul_i32_i24_e32 v28, v81, v220
	v_add3_u32 v2, v21, v20, v2
	v_mul_i32_i24_e32 v87, v35, v109
	v_bfe_i32 v82, v38, 16, 8
	v_ashrrev_i32_e32 v38, 24, v38
	v_add3_u32 v27, v27, v100, v28
	v_mul_i32_i24_e32 v33, v14, v53
	v_bfe_i32 v88, v39, 0, 8
	v_bfe_i32 v89, v39, 8, 8
	;; [unrolled: 1-line block ×3, first 2 shown]
	v_mul_lo_u32 v20, v27, v233
	v_bfe_i32 v99, v41, 8, 8
	v_bfe_i32 v29, v41, 16, 8
	v_ashrrev_i32_e32 v224, 24, v41
	v_mul_i32_i24_e32 v34, v82, v232
	v_mul_i32_i24_e32 v41, v38, v124
	v_add3_u32 v30, v30, v87, v33
	v_bfe_i32 v94, v39, 16, 8
	v_cvt_f32_i32_e32 v20, v20
	v_ashrrev_i32_e32 v39, 24, v39
	v_mul_i32_i24_e32 v59, v88, v142
	v_mul_i32_i24_e32 v60, v89, v143
	v_add3_u32 v30, v30, v34, v41
	s_wait_dscnt 0x0
	v_fma_mix_f32 v28, v90, v20, 0 op_sel_hi:[1,0,0]
	v_bfe_i32 v95, v40, 0, 8
	v_bfe_i32 v96, v40, 8, 8
	v_mul_i32_i24_e32 v61, v94, v113
	v_mul_i32_i24_e32 v62, v39, v138
	v_add3_u32 v30, v30, v59, v60
	v_bfe_i32 v97, v40, 16, 8
	v_ashrrev_i32_e32 v40, 24, v40
	v_mul_i32_i24_e32 v83, v95, v114
	v_mul_i32_i24_e32 v100, v96, v148
	v_add3_u32 v30, v30, v61, v62
	v_mul_i32_i24_e32 v101, v97, v116
	v_mul_i32_i24_e32 v102, v40, v144
	scratch_load_b32 v124, off, off offset:912 ; 4-byte Folded Reload
	v_mov_b32_e32 v138, v112
	v_add3_u32 v30, v30, v83, v100
	v_dual_mov_b32 v113, v196 :: v_dual_mov_b32 v112, v198
	s_clause 0x1
	scratch_load_b32 v198, off, off offset:280
	scratch_load_b32 v196, off, off offset:276
	v_add3_u32 v34, v30, v101, v102
	s_clause 0x1
	scratch_load_b32 v183, off, off offset:272
	scratch_load_b32 v116, off, off offset:160
	v_mov_b32_e32 v109, v104
	v_mul_i32_i24_e32 v41, v189, v48
	v_mul_i32_i24_e32 v100, v215, v56
	;; [unrolled: 1-line block ×16, first 2 shown]
	s_clause 0x1
	scratch_store_b32 off, v220, off offset:776
	scratch_store_b32 off, v233, off offset:780
	v_mul_lo_u32 v2, v2, v233
	v_mul_i32_i24_e32 v144, v205, v75
	v_mul_i32_i24_e32 v148, v204, v76
	;; [unrolled: 1-line block ×3, first 2 shown]
	s_clause 0xd
	scratch_load_b32 v232, off, off offset:92
	scratch_load_b32 v83, off, off offset:388
	;; [unrolled: 1-line block ×14, first 2 shown]
	s_clause 0xb
	scratch_store_b32 off, v53, off offset:980
	scratch_store_b32 off, v218, off offset:972
	scratch_store_b32 off, v223, off offset:648
	scratch_store_b32 off, v219, off offset:364
	scratch_store_b32 off, v221, off offset:368
	scratch_store_b32 off, v229, off offset:372
	scratch_store_b32 off, v139, off offset:360
	scratch_store_b32 off, v230, off offset:76
	scratch_store_b32 off, v235, off offset:80
	scratch_store_b32 off, v237, off offset:84
	scratch_store_b32 off, v234, off offset:400
	scratch_store_b32 off, v236, off offset:404
	v_cvt_f32_i32_e32 v2, v2
	v_mul_i32_i24_e32 v31, v98, v218
	v_mov_b32_e32 v233, v224
	scratch_store_b32 off, v217, off offset:1704 ; 4-byte Folded Spill
	v_fma_mix_f32 v27, v92, v2, 0 op_sel_hi:[1,0,0]
	v_mul_i32_i24_e32 v2, v99, v223
	s_delay_alu instid0(VALU_DEP_1)
	v_add3_u32 v2, v34, v31, v2
	s_wait_loadcnt 0x1a
	v_fma_mix_f32 v20, v209, v90, 0 op_sel:[0,1,0] op_sel_hi:[0,1,0]
	v_fma_mix_f32 v21, v209, v92, 0 op_sel:[0,1,0] op_sel_hi:[0,1,0]
	scratch_load_b32 v209, off, off offset:68 ; 4-byte Folded Reload
	s_wait_loadcnt 0x17
	v_mul_i32_i24_e32 v60, v216, v50
	v_fma_mix_f32 v20, v0, v91, v20 op_sel:[0,1,0] op_sel_hi:[0,1,0]
	v_fma_mix_f32 v21, v0, v93, v21 op_sel:[0,1,0] op_sel_hi:[0,1,0]
	scratch_load_b32 v0, off, off offset:436 ; 4-byte Folded Reload
	s_wait_loadcnt 0x17
	v_mul_i32_i24_e32 v61, v203, v51
	s_wait_loadcnt 0x16
	v_mul_i32_i24_e32 v62, v202, v55
	;; [unrolled: 2-line block ×3, first 2 shown]
	s_wait_loadcnt 0x0
	v_mul_f32_e32 v30, v20, v0
	s_clause 0x1
	scratch_load_b32 v0, off, off offset:420
	scratch_load_b32 v20, off, off offset:428
	s_wait_loadcnt 0x1
	v_mul_f32_e32 v33, v21, v0
	v_fma_mix_f32 v0, v92, v4, 0 op_sel_hi:[1,0,0]
	v_fma_mix_f32 v4, v92, v109, 0 op_sel:[1,0,0] op_sel_hi:[1,0,0]
	s_wait_loadcnt 0x0
	v_mov_b32_e32 v52, v20
	v_mul_i32_i24_e32 v21, v112, v45
	scratch_store_b32 off, v0, off offset:1708 ; 4-byte Folded Spill
	v_fma_mix_f32 v4, v93, v54, v4 op_sel:[1,0,0] op_sel_hi:[1,0,0]
	s_delay_alu instid0(VALU_DEP_1)
	v_mul_f32_e32 v0, v4, v20
	v_mul_i32_i24_e32 v4, v138, v42
	v_mul_i32_i24_e32 v20, v113, v44
	scratch_store_b32 off, v0, off offset:1644 ; 4-byte Folded Spill
	v_mad_i32_i24 v4, v124, v43, v4
	v_and_b32_e32 v0, 15, v16
	s_delay_alu instid0(VALU_DEP_2) | instskip(SKIP_2) | instid1(VALU_DEP_4)
	v_add3_u32 v4, v4, v20, v21
	v_mul_i32_i24_e32 v20, v198, v46
	v_mul_i32_i24_e32 v21, v196, v47
	;; [unrolled: 1-line block ×3, first 2 shown]
	v_bfe_u32 v0, v16, 16, 4
	s_delay_alu instid0(VALU_DEP_3) | instskip(SKIP_1) | instid1(VALU_DEP_3)
	v_add3_u32 v4, v4, v20, v21
	v_mul_i32_i24_e32 v20, v182, v36
	v_mul_i32_i24_e32 v243, v0, v80
	v_bfe_u32 v0, v16, 24, 4
	v_mul_i32_i24_e32 v21, v184, v37
	v_add3_u32 v4, v4, v41, v59
	v_mul_i32_i24_e32 v41, v156, v8
	scratch_load_b32 v156, off, off offset:36 ; 4-byte Folded Reload
	v_mul_i32_i24_e32 v244, v0, v81
	v_mul_i32_i24_e32 v59, v116, v9
	v_add3_u32 v4, v4, v60, v61
	v_mul_i32_i24_e32 v60, v153, v10
	scratch_load_b32 v153, off, off offset:24 ; 4-byte Folded Reload
	v_mul_i32_i24_e32 v61, v152, v11
	scratch_load_b32 v182, off, off offset:1192 ; 4-byte Folded Reload
	v_add3_u32 v4, v4, v62, v100
	v_mul_i32_i24_e32 v62, v155, v12
	v_mul_i32_i24_e32 v100, v154, v13
	s_clause 0x1
	scratch_load_b32 v154, off, off offset:28
	scratch_load_b32 v155, off, off offset:32
	v_add3_u32 v4, v4, v101, v102
	v_mul_i32_i24_e32 v102, v145, v22
	scratch_load_b32 v145, off, off offset:8 ; 4-byte Folded Reload
	v_mul_i32_i24_e32 v101, v146, v15
	scratch_load_b32 v146, off, off offset:12 ; 4-byte Folded Reload
	v_add3_u32 v4, v4, v103, v104
	v_mul_i32_i24_e32 v104, v147, v25
	scratch_load_b32 v147, off, off offset:16 ; 4-byte Folded Reload
	v_mul_i32_i24_e32 v103, v149, v23
	scratch_load_b32 v149, off, off offset:20 ; 4-byte Folded Reload
	v_add3_u32 v4, v4, v105, v106
	v_mul_i32_i24_e32 v105, v119, v35
	v_mul_i32_i24_e32 v106, v107, v14
	v_mov_b32_e32 v119, v201
	v_bfe_u32 v107, v16, 20, 4
	v_add3_u32 v4, v4, v115, v128
	v_bfe_u32 v115, v16, 12, 4
	s_clause 0x1
	scratch_load_b32 v128, off, off offset:1160
	scratch_load_b32 v184, off, off offset:1196
	v_mul_i32_i24_e32 v17, v29, v107
	v_add3_u32 v4, v4, v133, v134
	v_mul_i32_i24_e32 v133, v239, v82
	v_mul_i32_i24_e32 v134, v185, v38
	v_mov_b32_e32 v239, v249
	scratch_load_b32 v249, off, off offset:348 ; 4-byte Folded Reload
	v_add3_u32 v4, v4, v140, v141
	v_mul_i32_i24_e32 v140, v121, v88
	v_mul_i32_i24_e32 v141, v120, v89
	s_clause 0x1
	scratch_load_b32 v120, off, off offset:60
	scratch_load_b32 v121, off, off offset:4
	v_add3_u32 v4, v4, v142, v143
	v_mul_i32_i24_e32 v142, v118, v94
	v_mul_i32_i24_e32 v143, v18, v39
	v_mov_b32_e32 v18, v255
	scratch_load_b32 v255, off, off offset:352 ; 4-byte Folded Reload
	v_add3_u32 v4, v4, v144, v148
	v_mul_i32_i24_e32 v144, v125, v95
	v_mul_i32_i24_e32 v148, v206, v96
	s_clause 0x1
	scratch_load_b32 v125, off, off offset:904
	scratch_load_b32 v185, off, off offset:1212
	v_add3_u32 v4, v4, v240, v241
	v_mul_i32_i24_e32 v240, v213, v97
	scratch_load_b32 v213, off, off offset:44 ; 4-byte Folded Reload
	v_mul_i32_i24_e32 v241, v212, v40
	v_mov_b32_e32 v212, v242
	v_add3_u32 v0, v4, v243, v244
	v_mul_i32_i24_e32 v4, v180, v26
	scratch_load_b32 v242, off, off offset:384 ; 4-byte Folded Reload
	v_mul_i32_i24_e32 v244, v99, v115
	scratch_load_b32 v206, off, off offset:64 ; 4-byte Folded Reload
	scratch_store_b32 off, v0, off offset:1652 ; 4-byte Folded Spill
	v_mad_i32_i24 v4, v181, v5, v4
	v_bfe_u32 v0, v16, 4, 4
	v_mov_b32_e32 v118, v222
	s_clause 0x1
	scratch_load_b32 v222, off, off offset:1204
	scratch_load_b32 v180, off, off offset:1188
	v_add3_u32 v4, v4, v20, v21
	v_mul_i32_i24_e32 v20, v178, v6
	v_mul_i32_i24_e32 v21, v177, v7
	;; [unrolled: 1-line block ×3, first 2 shown]
	v_bfe_u32 v152, v1, 12, 4
	s_clause 0x1
	scratch_load_b32 v178, off, off offset:844
	scratch_load_b32 v177, off, off offset:852
	v_add3_u32 v4, v4, v20, v21
	scratch_load_b32 v181, off, off offset:1104 ; 4-byte Folded Reload
	s_clause 0x2
	scratch_store_b32 off, v238, off offset:408
	scratch_store_b32 off, v119, off offset:412
	;; [unrolled: 1-line block ×3, first 2 shown]
	v_add3_u32 v4, v4, v41, v59
	scratch_load_b32 v59, off, off offset:1200 ; 4-byte Folded Reload
	s_clause 0x1
	scratch_store_b32 off, v18, off offset:900
	scratch_store_b32 off, v152, off offset:1732
	v_add3_u32 v4, v4, v60, v61
	s_delay_alu instid0(VALU_DEP_1) | instskip(NEXT) | instid1(VALU_DEP_1)
	v_add3_u32 v4, v4, v62, v100
	v_add3_u32 v4, v4, v101, v102
	v_mul_i32_i24_e32 v101, v56, v219
	v_mul_i32_i24_e32 v102, v57, v221
	s_delay_alu instid0(VALU_DEP_3) | instskip(SKIP_2) | instid1(VALU_DEP_3)
	v_add3_u32 v4, v4, v103, v104
	v_mul_i32_i24_e32 v103, v58, v229
	v_mul_i32_i24_e32 v104, v63, v230
	v_add3_u32 v4, v4, v105, v106
	v_mul_i32_i24_e32 v105, v64, v231
	v_mul_i32_i24_e32 v106, v65, v234
	s_delay_alu instid0(VALU_DEP_3) | instskip(SKIP_2) | instid1(VALU_DEP_3)
	v_add3_u32 v4, v4, v133, v134
	v_mul_i32_i24_e32 v133, v66, v235
	v_mul_i32_i24_e32 v134, v67, v236
	v_add3_u32 v4, v4, v140, v141
	v_mul_i32_i24_e32 v140, v68, v237
	v_mul_i32_i24_e32 v141, v69, v238
	s_delay_alu instid0(VALU_DEP_3) | instskip(SKIP_1) | instid1(VALU_DEP_2)
	v_add3_u32 v4, v4, v142, v143
	v_mul_i32_i24_e32 v142, v70, v170
	v_add3_u32 v4, v4, v144, v148
	v_mul_i32_i24_e32 v144, v72, v232
	v_mul_i32_i24_e32 v148, v73, v239
	s_delay_alu instid0(VALU_DEP_3)
	v_add3_u32 v4, v4, v240, v241
	v_mul_i32_i24_e32 v241, v75, v201
	scratch_load_b32 v201, off, off offset:1216 ; 4-byte Folded Reload
	v_mul_i32_i24_e32 v240, v74, v212
	v_add3_u32 v4, v4, v243, v244
	v_mul_i32_i24_e32 v243, v76, v200
	scratch_load_b32 v200, off, off offset:356 ; 4-byte Folded Reload
	scratch_store_b32 off, v17, off offset:1668 ; 4-byte Folded Spill
	v_and_b32_e32 v17, 15, v1
	scratch_store_b32 off, v4, off offset:1684 ; 4-byte Folded Spill
	v_mul_i32_i24_e32 v4, v42, v118
	v_mul_i32_i24_e32 v244, v77, v17
	v_bfe_u32 v17, v1, 8, 4
	s_delay_alu instid0(VALU_DEP_1) | instskip(SKIP_1) | instid1(VALU_DEP_1)
	v_mul_i32_i24_e32 v245, v78, v17
	v_bfe_u32 v17, v1, 16, 4
	v_mul_i32_i24_e32 v246, v80, v17
	v_bfe_u32 v17, v1, 24, 4
	s_delay_alu instid0(VALU_DEP_1)
	v_mul_i32_i24_e32 v247, v81, v17
	s_wait_loadcnt 0x1b
	v_mul_i32_i24_e32 v100, v55, v156
	s_wait_loadcnt 0x1a
	;; [unrolled: 2-line block ×8, first 2 shown]
	v_mad_i32_i24 v4, v43, v121, v4
	s_delay_alu instid0(VALU_DEP_1) | instskip(SKIP_2) | instid1(VALU_DEP_1)
	v_add3_u32 v4, v4, v20, v21
	v_mul_i32_i24_e32 v20, v46, v146
	v_mul_i32_i24_e32 v21, v47, v147
	v_add3_u32 v4, v4, v20, v21
	s_wait_loadcnt 0xa
	v_mul_i32_i24_e32 v143, v71, v213
	v_mul_i32_i24_e32 v20, v36, v249
	v_mul_i32_i24_e32 v21, v37, v18
	v_add3_u32 v4, v4, v41, v60
	v_bfe_u32 v60, v1, 20, 4
	v_mul_i32_i24_e32 v41, v8, v87
	s_delay_alu instid0(VALU_DEP_3) | instskip(NEXT) | instid1(VALU_DEP_3)
	v_add3_u32 v4, v4, v61, v62
	v_mul_i32_i24_e32 v17, v29, v60
	s_clause 0x1
	scratch_load_b32 v60, off, off offset:792
	scratch_load_b32 v61, off, off offset:1148
	v_add3_u32 v4, v4, v100, v101
	v_mul_i32_i24_e32 v100, v10, v185
	v_mul_i32_i24_e32 v101, v11, v205
	scratch_store_b32 off, v17, off offset:1692 ; 4-byte Folded Spill
	scratch_load_b32 v17, off, off offset:1048 ; 4-byte Folded Reload
	v_add3_u32 v4, v4, v102, v103
	s_wait_loadcnt 0xb
	v_mul_i32_i24_e32 v103, v13, v206
	s_wait_loadcnt 0x8
	v_mul_i32_i24_e32 v8, v8, v178
	v_mul_i32_i24_e32 v10, v10, v192
	;; [unrolled: 1-line block ×3, first 2 shown]
	v_add3_u32 v4, v4, v104, v105
	v_mul_i32_i24_e32 v104, v15, v209
	v_mul_i32_i24_e32 v105, v22, v139
	;; [unrolled: 1-line block ×3, first 2 shown]
	s_delay_alu instid0(VALU_DEP_4) | instskip(SKIP_2) | instid1(VALU_DEP_3)
	v_add3_u32 v4, v4, v106, v133
	v_mul_i32_i24_e32 v106, v23, v210
	v_mul_i32_i24_e32 v133, v25, v211
	v_add3_u32 v4, v4, v134, v140
	s_wait_loadcnt 0x5
	v_mul_i32_i24_e32 v134, v35, v59
	v_mul_i32_i24_e32 v140, v14, v222
	s_delay_alu instid0(VALU_DEP_3)
	v_add3_u32 v4, v4, v141, v142
	v_mul_i32_i24_e32 v141, v82, v151
	v_mul_i32_i24_e32 v142, v38, v136
	scratch_load_b32 v136, off, off offset:1168 ; 4-byte Folded Reload
	v_bfe_u32 v151, v1, 4, 4
	v_add3_u32 v4, v4, v143, v144
	v_mul_i32_i24_e32 v143, v88, v135
	v_mul_i32_i24_e32 v144, v89, v127
	s_clause 0x1
	scratch_load_b32 v135, off, off offset:1164
	scratch_load_b32 v127, off, off offset:848
	v_add3_u32 v4, v4, v148, v240
	v_mul_i32_i24_e32 v148, v94, v123
	v_mul_i32_i24_e32 v240, v39, v122
	s_clause 0x1
	scratch_load_b32 v122, off, off offset:1124
	scratch_load_b32 v123, off, off offset:1092
	v_add3_u32 v4, v4, v241, v243
	v_mul_i32_i24_e32 v241, v95, v117
	scratch_load_b32 v117, off, off offset:820 ; 4-byte Folded Reload
	v_mul_i32_i24_e32 v243, v96, v86
	scratch_load_b32 v86, off, off offset:1088 ; 4-byte Folded Reload
	v_add3_u32 v4, v4, v244, v245
	v_mul_i32_i24_e32 v244, v97, v85
	v_mul_i32_i24_e32 v245, v40, v84
	s_clause 0x1
	scratch_load_b32 v84, off, off offset:1156
	scratch_load_b32 v85, off, off offset:896
	v_add3_u32 v4, v4, v246, v247
	v_mul_i32_i24_e32 v246, v98, v151
	v_mul_i32_i24_e32 v247, v99, v152
	v_mul_i32_i24_e32 v39, v39, v111
	v_mul_i32_i24_e32 v40, v40, v19
	scratch_store_b32 off, v4, off offset:1688 ; 4-byte Folded Spill
	v_mul_i32_i24_e32 v4, v26, v242
	scratch_store_b32 off, v151, off offset:1728 ; 4-byte Folded Spill
	v_lshrrev_b32_e32 v1, 28, v1
	s_clause 0x1
	scratch_store_b32 off, v109, off offset:460
	scratch_store_b32 off, v54, off offset:456
	v_mad_i32_i24 v4, v5, v255, v4
	v_bfe_i32 v19, v3, 0, 8
	s_wait_loadcnt 0xd
	v_mul_i32_i24_e32 v102, v12, v201
	v_mul_i32_i24_e32 v12, v12, v204
	v_add3_u32 v4, v4, v20, v21
	v_mul_i32_i24_e32 v20, v6, v83
	v_mul_i32_i24_e32 v21, v7, v125
	s_wait_loadcnt 0xc
	v_mul_i32_i24_e32 v62, v9, v200
	v_mul_i32_i24_e32 v9, v9, v177
	s_delay_alu instid0(VALU_DEP_3) | instskip(NEXT) | instid1(VALU_DEP_1)
	v_add3_u32 v4, v4, v20, v21
	v_add3_u32 v4, v4, v41, v62
	scratch_load_b32 v62, off, off offset:1152 ; 4-byte Folded Reload
	v_add3_u32 v4, v4, v100, v101
	s_clause 0x1
	scratch_load_b32 v100, off, off offset:1052
	scratch_load_b32 v101, off, off offset:796
	v_add3_u32 v4, v4, v102, v103
	s_clause 0x1
	scratch_load_b32 v102, off, off offset:800
	scratch_load_b32 v103, off, off offset:804
	v_add3_u32 v4, v4, v104, v105
	s_clause 0x1
	scratch_load_b32 v104, off, off offset:1056
	scratch_load_b32 v105, off, off offset:808
	v_add3_u32 v4, v4, v106, v133
	scratch_load_b32 v106, off, off offset:812 ; 4-byte Folded Reload
	v_add3_u32 v4, v4, v134, v140
	s_delay_alu instid0(VALU_DEP_1)
	v_add3_u32 v4, v4, v141, v142
	s_clause 0x1
	scratch_load_b32 v141, off, off offset:1172
	scratch_load_b32 v142, off, off offset:1176
	v_add3_u32 v4, v4, v143, v144
	s_clause 0x1
	scratch_load_b32 v143, off, off offset:1180
	scratch_load_b32 v144, off, off offset:880
	;; [unrolled: 4-line block ×5, first 2 shown]
	v_add3_u32 v4, v4, v246, v247
	scratch_store_b32 off, v4, off offset:1700 ; 4-byte Folded Spill
	s_wait_loadcnt 0x1d
	v_mul_i32_i24_e32 v21, v45, v60
	v_mul_i32_i24_e32 v45, v55, v114
	s_wait_loadcnt 0x1c
	v_mul_i32_i24_e32 v55, v66, v61
	s_wait_loadcnt 0x1b
	v_mul_i32_i24_e32 v4, v42, v17
	s_wait_loadcnt 0x1a
	v_mul_i32_i24_e32 v66, v73, v136
	v_mul_i32_i24_e32 v73, v81, v184
	;; [unrolled: 1-line block ×3, first 2 shown]
	s_wait_loadcnt 0x18
	v_mul_i32_i24_e32 v7, v7, v127
	s_wait_loadcnt 0x16
	v_mul_i32_i24_e32 v14, v14, v123
	s_wait_loadcnt 0x15
	v_mul_i32_i24_e32 v20, v44, v117
	s_wait_loadcnt 0x10
	v_mad_i32_i24 v4, v43, v100, v4
	s_delay_alu instid0(VALU_DEP_1)
	v_add3_u32 v4, v4, v20, v21
	s_wait_loadcnt 0xf
	v_mul_i32_i24_e32 v20, v46, v101
	s_wait_loadcnt 0xe
	v_mul_i32_i24_e32 v21, v47, v102
	s_wait_loadcnt 0xd
	v_mul_i32_i24_e32 v41, v48, v103
	v_mul_i32_i24_e32 v46, v56, v122
	s_wait_loadcnt 0xc
	v_mul_i32_i24_e32 v42, v49, v104
	s_wait_loadcnt 0xb
	v_mul_i32_i24_e32 v43, v50, v105
	v_add3_u32 v4, v4, v20, v21
	v_mul_i32_i24_e32 v47, v57, v225
	v_mul_i32_i24_e32 v48, v58, v226
	s_wait_loadcnt 0xa
	v_mul_i32_i24_e32 v44, v51, v106
	v_mul_i32_i24_e32 v49, v63, v227
	v_add3_u32 v4, v4, v41, v42
	v_mul_i32_i24_e32 v50, v64, v228
	v_mul_i32_i24_e32 v56, v67, v62
	;; [unrolled: 1-line block ×4, first 2 shown]
	v_add3_u32 v4, v4, v43, v44
	v_mul_i32_i24_e32 v64, v71, v128
	v_mul_i32_i24_e32 v71, v78, v180
	s_wait_loadcnt 0x9
	v_mul_i32_i24_e32 v67, v74, v141
	s_wait_loadcnt 0x8
	v_mul_i32_i24_e32 v68, v75, v142
	v_add3_u32 v4, v4, v45, v46
	v_mul_i32_i24_e32 v41, v95, v79
	v_mul_i32_i24_e32 v42, v96, v32
	s_wait_loadcnt 0x7
	v_mul_i32_i24_e32 v69, v76, v143
	scratch_load_b32 v32, off, off offset:872 ; 4-byte Folded Reload
	v_add3_u32 v4, v4, v47, v48
	scratch_load_b32 v79, off, off offset:876 ; 4-byte Folded Reload
	v_mul_i32_i24_e32 v43, v97, v24
	scratch_load_b32 v24, off, off offset:1228 ; 4-byte Folded Reload
	s_wait_loadcnt 0x7
	v_mul_i32_i24_e32 v6, v6, v240
	v_add3_u32 v4, v4, v49, v50
	v_mul_i32_i24_e32 v47, v224, v108
	v_fma_mix_f32 v20, v90, v109, 0 op_sel:[1,0,0] op_sel_hi:[1,0,0]
	v_lshrrev_b32_e32 v224, 28, v16
	s_wait_loadcnt 0x5
	v_mul_i32_i24_e32 v11, v11, v243
	v_lshrrev_b16 v16, 8, v3
	s_wait_loadcnt 0x4
	v_mul_i32_i24_e32 v51, v65, v244
	s_wait_loadcnt 0x3
	v_mul_i32_i24_e32 v63, v70, v245
	v_mul_i32_i24_e32 v65, v72, v135
	;; [unrolled: 1-line block ×4, first 2 shown]
	v_add3_u32 v4, v4, v51, v55
	v_bfe_i32 v16, v16, 0, 8
	s_delay_alu instid0(VALU_DEP_2) | instskip(NEXT) | instid1(VALU_DEP_1)
	v_add3_u32 v4, v4, v56, v57
	v_add3_u32 v4, v4, v58, v63
	scratch_load_b32 v63, off, off offset:1120 ; 4-byte Folded Reload
	v_add3_u32 v4, v4, v64, v65
	scratch_load_b32 v65, off, off offset:840 ; 4-byte Folded Reload
	v_mul_i32_i24_e32 v64, v115, v16
	v_add3_u32 v4, v4, v66, v67
	s_delay_alu instid0(VALU_DEP_1) | instskip(NEXT) | instid1(VALU_DEP_1)
	v_add3_u32 v4, v4, v68, v69
	v_add3_u32 v4, v4, v70, v71
	s_delay_alu instid0(VALU_DEP_1)
	v_add3_u32 v4, v4, v72, v73
	scratch_load_b32 v72, off, off offset:884 ; 4-byte Folded Reload
	v_bfe_i32 v73, v3, 16, 8
	s_wait_loadcnt 0x5
	v_mul_i32_i24_e32 v44, v98, v32
	s_wait_loadcnt 0x4
	v_mul_i32_i24_e32 v45, v99, v79
	;; [unrolled: 2-line block ×3, first 2 shown]
	s_wait_loadcnt 0x2
	v_mul_lo_u32 v4, v4, v63
	s_wait_loadcnt 0x1
	v_mul_i32_i24_e32 v21, v26, v65
	s_delay_alu instid0(VALU_DEP_2) | instskip(NEXT) | instid1(VALU_DEP_2)
	v_cvt_f32_i32_e32 v4, v4
	v_mad_i32_i24 v5, v5, v144, v21
	v_mul_i32_i24_e32 v21, v22, v214
	v_mul_i32_i24_e32 v22, v23, v181
	;; [unrolled: 1-line block ×6, first 2 shown]
	v_fma_mix_f32 v4, v90, v4, 0 op_sel_hi:[1,0,0]
	s_wait_loadcnt 0x0
	v_mul_i32_i24_e32 v26, v36, v72
	v_mul_i32_i24_e32 v36, v37, v148
	;; [unrolled: 1-line block ×3, first 2 shown]
	s_delay_alu instid0(VALU_DEP_2) | instskip(SKIP_3) | instid1(VALU_DEP_4)
	v_add3_u32 v5, v5, v26, v36
	v_mul_i32_i24_e32 v26, v82, v150
	v_mul_i32_i24_e32 v36, v88, v132
	;; [unrolled: 1-line block ×3, first 2 shown]
	v_add3_u32 v5, v5, v6, v7
	scratch_load_b32 v6, off, off offset:424 ; 4-byte Folded Reload
	v_add3_u32 v5, v5, v8, v9
	s_delay_alu instid0(VALU_DEP_1) | instskip(NEXT) | instid1(VALU_DEP_1)
	v_add3_u32 v5, v5, v10, v11
	v_add3_u32 v5, v5, v12, v13
	s_delay_alu instid0(VALU_DEP_1) | instskip(NEXT) | instid1(VALU_DEP_1)
	v_add3_u32 v5, v5, v15, v21
	;; [unrolled: 3-line block ×6, first 2 shown]
	v_add3_u32 v5, v5, v46, v47
	s_delay_alu instid0(VALU_DEP_1) | instskip(NEXT) | instid1(VALU_DEP_1)
	v_mul_lo_u32 v5, v5, v110
	v_cvt_f32_i32_e32 v5, v5
	s_delay_alu instid0(VALU_DEP_1) | instskip(SKIP_1) | instid1(VALU_DEP_1)
	v_fma_mix_f32 v4, v91, v5, v4 op_sel_hi:[1,0,0]
	v_fma_mix_f32 v5, v91, v54, v20 op_sel:[1,0,0] op_sel_hi:[1,0,0]
	v_mul_f32_e32 v5, v5, v52
	scratch_store_b32 off, v118, off offset:824 ; 4-byte Folded Spill
	s_wait_loadcnt 0x0
	v_fma_f32 v4, v4, v6, -v5
	scratch_load_b32 v5, off, off offset:548 ; 4-byte Folded Reload
	s_wait_loadcnt 0x0
	v_add_f32_e32 v5, v5, v4
	scratch_load_b32 v4, off, off offset:1276 ; 4-byte Folded Reload
	s_clause 0x2
	scratch_store_b32 off, v231, off offset:376
	scratch_store_b32 off, v212, off offset:380
	;; [unrolled: 1-line block ×3, first 2 shown]
	s_wait_loadcnt 0x0
	v_or_b32_e32 v4, s5, v4
	s_delay_alu instid0(VALU_DEP_1)
	v_lshlrev_b32_e32 v20, 2, v4
	v_lshrrev_b32_e32 v25, 1, v4
	ds_load_b128 v[12:15], v20 offset:16896
	ds_load_b128 v[8:11], v20 offset:16912
	;; [unrolled: 1-line block ×4, first 2 shown]
	s_clause 0x8
	scratch_load_b32 v20, off, off offset:1288
	scratch_load_b32 v215, off, off offset:1224
	;; [unrolled: 1-line block ×9, first 2 shown]
	scratch_store_b32 off, v1, off offset:452 ; 4-byte Folded Spill
	v_ashrrev_i32_e32 v1, 24, v3
	scratch_load_b32 v3, off, off offset:156 ; 4-byte Folded Reload
	v_mul_i32_i24_e32 v78, v224, v1
	s_wait_dscnt 0x3
	v_bfe_i32 v26, v12, 0, 8
	v_bfe_i32 v35, v12, 8, 8
	;; [unrolled: 1-line block ×3, first 2 shown]
	v_ashrrev_i32_e32 v12, 24, v12
	v_bfe_i32 v43, v13, 0, 8
	v_mul_i32_i24_e32 v37, v26, v186
	v_bfe_i32 v44, v13, 8, 8
	v_mul_i32_i24_e32 v38, v36, v187
	v_mul_i32_i24_e32 v39, v12, v188
	v_bfe_i32 v45, v13, 16, 8
	v_mad_i32_i24 v37, v35, v179, v37
	v_ashrrev_i32_e32 v13, 24, v13
	v_bfe_i32 v46, v14, 0, 8
	v_bfe_i32 v47, v14, 8, 8
	v_mul_i32_i24_e32 v40, v45, v193
	v_add3_u32 v37, v37, v38, v39
	v_mul_i32_i24_e32 v38, v43, v190
	v_mul_i32_i24_e32 v39, v44, v191
	;; [unrolled: 1-line block ×6, first 2 shown]
	v_add3_u32 v37, v37, v38, v39
	v_mul_i32_i24_e32 v38, v113, v36
	v_mul_i32_i24_e32 v39, v112, v12
	;; [unrolled: 1-line block ×3, first 2 shown]
	v_dual_mov_b32 v190, v113 :: v_dual_mov_b32 v195, v189
	v_add3_u32 v37, v37, v40, v42
	v_mul_i32_i24_e32 v40, v196, v44
	v_bfe_i32 v48, v14, 16, 8
	v_mul_i32_i24_e32 v57, v47, v155
	v_mov_b32_e32 v155, v24
	v_add3_u32 v42, v37, v49, v50
	v_mul_i32_i24_e32 v37, v138, v26
	v_mul_i32_i24_e32 v49, v189, v45
	;; [unrolled: 1-line block ×3, first 2 shown]
	v_dual_mov_b32 v188, v138 :: v_dual_mov_b32 v197, v196
	s_delay_alu instid0(VALU_DEP_4)
	v_mad_i32_i24 v37, v124, v35, v37
	scratch_load_b32 v196, off, off offset:1220 ; 4-byte Folded Reload
	s_wait_dscnt 0x2
	v_bfe_i32 v34, v10, 0, 8
	v_ashrrev_i32_e32 v14, 24, v14
	v_mul_i32_i24_e32 v41, v48, v199
	v_add3_u32 v37, v37, v38, v39
	v_mul_i32_i24_e32 v38, v198, v43
	v_mul_i32_i24_e32 v56, v46, v154
	;; [unrolled: 1-line block ×3, first 2 shown]
	v_ashrrev_i32_e32 v154, 24, v11
	s_wait_dscnt 0x1
	v_bfe_i32 v58, v6, 0, 8
	v_add3_u32 v37, v37, v38, v40
	v_mul_i32_i24_e32 v38, v36, v120
	v_mul_i32_i24_e32 v36, v36, v117
	v_bfe_i32 v67, v6, 8, 8
	v_bfe_i32 v68, v6, 16, 8
	v_add3_u32 v37, v37, v49, v50
	v_mul_i32_i24_e32 v49, v12, v145
	v_mul_i32_i24_e32 v12, v12, v60
	;; [unrolled: 1-line block ×3, first 2 shown]
	scratch_load_b32 v60, off, off offset:1620 th:TH_LOAD_LU ; 4-byte Folded Reload
	v_add3_u32 v40, v37, v51, v55
	v_mul_i32_i24_e32 v37, v26, v118
	v_mul_i32_i24_e32 v26, v26, v17
	;; [unrolled: 1-line block ×5, first 2 shown]
	v_mad_i32_i24 v37, v35, v121, v37
	v_mad_i32_i24 v26, v35, v100, v26
	v_mul_i32_i24_e32 v35, v48, v114
	v_ashrrev_i32_e32 v69, 24, v6
	v_bfe_i32 v70, v7, 0, 8
	v_add3_u32 v38, v37, v38, v49
	v_add3_u32 v12, v26, v36, v12
	v_mul_i32_i24_e32 v26, v43, v101
	v_mul_i32_i24_e32 v36, v44, v102
	;; [unrolled: 1-line block ×6, first 2 shown]
	v_add3_u32 v12, v12, v26, v36
	v_mul_i32_i24_e32 v37, v48, v156
	v_mov_b32_e32 v156, v79
	v_add3_u32 v38, v38, v49, v50
	v_bfe_i32 v46, v11, 8, 8
	v_add3_u32 v12, v12, v43, v13
	v_bfe_i32 v47, v11, 16, 8
	v_bfe_i32 v48, v4, 8, 8
	v_add3_u32 v38, v38, v51, v55
	v_bfe_i32 v49, v4, 16, 8
	v_add3_u32 v36, v12, v44, v45
	scratch_load_b32 v12, off, off offset:1280 ; 4-byte Folded Reload
	v_mul_i32_i24_e32 v44, v16, v223
	scratch_load_b32 v223, off, off offset:748 ; 4-byte Folded Reload
	v_add3_u32 v38, v38, v56, v57
	v_ashrrev_i32_e32 v50, 24, v4
	v_bfe_i32 v51, v5, 0, 8
	v_bfe_i32 v55, v5, 8, 8
	;; [unrolled: 1-line block ×3, first 2 shown]
	v_ashrrev_i32_e32 v57, 24, v5
	v_bfe_i32 v74, v7, 8, 8
	v_bfe_i32 v75, v7, 16, 8
	v_ashrrev_i32_e32 v76, 24, v7
	v_bfe_i32 v31, v9, 8, 8
	v_mul_i32_i24_e32 v101, v34, v253
	s_wait_dscnt 0x0
	v_bfe_i32 v88, v108, 8, 8
	s_clause 0x2
	scratch_load_b32 v120, off, off offset:304
	scratch_load_b32 v145, off, off offset:328
	;; [unrolled: 1-line block ×3, first 2 shown]
	v_bfe_i32 v77, v108, 0, 8
	s_clause 0x2
	scratch_load_b32 v1, off, off offset:144
	scratch_load_b32 v102, off, off offset:176
	;; [unrolled: 1-line block ×3, first 2 shown]
	v_mov_b32_e32 v199, v112
	v_mov_b32_e32 v191, v124
	;; [unrolled: 1-line block ×4, first 2 shown]
	v_mul_i32_i24_e32 v0, v19, v151
	scratch_load_b32 v151, off, off offset:164 ; 4-byte Folded Reload
	v_mov_b32_e32 v189, v107
	scratch_load_b32 v107, off, off offset:332 ; 4-byte Folded Reload
	v_mov_b32_e32 v179, v32
	scratch_store_b32 off, v0, off offset:1748 ; 4-byte Folded Spill
	v_mul_i32_i24_e32 v0, v16, v152
	v_mul_i32_i24_e32 v16, v16, v79
	scratch_load_b32 v152, off, off offset:100 ; 4-byte Folded Reload
	scratch_store_b32 off, v0, off offset:1736 ; 4-byte Folded Spill
	v_mul_i32_i24_e32 v0, v73, v24
	scratch_store_b32 off, v0, off offset:1740 ; 4-byte Folded Spill
	scratch_load_b32 v0, off, off offset:948 th:TH_LOAD_LU ; 4-byte Folded Reload
	s_wait_loadcnt 0x14
	v_mul_i32_i24_e32 v98, v31, v220
	s_wait_loadcnt 0xd
	v_mul_i32_i24_e32 v133, v46, v196
	s_wait_loadcnt 0xb
	v_or_b32_e32 v12, s5, v12
	s_delay_alu instid0(VALU_DEP_1) | instskip(SKIP_4) | instid1(VALU_DEP_1)
	v_lshlrev_b32_e32 v26, 2, v12
	v_lshrrev_b32_e32 v13, 1, v12
	scratch_load_b32 v12, off, off offset:1284 ; 4-byte Folded Reload
	s_wait_loadcnt 0x0
	v_or_b32_e32 v43, s5, v12
	v_lshlrev_b32_e32 v12, 2, v43
	v_lshrrev_b32_e32 v17, 1, v43
	v_or_b32_e32 v43, s5, v20
	scratch_load_b32 v20, off, off offset:1292 ; 4-byte Folded Reload
	v_mov_b32_e32 v194, v183
	scratch_store_b32 off, v17, off offset:1596 ; 4-byte Folded Spill
	v_lshlrev_b32_e32 v71, 2, v43
	v_lshrrev_b32_e32 v17, 1, v43
	scratch_store_b32 off, v17, off offset:1600 ; 4-byte Folded Spill
	s_wait_loadcnt 0x0
	v_or_b32_e32 v43, s5, v20
	s_delay_alu instid0(VALU_DEP_1)
	v_lshlrev_b32_e32 v20, 2, v43
	v_lshrrev_b32_e32 v186, 1, v43
	scratch_store_b32 off, v20, off offset:1348 ; 4-byte Folded Spill
	scratch_load_b32 v20, off, off offset:1296 ; 4-byte Folded Reload
	s_wait_loadcnt 0x0
	v_or_b32_e32 v43, s5, v20
	s_add_co_i32 s5, s4, 8
	s_cmp_lt_u32 s4, 24
	s_wait_alu 0xfffe
	s_mov_b32 s4, s5
	v_lshlrev_b32_e32 v66, 2, v43
	v_lshrrev_b32_e32 v22, 1, v43
	v_mul_i32_i24_e32 v43, v19, v218
	v_mul_i32_i24_e32 v19, v19, v32
	scratch_load_b32 v218, off, off offset:720 ; 4-byte Folded Reload
	v_add3_u32 v0, v0, v19, v16
	scratch_store_b32 off, v0, off offset:1744 ; 4-byte Folded Spill
	scratch_load_b32 v0, off, off offset:336 ; 4-byte Folded Reload
	s_wait_loadcnt 0x0
	v_mul_i32_i24_e32 v16, v29, v0
	v_mul_i32_i24_e32 v19, v73, v0
	scratch_load_b32 v0, off, off offset:344 ; 4-byte Folded Reload
	s_wait_loadcnt 0x0
	v_mul_i32_i24_e32 v29, v0, v233
	v_mul_i32_i24_e32 v45, v0, v60
	scratch_load_b32 v0, off, off offset:944 th:TH_LOAD_LU ; 4-byte Folded Reload
	v_add3_u32 v2, v2, v16, v29
	v_bfe_i32 v29, v8, 16, 8
	s_delay_alu instid0(VALU_DEP_1)
	v_mul_i32_i24_e32 v95, v29, v172
	scratch_load_b32 v172, off, off offset:188 ; 4-byte Folded Reload
	s_wait_loadcnt 0x1
	v_add3_u32 v24, v0, v43, v44
	scratch_load_b32 v0, off, off offset:260 ; 4-byte Folded Reload
	v_bfe_i32 v43, v10, 8, 8
	v_bfe_i32 v44, v10, 16, 8
	v_ashrrev_i32_e32 v10, 24, v10
	v_add3_u32 v19, v24, v19, v45
	v_bfe_i32 v24, v15, 16, 8
	v_bfe_i32 v45, v11, 0, 8
	v_mul_i32_i24_e32 v104, v44, v251
	v_mul_i32_i24_e32 v105, v10, v252
	s_clause 0x1
	scratch_load_b32 v252, off, off offset:964
	scratch_load_b32 v251, off, off offset:672
	v_bfe_i32 v11, v4, 0, 8
	v_mul_i32_i24_e32 v6, v24, v174
	v_mul_i32_i24_e32 v103, v43, v254
	;; [unrolled: 1-line block ×3, first 2 shown]
	scratch_load_b32 v174, off, off offset:200 ; 4-byte Folded Reload
	s_wait_loadcnt 0x3
	v_mul_lo_u32 v2, v2, v0
	v_mul_lo_u32 v16, v19, v0
	s_clause 0x1
	scratch_load_b32 v0, off, off offset:416
	scratch_load_b64 v[19:20], off, off offset:564 th:TH_LOAD_LU
	v_cvt_f32_i32_e32 v2, v2
	v_cvt_f32_i32_e32 v16, v16
	s_delay_alu instid0(VALU_DEP_2) | instskip(NEXT) | instid1(VALU_DEP_2)
	v_fma_mix_f32 v2, v91, v2, v28 op_sel_hi:[1,0,0]
	v_fma_mix_f32 v16, v93, v16, v27 op_sel_hi:[1,0,0]
	v_bfe_i32 v28, v8, 8, 8
	v_bfe_i32 v27, v8, 0, 8
	v_ashrrev_i32_e32 v8, 24, v8
	s_delay_alu instid0(VALU_DEP_2)
	v_mul_i32_i24_e32 v89, v27, v175
	scratch_load_b32 v175, off, off offset:204 ; 4-byte Folded Reload
	s_wait_loadcnt 0x2
	v_fma_f32 v16, v16, v0, -v33
	scratch_load_b32 v0, off, off offset:432 ; 4-byte Folded Reload
	v_bfe_i32 v33, v9, 16, 8
	s_wait_loadcnt 0x2
	v_add_f32_e32 v19, v19, v16
	v_bfe_i32 v16, v15, 0, 8
	s_delay_alu instid0(VALU_DEP_3)
	v_mul_i32_i24_e32 v99, v33, v126
	scratch_load_b32 v126, off, off offset:316 ; 4-byte Folded Reload
	v_mul_i32_i24_e32 v4, v16, v173
	scratch_load_b32 v173, off, off offset:196 ; 4-byte Folded Reload
	s_wait_loadcnt 0x2
	v_fma_f32 v2, v2, v0, -v30
	scratch_load_b32 v0, off, off offset:264 ; 4-byte Folded Reload
	v_bfe_i32 v30, v9, 0, 8
	v_ashrrev_i32_e32 v9, 24, v9
	v_add_f32_e32 v20, v20, v2
	v_mul_i32_i24_e32 v2, v14, v176
	s_delay_alu instid0(VALU_DEP_4) | instskip(NEXT) | instid1(VALU_DEP_4)
	v_mul_i32_i24_e32 v97, v30, v218
	v_mul_i32_i24_e32 v100, v9, v248
	scratch_load_b32 v176, off, off offset:212 ; 4-byte Folded Reload
	scratch_store_b64 off, v[19:20], off offset:564 ; 8-byte Folded Spill
	v_bfe_i32 v19, v15, 8, 8
	v_ashrrev_i32_e32 v15, 24, v15
	v_add3_u32 v2, v42, v41, v2
	v_mul_i32_i24_e32 v41, v58, v159
	v_mul_i32_i24_e32 v42, v67, v160
	;; [unrolled: 1-line block ×4, first 2 shown]
	s_clause 0x1
	scratch_load_b32 v160, off, off offset:116
	scratch_load_b32 v159, off, off offset:112
	v_add3_u32 v2, v2, v4, v5
	v_mul_i32_i24_e32 v4, v49, v252
	v_mul_i32_i24_e32 v5, v50, v163
	scratch_load_b32 v163, off, off offset:140 ; 4-byte Folded Reload
	v_add3_u32 v2, v2, v6, v7
	v_mul_i32_i24_e32 v6, v56, v165
	v_mul_i32_i24_e32 v7, v57, v166
	s_clause 0x1
	scratch_load_b32 v166, off, off offset:136
	scratch_load_b32 v165, off, off offset:132
	s_wait_loadcnt 0x6
	v_mul_i32_i24_e32 v94, v28, v0
	scratch_load_b32 v0, off, off offset:268 ; 4-byte Folded Reload
	v_add3_u32 v2, v2, v89, v94
	v_mul_i32_i24_e32 v89, v68, v171
	v_mul_i32_i24_e32 v94, v69, v158
	scratch_load_b32 v171, off, off offset:184 ; 4-byte Folded Reload
	s_wait_loadcnt 0x4
	v_mul_i32_i24_e32 v140, v163, v154
	s_wait_loadcnt 0x1
	v_mul_i32_i24_e32 v96, v8, v0
	v_mul_i32_i24_e32 v0, v47, v223
	s_delay_alu instid0(VALU_DEP_2)
	v_add3_u32 v2, v2, v95, v96
	scratch_store_b32 off, v0, off offset:1712 ; 4-byte Folded Spill
	v_mul_i32_i24_e32 v95, v70, v157
	v_mul_i32_i24_e32 v96, v74, v251
	scratch_load_b32 v157, off, off offset:104 ; 4-byte Folded Reload
	v_add3_u32 v2, v2, v97, v98
	v_mul_i32_i24_e32 v97, v75, v161
	v_mul_i32_i24_e32 v98, v76, v162
	s_clause 0x1
	scratch_load_b32 v162, off, off offset:124
	scratch_load_b32 v161, off, off offset:120
	v_add3_u32 v2, v2, v99, v100
	v_mul_i32_i24_e32 v100, v88, v53
	scratch_load_b32 v53, off, off offset:300 ; 4-byte Folded Reload
	v_mul_i32_i24_e32 v99, v77, v164
	scratch_load_b32 v164, off, off offset:128 ; 4-byte Folded Reload
	v_add3_u32 v2, v2, v101, v103
	v_mov_b32_e32 v101, v116
	scratch_load_b32 v116, off, off offset:192 ; 4-byte Folded Reload
	v_add3_u32 v2, v2, v104, v105
	v_mul_i32_i24_e32 v104, v160, v44
	v_mul_i32_i24_e32 v105, v159, v10
	s_delay_alu instid0(VALU_DEP_3)
	v_add3_u32 v0, v2, v106, v133
	v_mul_i32_i24_e32 v2, v11, v250
	scratch_load_b32 v250, off, off offset:296 ; 4-byte Folded Reload
	v_mul_i32_i24_e32 v106, v166, v45
	v_mul_i32_i24_e32 v133, v165, v46
	scratch_store_b32 off, v0, off offset:1716 ; 4-byte Folded Spill
	v_mad_i32_i24 v2, v48, v169, v2
	scratch_load_b32 v169, off, off offset:180 ; 4-byte Folded Reload
	v_add3_u32 v2, v2, v4, v5
	v_mul_i32_i24_e32 v4, v51, v167
	v_mul_i32_i24_e32 v5, v55, v168
	s_clause 0x1
	scratch_load_b32 v168, off, off offset:172
	scratch_load_b32 v167, off, off offset:168
	v_add3_u32 v2, v2, v4, v5
	v_mul_i32_i24_e32 v5, v132, v16
	s_delay_alu instid0(VALU_DEP_2) | instskip(SKIP_2) | instid1(VALU_DEP_3)
	v_add3_u32 v2, v2, v6, v7
	v_mul_i32_i24_e32 v6, v131, v19
	v_mul_i32_i24_e32 v7, v120, v24
	v_add3_u32 v2, v2, v41, v42
	v_mul_i32_i24_e32 v42, v145, v27
	s_delay_alu instid0(VALU_DEP_2) | instskip(SKIP_2) | instid1(VALU_DEP_3)
	v_add3_u32 v2, v2, v89, v94
	v_mul_i32_i24_e32 v89, v52, v28
	v_mul_i32_i24_e32 v94, v130, v29
	v_add3_u32 v2, v2, v95, v96
	v_mul_i32_i24_e32 v95, v126, v8
	v_mul_i32_i24_e32 v96, v147, v30
	s_delay_alu instid0(VALU_DEP_3) | instskip(SKIP_1) | instid1(VALU_DEP_2)
	v_add3_u32 v2, v2, v97, v98
	v_mul_i32_i24_e32 v98, v152, v33
	v_add3_u32 v0, v2, v99, v100
	v_mul_i32_i24_e32 v99, v107, v9
	scratch_load_b32 v2, off, off offset:148 ; 4-byte Folded Reload
	scratch_store_b32 off, v0, off offset:1752 ; 4-byte Folded Spill
	scratch_load_b32 v0, off, off offset:48 ; 4-byte Folded Reload
	s_wait_loadcnt 0xb
	v_mul_i32_i24_e32 v97, v157, v31
	v_mov_b32_e32 v158, v157
	s_wait_loadcnt 0xa
	v_mul_i32_i24_e32 v100, v162, v34
	s_wait_loadcnt 0x9
	v_mul_i32_i24_e32 v103, v161, v43
	;; [unrolled: 2-line block ×5, first 2 shown]
	s_delay_alu instid0(VALU_DEP_1) | instskip(SKIP_2) | instid1(VALU_DEP_3)
	v_add3_u32 v4, v40, v39, v4
	v_mul_i32_i24_e32 v39, v151, v56
	v_mul_i32_i24_e32 v40, v101, v57
	v_add3_u32 v4, v4, v5, v6
	v_mul_i32_i24_e32 v5, v3, v11
	s_delay_alu instid0(VALU_DEP_2) | instskip(SKIP_1) | instid1(VALU_DEP_3)
	v_add3_u32 v4, v4, v7, v41
	v_mul_i32_i24_e32 v7, v1, v50
	v_mad_i32_i24 v5, v150, v48, v5
	v_mul_i32_i24_e32 v41, v172, v58
	s_delay_alu instid0(VALU_DEP_4) | instskip(SKIP_3) | instid1(VALU_DEP_3)
	v_add3_u32 v4, v4, v42, v89
	v_mul_i32_i24_e32 v42, v171, v67
	s_wait_loadcnt 0x4
	v_mul_i32_i24_e32 v89, v169, v68
	v_add3_u32 v4, v4, v94, v95
	v_mul_i32_i24_e32 v94, v102, v69
	v_mul_i32_i24_e32 v95, v175, v70
	s_delay_alu instid0(VALU_DEP_3) | instskip(SKIP_2) | instid1(VALU_DEP_3)
	v_add3_u32 v4, v4, v96, v97
	v_mul_i32_i24_e32 v96, v174, v74
	v_mul_i32_i24_e32 v97, v173, v75
	v_add3_u32 v4, v4, v98, v99
	v_mul_i32_i24_e32 v98, v116, v76
	v_mul_i32_i24_e32 v99, v176, v77
	s_delay_alu instid0(VALU_DEP_3) | instskip(SKIP_2) | instid1(VALU_DEP_3)
	v_add3_u32 v4, v4, v100, v103
	v_mul_i32_i24_e32 v100, v117, v88
	v_mul_i32_i24_e32 v103, v43, v212
	v_add3_u32 v4, v4, v104, v105
	v_mul_i32_i24_e32 v104, v44, v119
	s_wait_loadcnt 0x1
	v_mul_i32_i24_e32 v6, v2, v49
	s_delay_alu instid0(VALU_DEP_3)
	v_add3_u32 v4, v4, v106, v133
	s_wait_loadcnt 0x0
	v_mul_i32_i24_e32 v105, v10, v0
	scratch_load_b32 v0, off, off offset:52 ; 4-byte Folded Reload
	v_add3_u32 v5, v5, v6, v7
	v_mul_i32_i24_e32 v6, v168, v51
	v_mul_i32_i24_e32 v7, v167, v55
	;; [unrolled: 1-line block ×3, first 2 shown]
	v_add3_u32 v183, v4, v134, v140
	s_delay_alu instid0(VALU_DEP_3)
	v_add3_u32 v5, v5, v6, v7
	v_mul_i32_i24_e32 v6, v14, v219
	v_mul_i32_i24_e32 v14, v14, v122
	;; [unrolled: 1-line block ×4, first 2 shown]
	v_add3_u32 v5, v5, v39, v40
	v_mul_i32_i24_e32 v39, v19, v229
	v_mul_i32_i24_e32 v19, v19, v226
	v_add3_u32 v14, v36, v35, v14
	v_mul_i32_i24_e32 v40, v24, v230
	v_add3_u32 v5, v5, v41, v42
	v_mul_i32_i24_e32 v41, v15, v231
	v_mul_i32_i24_e32 v24, v24, v227
	;; [unrolled: 1-line block ×3, first 2 shown]
	v_add3_u32 v14, v14, v16, v19
	v_add3_u32 v5, v5, v89, v94
	v_mul_i32_i24_e32 v42, v27, v234
	v_mul_i32_i24_e32 v89, v28, v235
	v_add3_u32 v6, v38, v37, v6
	v_mul_i32_i24_e32 v27, v27, v244
	v_mul_i32_i24_e32 v28, v28, v61
	v_add3_u32 v14, v14, v24, v15
	v_add3_u32 v5, v5, v95, v96
	v_mul_i32_i24_e32 v94, v29, v236
	v_mul_i32_i24_e32 v95, v8, v237
	v_add3_u32 v6, v6, v7, v39
	v_mul_i32_i24_e32 v7, v11, v242
	v_mul_i32_i24_e32 v29, v29, v62
	;; [unrolled: 1-line block ×3, first 2 shown]
	v_add3_u32 v14, v14, v27, v28
	v_add3_u32 v5, v5, v97, v98
	v_mul_i32_i24_e32 v96, v30, v238
	v_mul_i32_i24_e32 v97, v31, v170
	;; [unrolled: 1-line block ×4, first 2 shown]
	v_mad_i32_i24 v7, v48, v255, v7
	v_mul_i32_i24_e32 v30, v30, v85
	v_mul_i32_i24_e32 v31, v31, v245
	v_add3_u32 v8, v14, v29, v8
	v_add3_u32 v254, v5, v99, v100
	v_mul_i32_i24_e32 v98, v33, v213
	v_mul_i32_i24_e32 v99, v9, v232
	v_add3_u32 v7, v7, v37, v38
	v_mul_i32_i24_e32 v37, v51, v83
	v_mul_i32_i24_e32 v38, v55, v125
	v_mul_i32_i24_e32 v33, v33, v128
	v_mul_i32_i24_e32 v9, v9, v135
	v_add3_u32 v8, v8, v30, v31
	v_mul_i32_i24_e32 v100, v34, v239
	v_add3_u32 v7, v7, v37, v38
	v_mul_i32_i24_e32 v34, v34, v136
	v_mul_i32_i24_e32 v37, v43, v141
	v_add3_u32 v8, v8, v33, v9
	v_add3_u32 v6, v6, v40, v41
	v_mul_i32_i24_e32 v39, v56, v87
	v_mul_i32_i24_e32 v40, v57, v200
	;; [unrolled: 1-line block ×3, first 2 shown]
	v_add3_u32 v8, v8, v34, v37
	v_add3_u32 v6, v6, v42, v89
	v_mul_i32_i24_e32 v41, v58, v185
	v_mul_i32_i24_e32 v42, v67, v205
	v_add3_u32 v7, v7, v39, v40
	v_mul_i32_i24_e32 v39, v45, v241
	v_mul_i32_i24_e32 v40, v46, v180
	v_add3_u32 v8, v8, v38, v10
	v_mul_i32_i24_e32 v9, v49, v72
	v_add3_u32 v7, v7, v41, v42
	v_mul_i32_i24_e32 v41, v47, v182
	v_mul_i32_i24_e32 v42, v154, v184
	v_add3_u32 v8, v8, v39, v40
	v_mul_i32_i24_e32 v10, v50, v148
	scratch_load_b32 v170, off, off offset:72 ; 4-byte Folded Reload
	v_mul_i32_i24_e32 v14, v57, v177
	v_mul_i32_i24_e32 v15, v58, v192
	v_add3_u32 v8, v8, v41, v42
	v_mul_i32_i24_e32 v16, v67, v243
	v_add3_u32 v6, v6, v94, v95
	v_mul_i32_i24_e32 v89, v68, v201
	v_mul_i32_i24_e32 v94, v69, v206
	v_mul_lo_u32 v8, v8, v63
	v_mul_i32_i24_e32 v19, v68, v204
	v_add3_u32 v6, v6, v96, v97
	v_mul_i32_i24_e32 v24, v69, v207
	v_mul_i32_i24_e32 v95, v70, v209
	v_mul_i32_i24_e32 v96, v74, v139
	v_add3_u32 v7, v7, v89, v94
	v_add3_u32 v6, v6, v98, v99
	v_mul_i32_i24_e32 v27, v70, v208
	v_mul_i32_i24_e32 v28, v74, v214
	;; [unrolled: 1-line block ×4, first 2 shown]
	v_add3_u32 v6, v6, v100, v103
	v_add3_u32 v7, v7, v95, v96
	v_mul_i32_i24_e32 v29, v75, v181
	v_mul_i32_i24_e32 v30, v76, v217
	;; [unrolled: 1-line block ×3, first 2 shown]
	v_add3_u32 v6, v6, v104, v105
	v_mul_i32_i24_e32 v100, v88, v222
	v_add3_u32 v7, v7, v97, v98
	v_mul_i32_i24_e32 v31, v77, v86
	v_mul_i32_i24_e32 v33, v88, v123
	v_mov_b32_e32 v128, v131
	v_mov_b32_e32 v142, v132
	v_add3_u32 v83, v7, v99, v100
	v_bfe_i32 v62, v111, 16, 8
	v_mov_b32_e32 v177, v189
	s_wait_loadcnt 0x1
	v_mul_i32_i24_e32 v106, v45, v0
	scratch_load_b32 v0, off, off           ; 4-byte Folded Reload
	s_wait_loadcnt 0x1
	v_mul_i32_i24_e32 v140, v154, v170
	s_wait_loadcnt 0x0
	v_mul_i32_i24_e32 v133, v46, v0
	scratch_load_b32 v0, off, off offset:56 ; 4-byte Folded Reload
	v_add3_u32 v6, v6, v106, v133
	s_wait_loadcnt 0x0
	v_mul_i32_i24_e32 v134, v47, v0
	v_cvt_f32_i32_e32 v0, v8
	v_mul_i32_i24_e32 v8, v11, v65
	v_mul_i32_i24_e32 v11, v56, v178
	v_mov_b32_e32 v178, v193
	v_add3_u32 v235, v6, v134, v140
	scratch_store_b32 off, v0, off offset:1720 ; 4-byte Folded Spill
	scratch_load_b32 v0, off, off offset:836 th:TH_LOAD_LU ; 4-byte Folded Reload
	v_mad_i32_i24 v8, v48, v144, v8
	s_delay_alu instid0(VALU_DEP_1) | instskip(SKIP_2) | instid1(VALU_DEP_1)
	v_add3_u32 v8, v8, v9, v10
	v_mul_i32_i24_e32 v9, v51, v240
	v_mul_i32_i24_e32 v10, v55, v127
	v_add3_u32 v8, v8, v9, v10
	s_wait_loadcnt 0x0
	ds_load_u16 v9, v0
	ds_load_u16 v10, v0 offset:8
	scratch_load_b32 v0, off, off offset:940 th:TH_LOAD_LU ; 4-byte Folded Reload
	v_add3_u32 v8, v8, v11, v14
	s_delay_alu instid0(VALU_DEP_1)
	v_add3_u32 v8, v8, v15, v16
	s_wait_loadcnt 0x0
	ds_load_u16 v14, v0
	ds_load_u16 v15, v0 offset:8
	scratch_load_b32 v4, off, off offset:932 th:TH_LOAD_LU ; 4-byte Folded Reload
	v_add3_u32 v8, v8, v19, v24
	s_wait_dscnt 0x3
	v_lshrrev_b16 v11, 8, v9
	v_mov_b32_e32 v24, v2
	s_wait_dscnt 0x2
	v_cvt_f32_ubyte0_e32 v211, v10
	v_cvt_f32_ubyte1_e32 v231, v10
	v_add3_u32 v8, v8, v27, v28
	v_dual_mov_b32 v27, v1 :: v_dual_and_b32 v104, 0xffff, v11
	s_delay_alu instid0(VALU_DEP_4) | instskip(NEXT) | instid1(VALU_DEP_3)
	v_fma_mix_f32 v10, v92, v211, 0 op_sel:[1,0,0] op_sel_hi:[1,0,0]
	v_add3_u32 v8, v8, v29, v30
	v_and_b32_e32 v29, 0xff, v9
	s_delay_alu instid0(VALU_DEP_3) | instskip(NEXT) | instid1(VALU_DEP_3)
	v_fma_mix_f32 v10, v93, v231, v10 op_sel:[1,0,0] op_sel_hi:[1,0,0]
	v_add3_u32 v72, v8, v31, v33
	v_mov_b32_e32 v31, v188
	s_wait_dscnt 0x1
	v_lshrrev_b16 v16, 8, v14
	v_and_b32_e32 v54, 0xff, v14
	s_wait_dscnt 0x0
	v_cvt_f32_ubyte0_e32 v227, v15
	v_cvt_f32_ubyte1_e32 v221, v15
	v_mov_b32_e32 v188, v199
	v_and_b32_e32 v234, 0xffff, v16
	v_mov_b32_e32 v144, v52
	s_wait_loadcnt 0x0
	v_mul_lo_u32 v9, v4, v29
	ds_load_b128 v[48:51], v26 offset:16896
	ds_load_b128 v[44:47], v26 offset:16912
	;; [unrolled: 1-line block ×4, first 2 shown]
	ds_load_b64 v[94:95], v25 offset:27200
	ds_load_b64 v[88:89], v13 offset:27200
	ds_load_b128 v[32:35], v12 offset:16896
	ds_load_b128 v[67:70], v12 offset:16912
	;; [unrolled: 1-line block ×4, first 2 shown]
	v_mov_b32_e32 v25, v3
	v_cvt_f32_i32_e32 v9, v9
	s_delay_alu instid0(VALU_DEP_1)
	v_fma_mix_f32 v9, v92, v9, 0 op_sel_hi:[1,0,0]
	s_wait_dscnt 0x7
	v_bfe_i32 v103, v40, 8, 8
	v_ashrrev_i32_e32 v87, 24, v42
	v_ashrrev_i32_e32 v80, 24, v47
	s_wait_dscnt 0x0
	scratch_store_b128 off, v[4:7], off offset:1072 ; 16-byte Folded Spill
	ds_load_b128 v[74:77], v71 offset:16896
	ds_load_b128 v[112:115], v71 offset:16912
	;; [unrolled: 1-line block ×4, first 2 shown]
	s_wait_dscnt 0x0
	scratch_store_b128 off, v[4:7], off offset:1628 ; 16-byte Folded Spill
	ds_load_b128 v[11:14], v66 offset:16896
	ds_load_b128 v[96:99], v66 offset:16912
	;; [unrolled: 1-line block ×4, first 2 shown]
	s_wait_dscnt 0x3
	v_bfe_i32 v134, v14, 8, 8
	s_wait_dscnt 0x2
	v_ashrrev_i32_e32 v3, 24, v96
	v_bfe_i32 v4, v97, 0, 8
	s_wait_dscnt 0x0
	v_ashrrev_i32_e32 v105, 24, v58
	v_bfe_i32 v5, v97, 8, 8
	v_bfe_i32 v6, v97, 16, 8
	v_ashrrev_i32_e32 v7, 24, v97
	v_bfe_i32 v97, v243, 8, 8
	scratch_store_b32 off, v105, off offset:1256 ; 4-byte Folded Spill
	s_clause 0x1
	scratch_load_b32 v0, off, off offset:1252 th:TH_LOAD_LU
	scratch_load_b32 v1, off, off offset:1436 th:TH_LOAD_LU
	v_bfe_i32 v26, v244, 8, 8
	v_bfe_i32 v100, v244, 16, 8
	v_ashrrev_i32_e32 v106, 24, v244
	v_bfe_i32 v118, v245, 0, 8
	v_bfe_i32 v119, v245, 8, 8
	v_bfe_i32 v125, v245, 16, 8
	v_ashrrev_i32_e32 v127, 24, v245
	v_bfe_i32 v139, v246, 0, 8
	;; [unrolled: 4-line block ×4, first 2 shown]
	v_ashrrev_i32_e32 v245, 24, v57
	v_bfe_i32 v246, v58, 0, 8
	v_bfe_i32 v55, v58, 8, 8
	v_ashrrev_i32_e32 v65, 24, v99
	v_bfe_i32 v20, v12, 0, 8
	v_bfe_i32 v19, v12, 8, 8
	;; [unrolled: 1-line block ×6, first 2 shown]
	v_ashrrev_i32_e32 v18, 24, v14
	v_bfe_i32 v14, v99, 16, 8
	v_mul_i32_i24_e32 v199, v198, v20
	v_ashrrev_i32_e32 v86, 24, v13
	v_bfe_i32 v180, v56, 0, 8
	v_bfe_i32 v181, v56, 8, 8
	;; [unrolled: 1-line block ×3, first 2 shown]
	v_ashrrev_i32_e32 v184, 24, v56
	v_mul_i32_i24_e32 v56, v250, v86
	v_mul_i32_i24_e32 v129, v53, v18
	v_bfe_i32 v8, v98, 0, 8
	v_bfe_i32 v63, v99, 8, 8
	s_wait_loadcnt 0x0
	v_mad_i32_i24 v15, v27, v1, v0
	s_clause 0x1
	scratch_load_b32 v0, off, off offset:1240 th:TH_LOAD_LU
	scratch_load_b32 v1, off, off offset:1428 th:TH_LOAD_LU
	s_wait_loadcnt 0x0
	v_mad_i32_i24 v66, v25, v1, v0
	s_clause 0x1
	scratch_load_b32 v0, off, off offset:1248 th:TH_LOAD_LU
	scratch_load_b32 v1, off, off offset:1432 th:TH_LOAD_LU
	s_wait_loadcnt 0x0
	v_mad_i32_i24 v71, v24, v1, v0
	s_clause 0x2
	scratch_load_b32 v0, off, off offset:1232 th:TH_LOAD_LU
	scratch_load_b32 v1, off, off offset:1236 th:TH_LOAD_LU
	scratch_load_b32 v2, off, off offset:1356 th:TH_LOAD_LU
	s_wait_loadcnt 0x0
	v_add3_u32 v84, v0, v1, v2
	s_clause 0x1
	scratch_load_b32 v0, off, off offset:1360 th:TH_LOAD_LU
	scratch_load_b32 v1, off, off offset:1376 th:TH_LOAD_LU
	v_bfe_i32 v2, v96, 16, 8
	s_wait_loadcnt 0x0
	v_add3_u32 v71, v71, v0, v1
	s_clause 0x1
	scratch_load_b32 v0, off, off offset:1260 th:TH_LOAD_LU
	scratch_load_b32 v1, off, off offset:1368 th:TH_LOAD_LU
	s_wait_loadcnt 0x0
	v_add3_u32 v66, v66, v0, v1
	s_clause 0x1
	scratch_load_b32 v0, off, off offset:1352 th:TH_LOAD_LU
	scratch_load_b32 v1, off, off offset:1372 th:TH_LOAD_LU
	;; [unrolled: 5-line block ×7, first 2 shown]
	scratch_load_b32 v232, off, off offset:924
	scratch_load_b32 v239, off, off offset:916
	s_clause 0x6
	scratch_store_b32 off, v2, off offset:1380
	scratch_store_b32 off, v3, off offset:1384
	;; [unrolled: 1-line block ×7, first 2 shown]
	ds_load_b64 v[240:241], v186 offset:27200
	ds_load_b64 v[22:23], v22 offset:27200
	s_clause 0x14
	scratch_store_b32 off, v20, off offset:1436
	scratch_store_b32 off, v85, off offset:1460
	;; [unrolled: 1-line block ×21, first 2 shown]
	s_wait_dscnt 0x1
	scratch_store_b64 off, v[240:241], off offset:1240 ; 8-byte Folded Spill
	v_dual_mov_b32 v241, v53 :: v_dual_mov_b32 v240, v250
	v_mul_i32_i24_e32 v250, v132, v133
	v_mul_i32_i24_e32 v132, v120, v17
	s_clause 0xc
	scratch_store_b32 off, v148, off offset:1544
	scratch_store_b32 off, v149, off offset:1548
	;; [unrolled: 1-line block ×13, first 2 shown]
	v_mul_i32_i24_e32 v133, v164, v14
	s_wait_loadcnt 0x2
	v_add3_u32 v79, v84, v0, v1
	scratch_load_b32 v0, off, off offset:1424 th:TH_LOAD_LU ; 4-byte Folded Reload
	s_wait_loadcnt 0x2
	v_mul_f32_e32 v10, v10, v232
	v_bfe_i32 v84, v13, 8, 8
	s_clause 0x1
	scratch_store_b32 off, v63, off offset:1424
	scratch_store_b32 off, v84, off offset:1456
	s_wait_loadcnt 0x0
	v_add3_u32 v71, v71, v0, v82
	scratch_load_b32 v0, off, off offset:1412 th:TH_LOAD_LU ; 4-byte Folded Reload
	v_bfe_i32 v82, v13, 0, 8
	v_bfe_i32 v13, v99, 0, 8
	v_mul_i32_i24_e32 v99, v165, v63
	v_mul_i32_i24_e32 v63, v102, v127
	v_bfe_i32 v127, v42, 8, 8
	s_clause 0x1
	scratch_store_b32 off, v82, off offset:1452
	scratch_store_b32 off, v13, off offset:1420
	s_wait_loadcnt 0x0
	v_add3_u32 v66, v66, v0, v81
	scratch_load_b32 v0, off, off offset:1416 th:TH_LOAD_LU ; 4-byte Folded Reload
	v_ashrrev_i32_e32 v81, 24, v12
	scratch_store_b32 off, v81, off offset:1448 ; 4-byte Folded Spill
	v_mul_i32_i24_e32 v186, v194, v81
	v_mul_i32_i24_e32 v81, v157, v5
	v_mov_b32_e32 v157, v152
	scratch_store_b32 off, v188, off offset:1044 ; 4-byte Folded Spill
	v_mov_b32_e32 v5, v233
	v_mov_b32_e32 v233, v104
	s_wait_loadcnt 0x0
	v_add3_u32 v15, v15, v0, v78
	v_bfe_i32 v78, v98, 8, 8
	s_delay_alu instid0(VALU_DEP_2)
	v_add3_u32 v15, v79, v64, v15
	v_bfe_i32 v64, v243, 0, 8
	v_bfe_i32 v79, v12, 16, 8
	scratch_store_b32 off, v19, off offset:1440 ; 4-byte Folded Spill
	v_bfe_i32 v12, v98, 16, 8
	v_add3_u32 v15, v66, v71, v15
	v_bfe_i32 v66, v243, 16, 8
	v_ashrrev_i32_e32 v71, 24, v243
	v_bfe_i32 v243, v57, 8, 8
	scratch_store_b32 off, v79, off offset:1444 ; 4-byte Folded Spill
	v_mul_lo_u32 v15, v15, v104
	v_mul_i32_i24_e32 v20, v195, v79
	v_mul_i32_i24_e32 v79, v147, v4
	v_ashrrev_i32_e32 v98, 24, v98
	v_mul_i32_i24_e32 v86, v161, v78
	s_clause 0x4
	scratch_store_b32 off, v78, off offset:1408
	scratch_store_b32 off, v12, off offset:1412
	;; [unrolled: 1-line block ×5, first 2 shown]
	v_cvt_f32_i32_e32 v15, v15
	s_clause 0x1
	scratch_store_b32 off, v98, off offset:1416
	scratch_store_b32 off, v192, off offset:1572
	v_mul_i32_i24_e32 v14, v24, v66
	v_mul_i32_i24_e32 v66, v173, v141
	v_fma_mix_f32 v9, v93, v15, v9 op_sel_hi:[1,0,0]
	scratch_load_b64 v[15:16], off, off offset:504 ; 8-byte Folded Reload
	s_wait_loadcnt 0x0
	v_bfe_i32 v16, v96, 8, 8
	v_mul_i32_i24_e32 v78, v176, v146
	v_bfe_i32 v146, v42, 0, 8
	v_fma_f32 v9, v9, v239, -v10
	scratch_store_b32 off, v16, off offset:1376 ; 4-byte Folded Spill
	v_mul_i32_i24_e32 v17, v52, v16
	v_mov_b32_e32 v16, v54
	s_delay_alu instid0(VALU_DEP_1)
	v_mov_b32_e32 v28, v16
	v_mov_b32_e32 v0, v15
	v_bfe_i32 v15, v96, 0, 8
	v_bfe_i32 v96, v244, 0, 8
	;; [unrolled: 1-line block ×4, first 2 shown]
	v_mul_i32_i24_e32 v58, v131, v134
	v_mul_i32_i24_e32 v131, v130, v2
	;; [unrolled: 1-line block ×3, first 2 shown]
	scratch_load_b32 v3, off, off offset:1648 th:TH_LOAD_LU ; 4-byte Folded Reload
	v_add_f32_e32 v0, v0, v9
	v_bfe_i32 v9, v11, 0, 8
	s_clause 0x5
	scratch_store_b32 off, v65, off offset:1248
	scratch_store_b32 off, v57, off offset:1252
	;; [unrolled: 1-line block ×4, first 2 shown]
	scratch_store_b64 off, v[0:1], off offset:504
	scratch_store_b32 off, v9, off offset:1464
	v_bfe_i32 v0, v11, 16, 8
	v_ashrrev_i32_e32 v1, 24, v11
	v_mul_i32_i24_e32 v9, v31, v9
	v_mul_i32_i24_e32 v18, v145, v15
	s_clause 0x2
	scratch_store_b32 off, v96, off offset:1476
	scratch_store_b32 off, v0, off offset:1468
	;; [unrolled: 1-line block ×3, first 2 shown]
	v_mul_i32_i24_e32 v10, v190, v0
	v_mul_i32_i24_e32 v11, v188, v1
	v_mad_i32_i24 v9, v191, v21, v9
	v_mul_i32_i24_e32 v21, v197, v19
	v_mul_i32_i24_e32 v19, v216, v82
	;; [unrolled: 1-line block ×4, first 2 shown]
	v_add3_u32 v9, v9, v10, v11
	v_mul_i32_i24_e32 v10, v203, v84
	v_mul_i32_i24_e32 v11, v202, v85
	v_mul_i32_i24_e32 v84, v107, v7
	v_mul_i32_i24_e32 v85, v162, v8
	v_add3_u32 v9, v9, v199, v21
	v_mul_i32_i24_e32 v1, v159, v98
	s_clause 0x1
	scratch_store_b32 off, v243, off offset:1576
	scratch_store_b32 off, v244, off offset:1580
	v_mul_i32_i24_e32 v98, v166, v13
	v_add3_u32 v9, v9, v20, v186
	v_mul_i32_i24_e32 v13, v25, v64
	v_mul_i32_i24_e32 v15, v27, v71
	;; [unrolled: 1-line block ×3, first 2 shown]
	v_mov_b32_e32 v186, v25
	v_add3_u32 v9, v9, v19, v10
	v_mad_i32_i24 v13, v150, v97, v13
	v_mul_i32_i24_e32 v65, v174, v140
	v_mov_b32_e32 v140, v174
	v_mul_i32_i24_e32 v71, v116, v143
	v_add3_u32 v9, v9, v11, v56
	v_add3_u32 v13, v13, v14, v15
	v_mul_i32_i24_e32 v15, v167, v26
	v_mov_b32_e32 v174, v116
	v_mul_i32_i24_e32 v56, v172, v118
	v_add3_u32 v9, v9, v250, v58
	v_mul_i32_i24_e32 v14, v168, v96
	v_mov_b32_e32 v152, v107
	v_mul_i32_i24_e32 v107, v101, v106
	v_mov_b32_e32 v199, v168
	v_add3_u32 v9, v9, v132, v129
	v_mov_b32_e32 v129, v172
	v_add3_u32 v13, v13, v14, v15
	v_dual_mov_b32 v168, v167 :: v_dual_mov_b32 v167, v151
	s_delay_alu instid0(VALU_DEP_4)
	v_add3_u32 v9, v9, v18, v17
	v_mul_i32_i24_e32 v58, v169, v125
	v_mul_i32_i24_e32 v64, v175, v139
	v_fma_mix_f32 v12, v92, v227, 0 op_sel:[1,0,0] op_sel_hi:[1,0,0]
	v_mov_b32_e32 v118, v171
	v_add3_u32 v9, v9, v131, v2
	v_mov_b32_e32 v131, v27
	v_mul_i32_i24_e32 v143, v177, v57
	s_wait_dscnt 0x0
	v_fma_mix_f32 v11, v22, v211, 0 op_sel:[1,0,0] op_sel_hi:[1,0,0]
	v_bfe_i32 v14, v110, 8, 8
	v_add3_u32 v9, v9, v79, v81
	v_mul_i32_i24_e32 v79, v117, v148
	v_bfe_i32 v15, v110, 16, 8
	v_ashrrev_i32_e32 v20, 24, v110
	v_bfe_i32 v21, v111, 0, 8
	v_add3_u32 v9, v9, v82, v84
	v_dual_mov_b32 v132, v24 :: v_dual_mov_b32 v139, v175
	v_mov_b32_e32 v175, v173
	v_mov_b32_e32 v173, v117
	s_delay_alu instid0(VALU_DEP_4) | instskip(SKIP_3) | instid1(VALU_DEP_4)
	v_add3_u32 v9, v9, v85, v86
	v_bfe_i32 v125, v46, 0, 8
	v_bfe_i32 v106, v51, 8, 8
	;; [unrolled: 1-line block ×3, first 2 shown]
	v_add3_u32 v9, v9, v0, v1
	s_clause 0xd
	scratch_load_b32 v0, off, off offset:1604 th:TH_LOAD_LU
	scratch_load_b32 v1, off, off offset:1608 th:TH_LOAD_LU
	scratch_load_b32 v18, off, off offset:220
	scratch_load_b32 v242, off, off offset:236
	;; [unrolled: 1-line block ×12, first 2 shown]
	v_add3_u32 v9, v9, v98, v99
	s_delay_alu instid0(VALU_DEP_1) | instskip(NEXT) | instid1(VALU_DEP_1)
	v_add3_u32 v9, v9, v133, v134
	v_mul_lo_u32 v9, v9, v29
	s_delay_alu instid0(VALU_DEP_1) | instskip(NEXT) | instid1(VALU_DEP_1)
	v_cvt_f32_i32_e32 v9, v9
	v_fma_mix_f32 v9, v22, v9, 0 op_sel_hi:[1,0,0]
	s_wait_loadcnt 0xe
	v_mul_i32_i24_e32 v52, v170, v3
	s_clause 0x4
	scratch_load_b32 v3, off, off offset:1612 th:TH_LOAD_LU
	scratch_load_b32 v4, off, off offset:1736 th:TH_LOAD_LU
	;; [unrolled: 1-line block ×3, first 2 shown]
	scratch_load_b32 v222, off, off offset:928
	scratch_load_b32 v230, off, off offset:920
	s_wait_loadcnt 0x11
	v_add3_u32 v10, v1, v0, v52
	v_mul_i32_i24_e32 v52, v151, v100
	v_mov_b32_e32 v151, v101
	v_mul_i32_i24_e32 v101, v171, v119
	s_wait_loadcnt 0x10
	v_mul_i32_i24_e32 v81, v18, v149
	v_mul_lo_u32 v10, v10, v54
	v_add3_u32 v13, v13, v52, v107
	s_wait_loadcnt 0xc
	v_mul_i32_i24_e32 v82, v17, v153
	v_mul_i32_i24_e32 v84, v242, v180
	s_wait_loadcnt 0xa
	v_mul_i32_i24_e32 v85, v238, v181
	v_mul_i32_i24_e32 v86, v237, v182
	v_add3_u32 v13, v13, v56, v101
	s_wait_loadcnt 0x9
	v_mul_i32_i24_e32 v96, v27, v192
	v_cvt_f32_i32_e32 v10, v10
	s_wait_loadcnt 0x8
	v_mul_i32_i24_e32 v97, v26, v243
	s_wait_loadcnt 0x7
	v_mul_i32_i24_e32 v98, v25, v244
	v_add3_u32 v13, v13, v58, v63
	s_wait_loadcnt 0x6
	v_mul_i32_i24_e32 v99, v116, v245
	v_fma_mix_f32 v10, v92, v10, 0 op_sel_hi:[1,0,0]
	v_mul_i32_i24_e32 v92, v236, v184
	v_mov_b32_e32 v100, v187
	v_add3_u32 v13, v13, v64, v65
	v_mov_b32_e32 v245, v224
	v_mul_i32_i24_e32 v134, v55, v178
	s_wait_loadcnt 0x5
	v_mul_i32_i24_e32 v73, v172, v73
	v_mul_i32_i24_e32 v133, v246, v100
	v_add3_u32 v13, v13, v66, v71
	v_mul_i32_i24_e32 v148, v229, v60
	v_mul_i32_i24_e32 v0, v224, v105
	v_dual_mov_b32 v1, v22 :: v_dual_mov_b32 v2, v23
	s_delay_alu instid0(VALU_DEP_4)
	v_add3_u32 v13, v13, v78, v79
	v_mov_b32_e32 v171, v169
	v_mov_b32_e32 v169, v102
	scratch_load_b32 v63, off, off offset:464 ; 4-byte Folded Reload
	scratch_store_b64 off, v[1:2], off offset:1260 ; 8-byte Folded Spill
	v_add3_u32 v13, v13, v81, v82
	v_mov_b32_e32 v182, v27
	v_bfe_i32 v22, v111, 8, 8
	v_mov_b32_e32 v180, v25
	v_bfe_i32 v82, v48, 8, 8
	v_add3_u32 v13, v13, v84, v85
	v_bfe_i32 v64, v49, 0, 8
	v_bfe_i32 v65, v51, 16, 8
	;; [unrolled: 1-line block ×4, first 2 shown]
	v_add3_u32 v13, v13, v86, v92
	v_dual_mov_b32 v184, v29 :: v_dual_mov_b32 v101, v18
	v_ashrrev_i32_e32 v66, 24, v51
	v_bfe_i32 v71, v44, 0, 8
	s_delay_alu instid0(VALU_DEP_4)
	v_add3_u32 v13, v13, v96, v97
	v_bfe_i32 v92, v45, 8, 8
	v_bfe_i32 v102, v47, 0, 8
	;; [unrolled: 1-line block ×3, first 2 shown]
	v_ashrrev_i32_e32 v84, 24, v40
	v_add3_u32 v13, v13, v98, v99
	v_bfe_i32 v85, v40, 0, 8
	v_mov_b32_e32 v181, v26
	v_bfe_i32 v99, v41, 8, 8
	v_ashrrev_i32_e32 v86, 24, v41
	v_add3_u32 v13, v13, v133, v134
	v_bfe_i32 v134, v46, 16, 8
	v_bfe_i32 v98, v42, 16, 8
	;; [unrolled: 1-line block ×4, first 2 shown]
	v_add3_u32 v0, v13, v143, v0
	v_bfe_i32 v13, v110, 0, 8
	v_ashrrev_i32_e32 v143, 24, v46
	v_bfe_i32 v79, v47, 16, 8
	v_ashrrev_i32_e32 v96, 24, v43
	v_mul_lo_u32 v0, v0, v104
	v_bfe_i32 v42, v36, 16, 8
	v_bfe_i32 v51, v38, 16, 8
	;; [unrolled: 1-line block ×4, first 2 shown]
	v_mul_i32_i24_e32 v149, v62, v177
	v_cvt_f32_i32_e32 v0, v0
	s_delay_alu instid0(VALU_DEP_1)
	v_fma_mix_f32 v0, v2, v0, v9 op_sel_hi:[1,0,0]
	v_fma_mix_f32 v9, v93, v221, v12 op_sel:[1,0,0] op_sel_hi:[1,0,0]
	v_ashrrev_i32_e32 v12, 24, v109
	s_wait_loadcnt 0x3
	v_add3_u32 v3, v3, v6, v4
	s_wait_loadcnt 0x2
	v_mul_f32_e32 v9, v9, v222
	s_delay_alu instid0(VALU_DEP_2) | instskip(SKIP_2) | instid1(VALU_DEP_3)
	v_add3_u32 v3, v3, v73, v148
	v_mov_b32_e32 v148, v17
	v_bfe_i32 v73, v44, 16, 8
	v_mul_lo_u32 v3, v3, v234
	s_delay_alu instid0(VALU_DEP_1) | instskip(NEXT) | instid1(VALU_DEP_1)
	v_cvt_f32_i32_e32 v3, v3
	v_fma_mix_f32 v3, v93, v3, v10 op_sel_hi:[1,0,0]
	v_fma_mix_f32 v10, v2, v231, v11 op_sel:[1,0,0] op_sel_hi:[1,0,0]
	v_bfe_i32 v11, v109, 16, 8
	s_wait_loadcnt 0x1
	s_delay_alu instid0(VALU_DEP_3) | instskip(NEXT) | instid1(VALU_DEP_3)
	v_fma_f32 v3, v3, v230, -v9
	v_mul_f32_e32 v10, v10, v232
	v_bfe_i32 v9, v109, 0, 8
	scratch_store_b32 off, v3, off offset:1232 ; 4-byte Folded Spill
	v_fma_f32 v0, v0, v239, -v10
	v_bfe_i32 v10, v109, 8, 8
	v_bfe_i32 v109, v41, 0, 8
	;; [unrolled: 1-line block ×3, first 2 shown]
	scratch_store_b32 off, v0, off offset:1236 ; 4-byte Folded Spill
	s_clause 0x2
	scratch_load_b32 v1, off, off offset:1740 th:TH_LOAD_LU
	scratch_load_b32 v3, off, off offset:1744 th:TH_LOAD_LU
	scratch_load_b32 v217, off, off offset:468
	s_wait_loadcnt 0x3
	v_mul_i32_i24_e32 v0, v63, v60
	s_wait_loadcnt 0x1
	s_delay_alu instid0(VALU_DEP_1) | instskip(SKIP_4) | instid1(VALU_DEP_1)
	v_add3_u32 v0, v3, v1, v0
	scratch_load_b32 v1, off, off offset:1708 th:TH_LOAD_LU ; 4-byte Folded Reload
	v_mul_i32_i24_e32 v3, v224, v5
	s_wait_loadcnt 0x1
	v_mul_lo_u32 v0, v0, v217
	v_cvt_f32_i32_e32 v0, v0
	s_wait_loadcnt 0x0
	s_delay_alu instid0(VALU_DEP_1)
	v_fma_mix_f32 v0, v93, v0, v1 op_sel_hi:[1,0,0]
	s_clause 0x1
	scratch_load_b32 v213, off, off offset:424
	scratch_load_b32 v1, off, off offset:1644 th:TH_LOAD_LU
	v_bfe_i32 v93, v45, 16, 8
	s_wait_loadcnt 0x0
	v_fma_f32 v0, v0, v213, -v1
	scratch_load_b32 v1, off, off offset:552 ; 4-byte Folded Reload
	s_wait_loadcnt 0x0
	v_add_f32_e32 v1, v1, v0
	scratch_load_b32 v0, off, off offset:1652 th:TH_LOAD_LU ; 4-byte Folded Reload
	scratch_store_b32 off, v1, off offset:552 ; 4-byte Folded Spill
	s_clause 0x1
	scratch_load_b32 v6, off, off offset:1668 th:TH_LOAD_LU
	scratch_load_b32 v7, off, off offset:1684 th:TH_LOAD_LU
	v_fma_mix_f32 v1, v211, v90, 0 op_sel:[0,1,0] op_sel_hi:[0,1,0]
	s_delay_alu instid0(VALU_DEP_1) | instskip(NEXT) | instid1(VALU_DEP_1)
	v_fma_mix_f32 v1, v231, v91, v1 op_sel:[0,1,0] op_sel_hi:[0,1,0]
	v_mul_f32_e32 v1, v1, v232
	s_wait_loadcnt 0x2
	v_mul_lo_u32 v0, v0, v29
	s_wait_loadcnt 0x0
	v_add3_u32 v3, v7, v6, v3
	s_delay_alu instid0(VALU_DEP_2) | instskip(NEXT) | instid1(VALU_DEP_2)
	v_cvt_f32_i32_e32 v0, v0
	v_mul_lo_u32 v3, v3, v104
	v_ashrrev_i32_e32 v104, 24, v45
	s_delay_alu instid0(VALU_DEP_3) | instskip(NEXT) | instid1(VALU_DEP_3)
	v_fma_mix_f32 v0, v90, v0, 0 op_sel_hi:[1,0,0]
	v_cvt_f32_i32_e32 v3, v3
	s_delay_alu instid0(VALU_DEP_1) | instskip(SKIP_1) | instid1(VALU_DEP_2)
	v_fma_mix_f32 v0, v91, v3, v0 op_sel_hi:[1,0,0]
	v_mul_i32_i24_e32 v3, v229, v5
	v_fma_f32 v0, v0, v239, -v1
	scratch_load_b32 v1, off, off offset:588 ; 4-byte Folded Reload
	s_wait_loadcnt 0x0
	v_add_f32_e32 v1, v1, v0
	scratch_load_b32 v0, off, off offset:1688 th:TH_LOAD_LU ; 4-byte Folded Reload
	scratch_store_b32 off, v1, off offset:588 ; 4-byte Folded Spill
	s_clause 0x1
	scratch_load_b32 v5, off, off offset:1692 th:TH_LOAD_LU
	scratch_load_b32 v6, off, off offset:1700 th:TH_LOAD_LU
	v_fma_mix_f32 v1, v227, v90, 0 op_sel:[0,1,0] op_sel_hi:[0,1,0]
	s_clause 0x7
	scratch_load_b32 v248, off, off offset:960
	scratch_load_b32 v253, off, off offset:968
	;; [unrolled: 1-line block ×8, first 2 shown]
	v_fma_mix_f32 v1, v221, v91, v1 op_sel:[0,1,0] op_sel_hi:[0,1,0]
	s_clause 0x7
	scratch_load_b32 v187, off, off offset:676
	scratch_load_b32 v189, off, off offset:680
	;; [unrolled: 1-line block ×8, first 2 shown]
	v_mul_f32_e32 v1, v1, v222
	s_clause 0xb
	scratch_load_b32 v228, off, off offset:1672 th:TH_LOAD_LU
	scratch_load_b32 v204, off, off offset:1060
	scratch_load_b32 v206, off, off offset:1676 th:TH_LOAD_LU
	scratch_load_b32 v225, off, off offset:1680 th:TH_LOAD_LU
	;; [unrolled: 1-line block ×5, first 2 shown]
	scratch_load_b32 v243, off, off offset:980
	scratch_load_b32 v212, off, off offset:1728 th:TH_LOAD_LU
	scratch_load_b32 v214, off, off offset:1732 th:TH_LOAD_LU
	;; [unrolled: 1-line block ×4, first 2 shown]
	s_clause 0x2
	scratch_store_b32 off, v184, off offset:1100
	scratch_store_b32 off, v178, off offset:440
	;; [unrolled: 1-line block ×3, first 2 shown]
	s_wait_loadcnt 0x1e
	v_mul_lo_u32 v0, v0, v16
	s_wait_loadcnt 0x1c
	v_add3_u32 v3, v6, v5, v3
	s_delay_alu instid0(VALU_DEP_2) | instskip(SKIP_2) | instid1(VALU_DEP_3)
	v_cvt_f32_i32_e32 v0, v0
	s_wait_loadcnt 0x19
	v_mul_i32_i24_e32 v59, v14, v207
	v_mul_lo_u32 v3, v3, v234
	s_wait_loadcnt 0x17
	v_mul_i32_i24_e32 v5, v9, v226
	v_mul_i32_i24_e32 v141, v21, v249
	v_fma_mix_f32 v0, v90, v0, 0 op_sel_hi:[1,0,0]
	v_ashrrev_i32_e32 v90, 24, v44
	s_wait_loadcnt 0x13
	v_mul_i32_i24_e32 v54, v9, v187
	s_wait_loadcnt 0x12
	v_mul_i32_i24_e32 v55, v10, v189
	v_cvt_f32_i32_e32 v3, v3
	s_wait_loadcnt 0x11
	v_mul_i32_i24_e32 v56, v11, v153
	s_wait_loadcnt 0x10
	v_mul_i32_i24_e32 v57, v12, v185
	;; [unrolled: 2-line block ×4, first 2 shown]
	v_fma_mix_f32 v0, v91, v3, v0 op_sel_hi:[1,0,0]
	v_ashrrev_i32_e32 v3, 24, v108
	s_wait_loadcnt 0xc
	v_mul_i32_i24_e32 v60, v15, v192
	v_mul_i32_i24_e32 v110, v22, v219
	s_wait_loadcnt 0x9
	v_mul_i32_i24_e32 v6, v10, v206
	v_fma_f32 v0, v0, v230, -v1
	scratch_load_b32 v1, off, off offset:596 ; 4-byte Folded Reload
	v_mul_i32_i24_e32 v53, v3, v253
	v_mul_i32_i24_e32 v4, v17, v3
	;; [unrolled: 1-line block ×3, first 2 shown]
	v_bfe_i32 v91, v45, 0, 8
	v_bfe_i32 v45, v38, 8, 8
	s_wait_loadcnt 0x0
	v_add_f32_e32 v1, v1, v0
	scratch_load_b32 v0, off, off offset:1752 th:TH_LOAD_LU ; 4-byte Folded Reload
	scratch_store_b32 off, v1, off offset:596 ; 4-byte Folded Spill
	v_bfe_i32 v1, v108, 16, 8
	v_bfe_i32 v108, v43, 8, 8
	;; [unrolled: 1-line block ×3, first 2 shown]
	v_ashrrev_i32_e32 v38, 24, v38
	s_delay_alu instid0(VALU_DEP_4) | instskip(SKIP_1) | instid1(VALU_DEP_1)
	v_mul_i32_i24_e32 v52, v1, v248
	s_wait_loadcnt 0x0
	v_add3_u32 v2, v0, v52, v53
	scratch_load_b32 v0, off, off offset:1036 ; 4-byte Folded Reload
	v_mul_i32_i24_e32 v52, v242, v9
	v_mul_i32_i24_e32 v53, v238, v10
	v_add3_u32 v2, v2, v54, v55
	v_mul_i32_i24_e32 v54, v237, v11
	v_mul_i32_i24_e32 v55, v236, v12
	s_delay_alu instid0(VALU_DEP_3) | instskip(SKIP_3) | instid1(VALU_DEP_4)
	v_add3_u32 v2, v2, v56, v57
	v_mul_i32_i24_e32 v56, v27, v13
	v_mul_i32_i24_e32 v57, v26, v14
	v_mul_i32_i24_e32 v27, v79, v223
	v_add3_u32 v2, v2, v58, v59
	v_mul_i32_i24_e32 v58, v25, v15
	v_mul_i32_i24_e32 v59, v116, v20
	s_delay_alu instid0(VALU_DEP_3)
	v_add3_u32 v30, v2, v60, v61
	v_mul_lo_u32 v2, v183, v29
	v_mul_i32_i24_e32 v60, v21, v100
	v_mul_i32_i24_e32 v61, v22, v178
	v_mov_b32_e32 v183, v100
	v_mul_i32_i24_e32 v29, v62, v172
	v_cvt_f32_i32_e32 v200, v2
	v_mul_i32_i24_e32 v2, v18, v1
	v_mul_i32_i24_e32 v18, v81, v244
	scratch_store_b32 off, v183, off offset:444 ; 4-byte Folded Spill
	v_add3_u32 v2, v254, v2, v4
	v_mul_i32_i24_e32 v4, v3, v204
	scratch_load_b32 v254, off, off offset:992 ; 4-byte Folded Reload
	v_add3_u32 v2, v2, v52, v53
	v_mul_i32_i24_e32 v52, v11, v224
	v_mul_i32_i24_e32 v53, v12, v225
	s_delay_alu instid0(VALU_DEP_3) | instskip(SKIP_2) | instid1(VALU_DEP_3)
	v_add3_u32 v2, v2, v54, v55
	v_mul_i32_i24_e32 v54, v13, v209
	v_mul_i32_i24_e32 v55, v14, v208
	v_add3_u32 v2, v2, v56, v57
	v_mul_i32_i24_e32 v56, v15, v210
	v_mul_i32_i24_e32 v57, v20, v205
	s_delay_alu instid0(VALU_DEP_3) | instskip(SKIP_2) | instid1(VALU_DEP_3)
	v_add3_u32 v2, v2, v58, v59
	v_mul_i32_i24_e32 v58, v21, v212
	v_mul_i32_i24_e32 v59, v22, v214
	v_add3_u32 v100, v2, v60, v61
	v_mul_lo_u32 v2, v235, v16
	v_bfe_i32 v60, v50, 16, 8
	v_ashrrev_i32_e32 v61, 24, v50
	scratch_load_b32 v235, off, off offset:988 ; 4-byte Folded Reload
	v_cvt_f32_i32_e32 v133, v2
	v_mul_i32_i24_e32 v2, v1, v228
	s_delay_alu instid0(VALU_DEP_1) | instskip(SKIP_3) | instid1(VALU_DEP_4)
	v_add3_u32 v2, v83, v2, v4
	v_bfe_i32 v83, v40, 16, 8
	v_bfe_i32 v40, v36, 8, 8
	v_ashrrev_i32_e32 v36, 24, v36
	v_add3_u32 v2, v2, v5, v6
	s_delay_alu instid0(VALU_DEP_1) | instskip(SKIP_2) | instid1(VALU_DEP_3)
	v_add3_u32 v2, v2, v52, v53
	v_bfe_i32 v52, v48, 16, 8
	v_ashrrev_i32_e32 v53, 24, v48
	v_add3_u32 v2, v2, v54, v55
	v_bfe_i32 v54, v48, 0, 8
	v_bfe_i32 v55, v49, 8, 8
	;; [unrolled: 1-line block ×3, first 2 shown]
	s_delay_alu instid0(VALU_DEP_4) | instskip(SKIP_3) | instid1(VALU_DEP_4)
	v_add3_u32 v2, v2, v56, v57
	v_bfe_i32 v56, v49, 16, 8
	v_ashrrev_i32_e32 v57, 24, v49
	v_bfe_i32 v49, v37, 8, 8
	v_add3_u32 v117, v2, v58, v59
	v_bfe_i32 v58, v50, 0, 8
	v_bfe_i32 v59, v50, 8, 8
	;; [unrolled: 1-line block ×3, first 2 shown]
	v_ashrrev_i32_e32 v37, 24, v37
	s_wait_loadcnt 0x2
	v_mul_i32_i24_e32 v1, v1, v0
	scratch_load_b32 v0, off, off offset:1040 ; 4-byte Folded Reload
	s_wait_loadcnt 0x0
	v_mul_i32_i24_e32 v2, v3, v0
	scratch_load_b32 v0, off, off offset:1016 ; 4-byte Folded Reload
	v_mul_i32_i24_e32 v3, v9, v255
	v_add3_u32 v1, v72, v1, v2
	scratch_load_b32 v2, off, off offset:996 ; 4-byte Folded Reload
	v_bfe_i32 v72, v44, 8, 8
	v_bfe_i32 v44, v39, 16, 8
	v_ashrrev_i32_e32 v39, 24, v39
	s_wait_loadcnt 0x1
	v_mul_i32_i24_e32 v4, v10, v0
	scratch_load_b32 v0, off, off offset:1012 ; 4-byte Folded Reload
	v_add3_u32 v1, v1, v3, v4
	s_wait_loadcnt 0x0
	v_mul_i32_i24_e32 v5, v11, v0
	scratch_load_b32 v0, off, off offset:1020 ; 4-byte Folded Reload
	s_wait_loadcnt 0x0
	v_mul_i32_i24_e32 v6, v12, v0
	scratch_load_b32 v0, off, off offset:1024 ; 4-byte Folded Reload
	v_mul_i32_i24_e32 v12, v21, v179
	v_mov_b32_e32 v179, v217
	v_add3_u32 v1, v1, v5, v6
	s_wait_loadcnt 0x0
	v_mul_i32_i24_e32 v7, v13, v0
	scratch_load_b32 v0, off, off offset:1032 ; 4-byte Folded Reload
	v_mul_i32_i24_e32 v13, v22, v156
	v_mul_i32_i24_e32 v156, v62, v155
	s_wait_loadcnt 0x0
	v_mul_i32_i24_e32 v9, v14, v0
	scratch_load_b32 v0, off, off offset:1028 ; 4-byte Folded Reload
	v_mul_i32_i24_e32 v14, v71, v235
	v_add3_u32 v1, v1, v7, v9
	v_mul_i32_i24_e32 v9, v92, v220
	s_wait_loadcnt 0x0
	v_mul_i32_i24_e32 v10, v15, v0
	scratch_load_b32 v0, off, off offset:768 ; 4-byte Folded Reload
	v_mul_i32_i24_e32 v15, v66, v247
	s_wait_loadcnt 0x0
	v_mul_i32_i24_e32 v11, v20, v0
	scratch_load_b32 v0, off, off offset:1000 ; 4-byte Folded Reload
	v_add3_u32 v1, v1, v10, v11
	v_mul_i32_i24_e32 v10, v91, v218
	scratch_load_b32 v218, off, off offset:984 ; 4-byte Folded Reload
	v_add3_u32 v155, v1, v12, v13
	v_mul_i32_i24_e32 v12, v73, v254
	s_wait_loadcnt 0x1
	v_mul_i32_i24_e32 v107, v54, v0
	scratch_load_b32 v0, off, off offset:1004 ; 4-byte Folded Reload
	v_mad_i32_i24 v107, v82, v2, v107
	s_wait_loadcnt 0x0
	v_mul_i32_i24_e32 v1, v52, v0
	scratch_load_b32 v0, off, off offset:1008 ; 4-byte Folded Reload
	s_wait_loadcnt 0x0
	v_mul_i32_i24_e32 v0, v53, v0
	s_delay_alu instid0(VALU_DEP_1)
	v_add3_u32 v0, v107, v1, v0
	scratch_load_b32 v1, off, off offset:752 ; 4-byte Folded Reload
	s_wait_loadcnt 0x0
	v_mul_i32_i24_e32 v25, v64, v1
	scratch_load_b32 v1, off, off offset:756 ; 4-byte Folded Reload
	s_wait_loadcnt 0x0
	v_mul_i32_i24_e32 v107, v55, v1
	scratch_load_b32 v1, off, off offset:760 ; 4-byte Folded Reload
	v_add3_u32 v0, v0, v25, v107
	v_mul_i32_i24_e32 v25, v38, v193
	v_mul_i32_i24_e32 v107, v46, v249
	v_mov_b32_e32 v193, v228
	s_wait_loadcnt 0x0
	v_mul_i32_i24_e32 v24, v56, v1
	scratch_load_b32 v1, off, off offset:764 ; 4-byte Folded Reload
	s_wait_loadcnt 0x0
	v_mul_i32_i24_e32 v23, v57, v1
	scratch_load_b32 v1, off, off offset:696 ; 4-byte Folded Reload
	v_add3_u32 v0, v0, v24, v23
	v_mul_i32_i24_e32 v23, v45, v207
	v_mul_i32_i24_e32 v24, v51, v192
	s_wait_loadcnt 0x0
	v_mul_i32_i24_e32 v22, v58, v1
	scratch_load_b32 v1, off, off offset:700 ; 4-byte Folded Reload
	s_wait_loadcnt 0x0
	v_mul_i32_i24_e32 v21, v59, v1
	scratch_load_b32 v1, off, off offset:704 ; 4-byte Folded Reload
	v_add3_u32 v0, v0, v22, v21
	v_mul_i32_i24_e32 v21, v37, v185
	v_mul_i32_i24_e32 v22, v43, v201
	s_wait_loadcnt 0x0
	v_mul_i32_i24_e32 v20, v60, v1
	scratch_load_b32 v1, off, off offset:708 ; 4-byte Folded Reload
	s_wait_loadcnt 0x0
	v_mul_i32_i24_e32 v19, v61, v1
	scratch_load_b32 v1, off, off offset:712 ; 4-byte Folded Reload
	v_add3_u32 v0, v0, v20, v19
	v_mul_i32_i24_e32 v20, v50, v153
	scratch_load_b32 v153, off, off offset:536 ; 4-byte Folded Reload
	v_mul_i32_i24_e32 v19, v49, v189
	v_add3_u32 v0, v0, v18, v17
	v_mul_i32_i24_e32 v17, v36, v253
	v_mul_i32_i24_e32 v18, v48, v187
	s_wait_loadcnt 0x1
	v_mul_i32_i24_e32 v16, v65, v1
	scratch_load_b32 v1, off, off offset:264 ; 4-byte Folded Reload
	v_add3_u32 v0, v0, v16, v15
	v_mul_i32_i24_e32 v15, v40, v243
	v_mul_i32_i24_e32 v16, v42, v248
	s_wait_loadcnt 0x0
	v_mul_i32_i24_e32 v13, v72, v1
	scratch_load_b32 v1, off, off offset:268 ; 4-byte Folded Reload
	v_add3_u32 v0, v0, v14, v13
	v_mul_i32_i24_e32 v14, v41, v246
	s_wait_loadcnt 0x0
	v_mul_i32_i24_e32 v11, v90, v1
	scratch_load_b32 v1, off, off offset:728 ; 4-byte Folded Reload
	v_add3_u32 v0, v0, v12, v11
	v_mul_i32_i24_e32 v11, v108, v251
	v_mov_b32_e32 v251, v213
	s_delay_alu instid0(VALU_DEP_3)
	v_add3_u32 v0, v0, v10, v9
	s_wait_loadcnt 0x0
	v_mul_i32_i24_e32 v8, v93, v1
	scratch_load_b32 v1, off, off offset:732 ; 4-byte Folded Reload
	s_wait_loadcnt 0x0
	v_mul_i32_i24_e32 v7, v104, v1
	scratch_load_b32 v1, off, off offset:1064 ; 4-byte Folded Reload
	v_add3_u32 v0, v0, v8, v7
	s_wait_loadcnt 0x0
	v_mul_i32_i24_e32 v6, v125, v1
	scratch_load_b32 v1, off, off offset:736 ; 4-byte Folded Reload
	s_wait_loadcnt 0x0
	v_mul_i32_i24_e32 v5, v105, v1
	scratch_load_b32 v1, off, off offset:740 ; 4-byte Folded Reload
	;; [unrolled: 7-line block ×3, first 2 shown]
	v_add3_u32 v0, v0, v4, v3
	s_wait_loadcnt 0x0
	v_mul_i32_i24_e32 v2, v102, v1
	v_mul_i32_i24_e32 v1, v78, v196
	v_mov_b32_e32 v196, v204
	v_mov_b32_e32 v204, v209
	s_delay_alu instid0(VALU_DEP_3)
	v_add3_u32 v4, v0, v2, v1
	scratch_load_b32 v0, off, off offset:692 ; 4-byte Folded Reload
	v_mul_i32_i24_e32 v1, v85, v218
	v_mul_i32_i24_e32 v2, v83, v252
	s_wait_loadcnt 0x0
	v_mul_i32_i24_e32 v3, v84, v0
	scratch_load_b32 v0, off, off offset:500 ; 4-byte Folded Reload
	s_wait_loadcnt 0x0
	v_mad_i32_i24 v1, v103, v0, v1
	scratch_load_b32 v0, off, off offset:652 ; 4-byte Folded Reload
	v_add3_u32 v1, v1, v2, v3
	s_wait_loadcnt 0x0
	v_mul_i32_i24_e32 v26, v109, v0
	scratch_load_b32 v0, off, off offset:656 ; 4-byte Folded Reload
	s_wait_loadcnt 0x0
	v_mul_i32_i24_e32 v3, v99, v0
	scratch_load_b32 v0, off, off offset:472 ; 4-byte Folded Reload
	v_add3_u32 v1, v1, v26, v3
	v_mul_i32_i24_e32 v26, v165, v78
	s_wait_loadcnt 0x0
	v_mul_i32_i24_e32 v2, v250, v0
	scratch_load_b32 v0, off, off offset:636 ; 4-byte Folded Reload
	s_wait_loadcnt 0x0
	v_mul_i32_i24_e32 v5, v86, v0
	scratch_load_b32 v0, off, off offset:660 ; 4-byte Folded Reload
	v_add3_u32 v1, v1, v2, v5
	scratch_load_b32 v5, off, off offset:776 ; 4-byte Folded Reload
	v_ashrrev_i32_e32 v2, 24, v111
	s_wait_loadcnt 0x1
	v_mul_i32_i24_e32 v6, v146, v0
	scratch_load_b32 v0, off, off offset:664 ; 4-byte Folded Reload
	s_wait_loadcnt 0x1
	v_mul_i32_i24_e32 v3, v154, v5
	v_mul_i32_i24_e32 v5, v80, v5
	s_delay_alu instid0(VALU_DEP_1)
	v_add3_u32 v4, v4, v27, v5
	v_mul_i32_i24_e32 v27, v164, v79
	s_wait_loadcnt 0x0
	v_mul_i32_i24_e32 v7, v127, v0
	scratch_load_b32 v0, off, off offset:476 ; 4-byte Folded Reload
	v_add3_u32 v1, v1, v6, v7
	s_wait_loadcnt 0x0
	v_mul_i32_i24_e32 v8, v98, v0
	scratch_load_b32 v0, off, off offset:492 ; 4-byte Folded Reload
	s_wait_loadcnt 0x0
	v_mul_i32_i24_e32 v9, v87, v0
	scratch_load_b32 v0, off, off offset:668 ; 4-byte Folded Reload
	v_add3_u32 v1, v1, v8, v9
	s_wait_loadcnt 0x0
	v_mul_i32_i24_e32 v10, v119, v0
	scratch_load_b32 v0, off, off offset:480 ; 4-byte Folded Reload
	v_add3_u32 v1, v1, v10, v11
	s_wait_loadcnt 0x0
	v_mul_i32_i24_e32 v12, v97, v0
	s_clause 0x4
	scratch_load_b32 v0, off, off offset:496
	scratch_load_b32 v5, off, off offset:1712 th:TH_LOAD_LU
	scratch_load_b32 v6, off, off offset:1716 th:TH_LOAD_LU
	scratch_load_b32 v8, off, off offset:336
	scratch_load_b32 v10, off, off offset:344
	s_wait_loadcnt 0x4
	v_mul_i32_i24_e32 v13, v96, v0
	v_mul_i32_i24_e32 v0, v47, v219
	s_wait_loadcnt 0x2
	v_add3_u32 v3, v6, v5, v3
	s_clause 0x1
	scratch_load_b32 v5, off, off offset:780
	scratch_load_b32 v6, off, off offset:340
	v_add3_u32 v1, v1, v12, v13
	s_wait_loadcnt 0x3
	v_mul_i32_i24_e32 v7, v44, v8
	s_wait_loadcnt 0x2
	v_mul_i32_i24_e32 v9, v10, v39
	v_mul_i32_i24_e32 v8, v62, v8
	;; [unrolled: 1-line block ×3, first 2 shown]
	v_add3_u32 v1, v1, v14, v15
	v_mul_i32_i24_e32 v14, v144, v72
	v_mul_i32_i24_e32 v15, v130, v73
	;; [unrolled: 1-line block ×3, first 2 shown]
	v_mov_b32_e32 v130, v246
	v_add3_u32 v1, v1, v16, v17
	v_mul_i32_i24_e32 v16, v126, v90
	v_mul_i32_i24_e32 v17, v147, v91
	s_delay_alu instid0(VALU_DEP_3) | instskip(SKIP_3) | instid1(VALU_DEP_4)
	v_add3_u32 v1, v1, v18, v19
	v_mul_i32_i24_e32 v18, v158, v92
	v_mul_i32_i24_e32 v19, v157, v93
	v_mov_b32_e32 v158, v244
	v_add3_u32 v1, v1, v20, v21
	v_mul_i32_i24_e32 v20, v152, v104
	v_mul_i32_i24_e32 v21, v162, v125
	s_delay_alu instid0(VALU_DEP_3) | instskip(SKIP_3) | instid1(VALU_DEP_4)
	v_add3_u32 v1, v1, v22, v23
	v_mul_i32_i24_e32 v22, v161, v105
	v_mul_i32_i24_e32 v23, v160, v134
	v_mov_b32_e32 v161, v235
	v_add3_u32 v1, v1, v24, v25
	v_mul_i32_i24_e32 v24, v159, v143
	v_mul_i32_i24_e32 v25, v166, v102
	s_delay_alu instid0(VALU_DEP_3)
	v_add3_u32 v0, v1, v107, v0
	s_clause 0x2
	scratch_load_b64 v[12:13], off, off offset:556 th:TH_LOAD_LU
	scratch_load_b32 v11, off, off offset:592
	scratch_load_b32 v107, off, off offset:572
	v_add3_u32 v1, v30, v141, v110
	v_mov_b32_e32 v141, v211
	scratch_store_b32 off, v245, off offset:936 ; 4-byte Folded Spill
	v_add3_u32 v0, v0, v7, v9
	scratch_load_b32 v7, off, off offset:260 ; 4-byte Folded Reload
	v_add3_u32 v1, v1, v8, v10
	scratch_store_b32 off, v141, off offset:932 ; 4-byte Folded Spill
	v_mul_i32_i24_e32 v8, v240, v61
	v_mul_i32_i24_e32 v9, v142, v81
	;; [unrolled: 1-line block ×3, first 2 shown]
	s_wait_loadcnt 0x5
	v_mul_lo_u32 v4, v4, v5
	v_mul_lo_u32 v3, v3, v5
	s_wait_loadcnt 0x4
	v_fma_mix_f32 v5, v6, v88, 0 op_sel:[0,1,0] op_sel_hi:[0,1,0]
	v_fma_mix_f32 v6, v6, v94, 0 op_sel:[0,1,0] op_sel_hi:[0,1,0]
	s_delay_alu instid0(VALU_DEP_4) | instskip(NEXT) | instid1(VALU_DEP_4)
	v_cvt_f32_i32_e32 v4, v4
	v_cvt_f32_i32_e32 v3, v3
	s_delay_alu instid0(VALU_DEP_2) | instskip(NEXT) | instid1(VALU_DEP_2)
	v_fma_mix_f32 v4, v88, v4, 0 op_sel_hi:[1,0,0]
	v_fma_mix_f32 v3, v94, v3, 0 op_sel_hi:[1,0,0]
	s_wait_loadcnt 0x0
	v_mul_lo_u32 v0, v0, v7
	v_mul_lo_u32 v1, v1, v7
	s_delay_alu instid0(VALU_DEP_2) | instskip(NEXT) | instid1(VALU_DEP_2)
	v_cvt_f32_i32_e32 v0, v0
	v_cvt_f32_i32_e32 v1, v1
	s_delay_alu instid0(VALU_DEP_2)
	v_fma_mix_f32 v0, v89, v0, v4 op_sel_hi:[1,0,0]
	scratch_load_b32 v4, off, off offset:256 ; 4-byte Folded Reload
	v_fma_mix_f32 v1, v95, v1, v3 op_sel_hi:[1,0,0]
	s_wait_loadcnt 0x0
	v_fma_mix_f32 v3, v4, v95, v6 op_sel:[0,1,0] op_sel_hi:[0,1,0]
	v_fma_mix_f32 v4, v4, v89, v5 op_sel:[0,1,0] op_sel_hi:[0,1,0]
	scratch_load_b32 v5, off, off offset:436 ; 4-byte Folded Reload
	s_wait_loadcnt 0x0
	v_mul_f32_e32 v4, v4, v5
	scratch_load_b32 v5, off, off offset:420 ; 4-byte Folded Reload
	s_wait_loadcnt 0x0
	v_mul_f32_e32 v3, v3, v5
	scratch_load_b32 v5, off, off offset:416 ; 4-byte Folded Reload
	s_wait_loadcnt 0x0
	v_fma_f32 v1, v1, v5, -v3
	s_clause 0x3
	scratch_load_b32 v3, off, off offset:432
	scratch_load_b32 v7, off, off offset:584
	;; [unrolled: 1-line block ×4, first 2 shown]
	v_mul_i32_i24_e32 v5, v245, v2
	s_clause 0x6
	scratch_load_b32 v30, off, off offset:460
	scratch_load_b32 v189, off, off offset:800
	;; [unrolled: 1-line block ×7, first 2 shown]
	v_add3_u32 v5, v100, v149, v5
	scratch_load_b32 v100, off, off offset:824 ; 4-byte Folded Reload
	v_add_f32_e32 v12, v12, v1
	v_mul_i32_i24_e32 v1, v190, v52
	scratch_load_b32 v240, off, off offset:348 ; 4-byte Folded Reload
	v_mul_lo_u32 v5, v5, v233
	s_clause 0x7
	scratch_load_b32 v247, off, off offset:1216 th:TH_LOAD_LU
	scratch_load_b32 v192, off, off offset:1200 th:TH_LOAD_LU
	scratch_load_b32 v187, off, off offset:1052 th:TH_LOAD_LU
	scratch_load_b32 v149, off, off offset:1132 th:TH_LOAD_LU
	scratch_load_b32 v154, off, off offset:1144 th:TH_LOAD_LU
	scratch_load_b32 v185, off, off offset:1152 th:TH_LOAD_LU
	scratch_load_b32 v211, off, off offset:1164 th:TH_LOAD_LU
	scratch_load_b32 v207, off, off offset:1176 th:TH_LOAD_LU
	v_cvt_f32_i32_e32 v5, v5
	scratch_load_b32 v190, off, off offset:804 ; 4-byte Folded Reload
	s_clause 0x2
	scratch_store_b32 off, v221, off offset:948
	scratch_store_b32 off, v233, off offset:944
	;; [unrolled: 1-line block ×3, first 2 shown]
	scratch_load_b32 v152, off, off offset:1128 th:TH_LOAD_LU ; 4-byte Folded Reload
	s_clause 0x1
	scratch_store_b32 off, v227, off offset:956
	scratch_store_b32 off, v234, off offset:952
	scratch_load_b32 v128, off, off offset:860 ; 4-byte Folded Reload
	v_mov_b32_e32 v201, v224
	s_clause 0xd
	scratch_load_b32 v144, off, off offset:884
	scratch_load_b32 v147, off, off offset:888
	scratch_load_b32 v142, off, off offset:1172 th:TH_LOAD_LU
	scratch_load_b32 v224, off, off offset:1104 th:TH_LOAD_LU
	;; [unrolled: 1-line block ×4, first 2 shown]
	scratch_load_b32 v126, off, off offset:752
	scratch_load_b32 v159, off, off offset:1224 th:TH_LOAD_LU
	scratch_load_b32 v157, off, off offset:712
	scratch_load_b32 v160, off, off offset:716
	;; [unrolled: 1-line block ×6, first 2 shown]
	v_mov_b32_e32 v163, v254
	s_clause 0x3
	scratch_load_b32 v254, off, off offset:500
	scratch_load_b32 v244, off, off offset:660
	;; [unrolled: 1-line block ×4, first 2 shown]
	s_wait_loadcnt 0x29
	v_fma_f32 v0, v0, v3, -v4
	v_fma_mix_f32 v3, v94, v200, 0 op_sel_hi:[1,0,0]
	v_fma_mix_f32 v4, v141, v94, 0 op_sel:[0,1,0] op_sel_hi:[0,1,0]
	scratch_load_b32 v200, off, off offset:1188 th:TH_LOAD_LU ; 4-byte Folded Reload
	v_add_f32_e32 v13, v13, v0
	v_fma_mix_f32 v3, v95, v5, v3 op_sel_hi:[1,0,0]
	v_mul_i32_i24_e32 v5, v229, v2
	v_fma_mix_f32 v4, v231, v95, v4 op_sel:[0,1,0] op_sel_hi:[0,1,0]
	v_mul_i32_i24_e32 v0, v31, v54
	v_bfe_i32 v31, v121, 0, 8
	s_delay_alu instid0(VALU_DEP_4) | instskip(NEXT) | instid1(VALU_DEP_4)
	v_add3_u32 v5, v117, v29, v5
	v_dual_mul_f32 v4, v4, v232 :: v_dual_mov_b32 v29, v63
	scratch_load_b32 v63, off, off offset:428 ; 4-byte Folded Reload
	v_mad_i32_i24 v0, v191, v82, v0
	v_mul_lo_u32 v5, v5, v234
	v_fma_f32 v3, v3, v239, -v4
	v_fma_mix_f32 v4, v227, v94, 0 op_sel:[0,1,0] op_sel_hi:[0,1,0]
	v_mul_i32_i24_e32 v2, v2, v29
	s_clause 0x1
	scratch_load_b32 v191, off, off offset:904
	scratch_load_b32 v117, off, off offset:872
	s_wait_loadcnt 0x2a
	v_add_f32_e32 v6, v6, v3
	v_fma_mix_f32 v3, v94, v133, 0 op_sel_hi:[1,0,0]
	v_cvt_f32_i32_e32 v5, v5
	v_fma_mix_f32 v4, v221, v95, v4 op_sel:[0,1,0] op_sel_hi:[0,1,0]
	v_add3_u32 v2, v155, v156, v2
	scratch_store_b32 off, v6, off offset:576 ; 4-byte Folded Spill
	v_mul_i32_i24_e32 v6, v203, v59
	v_fma_mix_f32 v3, v95, v5, v3 op_sel_hi:[1,0,0]
	v_mul_f32_e32 v4, v4, v222
	v_mul_lo_u32 v2, v2, v217
	v_mul_i32_i24_e32 v5, v216, v58
	s_clause 0x2
	scratch_load_b32 v216, off, off offset:356
	scratch_load_b32 v155, off, off offset:1056 th:TH_LOAD_LU
	scratch_load_b32 v156, off, off offset:808
	v_fma_f32 v3, v3, v230, -v4
	s_wait_loadcnt 0x2c
	v_fma_mix_f32 v4, v94, v30, 0 op_sel:[1,0,0] op_sel_hi:[1,0,0]
	scratch_load_b32 v133, off, off offset:1136 th:TH_LOAD_LU ; 4-byte Folded Reload
	v_cvt_f32_i32_e32 v2, v2
	scratch_load_b32 v217, off, off offset:896 ; 4-byte Folded Reload
	v_add_f32_e32 v7, v7, v3
	scratch_load_b32 v3, off, off offset:1720 th:TH_LOAD_LU ; 4-byte Folded Reload
	v_mov_b32_e32 v203, v225
	scratch_load_b32 v225, off, off offset:848 ; 4-byte Folded Reload
	scratch_store_b32 off, v7, off offset:584 ; 4-byte Folded Spill
	v_mul_i32_i24_e32 v7, v202, v60
	v_mov_b32_e32 v202, v206
	v_mov_b32_e32 v206, v210
	scratch_store_b64 off, v[12:13], off offset:556 ; 8-byte Folded Spill
	v_mul_i32_i24_e32 v12, v241, v66
	v_mul_i32_i24_e32 v13, v145, v71
	s_clause 0x1
	scratch_load_b32 v145, off, off offset:1124 th:TH_LOAD_LU
	scratch_load_b32 v241, off, off offset:1140 th:TH_LOAD_LU
	v_mov_b32_e32 v210, v205
	scratch_load_b32 v205, off, off offset:1180 th:TH_LOAD_LU ; 4-byte Folded Reload
	s_wait_loadcnt 0x4
	v_fma_mix_f32 v3, v94, v3, 0 op_sel_hi:[1,0,0]
	v_mul_i32_i24_e32 v94, v44, v177
	scratch_load_b32 v177, off, off offset:996 th:TH_LOAD_LU ; 4-byte Folded Reload
	v_fma_mix_f32 v2, v95, v2, v3 op_sel_hi:[1,0,0]
	v_fma_mix_f32 v3, v95, v111, v4 op_sel:[1,0,0] op_sel_hi:[1,0,0]
	v_mul_i32_i24_e32 v4, v194, v57
	v_mul_i32_i24_e32 v95, v245, v39
	s_clause 0x1
	scratch_load_b32 v245, off, off offset:1212 th:TH_LOAD_LU
	scratch_load_b32 v194, off, off offset:1204 th:TH_LOAD_LU
	v_mul_f32_e32 v3, v3, v63
	s_delay_alu instid0(VALU_DEP_1)
	v_fma_f32 v2, v2, v213, -v3
	v_mul_i32_i24_e32 v3, v195, v56
	s_clause 0x1
	scratch_load_b32 v213, off, off offset:1160 th:TH_LOAD_LU
	scratch_load_b32 v195, off, off offset:1196 th:TH_LOAD_LU
	v_add_f32_e32 v11, v11, v2
	v_mul_i32_i24_e32 v2, v188, v53
	scratch_load_b32 v188, off, off offset:796 ; 4-byte Folded Reload
	scratch_store_b32 off, v11, off offset:592 ; 4-byte Folded Spill
	v_add3_u32 v0, v0, v1, v2
	v_mul_i32_i24_e32 v1, v198, v64
	v_mul_i32_i24_e32 v2, v197, v55
	;; [unrolled: 1-line block ×3, first 2 shown]
	v_mov_b32_e32 v198, v226
	s_clause 0x1
	scratch_load_b32 v226, off, off offset:852
	scratch_load_b32 v197, off, off offset:1192 th:TH_LOAD_LU
	v_add3_u32 v0, v0, v1, v2
	v_mul_i32_i24_e32 v2, v186, v85
	v_fma_mix_f32 v1, v141, v88, 0 op_sel:[0,1,0] op_sel_hi:[0,1,0]
	s_clause 0x1
	scratch_load_b32 v186, off, off offset:792
	scratch_load_b32 v141, off, off offset:840
	v_add3_u32 v0, v0, v3, v4
	v_mul_i32_i24_e32 v3, v132, v83
	v_mul_i32_i24_e32 v4, v131, v84
	v_mad_i32_i24 v2, v150, v103, v2
	v_fma_mix_f32 v1, v231, v89, v1 op_sel:[0,1,0] op_sel_hi:[0,1,0]
	v_add3_u32 v0, v0, v5, v6
	v_mul_i32_i24_e32 v5, v167, v250
	v_mul_i32_i24_e32 v6, v151, v86
	v_add3_u32 v2, v2, v3, v4
	v_mul_i32_i24_e32 v3, v199, v109
	v_mul_i32_i24_e32 v4, v168, v99
	;; [unrolled: 3-line block ×3, first 2 shown]
	v_mul_f32_e32 v1, v1, v232
	v_add3_u32 v2, v2, v3, v4
	v_add3_u32 v0, v0, v9, v10
	v_mul_i32_i24_e32 v9, v171, v98
	v_mul_i32_i24_e32 v10, v169, v87
	s_clause 0x1
	scratch_load_b32 v3, off, off offset:4
	scratch_load_b32 v4, off, off offset:24
	v_add3_u32 v2, v2, v5, v6
	v_add3_u32 v0, v0, v11, v12
	v_mul_i32_i24_e32 v11, v139, v119
	v_mul_i32_i24_e32 v12, v140, v108
	s_clause 0x1
	scratch_load_b32 v5, off, off offset:28
	scratch_load_b32 v6, off, off offset:32
	;; [unrolled: 7-line block ×4, first 2 shown]
	v_add3_u32 v2, v2, v11, v12
	v_add3_u32 v0, v0, v17, v18
	v_mul_i32_i24_e32 v17, v101, v42
	v_mul_i32_i24_e32 v18, v148, v36
	scratch_load_b32 v101, off, off offset:60 ; 4-byte Folded Reload
	v_add3_u32 v2, v2, v13, v14
	v_add3_u32 v0, v0, v19, v20
	v_mul_i32_i24_e32 v19, v242, v48
	v_mul_i32_i24_e32 v20, v238, v49
	v_mov_b32_e32 v238, v255
	v_add3_u32 v2, v2, v15, v16
	v_add3_u32 v0, v0, v21, v22
	v_mul_i32_i24_e32 v21, v237, v50
	v_mul_i32_i24_e32 v22, v236, v37
	s_clause 0x1
	scratch_load_b32 v11, off, off offset:76
	scratch_load_b32 v12, off, off offset:376
	v_add3_u32 v2, v2, v17, v18
	v_add3_u32 v0, v0, v23, v24
	v_mul_i32_i24_e32 v23, v182, v43
	v_mul_i32_i24_e32 v24, v181, v45
	s_clause 0x1
	scratch_load_b32 v13, off, off offset:400
	scratch_load_b32 v14, off, off offset:80
	;; [unrolled: 7-line block ×3, first 2 shown]
	v_add3_u32 v2, v2, v21, v22
	v_add3_u32 v0, v0, v27, v62
	v_mul_i32_i24_e32 v27, v46, v183
	v_mul_i32_i24_e32 v62, v47, v178
	scratch_load_b32 v183, off, off offset:1208 th:TH_LOAD_LU ; 4-byte Folded Reload
	v_add3_u32 v2, v2, v23, v24
	v_mul_lo_u32 v0, v0, v184
	s_clause 0x3
	scratch_load_b32 v17, off, off offset:408
	scratch_load_b32 v18, off, off offset:88
	;; [unrolled: 1-line block ×4, first 2 shown]
	v_add3_u32 v2, v2, v25, v26
	s_clause 0x1
	scratch_load_b32 v21, off, off offset:96
	scratch_load_b32 v22, off, off offset:380
	v_cvt_f32_i32_e32 v0, v0
	s_clause 0x1
	scratch_load_b32 v23, off, off offset:412
	scratch_load_b32 v24, off, off offset:48
	v_add3_u32 v2, v2, v27, v62
	s_clause 0x1
	scratch_load_b32 v25, off, off offset:52
	scratch_load_b32 v26, off, off
	v_fma_mix_f32 v0, v88, v0, 0 op_sel_hi:[1,0,0]
	scratch_load_b32 v27, off, off offset:56 ; 4-byte Folded Reload
	v_add3_u32 v2, v2, v94, v95
	s_clause 0x3
	scratch_load_b32 v131, off, off offset:820
	scratch_load_b32 v148, off, off offset:1148 th:TH_LOAD_LU
	scratch_load_b32 v129, off, off offset:1156 th:TH_LOAD_LU
	;; [unrolled: 1-line block ×3, first 2 shown]
	v_mul_lo_u32 v2, v2, v233
	v_mul_i32_i24_e32 v62, v80, v170
	v_mul_i32_i24_e32 v94, v44, v172
	;; [unrolled: 1-line block ×3, first 2 shown]
	s_clause 0x3
	scratch_load_b32 v139, off, off offset:880
	scratch_load_b32 v132, off, off offset:1168 th:TH_LOAD_LU
	scratch_load_b32 v140, off, off offset:844
	scratch_load_b32 v236, off, off offset:1088 th:TH_LOAD_LU
	v_cvt_f32_i32_e32 v2, v2
	s_clause 0x3
	scratch_load_b32 v229, off, off offset:1092 th:TH_LOAD_LU
	scratch_load_b32 v199, off, off offset:1184 th:TH_LOAD_LU
	scratch_load_b32 v233, off, off offset:1016 th:TH_LOAD_LU
	scratch_load_b32 v232, off, off offset:1012 th:TH_LOAD_LU
	v_fma_mix_f32 v0, v89, v2, v0 op_sel_hi:[1,0,0]
	s_clause 0x3
	scratch_load_b32 v2, off, off offset:8
	scratch_load_b32 v242, off, off offset:1024 th:TH_LOAD_LU
	scratch_load_b32 v237, off, off offset:1032 th:TH_LOAD_LU
	;; [unrolled: 1-line block ×3, first 2 shown]
	v_fma_f32 v0, v0, v239, -v1
	s_clause 0x1
	scratch_load_b32 v151, off, off offset:876
	scratch_load_b32 v150, off, off offset:1228 th:TH_LOAD_LU
	v_mov_b32_e32 v184, v28
	scratch_load_b32 v178, off, off offset:1000 th:TH_LOAD_LU ; 4-byte Folded Reload
	v_add_f32_e32 v107, v107, v0
	v_mul_i32_i24_e32 v0, v54, v100
	s_clause 0xf
	scratch_load_b32 v180, off, off offset:1008 th:TH_LOAD_LU
	scratch_load_b32 v176, off, off offset:756
	scratch_load_b32 v181, off, off offset:760
	;; [unrolled: 1-line block ×7, first 2 shown]
	scratch_load_b32 v170, off, off offset:1064 th:TH_LOAD_LU
	scratch_load_b32 v169, off, off offset:736
	scratch_load_b32 v171, off, off offset:740
	;; [unrolled: 1-line block ×3, first 2 shown]
	scratch_load_b32 v174, off, off offset:1068 th:TH_LOAD_LU
	scratch_load_b32 v175, off, off offset:1220 th:TH_LOAD_LU
	scratch_load_b32 v116, off, off offset:692
	scratch_load_b32 v173, off, off offset:748
	scratch_store_b32 off, v107, off offset:572 ; 4-byte Folded Spill
	s_clause 0x1
	scratch_load_b32 v107, off, off offset:668
	scratch_load_b32 v239, off, off offset:480
	scratch_store_b32 off, v184, off offset:836 ; 4-byte Folded Spill
	s_wait_loadcnt 0x3e
	v_mad_i32_i24 v0, v82, v3, v0
	scratch_load_b32 v3, off, off offset:20 ; 4-byte Folded Reload
	v_mul_i32_i24_e32 v4, v57, v4
	s_wait_loadcnt 0x3e
	v_mul_i32_i24_e32 v5, v58, v5
	s_wait_loadcnt 0x3d
	;; [unrolled: 2-line block ×25, first 2 shown]
	v_mul_i32_i24_e32 v2, v53, v2
	s_delay_alu instid0(VALU_DEP_1)
	v_add3_u32 v0, v0, v1, v2
	s_clause 0x1
	scratch_load_b32 v1, off, off offset:12
	scratch_load_b32 v2, off, off offset:16
	s_wait_loadcnt 0x2
	v_mul_i32_i24_e32 v3, v56, v3
	s_wait_loadcnt 0x1
	v_mul_i32_i24_e32 v1, v64, v1
	;; [unrolled: 2-line block ×3, first 2 shown]
	s_delay_alu instid0(VALU_DEP_1)
	v_add3_u32 v0, v0, v1, v2
	scratch_load_b32 v2, off, off offset:384 ; 4-byte Folded Reload
	v_fma_mix_f32 v1, v227, v88, 0 op_sel:[0,1,0] op_sel_hi:[0,1,0]
	scratch_load_b32 v227, off, off offset:856 ; 4-byte Folded Reload
	v_add3_u32 v0, v0, v3, v4
	scratch_load_b32 v4, off, off offset:900 ; 4-byte Folded Reload
	v_mul_i32_i24_e32 v3, v83, v240
	v_fma_mix_f32 v1, v221, v89, v1 op_sel:[0,1,0] op_sel_hi:[0,1,0]
	scratch_load_b32 v221, off, off offset:816 ; 4-byte Folded Reload
	v_add3_u32 v0, v0, v5, v6
	v_mul_i32_i24_e32 v5, v250, v183
	v_mul_i32_i24_e32 v6, v86, v216
	v_mul_f32_e32 v1, v1, v222
	scratch_load_b32 v222, off, off offset:1048 th:TH_LOAD_LU ; 4-byte Folded Reload
	v_add3_u32 v0, v0, v7, v8
	scratch_load_b32 v8, off, off offset:40 ; 4-byte Folded Reload
	v_mul_i32_i24_e32 v7, v146, v245
	v_add3_u32 v0, v0, v9, v10
	scratch_load_b32 v10, off, off offset:64 ; 4-byte Folded Reload
	v_mul_i32_i24_e32 v9, v98, v247
	v_add3_u32 v0, v0, v11, v12
	s_clause 0x1
	scratch_load_b32 v11, off, off offset:68
	scratch_load_b32 v12, off, off offset:360
	v_add3_u32 v0, v0, v13, v14
	s_clause 0x1
	scratch_load_b32 v13, off, off offset:392
	scratch_load_b32 v14, off, off offset:396
	v_add3_u32 v0, v0, v15, v16
	v_mul_i32_i24_e32 v15, v41, v192
	v_mul_i32_i24_e32 v16, v40, v194
	s_delay_alu instid0(VALU_DEP_3) | instskip(SKIP_2) | instid1(VALU_DEP_3)
	v_add3_u32 v0, v0, v17, v18
	v_mul_i32_i24_e32 v17, v42, v193
	v_mul_i32_i24_e32 v18, v36, v196
	v_add3_u32 v0, v0, v19, v20
	v_mul_i32_i24_e32 v19, v48, v198
	v_mul_i32_i24_e32 v20, v49, v202
	s_delay_alu instid0(VALU_DEP_3) | instskip(SKIP_2) | instid1(VALU_DEP_3)
	v_add3_u32 v0, v0, v21, v22
	v_mul_i32_i24_e32 v21, v50, v201
	v_mul_i32_i24_e32 v22, v37, v203
	;; [unrolled: 7-line block ×3, first 2 shown]
	v_add3_u32 v0, v0, v27, v62
	v_mul_i32_i24_e32 v27, v46, v212
	v_mul_i32_i24_e32 v62, v47, v214
	s_delay_alu instid0(VALU_DEP_3) | instskip(SKIP_1) | instid1(VALU_DEP_2)
	v_mul_lo_u32 v0, v0, v28
	v_ashrrev_i32_e32 v28, 24, v69
	v_cvt_f32_i32_e32 v0, v0
	s_delay_alu instid0(VALU_DEP_1) | instskip(SKIP_4) | instid1(VALU_DEP_2)
	v_fma_mix_f32 v0, v88, v0, 0 op_sel_hi:[1,0,0]
	s_wait_loadcnt 0xa
	v_mul_i32_i24_e32 v2, v85, v2
	s_wait_loadcnt 0x8
	v_mul_i32_i24_e32 v4, v84, v4
	v_mad_i32_i24 v2, v103, v219, v2
	s_delay_alu instid0(VALU_DEP_1)
	v_add3_u32 v2, v2, v3, v4
	scratch_load_b32 v3, off, off offset:388 ; 4-byte Folded Reload
	v_mul_i32_i24_e32 v4, v99, v191
	s_wait_loadcnt 0x6
	v_mul_i32_i24_e32 v8, v127, v8
	s_wait_loadcnt 0x5
	;; [unrolled: 2-line block ×7, first 2 shown]
	v_mul_i32_i24_e32 v3, v109, v3
	s_delay_alu instid0(VALU_DEP_1) | instskip(SKIP_2) | instid1(VALU_DEP_3)
	v_add3_u32 v2, v2, v3, v4
	v_mul_i32_i24_e32 v3, v56, v190
	v_mul_i32_i24_e32 v4, v57, v155
	v_add3_u32 v2, v2, v5, v6
	v_mul_i32_i24_e32 v5, v58, v156
	v_mul_i32_i24_e32 v6, v59, v220
	s_delay_alu instid0(VALU_DEP_3)
	v_add3_u32 v2, v2, v7, v8
	v_mul_i32_i24_e32 v7, v60, v221
	v_mul_i32_i24_e32 v8, v61, v145
	s_clause 0x1
	scratch_load_b128 v[57:60], off, off offset:1072
	scratch_load_b32 v61, off, off offset:680
	v_add3_u32 v2, v2, v9, v10
	v_mul_i32_i24_e32 v9, v81, v152
	v_mul_i32_i24_e32 v10, v106, v149
	scratch_load_b32 v106, off, off offset:640 ; 4-byte Folded Reload
	v_add3_u32 v2, v2, v11, v12
	v_mul_i32_i24_e32 v11, v65, v133
	v_mul_i32_i24_e32 v12, v66, v241
	s_delay_alu instid0(VALU_DEP_3) | instskip(SKIP_2) | instid1(VALU_DEP_3)
	v_add3_u32 v2, v2, v13, v14
	v_mul_i32_i24_e32 v13, v71, v154
	v_mul_i32_i24_e32 v14, v72, v148
	v_add3_u32 v2, v2, v15, v16
	v_mul_i32_i24_e32 v15, v73, v185
	v_mul_i32_i24_e32 v16, v90, v129
	s_delay_alu instid0(VALU_DEP_3) | instskip(SKIP_2) | instid1(VALU_DEP_3)
	v_add3_u32 v2, v2, v17, v18
	v_mul_i32_i24_e32 v17, v91, v217
	v_mul_i32_i24_e32 v18, v92, v215
	v_add3_u32 v2, v2, v19, v20
	v_mul_i32_i24_e32 v20, v104, v211
	scratch_load_b32 v104, off, off offset:768 ; 4-byte Folded Reload
	v_mul_i32_i24_e32 v19, v93, v213
	v_add3_u32 v2, v2, v21, v22
	v_mul_i32_i24_e32 v21, v125, v132
	v_mul_i32_i24_e32 v22, v105, v142
	s_clause 0x1
	scratch_load_b32 v105, off, off offset:652
	scratch_load_b32 v125, off, off offset:644
	v_add3_u32 v2, v2, v23, v24
	v_mul_i32_i24_e32 v23, v134, v207
	v_mul_i32_i24_e32 v24, v143, v205
	v_mov_b32_e32 v143, v249
	scratch_load_b32 v249, off, off offset:648 ; 4-byte Folded Reload
	v_add3_u32 v2, v2, v25, v26
	v_mul_i32_i24_e32 v25, v102, v199
	v_mul_i32_i24_e32 v26, v78, v200
	v_mov_b32_e32 v102, v253
	scratch_load_b32 v134, off, off offset:496 ; 4-byte Folded Reload
	v_add3_u32 v2, v2, v27, v62
	v_mul_i32_i24_e32 v27, v79, v197
	scratch_load_b32 v253, off, off offset:684 ; 4-byte Folded Reload
	v_add3_u32 v2, v2, v94, v95
	v_mul_i32_i24_e32 v95, v28, v172
	s_delay_alu instid0(VALU_DEP_2) | instskip(SKIP_2) | instid1(VALU_DEP_1)
	v_mul_lo_u32 v2, v2, v234
	scratch_load_b32 v234, off, off offset:1704 th:TH_LOAD_LU ; 4-byte Folded Reload
	v_cvt_f32_i32_e32 v2, v2
	v_fma_mix_f32 v0, v89, v2, v0 op_sel_hi:[1,0,0]
	v_mul_i32_i24_e32 v2, v53, v186
	s_delay_alu instid0(VALU_DEP_2)
	v_fma_f32 v0, v0, v230, -v1
	v_mul_i32_i24_e32 v1, v52, v131
	scratch_load_b32 v230, off, off offset:1112 th:TH_LOAD_LU ; 4-byte Folded Reload
	v_mul_i32_i24_e32 v52, v80, v195
	v_add_f32_e32 v110, v110, v0
	v_mul_i32_i24_e32 v0, v54, v222
	scratch_store_b32 off, v110, off offset:580 ; 4-byte Folded Spill
	v_mad_i32_i24 v0, v82, v187, v0
	v_mov_b32_e32 v110, v218
	scratch_load_b32 v218, off, off offset:472 ; 4-byte Folded Reload
	v_add3_u32 v0, v0, v1, v2
	v_mul_i32_i24_e32 v1, v64, v188
	v_mul_i32_i24_e32 v2, v55, v189
	s_delay_alu instid0(VALU_DEP_1) | instskip(SKIP_2) | instid1(VALU_DEP_3)
	v_add3_u32 v0, v0, v1, v2
	v_mul_i32_i24_e32 v1, v85, v141
	v_mul_i32_i24_e32 v2, v83, v144
	v_add3_u32 v0, v0, v3, v4
	v_mul_i32_i24_e32 v3, v84, v147
	s_delay_alu instid0(VALU_DEP_4)
	v_mad_i32_i24 v1, v103, v139, v1
	v_mul_i32_i24_e32 v4, v47, v151
	scratch_load_b32 v103, off, off offset:636 ; 4-byte Folded Reload
	v_add3_u32 v0, v0, v5, v6
	v_mul_i32_i24_e32 v6, v146, v227
	scratch_load_b32 v146, off, off offset:1108 th:TH_LOAD_LU ; 4-byte Folded Reload
	v_mul_i32_i24_e32 v5, v51, v255
	v_ashrrev_i32_e32 v47, 24, v124
	v_add3_u32 v0, v0, v7, v8
	v_mul_i32_i24_e32 v7, v127, v128
	scratch_load_b32 v127, off, off offset:1040 th:TH_LOAD_LU ; 4-byte Folded Reload
	v_mul_i32_i24_e32 v8, v97, v224
	v_add3_u32 v0, v0, v9, v10
	v_mul_i32_i24_e32 v10, v43, v242
	v_ashrrev_i32_e32 v43, 24, v123
	s_delay_alu instid0(VALU_DEP_3) | instskip(SKIP_2) | instid1(VALU_DEP_3)
	v_add3_u32 v0, v0, v11, v12
	v_mul_i32_i24_e32 v11, v45, v237
	v_bfe_i32 v45, v124, 8, 8
	v_add3_u32 v0, v0, v13, v14
	v_mul_i32_i24_e32 v13, v250, v140
	v_mul_i32_i24_e32 v14, v86, v226
	scratch_load_b32 v250, off, off offset:488 ; 4-byte Folded Reload
	v_add3_u32 v0, v0, v15, v16
	v_mul_i32_i24_e32 v16, v119, v231
	scratch_load_b32 v119, off, off offset:1020 th:TH_LOAD_LU ; 4-byte Folded Reload
	v_add3_u32 v15, v1, v2, v3
	v_mul_i32_i24_e32 v3, v46, v117
	v_add3_u32 v0, v0, v17, v18
	v_mul_i32_i24_e32 v18, v109, v223
	scratch_load_b32 v109, off, off offset:864 ; 4-byte Folded Reload
	v_mul_i32_i24_e32 v1, v44, v150
	v_mul_i32_i24_e32 v2, v39, v29
	v_add3_u32 v0, v0, v19, v20
	v_mul_i32_i24_e32 v19, v99, v225
	v_mul_i32_i24_e32 v20, v41, v236
	v_bfe_i32 v29, v70, 0, 8
	v_ashrrev_i32_e32 v39, 24, v122
	v_add3_u32 v0, v0, v21, v22
	v_add3_u32 v15, v15, v18, v19
	v_mul_i32_i24_e32 v21, v40, v229
	v_mul_i32_i24_e32 v22, v42, v228
	v_bfe_i32 v18, v67, 8, 8
	v_add3_u32 v0, v0, v23, v24
	v_add3_u32 v13, v15, v13, v14
	v_bfe_i32 v14, v35, 8, 8
	v_bfe_i32 v15, v35, 16, 8
	;; [unrolled: 1-line block ×3, first 2 shown]
	v_add3_u32 v0, v0, v25, v26
	v_add3_u32 v6, v13, v6, v7
	v_mul_i32_i24_e32 v25, v48, v238
	v_mul_i32_i24_e32 v26, v49, v233
	v_bfe_i32 v7, v33, 16, 8
	v_add3_u32 v0, v0, v27, v52
	v_fma_mix_f32 v52, v88, v30, 0 op_sel:[1,0,0] op_sel_hi:[1,0,0]
	v_bfe_i32 v27, v69, 16, 8
	v_bfe_i32 v30, v70, 8, 8
	v_mul_i32_i24_e32 v66, v7, v181
	v_mul_lo_u32 v0, v0, v209
	v_bfe_i32 v13, v35, 0, 8
	v_mul_i32_i24_e32 v81, v14, v159
	v_mul_i32_i24_e32 v82, v15, v157
	;; [unrolled: 1-line block ×6, first 2 shown]
	v_cvt_f32_i32_e32 v0, v0
	v_mul_i32_i24_e32 v97, v30, v175
	v_bfe_i32 v40, v123, 0, 8
	v_bfe_i32 v41, v123, 8, 8
	;; [unrolled: 1-line block ×3, first 2 shown]
	v_fma_mix_f32 v0, v88, v0, 0 op_sel_hi:[1,0,0]
	v_bfe_i32 v44, v124, 0, 8
	v_bfe_i32 v46, v124, 16, 8
	s_clause 0x1
	scratch_load_b32 v123, off, off offset:1096
	scratch_load_b32 v124, off, off offset:912
	s_wait_loadcnt 0x13
	v_bfe_i32 v62, v60, 0, 8
	v_bfe_i32 v48, v57, 0, 8
	;; [unrolled: 1-line block ×3, first 2 shown]
	v_ashrrev_i32_e32 v51, 24, v57
	v_bfe_i32 v54, v58, 16, 8
	v_ashrrev_i32_e32 v55, 24, v58
	v_bfe_i32 v56, v59, 0, 8
	s_wait_loadcnt 0x10
	v_mul_i32_i24_e32 v9, v38, v104
	v_bfe_i32 v38, v122, 16, 8
	s_wait_loadcnt 0xa
	v_mul_i32_i24_e32 v12, v96, v234
	v_mul_i32_i24_e32 v96, v29, v174
	s_wait_loadcnt 0x9
	v_mul_i32_i24_e32 v23, v87, v230
	s_wait_loadcnt 0x6
	v_mul_i32_i24_e32 v53, v98, v146
	s_delay_alu instid0(VALU_DEP_1)
	v_add3_u32 v6, v6, v53, v23
	s_wait_loadcnt 0x5
	v_mul_i32_i24_e32 v24, v36, v127
	v_mul_i32_i24_e32 v36, v50, v232
	v_bfe_i32 v23, v68, 16, 8
	v_bfe_i32 v50, v57, 16, 8
	;; [unrolled: 1-line block ×4, first 2 shown]
	s_delay_alu instid0(VALU_DEP_4)
	v_mul_i32_i24_e32 v90, v23, v167
	s_wait_loadcnt 0x3
	v_mul_i32_i24_e32 v37, v37, v119
	s_wait_loadcnt 0x2
	v_mul_i32_i24_e32 v17, v108, v109
	scratch_load_b32 v108, off, off offset:688 ; 4-byte Folded Reload
	v_add3_u32 v6, v6, v16, v17
	v_ashrrev_i32_e32 v16, 24, v35
	v_bfe_i32 v17, v67, 0, 8
	v_ashrrev_i32_e32 v35, 24, v121
	s_delay_alu instid0(VALU_DEP_4)
	v_add3_u32 v6, v6, v8, v12
	v_ashrrev_i32_e32 v8, 24, v33
	v_ashrrev_i32_e32 v12, 24, v34
	v_mul_i32_i24_e32 v83, v16, v160
	v_mul_i32_i24_e32 v84, v17, v161
	v_add3_u32 v6, v6, v20, v21
	v_bfe_i32 v21, v68, 0, 8
	v_mul_i32_i24_e32 v71, v8, v182
	v_mul_i32_i24_e32 v79, v12, v120
	v_ashrrev_i32_e32 v20, 24, v67
	v_add3_u32 v6, v6, v22, v24
	v_bfe_i32 v22, v68, 8, 8
	v_ashrrev_i32_e32 v24, 24, v68
	v_ashrrev_i32_e32 v68, 24, v70
	v_mul_i32_i24_e32 v87, v20, v164
	v_add3_u32 v6, v6, v25, v26
	v_bfe_i32 v25, v69, 0, 8
	v_bfe_i32 v26, v69, 8, 8
	scratch_load_b32 v69, off, off offset:696 ; 4-byte Folded Reload
	v_mul_i32_i24_e32 v88, v21, v165
	v_add3_u32 v6, v6, v36, v37
	v_mul_i32_i24_e32 v91, v24, v168
	v_mul_i32_i24_e32 v92, v25, v170
	;; [unrolled: 1-line block ×4, first 2 shown]
	v_add3_u32 v6, v6, v10, v11
	v_bfe_i32 v10, v34, 8, 8
	v_bfe_i32 v11, v34, 16, 8
	;; [unrolled: 1-line block ×3, first 2 shown]
	scratch_store_b32 off, v67, off offset:1612 ; 4-byte Folded Spill
	v_add3_u32 v5, v6, v5, v9
	v_bfe_i32 v6, v33, 8, 8
	v_bfe_i32 v9, v34, 0, 8
	v_mul_i32_i24_e32 v78, v11, v118
	v_bfe_i32 v34, v121, 16, 8
	v_add3_u32 v3, v5, v3, v4
	v_ashrrev_i32_e32 v4, 24, v32
	v_bfe_i32 v5, v33, 0, 8
	v_bfe_i32 v33, v121, 8, 8
	;; [unrolled: 1-line block ×3, first 2 shown]
	v_add3_u32 v1, v3, v1, v2
	v_bfe_i32 v2, v32, 16, 8
	v_mul_i32_i24_e32 v65, v4, v180
	scratch_load_b32 v122, off, off offset:664 ; 4-byte Folded Reload
	v_bfe_i32 v121, v60, 16, 8
	v_mul_lo_u32 v1, v1, v179
	scratch_load_b32 v179, off, off offset:1004 th:TH_LOAD_LU ; 4-byte Folded Reload
	v_cvt_f32_i32_e32 v1, v1
	s_delay_alu instid0(VALU_DEP_1)
	v_fma_mix_f32 v0, v89, v1, v0 op_sel_hi:[1,0,0]
	v_fma_mix_f32 v1, v89, v111, v52 op_sel:[1,0,0] op_sel_hi:[1,0,0]
	v_mul_i32_i24_e32 v89, v22, v166
	scratch_load_b32 v111, off, off offset:656 ; 4-byte Folded Reload
	v_bfe_i32 v52, v58, 0, 8
	v_bfe_i32 v58, v59, 16, 8
	v_mul_f32_e32 v1, v1, v63
	v_bfe_i32 v63, v60, 8, 8
	v_ashrrev_i32_e32 v59, 24, v59
	s_delay_alu instid0(VALU_DEP_3) | instskip(SKIP_1) | instid1(VALU_DEP_4)
	v_fma_f32 v0, v0, v251, -v1
	v_bfe_i32 v1, v32, 8, 8
	v_mul_i32_i24_e32 v67, v63, v249
	scratch_load_b32 v251, off, off offset:492 ; 4-byte Folded Reload
	v_add_f32_e32 v153, v153, v0
	v_bfe_i32 v0, v32, 0, 8
	v_bfe_i32 v32, v70, 16, 8
	scratch_load_b32 v70, off, off offset:700 ; 4-byte Folded Reload
	scratch_store_b32 off, v67, off offset:1620 ; 4-byte Folded Spill
	scratch_load_b32 v67, off, off offset:272 ; 4-byte Folded Reload
	v_mul_i32_i24_e32 v3, v0, v178
	v_mul_i32_i24_e32 v60, v32, v173
	scratch_store_b32 off, v153, off offset:536 ; 4-byte Folded Spill
	scratch_load_b32 v153, off, off offset:484 ; 4-byte Folded Reload
	v_mad_i32_i24 v3, v1, v177, v3
	scratch_store_b32 off, v60, off offset:1604 ; 4-byte Folded Spill
	scratch_load_b32 v60, off, off offset:672 ; 4-byte Folded Reload
	s_wait_loadcnt 0x8
	v_mul_i32_i24_e32 v72, v9, v69
	s_wait_loadcnt 0x6
	v_mul_i32_i24_e32 v64, v2, v179
	s_delay_alu instid0(VALU_DEP_1) | instskip(SKIP_2) | instid1(VALU_DEP_1)
	v_add3_u32 v3, v3, v64, v65
	v_mul_i32_i24_e32 v64, v5, v126
	v_mul_i32_i24_e32 v65, v6, v176
	v_add3_u32 v3, v3, v64, v65
	v_mul_i32_i24_e32 v64, v34, v252
	v_mul_i32_i24_e32 v65, v35, v116
	s_delay_alu instid0(VALU_DEP_3) | instskip(SKIP_4) | instid1(VALU_DEP_1)
	v_add3_u32 v3, v3, v66, v71
	v_mul_i32_i24_e32 v66, v38, v218
	v_mul_i32_i24_e32 v71, v39, v103
	s_wait_loadcnt 0x3
	v_mul_i32_i24_e32 v73, v10, v70
	v_add3_u32 v3, v3, v72, v73
	v_mul_i32_i24_e32 v72, v40, v244
	v_mul_i32_i24_e32 v73, v41, v122
	s_delay_alu instid0(VALU_DEP_3) | instskip(SKIP_2) | instid1(VALU_DEP_3)
	v_add3_u32 v3, v3, v78, v79
	v_mul_i32_i24_e32 v78, v42, v235
	v_mul_i32_i24_e32 v79, v43, v251
	v_add3_u32 v3, v3, v80, v81
	v_mul_i32_i24_e32 v80, v44, v107
	s_wait_loadcnt 0x0
	v_mul_i32_i24_e32 v81, v45, v60
	s_delay_alu instid0(VALU_DEP_3) | instskip(SKIP_2) | instid1(VALU_DEP_3)
	v_add3_u32 v3, v3, v82, v83
	v_mul_i32_i24_e32 v82, v46, v239
	v_mul_i32_i24_e32 v83, v47, v134
	v_add3_u32 v3, v3, v84, v85
	v_mul_i32_i24_e32 v84, v48, v130
	v_mul_i32_i24_e32 v85, v49, v243
	s_delay_alu instid0(VALU_DEP_3) | instskip(SKIP_2) | instid1(VALU_DEP_3)
	v_add3_u32 v3, v3, v86, v87
	v_mul_i32_i24_e32 v86, v50, v248
	v_mul_i32_i24_e32 v87, v51, v102
	v_add3_u32 v3, v3, v88, v89
	v_mul_i32_i24_e32 v88, v52, v246
	;; [unrolled: 7-line block ×3, first 2 shown]
	v_mul_i32_i24_e32 v93, v57, v108
	s_delay_alu instid0(VALU_DEP_3) | instskip(SKIP_2) | instid1(VALU_DEP_3)
	v_add3_u32 v3, v3, v94, v95
	v_mul_i32_i24_e32 v94, v58, v250
	v_mul_i32_i24_e32 v95, v59, v125
	v_add3_u32 v3, v3, v96, v97
	scratch_store_b32 off, v3, off offset:1608 ; 4-byte Folded Spill
	v_mul_i32_i24_e32 v3, v31, v110
	s_delay_alu instid0(VALU_DEP_1) | instskip(NEXT) | instid1(VALU_DEP_1)
	v_mad_i32_i24 v3, v33, v254, v3
	v_add3_u32 v3, v3, v64, v65
	v_mul_i32_i24_e32 v64, v36, v105
	v_mul_i32_i24_e32 v65, v37, v111
	s_delay_alu instid0(VALU_DEP_1)
	v_add3_u32 v3, v3, v64, v65
	s_clause 0x1
	scratch_load_b32 v64, off, off offset:788
	scratch_load_b32 v65, off, off offset:1044
	v_add3_u32 v3, v3, v66, v71
	v_mul_i32_i24_e32 v71, v67, v8
	s_clause 0x1
	scratch_load_b32 v67, off, off offset:292
	scratch_load_b32 v66, off, off offset:772
	v_add3_u32 v3, v3, v72, v73
	s_delay_alu instid0(VALU_DEP_1) | instskip(NEXT) | instid1(VALU_DEP_1)
	v_add3_u32 v3, v3, v78, v79
	v_add3_u32 v3, v3, v80, v81
	s_delay_alu instid0(VALU_DEP_1) | instskip(NEXT) | instid1(VALU_DEP_1)
	v_add3_u32 v3, v3, v82, v83
	;; [unrolled: 3-line block ×4, first 2 shown]
	v_add3_u32 v3, v3, v92, v93
	s_delay_alu instid0(VALU_DEP_1) | instskip(SKIP_2) | instid1(VALU_DEP_1)
	v_add3_u32 v3, v3, v94, v95
	scratch_store_b32 off, v3, off offset:1644 ; 4-byte Folded Spill
	v_mul_i32_i24_e32 v3, v123, v0
	v_mad_i32_i24 v3, v124, v1, v3
	s_wait_loadcnt 0x3
	v_mul_i32_i24_e32 v64, v64, v2
	s_wait_loadcnt 0x2
	v_mul_i32_i24_e32 v65, v65, v4
	;; [unrolled: 2-line block ×3, first 2 shown]
	scratch_load_b32 v67, off, off offset:288 ; 4-byte Folded Reload
	v_add3_u32 v3, v3, v64, v65
	s_clause 0x1
	scratch_load_b32 v64, off, off offset:280
	scratch_load_b32 v65, off, off offset:276
	s_wait_loadcnt 0x3
	v_mul_i32_i24_e32 v66, v66, v7
	s_wait_loadcnt 0x2
	v_mul_i32_i24_e32 v73, v67, v10
	scratch_load_b32 v67, off, off offset:284 ; 4-byte Folded Reload
	s_wait_loadcnt 0x2
	v_mul_i32_i24_e32 v64, v64, v5
	s_wait_loadcnt 0x1
	v_mul_i32_i24_e32 v65, v65, v6
	s_delay_alu instid0(VALU_DEP_1)
	v_add3_u32 v3, v3, v64, v65
	s_clause 0x1
	scratch_load_b32 v64, off, off offset:148
	scratch_load_b32 v65, off, off offset:144
	v_add3_u32 v3, v3, v66, v71
	scratch_load_b32 v66, off, off offset:152 ; 4-byte Folded Reload
	v_add3_u32 v3, v3, v72, v73
	s_wait_loadcnt 0x3
	v_mul_i32_i24_e32 v78, v67, v11
	scratch_load_b32 v67, off, off offset:296 ; 4-byte Folded Reload
	s_wait_loadcnt 0x3
	v_mul_i32_i24_e32 v64, v64, v34
	s_wait_loadcnt 0x2
	v_mul_i32_i24_e32 v65, v65, v35
	;; [unrolled: 2-line block ×3, first 2 shown]
	scratch_load_b32 v67, off, off offset:312 ; 4-byte Folded Reload
	v_add3_u32 v3, v3, v78, v79
	s_wait_loadcnt 0x0
	v_mul_i32_i24_e32 v80, v67, v13
	scratch_load_b32 v67, off, off offset:308 ; 4-byte Folded Reload
	s_wait_loadcnt 0x0
	v_mul_i32_i24_e32 v81, v67, v14
	scratch_load_b32 v67, off, off offset:304 ; 4-byte Folded Reload
	v_add3_u32 v3, v3, v80, v81
	s_wait_loadcnt 0x0
	v_mul_i32_i24_e32 v82, v67, v15
	scratch_load_b32 v67, off, off offset:300 ; 4-byte Folded Reload
	s_wait_loadcnt 0x0
	v_mul_i32_i24_e32 v83, v67, v16
	;; [unrolled: 7-line block ×7, first 2 shown]
	scratch_load_b32 v67, off, off offset:116 ; 4-byte Folded Reload
	v_add3_u32 v3, v3, v92, v93
	scratch_load_b32 v92, off, off offset:1100 ; 4-byte Folded Reload
	s_wait_loadcnt 0x1
	v_mul_i32_i24_e32 v94, v67, v27
	scratch_load_b32 v67, off, off offset:112 ; 4-byte Folded Reload
	s_wait_loadcnt 0x0
	v_mul_i32_i24_e32 v95, v67, v28
	scratch_load_b32 v67, off, off offset:136 ; 4-byte Folded Reload
	v_add3_u32 v3, v3, v94, v95
	s_wait_loadcnt 0x0
	v_mul_i32_i24_e32 v96, v67, v29
	scratch_load_b32 v67, off, off offset:132 ; 4-byte Folded Reload
	s_wait_loadcnt 0x0
	v_mul_i32_i24_e32 v97, v67, v30
	scratch_load_b32 v67, off, off offset:128 ; 4-byte Folded Reload
	v_add3_u32 v3, v3, v96, v97
	s_wait_loadcnt 0x0
	v_mul_i32_i24_e32 v98, v67, v32
	scratch_load_b32 v67, off, off offset:140 ; 4-byte Folded Reload
	s_wait_loadcnt 0x0
	v_mul_i32_i24_e32 v99, v67, v68
	scratch_load_b32 v67, off, off offset:160 ; 4-byte Folded Reload
	v_add3_u32 v3, v3, v98, v99
	s_delay_alu instid0(VALU_DEP_1) | instskip(NEXT) | instid1(VALU_DEP_1)
	v_mul_lo_u32 v3, v3, v92
	v_cvt_f32_i32_e32 v3, v3
	scratch_store_b32 off, v3, off offset:1648 ; 4-byte Folded Spill
	scratch_load_b32 v3, off, off offset:156 ; 4-byte Folded Reload
	s_wait_loadcnt 0x1
	v_mul_i32_i24_e32 v71, v67, v39
	scratch_load_b32 v67, off, off offset:188 ; 4-byte Folded Reload
	s_wait_loadcnt 0x1
	v_mul_i32_i24_e32 v3, v3, v31
	s_delay_alu instid0(VALU_DEP_1)
	v_mad_i32_i24 v3, v66, v33, v3
	scratch_load_b32 v66, off, off offset:164 ; 4-byte Folded Reload
	v_add3_u32 v3, v3, v64, v65
	s_clause 0x1
	scratch_load_b32 v64, off, off offset:172
	scratch_load_b32 v65, off, off offset:168
	s_wait_loadcnt 0x3
	v_mul_i32_i24_e32 v72, v67, v40
	scratch_load_b32 v67, off, off offset:184 ; 4-byte Folded Reload
	s_wait_loadcnt 0x3
	v_mul_i32_i24_e32 v66, v66, v38
	s_wait_loadcnt 0x2
	v_mul_i32_i24_e32 v64, v64, v36
	;; [unrolled: 2-line block ×3, first 2 shown]
	s_delay_alu instid0(VALU_DEP_1)
	v_add3_u32 v3, v3, v64, v65
	scratch_load_b32 v65, off, off offset:8 ; 4-byte Folded Reload
	v_mul_i32_i24_e32 v64, v2, v101
	v_mul_i32_i24_e32 v2, v2, v131
	v_mov_b32_e32 v131, v68
	v_add3_u32 v3, v3, v66, v71
	scratch_load_b32 v66, off, off offset:4 ; 4-byte Folded Reload
	s_wait_loadcnt 0x2
	v_mul_i32_i24_e32 v73, v67, v41
	scratch_load_b32 v67, off, off offset:180 ; 4-byte Folded Reload
	v_add3_u32 v3, v3, v72, v73
	s_wait_loadcnt 0x2
	v_mul_i32_i24_e32 v65, v4, v65
	v_mul_i32_i24_e32 v4, v4, v186
	v_mov_b32_e32 v186, v220
	s_wait_loadcnt 0x0
	v_mul_i32_i24_e32 v78, v67, v42
	scratch_load_b32 v67, off, off offset:176 ; 4-byte Folded Reload
	s_wait_loadcnt 0x0
	v_mul_i32_i24_e32 v79, v67, v43
	scratch_load_b32 v67, off, off offset:204 ; 4-byte Folded Reload
	v_add3_u32 v3, v3, v78, v79
	s_wait_loadcnt 0x0
	v_mul_i32_i24_e32 v80, v67, v44
	scratch_load_b32 v67, off, off offset:200 ; 4-byte Folded Reload
	s_wait_loadcnt 0x0
	v_mul_i32_i24_e32 v81, v67, v45
	scratch_load_b32 v67, off, off offset:196 ; 4-byte Folded Reload
	v_add3_u32 v3, v3, v80, v81
	;; [unrolled: 7-line block ×10, first 2 shown]
	v_mul_i32_i24_e32 v3, v0, v100
	v_mul_i32_i24_e32 v0, v0, v222
	s_delay_alu instid0(VALU_DEP_2)
	v_mad_i32_i24 v3, v1, v66, v3
	scratch_load_b32 v66, off, off offset:20 ; 4-byte Folded Reload
	v_mad_i32_i24 v0, v1, v187, v0
	v_mul_i32_i24_e32 v1, v5, v188
	v_mov_b32_e32 v188, v152
	v_add3_u32 v3, v3, v64, v65
	s_clause 0x1
	scratch_load_b32 v64, off, off offset:12
	scratch_load_b32 v65, off, off offset:16
	v_add3_u32 v0, v0, v2, v4
	v_mul_i32_i24_e32 v2, v6, v189
	v_mul_i32_i24_e32 v4, v7, v190
	v_dual_mov_b32 v190, v154 :: v_dual_mov_b32 v189, v221
	s_delay_alu instid0(VALU_DEP_3)
	v_add3_u32 v0, v0, v1, v2
	v_mul_i32_i24_e32 v1, v34, v144
	v_mul_i32_i24_e32 v2, v35, v147
	v_mov_b32_e32 v144, v242
	s_wait_loadcnt 0x3
	v_mul_i32_i24_e32 v67, v121, v67
	scratch_store_b32 off, v67, off offset:1652 ; 4-byte Folded Spill
	scratch_load_b32 v67, off, off offset:24 ; 4-byte Folded Reload
	s_wait_loadcnt 0x3
	v_mul_i32_i24_e32 v66, v7, v66
	v_mul_i32_i24_e32 v7, v10, v220
	s_wait_loadcnt 0x2
	v_mul_i32_i24_e32 v64, v5, v64
	s_wait_loadcnt 0x1
	v_mul_i32_i24_e32 v65, v6, v65
	v_mul_i32_i24_e32 v5, v8, v155
	v_mul_i32_i24_e32 v6, v9, v156
	s_delay_alu instid0(VALU_DEP_3)
	v_add3_u32 v3, v3, v64, v65
	scratch_load_b32 v65, off, off offset:900 ; 4-byte Folded Reload
	v_mul_i32_i24_e32 v64, v34, v240
	v_add3_u32 v0, v0, v4, v5
	v_mul_i32_i24_e32 v4, v38, v140
	v_mul_i32_i24_e32 v5, v39, v226
	v_mov_b32_e32 v140, v146
	s_delay_alu instid0(VALU_DEP_4)
	v_add3_u32 v0, v0, v6, v7
	v_mul_i32_i24_e32 v6, v40, v227
	s_wait_loadcnt 0x1
	v_mul_i32_i24_e32 v71, v8, v67
	scratch_load_b32 v67, off, off offset:28 ; 4-byte Folded Reload
	v_mul_i32_i24_e32 v8, v11, v221
	v_add3_u32 v3, v3, v66, v71
	v_mul_i32_i24_e32 v66, v38, v183
	s_wait_loadcnt 0x1
	v_mul_i32_i24_e32 v65, v35, v65
	s_wait_loadcnt 0x0
	v_mul_i32_i24_e32 v72, v9, v67
	scratch_load_b32 v67, off, off offset:32 ; 4-byte Folded Reload
	v_mul_i32_i24_e32 v9, v12, v145
	s_delay_alu instid0(VALU_DEP_1)
	v_add3_u32 v0, v0, v8, v9
	v_mul_i32_i24_e32 v8, v41, v128
	v_mul_i32_i24_e32 v9, v42, v146
	v_mov_b32_e32 v146, v174
	s_wait_loadcnt 0x0
	v_mul_i32_i24_e32 v78, v10, v67
	scratch_load_b32 v67, off, off offset:36 ; 4-byte Folded Reload
	v_mul_i32_i24_e32 v10, v13, v152
	v_mov_b32_e32 v152, v132
	v_add3_u32 v3, v3, v72, v78
	v_mul_i32_i24_e32 v78, v39, v216
	s_wait_loadcnt 0x0
	v_mul_i32_i24_e32 v79, v11, v67
	scratch_load_b32 v67, off, off offset:364 ; 4-byte Folded Reload
	v_mul_i32_i24_e32 v11, v14, v149
	s_delay_alu instid0(VALU_DEP_1)
	v_add3_u32 v0, v0, v10, v11
	v_mul_i32_i24_e32 v10, v43, v230
	v_mul_i32_i24_e32 v11, v44, v231
	s_wait_loadcnt 0x0
	v_mul_i32_i24_e32 v80, v12, v67
	scratch_load_b32 v67, off, off offset:368 ; 4-byte Folded Reload
	v_mul_i32_i24_e32 v12, v15, v133
	v_add3_u32 v3, v3, v79, v80
	v_mul_i32_i24_e32 v79, v40, v245
	s_wait_loadcnt 0x0
	v_mul_i32_i24_e32 v81, v13, v67
	scratch_load_b32 v67, off, off offset:372 ; 4-byte Folded Reload
	v_mul_i32_i24_e32 v13, v16, v241
	s_delay_alu instid0(VALU_DEP_1)
	v_add3_u32 v0, v0, v12, v13
	v_mul_i32_i24_e32 v12, v45, v109
	v_mul_i32_i24_e32 v13, v46, v224
	v_mov_b32_e32 v109, v127
	s_wait_loadcnt 0x0
	v_mul_i32_i24_e32 v82, v14, v67
	scratch_load_b32 v67, off, off offset:76 ; 4-byte Folded Reload
	v_mul_i32_i24_e32 v14, v17, v154
	v_mov_b32_e32 v154, v195
	v_add3_u32 v3, v3, v81, v82
	v_mul_i32_i24_e32 v81, v42, v247
	v_bfe_i32 v42, v135, 16, 8
	s_wait_loadcnt 0x0
	v_mul_i32_i24_e32 v83, v15, v67
	scratch_load_b32 v67, off, off offset:376 ; 4-byte Folded Reload
	v_mul_i32_i24_e32 v15, v18, v148
	s_delay_alu instid0(VALU_DEP_1)
	v_add3_u32 v0, v0, v14, v15
	v_mul_i32_i24_e32 v14, v47, v234
	v_mul_i32_i24_e32 v15, v48, v236
	s_wait_loadcnt 0x0
	v_mul_i32_i24_e32 v84, v16, v67
	scratch_load_b32 v67, off, off offset:400 ; 4-byte Folded Reload
	v_mul_i32_i24_e32 v16, v19, v185
	v_add3_u32 v3, v3, v83, v84
	s_wait_loadcnt 0x0
	v_mul_i32_i24_e32 v85, v17, v67
	scratch_load_b32 v67, off, off offset:80 ; 4-byte Folded Reload
	v_mul_i32_i24_e32 v17, v20, v129
	s_delay_alu instid0(VALU_DEP_1)
	v_add3_u32 v0, v0, v16, v17
	v_mul_i32_i24_e32 v16, v49, v229
	v_mul_i32_i24_e32 v17, v50, v228
	s_wait_loadcnt 0x0
	v_mul_i32_i24_e32 v86, v18, v67
	scratch_load_b32 v67, off, off offset:404 ; 4-byte Folded Reload
	v_mul_i32_i24_e32 v18, v21, v217
	v_mov_b32_e32 v217, v213
	v_add3_u32 v3, v3, v85, v86
	s_wait_loadcnt 0x0
	v_mul_i32_i24_e32 v87, v19, v67
	scratch_load_b32 v67, off, off offset:84 ; 4-byte Folded Reload
	v_mul_i32_i24_e32 v19, v22, v215
	s_delay_alu instid0(VALU_DEP_1)
	v_add3_u32 v0, v0, v18, v19
	v_mul_i32_i24_e32 v18, v51, v127
	v_mul_i32_i24_e32 v19, v52, v238
	s_wait_loadcnt 0x0
	v_mul_i32_i24_e32 v88, v20, v67
	scratch_load_b32 v67, off, off offset:408 ; 4-byte Folded Reload
	v_mul_i32_i24_e32 v20, v23, v213
	v_mov_b32_e32 v213, v188
	v_add3_u32 v3, v3, v87, v88
	v_mul_i32_i24_e32 v87, v48, v192
	v_ashrrev_i32_e32 v48, 24, v75
	v_mul_i32_i24_e32 v88, v49, v194
	v_bfe_i32 v49, v76, 0, 8
	s_wait_loadcnt 0x0
	v_mul_i32_i24_e32 v89, v21, v67
	scratch_load_b32 v67, off, off offset:88 ; 4-byte Folded Reload
	v_mul_i32_i24_e32 v21, v24, v211
	s_delay_alu instid0(VALU_DEP_1)
	v_add3_u32 v0, v0, v20, v21
	v_mul_i32_i24_e32 v20, v53, v233
	v_mul_i32_i24_e32 v21, v54, v232
	s_wait_loadcnt 0x0
	v_mul_i32_i24_e32 v90, v22, v67
	scratch_load_b32 v67, off, off offset:44 ; 4-byte Folded Reload
	v_mul_i32_i24_e32 v22, v25, v132
	v_add3_u32 v3, v3, v89, v90
	v_mul_i32_i24_e32 v89, v50, v193
	v_bfe_i32 v50, v76, 8, 8
	v_mul_i32_i24_e32 v90, v51, v196
	v_bfe_i32 v51, v76, 16, 8
	s_wait_loadcnt 0x0
	v_mul_i32_i24_e32 v91, v23, v67
	scratch_load_b32 v67, off, off offset:92 ; 4-byte Folded Reload
	v_mul_i32_i24_e32 v23, v26, v142
	s_delay_alu instid0(VALU_DEP_1)
	v_add3_u32 v0, v0, v22, v23
	v_mul_i32_i24_e32 v22, v55, v119
	v_mul_i32_i24_e32 v23, v56, v242
	s_wait_loadcnt 0x0
	v_mul_i32_i24_e32 v93, v24, v67
	scratch_load_b32 v67, off, off offset:96 ; 4-byte Folded Reload
	v_mul_i32_i24_e32 v24, v27, v207
	v_add3_u32 v3, v3, v91, v93
	v_mul_i32_i24_e32 v91, v52, v198
	v_ashrrev_i32_e32 v52, 24, v76
	v_mul_i32_i24_e32 v93, v53, v202
	v_bfe_i32 v53, v137, 8, 8
	s_wait_loadcnt 0x0
	v_mul_i32_i24_e32 v94, v25, v67
	scratch_load_b32 v67, off, off offset:380 ; 4-byte Folded Reload
	v_mul_i32_i24_e32 v25, v28, v205
	s_delay_alu instid0(VALU_DEP_1)
	v_add3_u32 v0, v0, v24, v25
	v_mul_i32_i24_e32 v24, v57, v237
	v_mul_i32_i24_e32 v25, v58, v255
	s_wait_loadcnt 0x0
	v_mul_i32_i24_e32 v95, v26, v67
	scratch_load_b32 v67, off, off offset:412 ; 4-byte Folded Reload
	v_mul_i32_i24_e32 v26, v29, v199
	v_add3_u32 v3, v3, v94, v95
	v_mul_i32_i24_e32 v94, v54, v201
	v_bfe_i32 v54, v77, 0, 8
	v_mul_i32_i24_e32 v95, v55, v203
	v_bfe_i32 v55, v136, 8, 8
	s_wait_loadcnt 0x0
	v_mul_i32_i24_e32 v96, v27, v67
	scratch_load_b32 v67, off, off offset:48 ; 4-byte Folded Reload
	v_mul_i32_i24_e32 v27, v30, v200
	s_delay_alu instid0(VALU_DEP_1)
	v_add3_u32 v0, v0, v26, v27
	v_mul_i32_i24_e32 v26, v59, v104
	v_mul_i32_i24_e32 v27, v62, v117
	v_bfe_i32 v104, v135, 8, 8
	v_mov_b32_e32 v117, v150
	s_wait_loadcnt 0x0
	v_mul_i32_i24_e32 v97, v28, v67
	scratch_load_b32 v67, off, off offset:52 ; 4-byte Folded Reload
	v_mul_i32_i24_e32 v28, v32, v197
	v_add3_u32 v3, v3, v96, v97
	v_mul_i32_i24_e32 v96, v56, v204
	v_mul_i32_i24_e32 v97, v57, v208
	v_bfe_i32 v57, v137, 0, 8
	v_bfe_i32 v56, v137, 16, 8
	s_wait_loadcnt 0x0
	v_mul_i32_i24_e32 v98, v29, v67
	scratch_load_b32 v67, off, off          ; 4-byte Folded Reload
	v_mul_i32_i24_e32 v29, v68, v195
	v_mov_b32_e32 v195, v152
	s_delay_alu instid0(VALU_DEP_2) | instskip(SKIP_1) | instid1(VALU_DEP_2)
	v_add3_u32 v0, v0, v28, v29
	v_mul_i32_i24_e32 v28, v63, v151
	v_mul_lo_u32 v0, v0, v209
	s_delay_alu instid0(VALU_DEP_1) | instskip(SKIP_1) | instid1(VALU_DEP_1)
	v_cvt_f32_i32_e32 v7, v0
	v_mul_i32_i24_e32 v0, v31, v141
	v_mad_i32_i24 v0, v33, v139, v0
	v_mov_b32_e32 v139, v224
	s_delay_alu instid0(VALU_DEP_2) | instskip(SKIP_2) | instid1(VALU_DEP_1)
	v_add3_u32 v0, v0, v1, v2
	v_mul_i32_i24_e32 v1, v36, v223
	v_mul_i32_i24_e32 v2, v37, v225
	v_add3_u32 v0, v0, v1, v2
	v_bfe_i32 v2, v74, 16, 8
	s_delay_alu instid0(VALU_DEP_2) | instskip(NEXT) | instid1(VALU_DEP_2)
	v_add3_u32 v0, v0, v4, v5
	v_mul_i32_i24_e32 v1, v2, v179
	s_delay_alu instid0(VALU_DEP_2) | instskip(SKIP_1) | instid1(VALU_DEP_2)
	v_add3_u32 v0, v0, v6, v8
	v_bfe_i32 v8, v136, 0, 8
	v_add3_u32 v0, v0, v9, v10
	v_ashrrev_i32_e32 v9, 24, v136
	v_ashrrev_i32_e32 v10, 24, v137
	s_delay_alu instid0(VALU_DEP_3) | instskip(SKIP_2) | instid1(VALU_DEP_3)
	v_add3_u32 v0, v0, v11, v12
	v_bfe_i32 v12, v113, 8, 8
	v_ashrrev_i32_e32 v11, 24, v138
	v_add3_u32 v0, v0, v13, v14
	v_ashrrev_i32_e32 v13, 24, v113
	v_ashrrev_i32_e32 v14, 24, v114
	s_delay_alu instid0(VALU_DEP_3) | instskip(SKIP_2) | instid1(VALU_DEP_3)
	v_add3_u32 v0, v0, v15, v16
	v_ashrrev_i32_e32 v16, 24, v74
	v_ashrrev_i32_e32 v15, 24, v115
	v_add3_u32 v0, v0, v17, v18
	s_delay_alu instid0(VALU_DEP_3) | instskip(SKIP_2) | instid1(VALU_DEP_4)
	v_mul_i32_i24_e32 v4, v16, v180
	v_bfe_i32 v17, v114, 0, 8
	v_bfe_i32 v18, v114, 8, 8
	v_add3_u32 v0, v0, v19, v20
	v_bfe_i32 v20, v74, 0, 8
	v_bfe_i32 v19, v114, 16, 8
	s_delay_alu instid0(VALU_DEP_3) | instskip(SKIP_2) | instid1(VALU_DEP_3)
	v_add3_u32 v0, v0, v21, v22
	v_bfe_i32 v21, v115, 8, 8
	v_bfe_i32 v22, v115, 16, 8
	v_add3_u32 v0, v0, v23, v24
	v_bfe_i32 v23, v113, 0, 8
	v_bfe_i32 v24, v115, 0, 8
	s_delay_alu instid0(VALU_DEP_4) | instskip(NEXT) | instid1(VALU_DEP_4)
	v_mul_i32_i24_e32 v114, v22, v173
	v_add3_u32 v0, v0, v25, v26
	v_bfe_i32 v25, v113, 16, 8
	v_bfe_i32 v26, v138, 16, 8
	v_mov_b32_e32 v113, v178
	s_wait_loadcnt 0x0
	v_mul_i32_i24_e32 v99, v30, v67
	scratch_load_b32 v67, off, off offset:56 ; 4-byte Folded Reload
	v_add3_u32 v3, v3, v98, v99
	v_mul_i32_i24_e32 v98, v58, v206
	v_mul_i32_i24_e32 v99, v59, v210
	v_bfe_i32 v58, v138, 0, 8
	v_bfe_i32 v59, v138, 8, 8
	s_wait_loadcnt 0x0
	v_mul_i32_i24_e32 v100, v32, v67
	scratch_load_b32 v67, off, off offset:72 ; 4-byte Folded Reload
	s_wait_loadcnt 0x0
	v_mul_i32_i24_e32 v101, v68, v67
	scratch_load_b32 v67, off, off offset:40 ; 4-byte Folded Reload
	v_add3_u32 v3, v3, v100, v101
	v_mul_i32_i24_e32 v100, v62, v212
	v_mul_i32_i24_e32 v101, v63, v214
	s_delay_alu instid0(VALU_DEP_3) | instskip(NEXT) | instid1(VALU_DEP_1)
	v_mul_lo_u32 v3, v3, v184
	v_cvt_f32_i32_e32 v72, v3
	scratch_load_b32 v3, off, off offset:384 ; 4-byte Folded Reload
	s_wait_loadcnt 0x1
	v_mul_i32_i24_e32 v80, v41, v67
	scratch_load_b32 v67, off, off offset:64 ; 4-byte Folded Reload
	v_bfe_i32 v41, v135, 0, 8
	s_wait_loadcnt 0x1
	v_mul_i32_i24_e32 v3, v31, v3
	s_delay_alu instid0(VALU_DEP_1) | instskip(NEXT) | instid1(VALU_DEP_1)
	v_mad_i32_i24 v3, v33, v219, v3
	v_add3_u32 v3, v3, v64, v65
	scratch_load_b32 v64, off, off offset:388 ; 4-byte Folded Reload
	v_mul_i32_i24_e32 v65, v37, v191
	v_mov_b32_e32 v191, v183
	scratch_load_b32 v183, off, off offset:784 ; 4-byte Folded Reload
	v_mov_b32_e32 v242, v192
	v_mov_b32_e32 v224, v191
	s_wait_loadcnt 0x2
	v_mul_i32_i24_e32 v82, v43, v67
	scratch_load_b32 v67, off, off offset:68 ; 4-byte Folded Reload
	v_ashrrev_i32_e32 v43, 24, v135
	s_wait_loadcnt 0x2
	v_mul_i32_i24_e32 v64, v36, v64
	s_wait_loadcnt 0x1
	v_mul_i32_i24_e32 v71, v121, v183
	s_delay_alu instid0(VALU_DEP_2) | instskip(SKIP_2) | instid1(VALU_DEP_3)
	v_add3_u32 v3, v3, v64, v65
	v_mul_i32_i24_e32 v64, v121, v150
	v_dual_mov_b32 v150, v179 :: v_dual_mov_b32 v173, v139
	v_add3_u32 v3, v3, v66, v78
	v_add3_u32 v78, v0, v27, v28
	v_mul_i32_i24_e32 v0, v20, v178
	s_delay_alu instid0(VALU_DEP_3) | instskip(NEXT) | instid1(VALU_DEP_1)
	v_add3_u32 v3, v3, v79, v80
	v_add3_u32 v3, v3, v81, v82
	v_mul_i32_i24_e32 v82, v23, v165
	s_wait_loadcnt 0x0
	v_mul_i32_i24_e32 v83, v44, v67
	scratch_load_b32 v67, off, off offset:360 ; 4-byte Folded Reload
	v_bfe_i32 v44, v74, 8, 8
	s_delay_alu instid0(VALU_DEP_1) | instskip(NEXT) | instid1(VALU_DEP_1)
	v_mad_i32_i24 v0, v44, v177, v0
	v_add3_u32 v0, v0, v1, v4
	s_wait_loadcnt 0x0
	v_mul_i32_i24_e32 v84, v45, v67
	scratch_load_b32 v67, off, off offset:392 ; 4-byte Folded Reload
	v_bfe_i32 v45, v75, 0, 8
	v_add3_u32 v3, v3, v83, v84
	v_mul_i32_i24_e32 v83, v12, v166
	s_delay_alu instid0(VALU_DEP_3)
	v_mul_i32_i24_e32 v1, v45, v126
	v_mul_i32_i24_e32 v84, v25, v167
	v_mov_b32_e32 v126, v159
	v_dual_mov_b32 v192, v148 :: v_dual_mov_b32 v165, v117
	s_wait_loadcnt 0x0
	v_mul_i32_i24_e32 v85, v46, v67
	scratch_load_b32 v67, off, off offset:396 ; 4-byte Folded Reload
	v_bfe_i32 v46, v75, 8, 8
	s_delay_alu instid0(VALU_DEP_1) | instskip(NEXT) | instid1(VALU_DEP_1)
	v_mul_i32_i24_e32 v4, v46, v176
	v_add3_u32 v0, v0, v1, v4
	v_mul_i32_i24_e32 v1, v42, v252
	v_mul_i32_i24_e32 v4, v43, v116
	v_mov_b32_e32 v252, v204
	s_wait_loadcnt 0x0
	v_mul_i32_i24_e32 v86, v47, v67
	scratch_load_b128 v[65:68], off, off offset:1628 th:TH_LOAD_LU ; 16-byte Folded Reload
	v_bfe_i32 v47, v75, 16, 8
	v_add3_u32 v3, v3, v85, v86
	v_mul_i32_i24_e32 v85, v13, v168
	s_delay_alu instid0(VALU_DEP_3)
	v_mul_i32_i24_e32 v5, v47, v181
	v_mul_i32_i24_e32 v86, v17, v170
	v_mov_b32_e32 v168, v145
	v_add3_u32 v3, v3, v87, v88
	v_bfe_i32 v88, v77, 8, 8
	v_mul_i32_i24_e32 v87, v18, v169
	s_delay_alu instid0(VALU_DEP_3) | instskip(SKIP_3) | instid1(VALU_DEP_4)
	v_add3_u32 v3, v3, v89, v90
	v_bfe_i32 v89, v77, 16, 8
	v_ashrrev_i32_e32 v90, 24, v77
	v_mul_i32_i24_e32 v74, v88, v159
	v_add3_u32 v3, v3, v91, v93
	v_bfe_i32 v91, v112, 0, 8
	v_bfe_i32 v93, v112, 8, 8
	v_mul_i32_i24_e32 v75, v89, v157
	v_mul_i32_i24_e32 v76, v90, v160
	v_add3_u32 v3, v3, v94, v95
	v_bfe_i32 v94, v112, 16, 8
	v_ashrrev_i32_e32 v95, 24, v112
	v_mul_i32_i24_e32 v77, v91, v161
	v_mul_i32_i24_e32 v79, v93, v162
	v_add3_u32 v3, v3, v96, v97
	v_mul_i32_i24_e32 v80, v94, v163
	v_mul_i32_i24_e32 v81, v95, v164
	;; [unrolled: 1-line block ×4, first 2 shown]
	v_add3_u32 v3, v3, v98, v99
	v_mul_i32_i24_e32 v98, v24, v174
	v_mul_i32_i24_e32 v99, v21, v175
	v_dual_mov_b32 v112, v177 :: v_dual_mov_b32 v171, v109
	s_delay_alu instid0(VALU_DEP_4) | instskip(SKIP_2) | instid1(VALU_DEP_1)
	v_add3_u32 v3, v3, v100, v101
	v_bfe_i32 v100, v136, 16, 8
	v_mov_b32_e32 v101, v133
	v_mov_b32_e32 v188, v101
	s_wait_loadcnt 0x0
	v_bfe_i32 v27, v65, 0, 8
	v_bfe_i32 v28, v65, 8, 8
	;; [unrolled: 1-line block ×3, first 2 shown]
	v_ashrrev_i32_e32 v30, 24, v65
	v_mul_i32_i24_e32 v65, v48, v182
	v_bfe_i32 v31, v66, 0, 8
	v_bfe_i32 v32, v66, 8, 8
	;; [unrolled: 1-line block ×3, first 2 shown]
	v_ashrrev_i32_e32 v34, 24, v66
	v_bfe_i32 v35, v67, 0, 8
	v_bfe_i32 v36, v67, 8, 8
	v_bfe_i32 v37, v67, 16, 8
	v_ashrrev_i32_e32 v6, 24, v67
	v_mul_i32_i24_e32 v66, v49, v69
	v_mul_i32_i24_e32 v67, v50, v70
	v_add3_u32 v0, v0, v5, v65
	v_bfe_i32 v38, v68, 0, 8
	v_bfe_i32 v39, v68, 8, 8
	v_bfe_i32 v40, v68, 16, 8
	v_mov_b32_e32 v62, v68
	v_mul_i32_i24_e32 v68, v51, v118
	v_mul_i32_i24_e32 v69, v52, v120
	v_add3_u32 v0, v0, v66, v67
	v_mul_i32_i24_e32 v70, v54, v158
	v_mul_i32_i24_e32 v5, v100, v218
	;; [unrolled: 1-line block ×4, first 2 shown]
	v_add3_u32 v0, v0, v68, v69
	v_mul_i32_i24_e32 v68, v53, v122
	v_mul_i32_i24_e32 v69, v56, v235
	v_mov_b32_e32 v244, v194
	v_mov_b32_e32 v194, v129
	v_add3_u32 v0, v0, v70, v74
	v_mul_i32_i24_e32 v70, v10, v251
	v_mul_i32_i24_e32 v74, v58, v107
	v_mov_b32_e32 v251, v203
	v_mov_b32_e32 v203, v217
	v_add3_u32 v0, v0, v75, v76
	v_mul_i32_i24_e32 v75, v59, v60
	v_mul_i32_i24_e32 v76, v26, v239
	v_dual_mov_b32 v118, v112 :: v_dual_mov_b32 v217, v154
	s_delay_alu instid0(VALU_DEP_4) | instskip(SKIP_2) | instid1(VALU_DEP_3)
	v_add3_u32 v0, v0, v77, v79
	v_mul_i32_i24_e32 v77, v11, v134
	v_mul_i32_i24_e32 v79, v27, v130
	v_add3_u32 v0, v0, v80, v81
	v_mul_i32_i24_e32 v80, v28, v243
	v_mul_i32_i24_e32 v81, v29, v248
	v_mov_b32_e32 v243, v193
	v_mov_b32_e32 v193, v185
	v_add3_u32 v0, v0, v82, v83
	v_mul_i32_i24_e32 v82, v30, v102
	v_mul_i32_i24_e32 v83, v31, v246
	;; [unrolled: 1-line block ×3, first 2 shown]
	v_mov_b32_e32 v246, v196
	v_add3_u32 v0, v0, v84, v85
	v_mul_i32_i24_e32 v84, v32, v61
	v_mul_i32_i24_e32 v85, v33, v153
	v_mov_b32_e32 v249, v183
	v_mov_b32_e32 v185, v142
	v_add3_u32 v0, v0, v86, v87
	v_mul_i32_i24_e32 v86, v34, v106
	v_mul_i32_i24_e32 v87, v35, v253
	v_dual_mov_b32 v196, v190 :: v_dual_mov_b32 v183, v144
	s_delay_alu instid0(VALU_DEP_4)
	v_add3_u32 v0, v0, v96, v97
	v_mul_i32_i24_e32 v96, v36, v108
	v_mul_i32_i24_e32 v97, v37, v250
	v_mov_b32_e32 v250, v202
	v_mov_b32_e32 v190, v200
	v_add3_u32 v66, v0, v98, v99
	v_mul_i32_i24_e32 v0, v41, v110
	v_mul_i32_i24_e32 v98, v6, v125
	;; [unrolled: 1-line block ×3, first 2 shown]
	s_delay_alu instid0(VALU_DEP_3) | instskip(SKIP_1) | instid1(VALU_DEP_2)
	v_mad_i32_i24 v0, v104, v254, v0
	v_mov_b32_e32 v254, v206
	v_add3_u32 v0, v0, v1, v4
	v_mul_i32_i24_e32 v1, v8, v105
	v_mul_i32_i24_e32 v4, v55, v111
	s_delay_alu instid0(VALU_DEP_1) | instskip(NEXT) | instid1(VALU_DEP_1)
	v_add3_u32 v0, v0, v1, v4
	v_add3_u32 v0, v0, v5, v65
	s_delay_alu instid0(VALU_DEP_1)
	v_add3_u32 v0, v0, v67, v68
	v_ashrrev_i32_e32 v67, 24, v62
	scratch_load_b128 v[60:63], off, off offset:1072 th:TH_LOAD_LU ; 16-byte Folded Reload
	s_wait_loadcnt 0x0
	scratch_load_b32 v60, off, off offset:776 ; 4-byte Folded Reload
	v_add3_u32 v0, v0, v69, v70
	s_delay_alu instid0(VALU_DEP_1) | instskip(NEXT) | instid1(VALU_DEP_1)
	v_add3_u32 v0, v0, v74, v75
	v_add3_u32 v0, v0, v76, v77
	s_delay_alu instid0(VALU_DEP_1) | instskip(NEXT) | instid1(VALU_DEP_1)
	v_add3_u32 v0, v0, v79, v80
	;; [unrolled: 3-line block ×4, first 2 shown]
	v_add3_u32 v65, v0, v97, v98
	scratch_load_b32 v0, off, off offset:1596 th:TH_LOAD_LU ; 4-byte Folded Reload
	v_add3_u32 v65, v65, v99, v102
	v_ashrrev_i32_e32 v68, 24, v63
	s_wait_loadcnt 0x1
	v_mul_i32_i24_e32 v63, v131, v60
	v_mul_i32_i24_e32 v69, v15, v60
	s_delay_alu instid0(VALU_DEP_1)
	v_add3_u32 v66, v66, v114, v69
	s_wait_loadcnt 0x0
	ds_load_b64 v[4:5], v0 offset:27200
	scratch_load_b32 v0, off, off offset:1600 th:TH_LOAD_LU ; 4-byte Folded Reload
	s_wait_loadcnt 0x0
	ds_load_b64 v[0:1], v0 offset:27200
	s_clause 0x1
	scratch_load_b32 v60, off, off offset:1604 th:TH_LOAD_LU
	scratch_load_b32 v61, off, off offset:1608 th:TH_LOAD_LU
	s_wait_loadcnt 0x0
	v_add3_u32 v63, v61, v60, v63
	scratch_load_b32 v60, off, off offset:780 ; 4-byte Folded Reload
	s_wait_loadcnt 0x0
	v_mul_lo_u32 v63, v63, v60
	v_mul_lo_u32 v66, v66, v60
	scratch_load_b32 v60, off, off offset:340 ; 4-byte Folded Reload
	v_cvt_f32_i32_e32 v63, v63
	v_cvt_f32_i32_e32 v66, v66
	s_wait_dscnt 0x1
	s_delay_alu instid0(VALU_DEP_2) | instskip(SKIP_1) | instid1(VALU_DEP_2)
	v_fma_mix_f32 v63, v4, v63, 0 op_sel_hi:[1,0,0]
	s_wait_dscnt 0x0
	v_fma_mix_f32 v66, v0, v66, 0 op_sel_hi:[1,0,0]
	s_wait_loadcnt 0x0
	v_fma_mix_f32 v69, v60, v0, 0 op_sel:[0,1,0] op_sel_hi:[0,1,0]
	v_fma_mix_f32 v70, v60, v4, 0 op_sel:[0,1,0] op_sel_hi:[0,1,0]
	scratch_load_b32 v60, off, off offset:336 ; 4-byte Folded Reload
	s_wait_loadcnt 0x0
	v_mul_i32_i24_e32 v74, v40, v60
	v_mul_i32_i24_e32 v62, v121, v60
	scratch_load_b32 v60, off, off offset:344 ; 4-byte Folded Reload
	s_wait_loadcnt 0x0
	v_mul_i32_i24_e32 v75, v60, v67
	v_mul_i32_i24_e32 v76, v60, v68
	s_clause 0x9
	scratch_load_b32 v60, off, off offset:1612 th:TH_LOAD_LU
	scratch_load_b32 v61, off, off offset:1620 th:TH_LOAD_LU
	;; [unrolled: 1-line block ×3, first 2 shown]
	scratch_load_b32 v96, off, off offset:936
	scratch_load_b32 v102, off, off offset:944
	;; [unrolled: 1-line block ×5, first 2 shown]
	scratch_load_b32 v97, off, off offset:1044 th:TH_LOAD_LU
	scratch_load_b32 v136, off, off offset:952
	v_add3_u32 v65, v65, v74, v75
	s_clause 0x1f
	scratch_load_b32 v103, off, off offset:924
	scratch_load_b32 v98, off, off offset:916
	;; [unrolled: 1-line block ×4, first 2 shown]
	scratch_load_b32 v218, off, off offset:900 th:TH_LOAD_LU
	scratch_load_b32 v225, off, off offset:904 th:TH_LOAD_LU
	;; [unrolled: 1-line block ×4, first 2 shown]
	scratch_load_b32 v121, off, off offset:452
	scratch_load_b32 v128, off, off offset:456
	;; [unrolled: 1-line block ×4, first 2 shown]
	scratch_load_b32 v226, off, off offset:384 th:TH_LOAD_LU
	scratch_load_b32 v223, off, off offset:388 th:TH_LOAD_LU
	;; [unrolled: 1-line block ×4, first 2 shown]
	scratch_load_b32 v132, off, off offset:460
	scratch_load_b32 v138, off, off offset:464
	;; [unrolled: 1-line block ×3, first 2 shown]
	scratch_load_b32 v215, off, off offset:820 th:TH_LOAD_LU
	scratch_load_b32 v248, off, off offset:792 th:TH_LOAD_LU
	;; [unrolled: 1-line block ×5, first 2 shown]
	scratch_load_b32 v253, off, off offset:364
	scratch_load_b32 v157, off, off offset:372
	;; [unrolled: 1-line block ×7, first 2 shown]
	scratch_load_b32 v206, off, off offset:896 th:TH_LOAD_LU
	s_clause 0x2
	scratch_load_b32 v204, off, off offset:892 th:TH_LOAD_LU
	scratch_load_b32 v191, off, off offset:840 th:TH_LOAD_LU
	;; [unrolled: 1-line block ×3, first 2 shown]
	v_mov_b32_e32 v202, v205
	s_clause 0x6
	scratch_load_b32 v159, off, off offset:868 th:TH_LOAD_LU
	scratch_load_b32 v162, off, off offset:844 th:TH_LOAD_LU
	;; [unrolled: 1-line block ×7, first 2 shown]
	v_dual_mov_b32 v174, v119 :: v_dual_mov_b32 v119, v113
	s_wait_loadcnt 0x31
	v_add3_u32 v77, v77, v60, v61
	s_clause 0x1
	scratch_load_b32 v60, off, off offset:260
	scratch_load_b32 v61, off, off offset:932
	v_add3_u32 v62, v77, v62, v76
	s_wait_loadcnt 0x1
	v_mul_lo_u32 v65, v65, v60
	s_delay_alu instid0(VALU_DEP_2) | instskip(SKIP_3) | instid1(VALU_DEP_2)
	v_mul_lo_u32 v62, v62, v60
	scratch_load_b32 v60, off, off offset:256 ; 4-byte Folded Reload
	v_cvt_f32_i32_e32 v65, v65
	v_cvt_f32_i32_e32 v62, v62
	v_fma_mix_f32 v65, v1, v65, v66 op_sel_hi:[1,0,0]
	s_delay_alu instid0(VALU_DEP_2)
	v_fma_mix_f32 v62, v5, v62, v63 op_sel_hi:[1,0,0]
	s_wait_loadcnt 0x0
	v_fma_mix_f32 v63, v60, v5, v70 op_sel:[0,1,0] op_sel_hi:[0,1,0]
	v_fma_mix_f32 v66, v60, v1, v69 op_sel:[0,1,0] op_sel_hi:[0,1,0]
	scratch_load_b32 v60, off, off offset:436 ; 4-byte Folded Reload
	v_mov_b32_e32 v151, v180
	v_mul_i32_i24_e32 v69, v96, v68
	v_mul_i32_i24_e32 v96, v96, v67
	scratch_load_b32 v180, off, off offset:88 ; 4-byte Folded Reload
	s_wait_loadcnt 0x1
	v_mul_f32_e32 v66, v66, v60
	scratch_load_b32 v60, off, off offset:420 ; 4-byte Folded Reload
	s_wait_loadcnt 0x0
	v_mul_f32_e32 v63, v63, v60
	scratch_load_b32 v60, off, off offset:416 ; 4-byte Folded Reload
	s_wait_loadcnt 0x0
	v_fma_f32 v62, v62, v60, -v63
	scratch_load_b32 v60, off, off offset:432 ; 4-byte Folded Reload
	s_wait_loadcnt 0x0
	v_fma_f32 v63, v65, v60, -v66
	scratch_load_b32 v60, off, off offset:1648 th:TH_LOAD_LU ; 4-byte Folded Reload
	v_fma_mix_f32 v66, v61, v4, 0 op_sel:[0,1,0] op_sel_hi:[0,1,0]
	s_delay_alu instid0(VALU_DEP_1) | instskip(SKIP_1) | instid1(VALU_DEP_2)
	v_fma_mix_f32 v66, v99, v5, v66 op_sel:[0,1,0] op_sel_hi:[0,1,0]
	v_mov_b32_e32 v147, v175
	v_dual_mov_b32 v175, v140 :: v_dual_mul_f32 v66, v66, v103
	s_wait_loadcnt 0x0
	v_fma_mix_f32 v65, v4, v60, 0 op_sel_hi:[1,0,0]
	scratch_load_b32 v60, off, off offset:1652 th:TH_LOAD_LU ; 4-byte Folded Reload
	s_wait_loadcnt 0x0
	v_add3_u32 v69, v73, v60, v69
	scratch_load_b32 v60, off, off offset:272 ; 4-byte Folded Reload
	v_mul_lo_u32 v69, v69, v102
	s_delay_alu instid0(VALU_DEP_1) | instskip(NEXT) | instid1(VALU_DEP_1)
	v_cvt_f32_i32_e32 v69, v69
	v_fma_mix_f32 v65, v5, v69, v65 op_sel_hi:[1,0,0]
	v_mul_i32_i24_e32 v69, v121, v68
	s_delay_alu instid0(VALU_DEP_2) | instskip(SKIP_2) | instid1(VALU_DEP_1)
	v_fma_f32 v65, v65, v98, -v66
	scratch_load_b32 v66, off, off offset:516 ; 4-byte Folded Reload
	v_add3_u32 v3, v3, v71, v69
	v_mul_lo_u32 v3, v3, v136
	s_delay_alu instid0(VALU_DEP_1)
	v_cvt_f32_i32_e32 v3, v3
	s_wait_loadcnt 0x0
	v_add_f32_e32 v66, v66, v65
	v_fma_mix_f32 v65, v4, v72, 0 op_sel_hi:[1,0,0]
	scratch_store_b32 off, v66, off offset:516 ; 4-byte Folded Spill
	v_fma_mix_f32 v66, v105, v4, 0 op_sel:[0,1,0] op_sel_hi:[0,1,0]
	v_fma_mix_f32 v3, v5, v3, v65 op_sel_hi:[1,0,0]
	s_delay_alu instid0(VALU_DEP_2) | instskip(NEXT) | instid1(VALU_DEP_1)
	v_fma_mix_f32 v65, v135, v5, v66 op_sel:[0,1,0] op_sel_hi:[0,1,0]
	v_mul_f32_e32 v65, v65, v137
	s_delay_alu instid0(VALU_DEP_1)
	v_fma_f32 v3, v3, v133, -v65
	scratch_load_b32 v65, off, off offset:524 ; 4-byte Folded Reload
	s_wait_loadcnt 0x0
	v_add_f32_e32 v65, v65, v3
	v_fma_mix_f32 v3, v4, v7, 0 op_sel_hi:[1,0,0]
	v_mul_i32_i24_e32 v7, v68, v138
	v_fma_mix_f32 v4, v4, v132, 0 op_sel:[1,0,0] op_sel_hi:[1,0,0]
	scratch_store_b32 off, v65, off offset:524 ; 4-byte Folded Spill
	v_add3_u32 v7, v78, v64, v7
	v_fma_mix_f32 v4, v5, v128, v4 op_sel:[1,0,0] op_sel_hi:[1,0,0]
	v_mov_b32_e32 v141, v170
	s_clause 0x1
	scratch_load_b32 v170, off, off offset:876 th:TH_LOAD_LU
	scratch_load_b32 v172, off, off offset:864 th:TH_LOAD_LU
	v_mul_lo_u32 v7, v7, v114
	v_mul_f32_e32 v4, v4, v127
	s_delay_alu instid0(VALU_DEP_2) | instskip(NEXT) | instid1(VALU_DEP_1)
	v_cvt_f32_i32_e32 v7, v7
	v_fma_mix_f32 v3, v5, v7, v3 op_sel_hi:[1,0,0]
	v_mul_i32_i24_e32 v5, v97, v16
	scratch_load_b32 v7, off, off offset:772 ; 4-byte Folded Reload
	v_fma_f32 v3, v3, v115, -v4
	scratch_load_b32 v4, off, off offset:532 ; 4-byte Folded Reload
	s_wait_loadcnt 0x1
	v_mul_i32_i24_e32 v7, v7, v47
	s_wait_loadcnt 0x0
	v_add_f32_e32 v4, v4, v3
	scratch_store_b32 off, v4, off offset:532 ; 4-byte Folded Spill
	scratch_load_b64 v[3:4], off, off offset:540 th:TH_LOAD_LU ; 8-byte Folded Reload
	s_wait_loadcnt 0x0
	v_dual_add_f32 v4, v4, v63 :: v_dual_add_f32 v3, v3, v62
	v_mul_i32_i24_e32 v62, v60, v48
	scratch_load_b32 v60, off, off offset:292 ; 4-byte Folded Reload
	scratch_store_b64 off, v[3:4], off offset:540 ; 8-byte Folded Spill
	scratch_load_b32 v4, off, off offset:788 ; 4-byte Folded Reload
	v_mul_i32_i24_e32 v3, v123, v20
	s_delay_alu instid0(VALU_DEP_1)
	v_mad_i32_i24 v3, v124, v44, v3
	s_wait_loadcnt 0x1
	v_mul_i32_i24_e32 v63, v60, v49
	scratch_load_b32 v60, off, off offset:288 ; 4-byte Folded Reload
	s_wait_loadcnt 0x1
	v_mul_i32_i24_e32 v4, v4, v2
	s_delay_alu instid0(VALU_DEP_1)
	v_add3_u32 v3, v3, v4, v5
	s_clause 0x1
	scratch_load_b32 v4, off, off offset:280
	scratch_load_b32 v5, off, off offset:276
	s_wait_loadcnt 0x2
	v_mul_i32_i24_e32 v64, v60, v50
	scratch_load_b32 v60, off, off offset:284 ; 4-byte Folded Reload
	s_wait_loadcnt 0x2
	v_mul_i32_i24_e32 v4, v4, v45
	s_wait_loadcnt 0x1
	v_mul_i32_i24_e32 v5, v5, v46
	s_delay_alu instid0(VALU_DEP_1)
	v_add3_u32 v3, v3, v4, v5
	scratch_load_b32 v5, off, off offset:156 ; 4-byte Folded Reload
	v_fma_mix_f32 v4, v61, v0, 0 op_sel:[0,1,0] op_sel_hi:[0,1,0]
	v_add3_u32 v3, v3, v7, v62
	scratch_load_b32 v7, off, off offset:148 ; 4-byte Folded Reload
	v_fma_mix_f32 v4, v99, v1, v4 op_sel:[0,1,0] op_sel_hi:[0,1,0]
	scratch_load_b32 v99, off, off offset:368 ; 4-byte Folded Reload
	v_add3_u32 v3, v3, v63, v64
	v_mul_f32_e32 v4, v4, v103
	s_wait_loadcnt 0x3
	v_mul_i32_i24_e32 v65, v60, v51
	scratch_load_b32 v60, off, off offset:296 ; 4-byte Folded Reload
	s_wait_loadcnt 0x3
	v_mul_i32_i24_e32 v5, v5, v41
	s_wait_loadcnt 0x2
	v_mul_i32_i24_e32 v7, v7, v42
	;; [unrolled: 2-line block ×3, first 2 shown]
	scratch_load_b32 v60, off, off offset:312 ; 4-byte Folded Reload
	v_add3_u32 v3, v3, v65, v66
	s_wait_loadcnt 0x0
	v_mul_i32_i24_e32 v68, v60, v54
	scratch_load_b32 v60, off, off offset:308 ; 4-byte Folded Reload
	s_wait_loadcnt 0x0
	v_mul_i32_i24_e32 v69, v60, v88
	scratch_load_b32 v60, off, off offset:304 ; 4-byte Folded Reload
	v_add3_u32 v3, v3, v68, v69
	s_wait_loadcnt 0x0
	v_mul_i32_i24_e32 v70, v60, v89
	scratch_load_b32 v60, off, off offset:300 ; 4-byte Folded Reload
	s_wait_loadcnt 0x0
	v_mul_i32_i24_e32 v71, v60, v90
	;; [unrolled: 7-line block ×10, first 2 shown]
	scratch_load_b32 v60, off, off offset:144 ; 4-byte Folded Reload
	v_add3_u32 v3, v3, v86, v87
	s_delay_alu instid0(VALU_DEP_1) | instskip(NEXT) | instid1(VALU_DEP_1)
	v_mul_lo_u32 v3, v3, v92
	v_cvt_f32_i32_e32 v3, v3
	s_delay_alu instid0(VALU_DEP_1)
	v_fma_mix_f32 v3, v0, v3, 0 op_sel_hi:[1,0,0]
	s_wait_loadcnt 0x0
	v_mul_i32_i24_e32 v62, v60, v43
	scratch_load_b32 v60, off, off offset:152 ; 4-byte Folded Reload
	s_wait_loadcnt 0x0
	v_mad_i32_i24 v5, v60, v104, v5
	scratch_load_b32 v60, off, off offset:168 ; 4-byte Folded Reload
	v_add3_u32 v5, v5, v7, v62
	scratch_load_b32 v7, off, off offset:172 ; 4-byte Folded Reload
	s_wait_loadcnt 0x1
	v_mul_i32_i24_e32 v62, v60, v55
	scratch_load_b32 v60, off, off offset:164 ; 4-byte Folded Reload
	s_wait_loadcnt 0x1
	v_mul_i32_i24_e32 v7, v7, v8
	s_delay_alu instid0(VALU_DEP_1)
	v_add3_u32 v5, v5, v7, v62
	scratch_load_b32 v7, off, off offset:4  ; 4-byte Folded Reload
	s_wait_loadcnt 0x1
	v_mul_i32_i24_e32 v63, v60, v100
	scratch_load_b32 v60, off, off offset:160 ; 4-byte Folded Reload
	s_wait_loadcnt 0x0
	v_mul_i32_i24_e32 v64, v60, v9
	scratch_load_b32 v60, off, off offset:188 ; 4-byte Folded Reload
	v_add3_u32 v5, v5, v63, v64
	s_wait_loadcnt 0x0
	v_mul_i32_i24_e32 v65, v60, v57
	scratch_load_b32 v60, off, off offset:184 ; 4-byte Folded Reload
	s_wait_loadcnt 0x0
	v_mul_i32_i24_e32 v66, v60, v53
	scratch_load_b32 v60, off, off offset:180 ; 4-byte Folded Reload
	v_add3_u32 v5, v5, v65, v66
	v_mul_i32_i24_e32 v66, v52, v253
	s_wait_loadcnt 0x0
	v_mul_i32_i24_e32 v68, v60, v56
	scratch_load_b32 v60, off, off offset:176 ; 4-byte Folded Reload
	s_wait_loadcnt 0x0
	v_mul_i32_i24_e32 v69, v60, v10
	scratch_load_b32 v60, off, off offset:204 ; 4-byte Folded Reload
	v_add3_u32 v5, v5, v68, v69
	v_mul_i32_i24_e32 v68, v54, v99
	v_mul_i32_i24_e32 v69, v88, v157
	s_wait_loadcnt 0x0
	v_mul_i32_i24_e32 v70, v60, v58
	scratch_load_b32 v60, off, off offset:200 ; 4-byte Folded Reload
	s_wait_loadcnt 0x0
	v_mul_i32_i24_e32 v71, v60, v59
	scratch_load_b32 v60, off, off offset:196 ; 4-byte Folded Reload
	v_add3_u32 v5, v5, v70, v71
	v_mul_i32_i24_e32 v71, v90, v169
	s_wait_loadcnt 0x0
	v_mul_i32_i24_e32 v72, v60, v26
	scratch_load_b32 v60, off, off offset:192 ; 4-byte Folded Reload
	s_wait_loadcnt 0x0
	v_mul_i32_i24_e32 v73, v60, v11
	scratch_load_b32 v60, off, off offset:212 ; 4-byte Folded Reload
	v_add3_u32 v5, v5, v72, v73
	s_wait_loadcnt 0x0
	v_mul_i32_i24_e32 v74, v60, v27
	scratch_load_b32 v60, off, off offset:208 ; 4-byte Folded Reload
	s_wait_loadcnt 0x0
	v_mul_i32_i24_e32 v75, v60, v28
	scratch_load_b32 v60, off, off offset:220 ; 4-byte Folded Reload
	v_add3_u32 v5, v5, v74, v75
	;; [unrolled: 7-line block ×3, first 2 shown]
	v_mul_i32_i24_e32 v77, v12, v180
	v_mul_i32_i24_e32 v12, v12, v204
	s_wait_loadcnt 0x0
	v_mul_i32_i24_e32 v78, v60, v31
	scratch_load_b32 v60, off, off offset:232 ; 4-byte Folded Reload
	s_wait_loadcnt 0x0
	v_mul_i32_i24_e32 v79, v60, v32
	scratch_load_b32 v60, off, off offset:228 ; 4-byte Folded Reload
	v_add3_u32 v5, v5, v78, v79
	v_mul_i32_i24_e32 v79, v13, v182
	v_mul_i32_i24_e32 v13, v13, v211
	s_wait_loadcnt 0x0
	v_mul_i32_i24_e32 v80, v60, v33
	scratch_load_b32 v60, off, off offset:224 ; 4-byte Folded Reload
	s_wait_loadcnt 0x0
	v_mul_i32_i24_e32 v81, v60, v34
	scratch_load_b32 v60, off, off offset:252 ; 4-byte Folded Reload
	v_add3_u32 v5, v5, v80, v81
	;; [unrolled: 9-line block ×3, first 2 shown]
	s_wait_loadcnt 0x0
	v_mul_i32_i24_e32 v84, v60, v37
	scratch_load_b32 v60, off, off offset:240 ; 4-byte Folded Reload
	s_wait_loadcnt 0x0
	v_mul_i32_i24_e32 v85, v60, v6
	scratch_load_b32 v60, off, off offset:444 ; 4-byte Folded Reload
	v_add3_u32 v5, v5, v84, v85
	s_wait_loadcnt 0x0
	v_mul_i32_i24_e32 v86, v38, v60
	scratch_load_b32 v60, off, off offset:440 ; 4-byte Folded Reload
	s_wait_loadcnt 0x0
	v_mul_i32_i24_e32 v87, v39, v60
	scratch_load_b32 v60, off, off offset:448 ; 4-byte Folded Reload
	v_add3_u32 v5, v5, v86, v87
	s_wait_loadcnt 0x0
	v_mul_i32_i24_e32 v92, v40, v60
	scratch_load_b32 v60, off, off offset:24 ; 4-byte Folded Reload
	v_add3_u32 v5, v5, v92, v96
	v_mul_i32_i24_e32 v92, v40, v249
	v_mul_i32_i24_e32 v96, v121, v67
	s_delay_alu instid0(VALU_DEP_3) | instskip(SKIP_1) | instid1(VALU_DEP_2)
	v_mul_lo_u32 v5, v5, v102
	v_mov_b32_e32 v102, v158
	v_cvt_f32_i32_e32 v5, v5
	s_delay_alu instid0(VALU_DEP_1)
	v_fma_mix_f32 v3, v1, v5, v3 op_sel_hi:[1,0,0]
	scratch_load_b32 v5, off, off offset:8  ; 4-byte Folded Reload
	v_fma_f32 v3, v3, v98, -v4
	s_clause 0x1
	scratch_load_b32 v4, off, off offset:512
	scratch_load_b32 v98, off, off offset:824
	s_wait_loadcnt 0x3
	v_mul_i32_i24_e32 v62, v48, v60
	scratch_load_b32 v60, off, off offset:28 ; 4-byte Folded Reload
	s_wait_loadcnt 0x3
	v_mul_i32_i24_e32 v5, v16, v5
	s_wait_loadcnt 0x2
	v_add_f32_e32 v4, v4, v3
	s_wait_loadcnt 0x1
	v_mul_i32_i24_e32 v3, v20, v98
	scratch_store_b32 off, v4, off offset:512 ; 4-byte Folded Spill
	scratch_load_b32 v4, off, off offset:60 ; 4-byte Folded Reload
	v_mad_i32_i24 v3, v44, v7, v3
	scratch_load_b32 v7, off, off offset:20 ; 4-byte Folded Reload
	s_wait_loadcnt 0x2
	v_mul_i32_i24_e32 v63, v49, v60
	scratch_load_b32 v60, off, off offset:32 ; 4-byte Folded Reload
	s_wait_loadcnt 0x2
	v_mul_i32_i24_e32 v4, v2, v4
	v_mul_i32_i24_e32 v2, v2, v215
	s_wait_loadcnt 0x1
	v_mul_i32_i24_e32 v7, v47, v7
	s_delay_alu instid0(VALU_DEP_3)
	v_add3_u32 v3, v3, v4, v5
	s_clause 0x1
	scratch_load_b32 v4, off, off offset:12
	scratch_load_b32 v5, off, off offset:16
	s_wait_loadcnt 0x2
	v_mul_i32_i24_e32 v64, v50, v60
	scratch_load_b32 v60, off, off offset:36 ; 4-byte Folded Reload
	s_wait_loadcnt 0x2
	v_mul_i32_i24_e32 v4, v45, v4
	s_wait_loadcnt 0x1
	v_mul_i32_i24_e32 v5, v46, v5
	s_delay_alu instid0(VALU_DEP_1)
	v_add3_u32 v3, v3, v4, v5
	scratch_load_b32 v4, off, off offset:836 ; 4-byte Folded Reload
	v_mul_i32_i24_e32 v5, v41, v226
	v_add3_u32 v3, v3, v7, v62
	v_mul_i32_i24_e32 v7, v42, v240
	v_mul_i32_i24_e32 v62, v43, v218
	s_delay_alu instid0(VALU_DEP_4)
	v_mad_i32_i24 v5, v104, v219, v5
	v_mov_b32_e32 v219, v187
	v_add3_u32 v3, v3, v63, v64
	v_mul_i32_i24_e32 v64, v9, v216
	scratch_load_b32 v216, off, off offset:68 ; 4-byte Folded Reload
	v_add3_u32 v5, v5, v7, v62
	v_mul_i32_i24_e32 v7, v8, v223
	v_mul_i32_i24_e32 v62, v55, v225
	;; [unrolled: 1-line block ×3, first 2 shown]
	scratch_load_b32 v187, off, off offset:804 th:TH_LOAD_LU ; 4-byte Folded Reload
	v_mov_b32_e32 v240, v155
	v_add3_u32 v5, v5, v7, v62
	s_delay_alu instid0(VALU_DEP_2) | instskip(SKIP_1) | instid1(VALU_DEP_3)
	v_mul_i32_i24_e32 v7, v48, v240
	v_mul_i32_i24_e32 v48, v89, v188
	v_add3_u32 v5, v5, v63, v64
	s_wait_loadcnt 0x3
	v_mul_i32_i24_e32 v65, v51, v60
	scratch_load_b32 v60, off, off offset:76 ; 4-byte Folded Reload
	v_add3_u32 v3, v3, v65, v66
	v_mul_i32_i24_e32 v65, v57, v245
	s_delay_alu instid0(VALU_DEP_2)
	v_add3_u32 v3, v3, v68, v69
	v_mul_i32_i24_e32 v68, v56, v247
	v_mul_i32_i24_e32 v69, v10, v210
	;; [unrolled: 1-line block ×3, first 2 shown]
	s_wait_loadcnt 0x0
	v_mul_i32_i24_e32 v70, v89, v60
	scratch_load_b32 v60, off, off offset:400 ; 4-byte Folded Reload
	v_add3_u32 v3, v3, v70, v71
	v_mul_i32_i24_e32 v70, v58, v216
	v_mul_i32_i24_e32 v71, v59, v235
	s_wait_loadcnt 0x0
	v_mul_i32_i24_e32 v72, v91, v60
	scratch_load_b32 v60, off, off offset:80 ; 4-byte Folded Reload
	s_wait_loadcnt 0x0
	v_mul_i32_i24_e32 v73, v93, v60
	scratch_load_b32 v60, off, off offset:404 ; 4-byte Folded Reload
	v_add3_u32 v3, v3, v72, v73
	v_mul_i32_i24_e32 v72, v26, v227
	v_mul_i32_i24_e32 v73, v11, v239
	;; [unrolled: 1-line block ×3, first 2 shown]
	s_wait_loadcnt 0x0
	v_mul_i32_i24_e32 v74, v94, v60
	scratch_load_b32 v60, off, off offset:84 ; 4-byte Folded Reload
	s_wait_loadcnt 0x0
	v_mul_i32_i24_e32 v75, v95, v60
	scratch_load_b32 v60, off, off offset:408 ; 4-byte Folded Reload
	v_add3_u32 v3, v3, v74, v75
	v_mul_i32_i24_e32 v74, v27, v242
	v_mul_i32_i24_e32 v75, v28, v244
	s_wait_loadcnt 0x0
	v_mul_i32_i24_e32 v76, v23, v60
	scratch_load_b32 v60, off, off offset:44 ; 4-byte Folded Reload
	v_mul_i32_i24_e32 v23, v23, v206
	v_add3_u32 v3, v3, v76, v77
	v_mul_i32_i24_e32 v76, v29, v243
	v_mul_i32_i24_e32 v77, v30, v246
	s_wait_loadcnt 0x0
	v_mul_i32_i24_e32 v78, v25, v60
	scratch_load_b32 v60, off, off offset:96 ; 4-byte Folded Reload
	v_mul_i32_i24_e32 v25, v25, v203
	v_add3_u32 v3, v3, v78, v79
	v_mul_i32_i24_e32 v78, v31, v198
	v_mov_b32_e32 v198, v156
	s_wait_loadcnt 0x0
	v_mul_i32_i24_e32 v80, v17, v60
	scratch_load_b32 v60, off, off offset:412 ; 4-byte Folded Reload
	v_mul_i32_i24_e32 v17, v17, v195
	v_add3_u32 v3, v3, v80, v81
	v_mul_i32_i24_e32 v80, v33, v201
	v_mov_b32_e32 v201, v149
	v_mul_i32_i24_e32 v79, v32, v250
	v_mul_i32_i24_e32 v81, v34, v251
	s_wait_loadcnt 0x0
	v_mul_i32_i24_e32 v82, v19, v60
	scratch_load_b32 v60, off, off offset:48 ; 4-byte Folded Reload
	v_mul_i32_i24_e32 v19, v19, v207
	s_wait_loadcnt 0x0
	v_mul_i32_i24_e32 v83, v14, v60
	scratch_load_b32 v60, off, off offset:52 ; 4-byte Folded Reload
	v_mul_i32_i24_e32 v14, v14, v202
	v_add3_u32 v3, v3, v82, v83
	v_mul_i32_i24_e32 v82, v35, v252
	v_mul_i32_i24_e32 v83, v36, v208
	s_wait_loadcnt 0x0
	v_mul_i32_i24_e32 v84, v24, v60
	scratch_load_b32 v60, off, off          ; 4-byte Folded Reload
	v_mul_i32_i24_e32 v24, v24, v199
	s_wait_loadcnt 0x0
	v_mul_i32_i24_e32 v85, v21, v60
	scratch_load_b32 v60, off, off offset:56 ; 4-byte Folded Reload
	v_mul_i32_i24_e32 v21, v21, v190
	v_add3_u32 v3, v3, v84, v85
	v_mul_i32_i24_e32 v84, v37, v254
	s_wait_loadcnt 0x0
	v_mul_i32_i24_e32 v86, v22, v60
	scratch_load_b32 v60, off, off offset:72 ; 4-byte Folded Reload
	v_mul_i32_i24_e32 v22, v22, v197
	s_wait_loadcnt 0x0
	v_mul_i32_i24_e32 v87, v15, v60
	scratch_load_b32 v60, off, off offset:40 ; 4-byte Folded Reload
	v_mul_i32_i24_e32 v15, v15, v217
	v_add3_u32 v3, v3, v86, v87
	v_mul_i32_i24_e32 v86, v38, v212
	v_mul_i32_i24_e32 v87, v39, v214
	s_delay_alu instid0(VALU_DEP_3) | instskip(SKIP_1) | instid1(VALU_DEP_1)
	v_mul_lo_u32 v3, v3, v4
	v_fma_mix_f32 v4, v105, v0, 0 op_sel:[0,1,0] op_sel_hi:[0,1,0]
	v_fma_mix_f32 v4, v135, v1, v4 op_sel:[0,1,0] op_sel_hi:[0,1,0]
	s_delay_alu instid0(VALU_DEP_3) | instskip(NEXT) | instid1(VALU_DEP_2)
	v_cvt_f32_i32_e32 v3, v3
	v_mul_f32_e32 v4, v4, v137
	s_delay_alu instid0(VALU_DEP_2) | instskip(SKIP_4) | instid1(VALU_DEP_1)
	v_fma_mix_f32 v3, v0, v3, 0 op_sel_hi:[1,0,0]
	s_wait_loadcnt 0x0
	v_mul_i32_i24_e32 v66, v53, v60
	scratch_load_b32 v60, off, off offset:908 ; 4-byte Folded Reload
	v_add3_u32 v5, v5, v65, v66
	v_add3_u32 v5, v5, v68, v69
	s_delay_alu instid0(VALU_DEP_1) | instskip(NEXT) | instid1(VALU_DEP_1)
	v_add3_u32 v5, v5, v70, v71
	v_add3_u32 v5, v5, v72, v73
	s_delay_alu instid0(VALU_DEP_1) | instskip(NEXT) | instid1(VALU_DEP_1)
	;; [unrolled: 3-line block ×3, first 2 shown]
	v_add3_u32 v5, v5, v78, v79
	v_add3_u32 v5, v5, v80, v81
	s_delay_alu instid0(VALU_DEP_1) | instskip(SKIP_3) | instid1(VALU_DEP_2)
	v_add3_u32 v5, v5, v82, v83
	s_wait_loadcnt 0x0
	v_mul_i32_i24_e32 v85, v6, v60
	v_mul_i32_i24_e32 v6, v6, v163
	v_add3_u32 v5, v5, v84, v85
	s_delay_alu instid0(VALU_DEP_1) | instskip(NEXT) | instid1(VALU_DEP_1)
	v_add3_u32 v5, v5, v86, v87
	v_add3_u32 v5, v5, v92, v96
	s_delay_alu instid0(VALU_DEP_1) | instskip(NEXT) | instid1(VALU_DEP_1)
	v_mul_lo_u32 v5, v5, v136
	v_cvt_f32_i32_e32 v5, v5
	s_delay_alu instid0(VALU_DEP_1) | instskip(SKIP_2) | instid1(VALU_DEP_3)
	v_fma_mix_f32 v3, v1, v5, v3 op_sel_hi:[1,0,0]
	v_mul_i32_i24_e32 v5, v47, v187
	v_mul_i32_i24_e32 v47, v88, v201
	v_fma_f32 v3, v3, v133, -v4
	scratch_load_b32 v4, off, off offset:520 ; 4-byte Folded Reload
	s_wait_loadcnt 0x0
	v_add_f32_e32 v4, v4, v3
	v_mul_i32_i24_e32 v3, v20, v222
	v_mul_i32_i24_e32 v20, v50, v186
	;; [unrolled: 1-line block ×3, first 2 shown]
	scratch_store_b32 off, v4, off offset:520 ; 4-byte Folded Spill
	v_mul_i32_i24_e32 v4, v16, v248
	v_mad_i32_i24 v3, v44, v219, v3
	v_mul_i32_i24_e32 v16, v49, v198
	v_mul_i32_i24_e32 v44, v51, v189
	;; [unrolled: 1-line block ×4, first 2 shown]
	v_add3_u32 v2, v3, v2, v4
	v_mul_i32_i24_e32 v3, v45, v220
	v_mul_i32_i24_e32 v4, v46, v221
	;; [unrolled: 1-line block ×6, first 2 shown]
	v_add3_u32 v2, v2, v3, v4
	v_mul_i32_i24_e32 v3, v41, v191
	v_mul_i32_i24_e32 v4, v42, v160
	s_delay_alu instid0(VALU_DEP_3) | instskip(SKIP_1) | instid1(VALU_DEP_4)
	v_add3_u32 v2, v2, v5, v7
	v_mul_i32_i24_e32 v5, v43, v200
	v_mad_i32_i24 v3, v104, v167, v3
	v_mul_i32_i24_e32 v7, v100, v162
	s_delay_alu instid0(VALU_DEP_4) | instskip(SKIP_1) | instid1(VALU_DEP_4)
	v_add3_u32 v2, v2, v16, v20
	v_mul_i32_i24_e32 v16, v26, v173
	v_add3_u32 v3, v3, v4, v5
	v_mul_i32_i24_e32 v4, v8, v159
	v_mul_i32_i24_e32 v5, v55, v205
	v_add3_u32 v2, v2, v44, v45
	v_mul_i32_i24_e32 v8, v9, v166
	v_mul_i32_i24_e32 v9, v57, v161
	;; [unrolled: 1-line block ×3, first 2 shown]
	v_add3_u32 v3, v3, v4, v5
	v_add3_u32 v2, v2, v46, v47
	v_mul_i32_i24_e32 v26, v36, v237
	v_mul_i32_i24_e32 v30, v40, v165
	s_delay_alu instid0(VALU_DEP_4) | instskip(NEXT) | instid1(VALU_DEP_4)
	v_add3_u32 v3, v3, v7, v8
	v_add3_u32 v2, v2, v48, v49
	s_delay_alu instid0(VALU_DEP_1) | instskip(NEXT) | instid1(VALU_DEP_1)
	v_add3_u32 v2, v2, v50, v51
	v_add3_u32 v2, v2, v52, v54
	s_delay_alu instid0(VALU_DEP_1) | instskip(SKIP_2) | instid1(VALU_DEP_3)
	v_add3_u32 v2, v2, v23, v12
	v_mul_i32_i24_e32 v12, v53, v181
	v_mul_i32_i24_e32 v23, v33, v232
	v_add3_u32 v2, v2, v25, v13
	v_mul_i32_i24_e32 v13, v56, v175
	s_delay_alu instid0(VALU_DEP_4) | instskip(SKIP_1) | instid1(VALU_DEP_4)
	v_add3_u32 v3, v3, v9, v12
	v_mul_i32_i24_e32 v25, v35, v183
	v_add3_u32 v2, v2, v17, v18
	v_mul_i32_i24_e32 v17, v27, v236
	s_delay_alu instid0(VALU_DEP_4)
	v_add3_u32 v3, v3, v13, v10
	v_mul_i32_i24_e32 v18, v28, v229
	v_mul_i32_i24_e32 v27, v37, v255
	v_add3_u32 v2, v2, v19, v14
	v_mul_i32_i24_e32 v14, v58, v231
	v_mul_i32_i24_e32 v19, v29, v228
	;; [unrolled: 1-line block ×4, first 2 shown]
	v_add3_u32 v2, v2, v24, v21
	v_mul_i32_i24_e32 v21, v31, v238
	v_mul_i32_i24_e32 v24, v34, v174
	;; [unrolled: 1-line block ×3, first 2 shown]
	s_delay_alu instid0(VALU_DEP_4) | instskip(SKIP_2) | instid1(VALU_DEP_3)
	v_add3_u32 v2, v2, v22, v15
	v_mul_i32_i24_e32 v15, v59, v172
	v_mul_i32_i24_e32 v22, v32, v233
	v_mul_lo_u32 v2, v2, v209
	s_delay_alu instid0(VALU_DEP_3) | instskip(NEXT) | instid1(VALU_DEP_1)
	v_add3_u32 v3, v3, v14, v15
	v_add3_u32 v3, v3, v16, v11
	s_delay_alu instid0(VALU_DEP_3) | instskip(NEXT) | instid1(VALU_DEP_2)
	v_cvt_f32_i32_e32 v2, v2
	v_add3_u32 v3, v3, v17, v18
	s_delay_alu instid0(VALU_DEP_2) | instskip(SKIP_1) | instid1(VALU_DEP_3)
	v_fma_mix_f32 v2, v0, v2, 0 op_sel_hi:[1,0,0]
	v_fma_mix_f32 v0, v0, v132, 0 op_sel:[1,0,0] op_sel_hi:[1,0,0]
	v_add3_u32 v3, v3, v19, v20
	s_delay_alu instid0(VALU_DEP_2) | instskip(NEXT) | instid1(VALU_DEP_2)
	v_fma_mix_f32 v0, v1, v128, v0 op_sel:[1,0,0] op_sel_hi:[1,0,0]
	v_add3_u32 v3, v3, v21, v22
	s_delay_alu instid0(VALU_DEP_2) | instskip(NEXT) | instid1(VALU_DEP_2)
	v_mul_f32_e32 v0, v0, v127
	v_add3_u32 v3, v3, v23, v24
	s_delay_alu instid0(VALU_DEP_1) | instskip(NEXT) | instid1(VALU_DEP_1)
	v_add3_u32 v3, v3, v25, v26
	v_add3_u32 v3, v3, v27, v6
	s_delay_alu instid0(VALU_DEP_1) | instskip(NEXT) | instid1(VALU_DEP_1)
	v_add3_u32 v3, v3, v28, v29
	v_add3_u32 v3, v3, v30, v31
	s_delay_alu instid0(VALU_DEP_1) | instskip(NEXT) | instid1(VALU_DEP_1)
	v_mul_lo_u32 v3, v3, v114
	v_cvt_f32_i32_e32 v3, v3
	s_delay_alu instid0(VALU_DEP_1) | instskip(SKIP_3) | instid1(VALU_DEP_1)
	v_fma_mix_f32 v2, v1, v3, v2 op_sel_hi:[1,0,0]
	scratch_load_b32 v1, off, off offset:528 ; 4-byte Folded Reload
	v_fma_f32 v0, v2, v115, -v0
	s_wait_loadcnt 0x0
	v_add_f32_e32 v1, v1, v0
	scratch_load_b32 v0, off, off offset:1348 th:TH_LOAD_LU ; 4-byte Folded Reload
	scratch_store_b32 off, v1, off offset:528 ; 4-byte Folded Spill
	s_wait_loadcnt 0x0
	ds_load_b128 v[12:15], v0 offset:16896
	ds_load_b128 v[8:11], v0 offset:16912
	;; [unrolled: 1-line block ×4, first 2 shown]
	s_clause 0x1f
	scratch_load_b32 v120, off, off offset:752 th:TH_LOAD_LU
	scratch_load_b32 v121, off, off offset:756 th:TH_LOAD_LU
	;; [unrolled: 1-line block ×31, first 2 shown]
	scratch_load_b32 v100, off, off offset:72
	s_clause 0x12
	scratch_load_b32 v108, off, off offset:992 th:TH_LOAD_LU
	scratch_load_b32 v112, off, off offset:728 th:TH_LOAD_LU
	;; [unrolled: 1-line block ×19, first 2 shown]
	s_wait_dscnt 0x3
	v_bfe_i32 v153, v13, 0, 8
	v_bfe_i32 v152, v13, 8, 8
	;; [unrolled: 1-line block ×3, first 2 shown]
	v_ashrrev_i32_e32 v20, 24, v13
	scratch_load_b32 v13, off, off offset:636 th:TH_LOAD_LU ; 4-byte Folded Reload
	v_bfe_i32 v17, v12, 0, 8
	v_bfe_i32 v16, v12, 8, 8
	;; [unrolled: 1-line block ×3, first 2 shown]
	v_ashrrev_i32_e32 v12, 24, v12
	v_bfe_i32 v21, v14, 0, 8
	v_mul_i32_i24_e32 v0, v17, v119
	v_bfe_i32 v25, v14, 8, 8
	v_mul_i32_i24_e32 v1, v19, v150
	v_mul_i32_i24_e32 v2, v12, v151
	s_wait_dscnt 0x2
	v_bfe_i32 v43, v11, 0, 8
	v_mad_i32_i24 v0, v16, v118, v0
	v_bfe_i32 v41, v11, 8, 8
	v_bfe_i32 v42, v11, 16, 8
	v_ashrrev_i32_e32 v155, 24, v11
	s_wait_dscnt 0x1
	v_bfe_i32 v144, v4, 0, 8
	v_add3_u32 v0, v0, v1, v2
	v_bfe_i32 v145, v4, 8, 8
	v_bfe_i32 v142, v4, 16, 8
	v_ashrrev_i32_e32 v11, 24, v4
	v_bfe_i32 v139, v5, 0, 8
	v_bfe_i32 v137, v5, 8, 8
	;; [unrolled: 1-line block ×3, first 2 shown]
	v_ashrrev_i32_e32 v133, 24, v5
	v_bfe_i32 v23, v14, 16, 8
	v_ashrrev_i32_e32 v24, 24, v14
	v_bfe_i32 v134, v6, 0, 8
	v_bfe_i32 v136, v6, 8, 8
	v_bfe_i32 v130, v6, 16, 8
	v_ashrrev_i32_e32 v124, 24, v6
	v_bfe_i32 v128, v7, 0, 8
	v_bfe_i32 v129, v7, 8, 8
	;; [unrolled: 4-line block ×3, first 2 shown]
	v_bfe_i32 v29, v8, 0, 8
	v_bfe_i32 v30, v8, 8, 8
	v_bfe_i32 v34, v8, 16, 8
	v_ashrrev_i32_e32 v32, 24, v8
	v_bfe_i32 v33, v9, 0, 8
	v_bfe_i32 v37, v9, 8, 8
	;; [unrolled: 1-line block ×3, first 2 shown]
	v_ashrrev_i32_e32 v36, 24, v9
	v_bfe_i32 v27, v15, 16, 8
	v_ashrrev_i32_e32 v31, 24, v15
	v_mul_i32_i24_e32 v15, v28, v102
	v_mul_i32_i24_e32 v75, v26, v126
	v_bfe_i32 v40, v10, 0, 8
	v_bfe_i32 v38, v10, 8, 8
	;; [unrolled: 1-line block ×3, first 2 shown]
	v_ashrrev_i32_e32 v10, 24, v10
	v_mul_i32_i24_e32 v90, v43, v146
	v_mul_i32_i24_e32 v86, v40, v141
	;; [unrolled: 1-line block ×3, first 2 shown]
	s_wait_dscnt 0x0
	v_bfe_i32 v61, v176, 0, 8
	v_bfe_i32 v62, v176, 8, 8
	;; [unrolled: 1-line block ×3, first 2 shown]
	v_ashrrev_i32_e32 v64, 24, v176
	s_clause 0x1
	scratch_load_b32 v176, off, off offset:660 th:TH_LOAD_LU
	scratch_load_b32 v14, off, off offset:968 th:TH_LOAD_LU
	v_bfe_i32 v65, v177, 0, 8
	v_bfe_i32 v66, v177, 8, 8
	;; [unrolled: 1-line block ×3, first 2 shown]
	v_ashrrev_i32_e32 v68, 24, v177
	v_bfe_i32 v69, v178, 0, 8
	v_bfe_i32 v70, v178, 8, 8
	;; [unrolled: 1-line block ×3, first 2 shown]
	v_ashrrev_i32_e32 v72, 24, v178
	v_bfe_i32 v149, v179, 0, 8
	v_bfe_i32 v148, v179, 8, 8
	;; [unrolled: 1-line block ×3, first 2 shown]
	s_wait_loadcnt 0x35
	v_mul_i32_i24_e32 v1, v153, v120
	s_wait_loadcnt 0x34
	v_mul_i32_i24_e32 v2, v152, v121
	;; [unrolled: 2-line block ×6, first 2 shown]
	v_add3_u32 v0, v0, v1, v2
	s_wait_loadcnt 0x2f
	v_mul_i32_i24_e32 v89, v10, v116
	s_wait_loadcnt 0x2d
	v_mul_i32_i24_e32 v5, v20, v123
	s_wait_loadcnt 0x2c
	v_mul_i32_i24_e32 v78, v29, v106
	v_mul_i32_i24_e32 v158, v42, v117
	s_wait_loadcnt 0x2a
	v_mul_i32_i24_e32 v1, v142, v3
	v_add3_u32 v0, v0, v4, v5
	s_wait_loadcnt 0x27
	v_mul_i32_i24_e32 v178, v149, v46
	s_wait_loadcnt 0x25
	v_mul_i32_i24_e32 v6, v21, v44
	;; [unrolled: 2-line block ×7, first 2 shown]
	v_add3_u32 v0, v0, v6, v7
	s_wait_loadcnt 0x1f
	v_mul_i32_i24_e32 v82, v33, v110
	s_wait_loadcnt 0x1d
	v_mul_i32_i24_e32 v79, v30, v107
	;; [unrolled: 2-line block ×3, first 2 shown]
	v_mul_i32_i24_e32 v2, v11, v58
	v_add3_u32 v0, v0, v8, v9
	s_wait_loadcnt 0x1b
	v_mul_i32_i24_e32 v6, v131, v115
	s_wait_loadcnt 0x19
	v_mul_i32_i24_e32 v93, v93, v10
	v_mul_i32_i24_e32 v94, v94, v43
	s_wait_loadcnt 0x18
	v_mul_i32_i24_e32 v95, v95, v41
	v_add3_u32 v0, v0, v15, v75
	s_wait_loadcnt 0x15
	v_mul_i32_i24_e32 v80, v34, v108
	s_wait_loadcnt 0x14
	v_mul_i32_i24_e32 v84, v35, v112
	;; [unrolled: 2-line block ×4, first 2 shown]
	v_add3_u32 v0, v0, v76, v77
	scratch_load_b32 v15, off, off offset:640 th:TH_LOAD_LU ; 4-byte Folded Reload
	s_wait_loadcnt 0xf
	v_mul_i32_i24_e32 v76, v124, v103
	s_wait_loadcnt 0xe
	v_mul_i32_i24_e32 v75, v130, v143
	v_mul_i32_i24_e32 v92, v72, v18
	v_add3_u32 v0, v0, v78, v79
	s_wait_loadcnt 0xb
	v_mul_i32_i24_e32 v5, v137, v48
	s_wait_loadcnt 0xa
	v_mul_i32_i24_e32 v9, v136, v49
	;; [unrolled: 2-line block ×4, first 2 shown]
	v_add3_u32 v0, v0, v80, v81
	v_mul_i32_i24_e32 v79, v125, v127
	v_mul_i32_i24_e32 v81, v61, v52
	v_mul_i32_i24_e32 v96, v96, v42
	v_mul_i32_i24_e32 v100, v155, v100
	v_add3_u32 v0, v0, v82, v83
	v_mul_i32_i24_e32 v82, v62, v53
	v_mul_i32_i24_e32 v83, v63, v132
	s_wait_loadcnt 0x3
	v_mul_i32_i24_e32 v7, v133, v13
	v_mul_i32_i24_e32 v177, v148, v47
	v_add3_u32 v0, v0, v84, v85
	v_mul_i32_i24_e32 v85, v65, v54
	s_delay_alu instid0(VALU_DEP_2) | instskip(SKIP_2) | instid1(VALU_DEP_3)
	v_add3_u32 v0, v0, v86, v87
	v_mul_i32_i24_e32 v86, v66, v138
	v_mul_i32_i24_e32 v87, v67, v135
	v_add3_u32 v0, v0, v88, v89
	v_mul_i32_i24_e32 v89, v69, v55
	s_delay_alu instid0(VALU_DEP_2) | instskip(SKIP_2) | instid1(VALU_DEP_2)
	v_add3_u32 v156, v0, v90, v91
	v_mul_i32_i24_e32 v0, v144, v57
	v_mul_i32_i24_e32 v90, v70, v56
	v_mad_i32_i24 v0, v145, v101, v0
	s_delay_alu instid0(VALU_DEP_1)
	v_add3_u32 v2, v0, v1, v2
	s_clause 0x1
	scratch_load_b32 v1, off, off offset:496 th:TH_LOAD_LU
	scratch_load_b32 v0, off, off offset:488 th:TH_LOAD_LU
	v_add3_u32 v2, v2, v4, v5
	s_clause 0x1
	scratch_load_b32 v4, off, off offset:1096 th:TH_LOAD_LU
	scratch_load_b32 v5, off, off offset:788 th:TH_LOAD_LU
	v_add3_u32 v2, v2, v6, v7
	scratch_load_b32 v7, off, off offset:912 th:TH_LOAD_LU ; 4-byte Folded Reload
	v_mul_i32_i24_e32 v6, v97, v12
	scratch_load_b32 v97, off, off offset:140 th:TH_LOAD_LU ; 4-byte Folded Reload
	s_wait_loadcnt 0x8
	v_mul_i32_i24_e32 v8, v134, v176
	s_wait_loadcnt 0x7
	v_mul_i32_i24_e32 v84, v64, v14
	s_delay_alu instid0(VALU_DEP_2)
	v_add3_u32 v2, v2, v8, v9
	s_clause 0x1
	scratch_load_b32 v8, off, off offset:272 th:TH_LOAD_LU
	scratch_load_b32 v9, off, off offset:292 th:TH_LOAD_LU
	v_add3_u32 v2, v2, v75, v76
	s_clause 0x1
	scratch_load_b32 v75, off, off offset:288 th:TH_LOAD_LU
	scratch_load_b32 v76, off, off offset:284 th:TH_LOAD_LU
	;; [unrolled: 4-line block ×3, first 2 shown]
	s_wait_loadcnt 0xc
	v_mul_i32_i24_e32 v88, v68, v15
	s_wait_loadcnt 0xb
	v_mul_i32_i24_e32 v80, v60, v1
	;; [unrolled: 2-line block ×5, first 2 shown]
	v_add3_u32 v2, v2, v79, v80
	s_clause 0x1
	scratch_load_b32 v79, off, off offset:308 th:TH_LOAD_LU
	scratch_load_b32 v80, off, off offset:304 th:TH_LOAD_LU
	s_wait_loadcnt 0x9
	v_mad_i32_i24 v4, v7, v16, v4
	scratch_load_b32 v7, off, off offset:772 th:TH_LOAD_LU ; 4-byte Folded Reload
	v_add3_u32 v2, v2, v81, v82
	s_clause 0x1
	scratch_load_b32 v81, off, off offset:300 th:TH_LOAD_LU
	scratch_load_b32 v82, off, off offset:328 th:TH_LOAD_LU
	v_add3_u32 v4, v4, v5, v6
	s_clause 0x1
	scratch_load_b32 v5, off, off offset:280 th:TH_LOAD_LU
	scratch_load_b32 v6, off, off offset:276 th:TH_LOAD_LU
	;; [unrolled: 4-line block ×3, first 2 shown]
	s_wait_loadcnt 0xf
	v_mul_i32_i24_e32 v97, v97, v155
	v_add3_u32 v2, v2, v85, v86
	s_clause 0x1
	scratch_load_b32 v85, off, off offset:316 th:TH_LOAD_LU
	scratch_load_b32 v86, off, off offset:108 th:TH_LOAD_LU
	v_add3_u32 v2, v2, v87, v88
	s_clause 0x1
	scratch_load_b32 v87, off, off offset:104 th:TH_LOAD_LU
	scratch_load_b32 v88, off, off offset:100 th:TH_LOAD_LU
	v_add3_u32 v2, v2, v89, v90
	s_clause 0x1
	scratch_load_b32 v89, off, off offset:332 th:TH_LOAD_LU
	scratch_load_b32 v90, off, off offset:124 th:TH_LOAD_LU
	s_wait_loadcnt 0x14
	v_mul_i32_i24_e32 v8, v8, v20
	s_wait_loadcnt 0x13
	v_mul_i32_i24_e32 v9, v9, v21
	v_add3_u32 v2, v2, v91, v92
	s_clause 0x1
	scratch_load_b32 v91, off, off offset:120 th:TH_LOAD_LU
	scratch_load_b32 v92, off, off offset:116 th:TH_LOAD_LU
	s_wait_loadcnt 0x14
	v_mul_i32_i24_e32 v75, v75, v25
	s_wait_loadcnt 0x13
	v_mul_i32_i24_e32 v76, v76, v23
	;; [unrolled: 2-line block ×13, first 2 shown]
	v_add3_u32 v4, v4, v5, v6
	s_clause 0x1
	scratch_load_b32 v5, off, off offset:1100 th:TH_LOAD_LU
	scratch_load_b32 v6, off, off offset:148 th:TH_LOAD_LU
	s_wait_loadcnt 0x9
	v_mul_i32_i24_e32 v85, v85, v32
	s_wait_loadcnt 0x8
	v_mul_i32_i24_e32 v86, v86, v33
	v_add3_u32 v4, v4, v7, v8
	s_clause 0x1
	scratch_load_b32 v7, off, off offset:144 th:TH_LOAD_LU
	scratch_load_b32 v8, off, off offset:152 th:TH_LOAD_LU
	s_wait_loadcnt 0x9
	v_mul_i32_i24_e32 v87, v87, v37
	s_wait_loadcnt 0x8
	v_mul_i32_i24_e32 v88, v88, v35
	v_add3_u32 v4, v4, v9, v75
	s_wait_loadcnt 0x7
	v_mul_i32_i24_e32 v89, v89, v36
	s_wait_loadcnt 0x6
	v_mul_i32_i24_e32 v90, v90, v40
	v_add3_u32 v4, v4, v76, v77
	;; [unrolled: 5-line block ×3, first 2 shown]
	s_delay_alu instid0(VALU_DEP_1) | instskip(NEXT) | instid1(VALU_DEP_1)
	v_add3_u32 v4, v4, v80, v81
	v_add3_u32 v4, v4, v82, v83
	s_delay_alu instid0(VALU_DEP_1) | instskip(NEXT) | instid1(VALU_DEP_1)
	v_add3_u32 v4, v4, v84, v85
	v_add3_u32 v4, v4, v86, v87
	;; [unrolled: 3-line block ×4, first 2 shown]
	s_delay_alu instid0(VALU_DEP_1) | instskip(SKIP_1) | instid1(VALU_DEP_1)
	v_add3_u32 v4, v4, v96, v97
	s_wait_loadcnt 0x3
	v_mul_lo_u32 v4, v4, v5
	scratch_load_b32 v5, off, off offset:156 th:TH_LOAD_LU ; 4-byte Folded Reload
	s_wait_loadcnt 0x3
	v_mul_i32_i24_e32 v6, v6, v142
	s_wait_loadcnt 0x2
	v_mul_i32_i24_e32 v7, v7, v11
	v_cvt_f32_i32_e32 v4, v4
	s_wait_loadcnt 0x0
	v_mul_i32_i24_e32 v5, v5, v144
	s_delay_alu instid0(VALU_DEP_1) | instskip(NEXT) | instid1(VALU_DEP_1)
	v_mad_i32_i24 v5, v8, v145, v5
	v_add3_u32 v6, v5, v6, v7
	scratch_load_b32 v5, off, off offset:172 th:TH_LOAD_LU ; 4-byte Folded Reload
	s_wait_loadcnt 0x0
	v_mul_i32_i24_e32 v7, v5, v139
	scratch_load_b32 v5, off, off offset:168 th:TH_LOAD_LU ; 4-byte Folded Reload
	s_wait_loadcnt 0x0
	v_mul_i32_i24_e32 v8, v5, v137
	scratch_load_b32 v5, off, off offset:164 th:TH_LOAD_LU ; 4-byte Folded Reload
	v_add3_u32 v6, v6, v7, v8
	scratch_load_b32 v8, off, off offset:60 ; 4-byte Folded Reload
	v_mul_i32_i24_e32 v7, v17, v98
	scratch_load_b32 v98, off, off          ; 4-byte Folded Reload
	v_mul_i32_i24_e32 v17, v17, v222
	s_wait_loadcnt 0x2
	v_mul_i32_i24_e32 v9, v5, v131
	scratch_load_b32 v5, off, off offset:160 th:TH_LOAD_LU ; 4-byte Folded Reload
	s_wait_loadcnt 0x2
	v_mul_i32_i24_e32 v8, v19, v8
	v_mul_i32_i24_e32 v19, v19, v215
	s_wait_loadcnt 0x1
	v_mul_i32_i24_e32 v98, v41, v98
	v_mul_i32_i24_e32 v41, v41, v190
	s_wait_loadcnt 0x0
	v_mul_i32_i24_e32 v75, v5, v133
	scratch_load_b32 v5, off, off offset:188 th:TH_LOAD_LU ; 4-byte Folded Reload
	v_add3_u32 v6, v6, v9, v75
	s_clause 0x1
	scratch_load_b32 v9, off, off offset:8
	scratch_load_b32 v75, off, off offset:4
	s_wait_loadcnt 0x2
	v_mul_i32_i24_e32 v76, v5, v134
	scratch_load_b32 v5, off, off offset:184 th:TH_LOAD_LU ; 4-byte Folded Reload
	s_wait_loadcnt 0x2
	v_mul_i32_i24_e32 v9, v12, v9
	s_wait_loadcnt 0x1
	v_mad_i32_i24 v7, v16, v75, v7
	scratch_load_b32 v75, off, off offset:20 ; 4-byte Folded Reload
	v_mul_i32_i24_e32 v12, v12, v248
	v_mad_i32_i24 v16, v16, v219, v17
	v_mul_i32_i24_e32 v17, v152, v221
	v_add3_u32 v7, v7, v8, v9
	s_clause 0x1
	scratch_load_b32 v8, off, off offset:12
	scratch_load_b32 v9, off, off offset:16
	v_add3_u32 v12, v16, v19, v12
	v_mul_i32_i24_e32 v16, v153, v220
	v_mul_i32_i24_e32 v19, v22, v187
	s_delay_alu instid0(VALU_DEP_2)
	v_add3_u32 v12, v12, v16, v17
	v_mul_i32_i24_e32 v16, v142, v160
	v_mul_i32_i24_e32 v17, v11, v200
	s_wait_loadcnt 0x3
	v_mul_i32_i24_e32 v77, v5, v136
	scratch_load_b32 v5, off, off offset:180 th:TH_LOAD_LU ; 4-byte Folded Reload
	v_add3_u32 v6, v6, v76, v77
	s_clause 0x1
	scratch_load_b32 v76, off, off offset:24
	scratch_load_b32 v77, off, off offset:28
	s_wait_loadcnt 0x5
	v_mul_i32_i24_e32 v75, v22, v75
	v_mul_i32_i24_e32 v22, v25, v186
	s_wait_loadcnt 0x4
	v_mul_i32_i24_e32 v8, v153, v8
	s_wait_loadcnt 0x3
	v_mul_i32_i24_e32 v9, v152, v9
	v_dual_mov_b32 v152, v211 :: v_dual_mov_b32 v153, v209
	s_delay_alu instid0(VALU_DEP_2)
	v_add3_u32 v7, v7, v8, v9
	scratch_load_b32 v8, off, off offset:836 ; 4-byte Folded Reload
	s_wait_loadcnt 0x3
	v_mul_i32_i24_e32 v78, v5, v130
	scratch_load_b32 v5, off, off offset:176 th:TH_LOAD_LU ; 4-byte Folded Reload
	s_wait_loadcnt 0x3
	v_mul_i32_i24_e32 v76, v20, v76
	s_wait_loadcnt 0x2
	v_mul_i32_i24_e32 v77, v21, v77
	v_mul_i32_i24_e32 v20, v20, v240
	;; [unrolled: 1-line block ×3, first 2 shown]
	v_mov_b32_e32 v198, v185
	v_add3_u32 v7, v7, v75, v76
	scratch_load_b32 v76, off, off offset:352 ; 4-byte Folded Reload
	v_mul_i32_i24_e32 v75, v11, v218
	v_add3_u32 v12, v12, v19, v20
	v_mul_i32_i24_e32 v19, v131, v162
	v_mul_i32_i24_e32 v20, v133, v166
	s_delay_alu instid0(VALU_DEP_3)
	v_add3_u32 v12, v12, v21, v22
	v_mul_i32_i24_e32 v21, v134, v161
	v_mul_i32_i24_e32 v22, v136, v181
	s_wait_loadcnt 0x1
	v_mul_i32_i24_e32 v79, v5, v124
	scratch_load_b32 v5, off, off offset:204 th:TH_LOAD_LU ; 4-byte Folded Reload
	v_add3_u32 v6, v6, v78, v79
	s_clause 0x1
	scratch_load_b32 v78, off, off offset:32
	scratch_load_b32 v79, off, off offset:36
	s_wait_loadcnt 0x2
	v_mul_i32_i24_e32 v80, v5, v128
	scratch_load_b32 v5, off, off offset:200 th:TH_LOAD_LU ; 4-byte Folded Reload
	s_wait_loadcnt 0x2
	v_mul_i32_i24_e32 v78, v25, v78
	s_wait_loadcnt 0x1
	v_mul_i32_i24_e32 v79, v23, v79
	v_mul_i32_i24_e32 v23, v23, v189
	;; [unrolled: 1-line block ×3, first 2 shown]
	v_mov_b32_e32 v189, v207
	v_add3_u32 v7, v7, v77, v78
	v_mul_i32_i24_e32 v77, v131, v224
	s_wait_loadcnt 0x0
	v_mul_i32_i24_e32 v81, v5, v129
	scratch_load_b32 v5, off, off offset:196 th:TH_LOAD_LU ; 4-byte Folded Reload
	v_add3_u32 v6, v6, v80, v81
	v_mul_i32_i24_e32 v80, v24, v253
	scratch_load_b32 v253, off, off offset:400 th:TH_LOAD_LU ; 4-byte Folded Reload
	v_mul_i32_i24_e32 v81, v28, v99
	v_mul_i32_i24_e32 v24, v24, v168
	;; [unrolled: 1-line block ×3, first 2 shown]
	v_add3_u32 v7, v7, v79, v80
	v_mul_i32_i24_e32 v79, v134, v245
	s_delay_alu instid0(VALU_DEP_4)
	v_add3_u32 v12, v12, v23, v24
	v_mul_i32_i24_e32 v24, v124, v230
	v_mul_i32_i24_e32 v23, v130, v175
	s_wait_loadcnt 0x1
	v_mul_i32_i24_e32 v82, v5, v125
	scratch_load_b32 v5, off, off offset:192 th:TH_LOAD_LU ; 4-byte Folded Reload
	s_wait_loadcnt 0x0
	v_mul_i32_i24_e32 v83, v5, v60
	scratch_load_b32 v5, off, off offset:212 th:TH_LOAD_LU ; 4-byte Folded Reload
	v_add3_u32 v6, v6, v82, v83
	scratch_load_b32 v83, off, off offset:76 ; 4-byte Folded Reload
	v_mul_i32_i24_e32 v82, v26, v157
	scratch_load_b32 v157, off, off offset:404 th:TH_LOAD_LU ; 4-byte Folded Reload
	v_mul_i32_i24_e32 v26, v26, v201
	v_add3_u32 v7, v7, v81, v82
	v_mul_i32_i24_e32 v81, v130, v247
	v_mul_i32_i24_e32 v82, v124, v210
	s_delay_alu instid0(VALU_DEP_4)
	v_add3_u32 v12, v12, v25, v26
	scratch_load_b32 v124, off, off offset:1468 th:TH_LOAD_LU ; 4-byte Folded Reload
	v_mul_i32_i24_e32 v25, v128, v231
	v_mul_i32_i24_e32 v26, v129, v172
	s_wait_loadcnt 0x3
	v_mul_i32_i24_e32 v84, v5, v61
	scratch_load_b32 v5, off, off offset:208 th:TH_LOAD_LU ; 4-byte Folded Reload
	s_wait_loadcnt 0x3
	v_mul_i32_i24_e32 v83, v27, v83
	v_mul_i32_i24_e32 v27, v27, v188
	s_delay_alu instid0(VALU_DEP_1)
	v_add3_u32 v12, v12, v27, v28
	v_mul_i32_i24_e32 v27, v125, v173
	v_mul_i32_i24_e32 v28, v60, v234
	s_wait_loadcnt 0x0
	v_mul_i32_i24_e32 v85, v5, v62
	scratch_load_b32 v5, off, off offset:220 th:TH_LOAD_LU ; 4-byte Folded Reload
	v_add3_u32 v6, v6, v84, v85
	v_mul_i32_i24_e32 v84, v31, v169
	scratch_load_b32 v169, off, off offset:408 th:TH_LOAD_LU ; 4-byte Folded Reload
	v_mul_i32_i24_e32 v85, v29, v253
	v_mul_i32_i24_e32 v29, v29, v196
	;; [unrolled: 1-line block ×3, first 2 shown]
	v_add3_u32 v7, v7, v83, v84
	v_mul_i32_i24_e32 v83, v128, v216
	v_mul_i32_i24_e32 v84, v129, v235
	v_mov_b32_e32 v235, v227
	v_mul_i32_i24_e32 v216, v154, v249
	v_mov_b32_e32 v249, v168
	s_wait_loadcnt 0x1
	v_mul_i32_i24_e32 v86, v5, v63
	scratch_load_b32 v5, off, off offset:216 th:TH_LOAD_LU ; 4-byte Folded Reload
	s_wait_loadcnt 0x0
	v_mul_i32_i24_e32 v87, v5, v64
	scratch_load_b32 v5, off, off offset:236 th:TH_LOAD_LU ; 4-byte Folded Reload
	v_add3_u32 v6, v6, v86, v87
	scratch_load_b32 v86, off, off offset:80 ; 4-byte Folded Reload
	v_mul_i32_i24_e32 v87, v34, v157
	v_mul_i32_i24_e32 v34, v37, v204
	s_wait_loadcnt 0x1
	v_mul_i32_i24_e32 v88, v5, v65
	scratch_load_b32 v5, off, off offset:232 th:TH_LOAD_LU ; 4-byte Folded Reload
	s_wait_loadcnt 0x1
	v_mul_i32_i24_e32 v86, v30, v86
	v_mul_i32_i24_e32 v30, v30, v192
	s_delay_alu instid0(VALU_DEP_2)
	v_add3_u32 v7, v7, v85, v86
	v_mul_i32_i24_e32 v85, v125, v227
	v_mul_i32_i24_e32 v86, v60, v239
	s_clause 0x1
	scratch_load_b32 v125, off, off offset:1464 th:TH_LOAD_LU
	scratch_load_b32 v60, off, off offset:1472 th:TH_LOAD_LU
	v_add3_u32 v12, v12, v29, v30
	v_mul_i32_i24_e32 v30, v62, v229
	v_mul_i32_i24_e32 v29, v61, v236
	v_mov_b32_e32 v227, v239
	v_mov_b32_e32 v239, v254
	s_wait_loadcnt 0x2
	v_mul_i32_i24_e32 v89, v5, v66
	scratch_load_b32 v5, off, off offset:228 th:TH_LOAD_LU ; 4-byte Folded Reload
	v_add3_u32 v6, v6, v88, v89
	scratch_load_b32 v88, off, off offset:84 ; 4-byte Folded Reload
	v_mul_i32_i24_e32 v89, v33, v169
	v_mul_i32_i24_e32 v33, v33, v206
	s_wait_loadcnt 0x1
	v_mul_i32_i24_e32 v90, v5, v67
	scratch_load_b32 v5, off, off offset:224 th:TH_LOAD_LU ; 4-byte Folded Reload
	s_wait_loadcnt 0x1
	v_mul_i32_i24_e32 v88, v32, v88
	v_mul_i32_i24_e32 v32, v32, v194
	s_delay_alu instid0(VALU_DEP_2) | instskip(SKIP_2) | instid1(VALU_DEP_4)
	v_add3_u32 v7, v7, v87, v88
	v_mul_i32_i24_e32 v87, v61, v242
	v_mul_i32_i24_e32 v88, v62, v244
	v_add3_u32 v12, v12, v31, v32
	v_mul_i32_i24_e32 v31, v63, v228
	s_clause 0x1
	scratch_load_b32 v62, off, off offset:1480 th:TH_LOAD_LU
	scratch_load_b32 v61, off, off offset:1476 th:TH_LOAD_LU
	v_mul_i32_i24_e32 v32, v64, v171
	v_add3_u32 v12, v12, v33, v34
	v_mul_i32_i24_e32 v33, v65, v238
	v_mul_i32_i24_e32 v34, v66, v233
	s_wait_loadcnt 0x2
	v_mul_i32_i24_e32 v91, v5, v68
	scratch_load_b32 v5, off, off offset:252 th:TH_LOAD_LU ; 4-byte Folded Reload
	v_add3_u32 v6, v6, v90, v91
	scratch_load_b32 v91, off, off offset:44 ; 4-byte Folded Reload
	v_mul_i32_i24_e32 v90, v37, v180
	scratch_load_b32 v180, off, off offset:412 th:TH_LOAD_LU ; 4-byte Folded Reload
	v_mul_i32_i24_e32 v37, v40, v195
	v_add3_u32 v7, v7, v89, v90
	v_mul_i32_i24_e32 v90, v64, v246
	scratch_load_b32 v246, off, off offset:908 th:TH_LOAD_LU ; 4-byte Folded Reload
	v_mul_i32_i24_e32 v89, v63, v243
	s_clause 0x1
	scratch_load_b32 v63, off, off offset:1484 th:TH_LOAD_LU
	scratch_load_b32 v64, off, off offset:1488 th:TH_LOAD_LU
	s_wait_loadcnt 0x5
	v_mul_i32_i24_e32 v92, v5, v69
	scratch_load_b32 v5, off, off offset:248 th:TH_LOAD_LU ; 4-byte Folded Reload
	s_wait_loadcnt 0x5
	v_mul_i32_i24_e32 v91, v35, v91
	v_mul_i32_i24_e32 v35, v35, v203
	s_wait_loadcnt 0x0
	v_mul_i32_i24_e32 v93, v5, v70
	scratch_load_b32 v5, off, off offset:244 th:TH_LOAD_LU ; 4-byte Folded Reload
	v_add3_u32 v6, v6, v92, v93
	scratch_load_b32 v93, off, off offset:96 ; 4-byte Folded Reload
	v_mul_i32_i24_e32 v92, v36, v182
	scratch_load_b32 v182, off, off offset:52 th:TH_LOAD_LU ; 4-byte Folded Reload
	v_mul_i32_i24_e32 v36, v36, v211
	v_mov_b32_e32 v211, v197
	v_add3_u32 v7, v7, v91, v92
	v_mul_i32_i24_e32 v92, v66, v250
	s_delay_alu instid0(VALU_DEP_4)
	v_add3_u32 v12, v12, v35, v36
	scratch_load_b32 v66, off, off offset:1496 th:TH_LOAD_LU ; 4-byte Folded Reload
	v_mul_i32_i24_e32 v35, v67, v232
	v_mul_i32_i24_e32 v36, v68, v174
	s_wait_loadcnt 0x3
	v_mul_i32_i24_e32 v94, v5, v71
	scratch_load_b32 v5, off, off offset:240 th:TH_LOAD_LU ; 4-byte Folded Reload
	s_wait_loadcnt 0x3
	v_mul_i32_i24_e32 v93, v40, v93
	v_mul_i32_i24_e32 v40, v43, v199
	s_wait_loadcnt 0x0
	v_mul_i32_i24_e32 v95, v5, v72
	scratch_load_b32 v5, off, off offset:444 th:TH_LOAD_LU ; 4-byte Folded Reload
	v_add3_u32 v6, v6, v94, v95
	v_mul_i32_i24_e32 v94, v38, v184
	scratch_load_b32 v184, off, off offset:56 th:TH_LOAD_LU ; 4-byte Folded Reload
	v_mul_i32_i24_e32 v95, v39, v180
	v_mul_i32_i24_e32 v38, v38, v185
	v_mul_i32_i24_e32 v39, v39, v207
	v_add3_u32 v7, v7, v93, v94
	v_mul_i32_i24_e32 v94, v68, v251
	scratch_load_b32 v68, off, off offset:1504 th:TH_LOAD_LU ; 4-byte Folded Reload
	v_add3_u32 v12, v12, v37, v38
	v_mul_i32_i24_e32 v37, v69, v183
	v_mul_i32_i24_e32 v38, v70, v237
	v_mov_b32_e32 v207, v199
	v_mov_b32_e32 v199, v190
	s_wait_loadcnt 0x2
	v_mul_i32_i24_e32 v96, v149, v5
	scratch_load_b32 v5, off, off offset:440 th:TH_LOAD_LU ; 4-byte Folded Reload
	s_wait_loadcnt 0x2
	v_mul_i32_i24_e32 v99, v42, v184
	v_mul_i32_i24_e32 v42, v42, v197
	v_mov_b32_e32 v197, v191
	s_wait_loadcnt 0x0
	v_mul_i32_i24_e32 v97, v148, v5
	scratch_load_b32 v5, off, off offset:448 th:TH_LOAD_LU ; 4-byte Folded Reload
	v_add3_u32 v6, v6, v96, v97
	scratch_load_b32 v96, off, off offset:48 ; 4-byte Folded Reload
	v_mul_i32_i24_e32 v97, v43, v182
	v_mul_i32_i24_e32 v43, v155, v217
	s_wait_loadcnt 0x1
	v_mul_i32_i24_e32 v5, v154, v5
	s_wait_loadcnt 0x0
	v_mul_i32_i24_e32 v96, v10, v96
	v_mul_i32_i24_e32 v10, v10, v202
	s_delay_alu instid0(VALU_DEP_2) | instskip(SKIP_2) | instid1(VALU_DEP_4)
	v_add3_u32 v7, v7, v95, v96
	v_mul_i32_i24_e32 v95, v69, v252
	v_mul_i32_i24_e32 v96, v70, v208
	v_add3_u32 v10, v12, v39, v10
	v_mul_i32_i24_e32 v12, v144, v191
	v_add3_u32 v7, v7, v97, v98
	v_mul_i32_i24_e32 v97, v71, v254
	v_mul_i32_i24_e32 v98, v72, v246
	;; [unrolled: 1-line block ×3, first 2 shown]
	v_mad_i32_i24 v11, v145, v167, v12
	v_add3_u32 v7, v7, v99, v100
	v_mul_i32_i24_e32 v99, v149, v212
	v_mul_i32_i24_e32 v100, v148, v214
	scratch_load_b32 v69, off, off offset:1508 th:TH_LOAD_LU ; 4-byte Folded Reload
	v_add3_u32 v12, v11, v16, v17
	v_mul_lo_u32 v7, v7, v8
	scratch_load_b32 v8, off, off offset:348 ; 4-byte Folded Reload
	v_mul_i32_i24_e32 v16, v139, v159
	v_mul_i32_i24_e32 v17, v137, v205
	scratch_load_b32 v70, off, off offset:1512 th:TH_LOAD_LU ; 4-byte Folded Reload
	v_add3_u32 v10, v10, v40, v41
	v_mul_i32_i24_e32 v40, v72, v163
	scratch_load_b32 v71, off, off offset:1516 th:TH_LOAD_LU ; 4-byte Folded Reload
	v_cvt_f32_i32_e32 v9, v7
	v_mul_i32_i24_e32 v7, v144, v226
	v_add3_u32 v12, v12, v16, v17
	v_mul_i32_i24_e32 v16, v125, v119
	v_mul_i32_i24_e32 v17, v124, v150
	scratch_load_b32 v119, off, off offset:1448 th:TH_LOAD_LU ; 4-byte Folded Reload
	v_mad_i32_i24 v7, v145, v76, v7
	v_mul_i32_i24_e32 v76, v137, v225
	v_add3_u32 v12, v12, v19, v20
	v_mul_i32_i24_e32 v19, v60, v151
	scratch_load_b32 v144, off, off offset:616 th:TH_LOAD_LU ; 4-byte Folded Reload
	v_dual_mov_b32 v131, v238 :: v_dual_mov_b32 v238, v255
	v_add3_u32 v12, v12, v21, v22
	s_clause 0x1
	scratch_load_b32 v255, off, off offset:1452 th:TH_LOAD_LU
	scratch_load_b32 v72, off, off offset:1520 th:TH_LOAD_LU
	v_add3_u32 v10, v10, v42, v43
	v_mul_i32_i24_e32 v41, v149, v164
	v_add3_u32 v12, v12, v23, v24
	v_mul_i32_i24_e32 v42, v148, v170
	v_mul_i32_i24_e32 v11, v154, v165
	v_mul_lo_u32 v10, v10, v209
	s_delay_alu instid0(VALU_DEP_4) | instskip(NEXT) | instid1(VALU_DEP_1)
	v_add3_u32 v12, v12, v25, v26
	v_add3_u32 v12, v12, v27, v28
	s_delay_alu instid0(VALU_DEP_3) | instskip(NEXT) | instid1(VALU_DEP_2)
	v_cvt_f32_i32_e32 v10, v10
	v_add3_u32 v12, v12, v29, v30
	s_delay_alu instid0(VALU_DEP_1) | instskip(NEXT) | instid1(VALU_DEP_1)
	v_add3_u32 v12, v12, v31, v32
	v_add3_u32 v12, v12, v33, v34
	s_delay_alu instid0(VALU_DEP_1) | instskip(NEXT) | instid1(VALU_DEP_1)
	v_add3_u32 v12, v12, v35, v36
	;; [unrolled: 3-line block ×3, first 2 shown]
	v_add3_u32 v12, v12, v41, v42
	s_wait_loadcnt 0x6
	v_mul_i32_i24_e32 v8, v142, v8
	v_mov_b32_e32 v142, v167
	scratch_load_b64 v[167:168], off, off offset:628 th:TH_LOAD_LU ; 8-byte Folded Reload
	v_add3_u32 v8, v7, v8, v75
	scratch_load_b32 v7, off, off offset:356 ; 4-byte Folded Reload
	v_mul_i32_i24_e32 v75, v139, v223
	s_delay_alu instid0(VALU_DEP_1)
	v_add3_u32 v8, v8, v75, v76
	s_clause 0x1
	scratch_load_b32 v75, off, off offset:1532 th:TH_LOAD_LU
	scratch_load_b32 v76, off, off offset:1536 th:TH_LOAD_LU
	s_wait_loadcnt 0x7
	v_mul_i32_i24_e32 v22, v119, v123
	s_wait_loadcnt 0x5
	v_mul_i32_i24_e32 v23, v255, v44
	;; [unrolled: 2-line block ×3, first 2 shown]
	scratch_load_b32 v7, off, off offset:40 ; 4-byte Folded Reload
	v_add3_u32 v8, v8, v77, v78
	s_clause 0x1
	scratch_load_b32 v78, off, off offset:1352 th:TH_LOAD_LU
	scratch_load_b32 v77, off, off offset:1540 th:TH_LOAD_LU
	s_wait_loadcnt 0x2
	v_mul_i32_i24_e32 v80, v136, v7
	scratch_load_b32 v7, off, off offset:828 ; 4-byte Folded Reload
	v_add3_u32 v8, v8, v79, v80
	s_wait_loadcnt 0x2
	v_mul_i32_i24_e32 v26, v78, v74
	s_clause 0x2
	scratch_load_b32 v74, off, off offset:1528 th:TH_LOAD_LU
	scratch_load_b32 v79, off, off offset:1356 th:TH_LOAD_LU
	;; [unrolled: 1-line block ×3, first 2 shown]
	v_add3_u32 v8, v8, v81, v82
	s_clause 0x1
	scratch_load_b32 v81, off, off offset:1364 th:TH_LOAD_LU
	scratch_load_b32 v82, off, off offset:1368 th:TH_LOAD_LU
	v_add3_u32 v8, v8, v83, v84
	s_clause 0x1
	scratch_load_b32 v83, off, off offset:1372 th:TH_LOAD_LU
	scratch_load_b32 v84, off, off offset:1376 th:TH_LOAD_LU
	;; [unrolled: 4-line block ×5, first 2 shown]
	s_wait_loadcnt 0xd
	v_mul_i32_i24_e32 v91, v65, v7
	s_clause 0x1
	scratch_load_b32 v7, off, off offset:832
	scratch_load_b32 v65, off, off offset:1492 th:TH_LOAD_LU
	v_add3_u32 v8, v8, v91, v92
	s_clause 0x1
	scratch_load_b32 v91, off, off offset:1404 th:TH_LOAD_LU
	scratch_load_b32 v92, off, off offset:1408 th:TH_LOAD_LU
	s_wait_loadcnt 0xf
	v_mul_i32_i24_e32 v27, v79, v102
	s_wait_loadcnt 0xe
	v_mul_i32_i24_e32 v28, v80, v126
	s_wait_loadcnt 0xd
	v_mul_i32_i24_e32 v29, v81, v104
	s_wait_loadcnt 0xc
	v_mul_i32_i24_e32 v30, v82, v105
	scratch_load_b32 v126, off, off offset:1584 th:TH_LOAD_LU ; 4-byte Folded Reload
	v_mov_b32_e32 v104, v255
	s_wait_loadcnt 0xc
	v_mul_i32_i24_e32 v31, v83, v106
	s_wait_loadcnt 0xb
	v_mul_i32_i24_e32 v32, v84, v107
	;; [unrolled: 2-line block ×4, first 2 shown]
	scratch_load_b32 v109, off, off offset:1576 th:TH_LOAD_LU ; 4-byte Folded Reload
	v_mov_b32_e32 v108, v125
	s_wait_loadcnt 0x9
	v_mul_i32_i24_e32 v35, v87, v110
	s_wait_loadcnt 0x8
	v_mul_i32_i24_e32 v36, v88, v111
	v_mov_b32_e32 v110, v124
	s_wait_loadcnt 0x7
	v_mul_i32_i24_e32 v37, v89, v112
	scratch_load_b32 v112, off, off offset:1560 th:TH_LOAD_LU ; 4-byte Folded Reload
	s_wait_loadcnt 0x7
	v_mul_i32_i24_e32 v38, v90, v140
	s_wait_loadcnt 0x6
	v_mul_i32_i24_e32 v93, v67, v7
	scratch_load_b32 v67, off, off offset:1500 th:TH_LOAD_LU ; 4-byte Folded Reload
	v_add3_u32 v8, v8, v93, v94
	s_clause 0x1
	scratch_load_b32 v93, off, off offset:1412 th:TH_LOAD_LU
	scratch_load_b32 v94, off, off offset:1416 th:TH_LOAD_LU
	s_wait_loadcnt 0x7
	v_mul_i32_i24_e32 v39, v91, v141
	s_wait_loadcnt 0x6
	v_mul_i32_i24_e32 v40, v92, v113
	v_add3_u32 v8, v8, v95, v96
	s_clause 0x2
	scratch_load_b32 v95, off, off offset:1420 th:TH_LOAD_LU
	scratch_load_b32 v96, off, off offset:1424 th:TH_LOAD_LU
	;; [unrolled: 1-line block ×3, first 2 shown]
	v_add3_u32 v8, v8, v97, v98
	s_clause 0x1
	scratch_load_b32 v98, off, off offset:1432 th:TH_LOAD_LU
	scratch_load_b32 v97, off, off offset:1428 th:TH_LOAD_LU
	v_add3_u32 v210, v8, v99, v100
	s_clause 0x2
	scratch_load_b64 v[7:8], off, off offset:620 th:TH_LOAD_LU
	scratch_load_b32 v99, off, off offset:1436 th:TH_LOAD_LU
	scratch_load_b32 v100, off, off offset:1440 th:TH_LOAD_LU
	s_wait_loadcnt 0x9
	v_mul_i32_i24_e32 v41, v93, v114
	s_wait_loadcnt 0x8
	v_mul_i32_i24_e32 v42, v94, v116
	scratch_load_b32 v116, off, off offset:1568 th:TH_LOAD_LU ; 4-byte Folded Reload
	s_wait_loadcnt 0x8
	v_mul_i32_i24_e32 v43, v95, v146
	s_wait_loadcnt 0x7
	v_mul_i32_i24_e32 v44, v96, v147
	s_wait_loadcnt 0x5
	v_mad_i32_i24 v16, v98, v118, v16
	scratch_load_b32 v118, off, off offset:1572 th:TH_LOAD_LU ; 4-byte Folded Reload
	v_add3_u32 v17, v16, v17, v19
	s_wait_loadcnt 0x3
	v_mul_i32_i24_e32 v19, v99, v120
	scratch_load_b32 v120, off, off offset:1456 th:TH_LOAD_LU ; 4-byte Folded Reload
	s_wait_loadcnt 0x3
	v_mul_i32_i24_e32 v20, v100, v121
	scratch_load_b32 v121, off, off offset:1444 th:TH_LOAD_LU ; 4-byte Folded Reload
	v_mul_i32_i24_e32 v16, v97, v117
	scratch_load_b32 v117, off, off offset:1580 th:TH_LOAD_LU ; 4-byte Folded Reload
	v_add3_u32 v17, v17, v19, v20
	v_mul_i32_i24_e32 v19, v75, v57
	v_mul_i32_i24_e32 v20, v76, v3
	v_ashrrev_i32_e32 v3, 24, v179
	v_mov_b32_e32 v57, v72
	s_delay_alu instid0(VALU_DEP_4)
	v_mad_i32_i24 v19, v74, v101, v19
	scratch_load_b32 v101, off, off offset:1544 th:TH_LOAD_LU ; 4-byte Folded Reload
	s_wait_loadcnt 0x3
	v_mul_i32_i24_e32 v24, v120, v59
	scratch_load_b32 v59, off, off offset:1460 th:TH_LOAD_LU ; 4-byte Folded Reload
	s_wait_loadcnt 0x3
	v_mul_i32_i24_e32 v21, v121, v122
	v_mov_b32_e32 v111, v60
	v_dual_mov_b32 v105, v120 :: v_dual_mov_b32 v102, v121
	s_delay_alu instid0(VALU_DEP_3) | instskip(SKIP_1) | instid1(VALU_DEP_2)
	v_add3_u32 v17, v17, v21, v22
	v_mul_i32_i24_e32 v21, v77, v58
	v_add3_u32 v17, v17, v23, v24
	v_mul_i32_i24_e32 v24, v63, v115
	scratch_load_b32 v115, off, off offset:1548 th:TH_LOAD_LU ; 4-byte Folded Reload
	v_mul_i32_i24_e32 v23, v62, v48
	scratch_load_b32 v48, off, off offset:1564 th:TH_LOAD_LU ; 4-byte Folded Reload
	v_add3_u32 v19, v19, v20, v21
	v_mul_i32_i24_e32 v20, v61, v45
	v_mul_i32_i24_e32 v45, v126, v18
	;; [unrolled: 1-line block ×3, first 2 shown]
	s_delay_alu instid0(VALU_DEP_3)
	v_add3_u32 v19, v19, v20, v23
	s_wait_loadcnt 0x2
	v_mul_i32_i24_e32 v25, v59, v73
	scratch_load_b32 v73, off, off offset:1524 th:TH_LOAD_LU ; 4-byte Folded Reload
	v_mov_b32_e32 v106, v59
	v_add3_u32 v17, v17, v25, v26
	v_mul_i32_i24_e32 v25, v64, v13
	v_mul_i32_i24_e32 v26, v65, v176
	s_delay_alu instid0(VALU_DEP_3) | instskip(SKIP_1) | instid1(VALU_DEP_4)
	v_add3_u32 v17, v17, v27, v28
	v_mul_i32_i24_e32 v27, v66, v49
	v_add3_u32 v19, v19, v24, v25
	v_mul_i32_i24_e32 v28, v67, v143
	scratch_load_b32 v49, off, off offset:1592 th:TH_LOAD_LU ; 4-byte Folded Reload
	v_add3_u32 v17, v17, v29, v30
	v_mul_i32_i24_e32 v29, v68, v103
	v_add3_u32 v19, v19, v26, v27
	v_mul_i32_i24_e32 v30, v69, v50
	v_mov_b32_e32 v103, v119
	v_add3_u32 v17, v17, v31, v32
	v_mul_i32_i24_e32 v31, v70, v51
	v_add3_u32 v19, v19, v28, v29
	v_mul_i32_i24_e32 v32, v71, v127
	v_mul_i32_i24_e32 v27, v97, v184
	v_add3_u32 v17, v17, v33, v34
	v_mul_i32_i24_e32 v33, v72, v1
	v_add3_u32 v19, v19, v30, v31
	s_wait_loadcnt 0x3
	v_mov_b32_e32 v60, v115
	v_add3_u32 v17, v17, v35, v36
	v_mul_i32_i24_e32 v35, v101, v53
	scratch_load_b32 v53, off, off offset:1556 th:TH_LOAD_LU ; 4-byte Folded Reload
	v_add3_u32 v19, v19, v32, v33
	v_mul_i32_i24_e32 v36, v115, v132
	v_add3_u32 v17, v17, v37, v38
	s_delay_alu instid0(VALU_DEP_1) | instskip(SKIP_3) | instid1(VALU_DEP_3)
	v_add3_u32 v17, v17, v39, v40
	v_mul_i32_i24_e32 v39, v112, v138
	s_wait_loadcnt 0x3
	v_mul_i32_i24_e32 v40, v48, v135
	v_add3_u32 v17, v17, v41, v42
	v_mul_i32_i24_e32 v41, v116, v15
	v_mul_i32_i24_e32 v42, v118, v55
	v_dual_mov_b32 v55, v70 :: v_dual_mov_b32 v70, v113
	s_delay_alu instid0(VALU_DEP_4)
	v_add3_u32 v17, v17, v43, v44
	v_mul_i32_i24_e32 v43, v109, v56
	v_mul_i32_i24_e32 v44, v117, v0
	v_mov_b32_e32 v56, v71
	s_wait_loadcnt 0x2
	v_mul_i32_i24_e32 v34, v73, v52
	scratch_load_b32 v52, off, off offset:1552 th:TH_LOAD_LU ; 4-byte Folded Reload
	v_mov_b32_e32 v58, v73
	v_add3_u32 v19, v19, v34, v35
	v_dual_mov_b32 v34, v62 :: v_dual_mov_b32 v35, v63
	v_mov_b32_e32 v63, v112
	s_wait_loadcnt 0x2
	v_mul_i32_i24_e32 v22, v49, v47
	v_mov_b32_e32 v71, v49
	s_wait_loadcnt 0x1
	v_mul_i32_i24_e32 v38, v53, v54
	v_mov_b32_e32 v54, v69
	v_mov_b32_e32 v62, v53
	s_wait_loadcnt 0x0
	v_mul_i32_i24_e32 v37, v52, v14
	s_delay_alu instid0(VALU_DEP_1) | instskip(SKIP_2) | instid1(VALU_DEP_3)
	v_add3_u32 v19, v19, v36, v37
	v_dual_mov_b32 v36, v64 :: v_dual_mov_b32 v37, v65
	v_dual_mov_b32 v64, v48 :: v_dual_mov_b32 v65, v116
	v_add3_u32 v19, v19, v38, v39
	v_dual_mov_b32 v38, v66 :: v_dual_mov_b32 v39, v67
	v_mov_b32_e32 v66, v118
	s_delay_alu instid0(VALU_DEP_3) | instskip(SKIP_1) | instid1(VALU_DEP_2)
	v_add3_u32 v19, v19, v40, v41
	v_dual_mov_b32 v41, v68 :: v_dual_mov_b32 v68, v117
	v_add3_u32 v19, v19, v42, v43
	s_clause 0x1
	scratch_load_b32 v43, off, off offset:604 th:TH_LOAD_LU
	scratch_load_b32 v254, off, off offset:600 th:TH_LOAD_LU
	v_add3_u32 v23, v19, v44, v45
	s_clause 0x5
	scratch_load_b32 v44, off, off offset:612 th:TH_LOAD_LU
	scratch_load_b32 v143, off, off offset:608 th:TH_LOAD_LU
	scratch_load_b32 v0, off, off offset:776 th:TH_LOAD_LU
	scratch_load_b32 v28, off, off offset:1248 th:TH_LOAD_LU
	scratch_load_b64 v[31:32], off, off offset:1260 th:TH_LOAD_LU
	scratch_load_b64 v[24:25], off, off offset:1240 th:TH_LOAD_LU
	v_add3_u32 v21, v23, v21, v22
	v_dual_mov_b32 v191, v200 :: v_dual_mov_b32 v200, v232
	v_mul_i32_i24_e32 v23, v93, v180
	v_mov_b32_e32 v69, v126
	s_wait_loadcnt 0x3
	v_mul_i32_i24_e32 v13, v155, v0
	s_wait_loadcnt 0x2
	v_mul_i32_i24_e32 v19, v28, v0
	scratch_load_b32 v0, off, off offset:780 th:TH_LOAD_LU ; 4-byte Folded Reload
	v_mov_b32_e32 v107, v28
	v_add3_u32 v13, v156, v158, v13
	v_add3_u32 v16, v17, v16, v19
	s_wait_loadcnt 0x0
	s_delay_alu instid0(VALU_DEP_2) | instskip(NEXT) | instid1(VALU_DEP_2)
	v_mul_lo_u32 v13, v13, v0
	v_mul_lo_u32 v14, v16, v0
	scratch_load_b32 v0, off, off offset:340 th:TH_LOAD_LU ; 4-byte Folded Reload
	v_cvt_f32_i32_e32 v13, v13
	v_cvt_f32_i32_e32 v14, v14
	s_delay_alu instid0(VALU_DEP_2) | instskip(NEXT) | instid1(VALU_DEP_2)
	v_fma_mix_f32 v13, v24, v13, 0 op_sel_hi:[1,0,0]
	v_fma_mix_f32 v15, v31, v14, 0 op_sel_hi:[1,0,0]
	s_wait_loadcnt 0x0
	v_fma_mix_f32 v14, v0, v31, 0 op_sel:[0,1,0] op_sel_hi:[0,1,0]
	v_fma_mix_f32 v16, v0, v24, 0 op_sel:[0,1,0] op_sel_hi:[0,1,0]
	s_clause 0x1
	scratch_load_b32 v29, off, off offset:1252 th:TH_LOAD_LU
	scratch_load_b32 v0, off, off offset:336 th:TH_LOAD_LU
	s_wait_loadcnt 0x1
	v_dual_mov_b32 v59, v101 :: v_dual_mov_b32 v72, v29
	s_wait_loadcnt 0x0
	v_mul_i32_i24_e32 v17, v29, v0
	v_mul_i32_i24_e32 v18, v154, v0
	s_clause 0xe
	scratch_load_b32 v30, off, off offset:1256 th:TH_LOAD_LU
	scratch_load_b32 v0, off, off offset:344 th:TH_LOAD_LU
	;; [unrolled: 1-line block ×6, first 2 shown]
	scratch_load_b32 v128, off, off offset:428
	scratch_load_b32 v114, off, off offset:424
	scratch_load_b32 v26, off, off th:TH_LOAD_LU
	scratch_load_b32 v33, off, off offset:956 th:TH_LOAD_LU
	scratch_load_b32 v232, off, off offset:928
	scratch_load_b32 v151, off, off offset:920
	scratch_load_b32 v22, off, off offset:380 th:TH_LOAD_LU
	scratch_load_b32 v28, off, off offset:72 th:TH_LOAD_LU
	;; [unrolled: 1-line block ×3, first 2 shown]
	v_mov_b32_e32 v67, v109
	s_wait_loadcnt 0xe
	v_mov_b32_e32 v73, v30
	s_wait_loadcnt 0xd
	v_mul_i32_i24_e32 v19, v0, v30
	v_mul_i32_i24_e32 v20, v0, v3
	v_add3_u32 v0, v2, v178, v177
	scratch_load_b32 v2, off, off offset:260 th:TH_LOAD_LU ; 4-byte Folded Reload
	v_add3_u32 v1, v21, v17, v19
	s_clause 0x1
	scratch_load_b32 v19, off, off offset:44 th:TH_LOAD_LU
	scratch_load_b32 v21, off, off offset:96 th:TH_LOAD_LU
	v_add3_u32 v0, v0, v18, v20
	v_dual_mov_b32 v17, v24 :: v_dual_mov_b32 v18, v25
	s_clause 0x1
	scratch_load_b32 v20, off, off offset:92 th:TH_LOAD_LU
	scratch_load_b32 v24, off, off offset:48 th:TH_LOAD_LU
	s_wait_loadcnt 0x7
	v_mul_i32_i24_e32 v22, v92, v22
	v_mul_i32_i24_e32 v25, v95, v182
	;; [unrolled: 1-line block ×3, first 2 shown]
	s_wait_loadcnt 0x6
	v_mul_i32_i24_e32 v28, v107, v28
	s_wait_loadcnt 0x5
	v_mul_i32_i24_e32 v29, v72, v29
	s_wait_loadcnt 0x4
	v_mul_lo_u32 v0, v0, v2
	v_mul_lo_u32 v1, v1, v2
	s_wait_loadcnt 0x3
	v_mul_i32_i24_e32 v19, v89, v19
	s_wait_loadcnt 0x2
	v_mul_i32_i24_e32 v21, v91, v21
	s_delay_alu instid0(VALU_DEP_4) | instskip(NEXT) | instid1(VALU_DEP_4)
	v_cvt_f32_i32_e32 v0, v0
	v_cvt_f32_i32_e32 v1, v1
	s_wait_loadcnt 0x1
	v_mul_i32_i24_e32 v20, v90, v20
	s_wait_loadcnt 0x0
	v_mul_i32_i24_e32 v24, v94, v24
	v_fma_mix_f32 v0, v18, v0, v13 op_sel_hi:[1,0,0]
	scratch_load_b32 v13, off, off offset:256 th:TH_LOAD_LU ; 4-byte Folded Reload
	v_fma_mix_f32 v1, v32, v1, v15 op_sel_hi:[1,0,0]
	v_mul_i32_i24_e32 v15, v85, v157
	s_wait_loadcnt 0x0
	v_fma_mix_f32 v2, v13, v18, v16 op_sel:[0,1,0] op_sel_hi:[0,1,0]
	v_fma_mix_f32 v13, v13, v32, v14 op_sel:[0,1,0] op_sel_hi:[0,1,0]
	s_clause 0x1
	scratch_load_b32 v14, off, off offset:436
	scratch_load_b32 v16, off, off offset:84 th:TH_LOAD_LU
	s_wait_loadcnt 0x1
	v_mul_f32_e32 v13, v13, v14
	scratch_load_b32 v14, off, off offset:420 ; 4-byte Folded Reload
	v_mov_b32_e32 v137, v205
	s_wait_loadcnt 0x1
	v_mul_i32_i24_e32 v16, v86, v16
	s_wait_loadcnt 0x0
	v_mul_f32_e32 v2, v2, v14
	scratch_load_b32 v14, off, off offset:416 ; 4-byte Folded Reload
	s_wait_loadcnt 0x0
	v_fma_f32 v0, v0, v14, -v2
	s_clause 0x1
	scratch_load_b32 v2, off, off offset:432
	scratch_load_b32 v14, off, off offset:80 th:TH_LOAD_LU
	v_add_f32_e32 v167, v167, v0
	scratch_load_b32 v0, off, off offset:1236 th:TH_LOAD_LU ; 4-byte Folded Reload
	s_wait_loadcnt 0x1
	v_mul_i32_i24_e32 v14, v84, v14
	s_wait_loadcnt 0x0
	v_add_f32_e32 v8, v8, v0
	v_fma_f32 v1, v1, v2, -v13
	scratch_load_b32 v13, off, off offset:936 th:TH_LOAD_LU ; 4-byte Folded Reload
	v_fma_mix_f32 v2, v17, v4, 0 op_sel_hi:[1,0,0]
	scratch_load_b32 v4, off, off offset:932 th:TH_LOAD_LU ; 4-byte Folded Reload
	v_dual_mov_b32 v209, v233 :: v_dual_add_f32 v168, v168, v1
	s_clause 0x2
	scratch_load_b32 v233, off, off offset:452 th:TH_LOAD_LU
	scratch_load_b32 v0, off, off offset:1232 th:TH_LOAD_LU
	;; [unrolled: 1-line block ×3, first 2 shown]
	s_wait_loadcnt 0x4
	v_mul_i32_i24_e32 v13, v13, v3
	s_wait_loadcnt 0x3
	v_fma_mix_f32 v4, v4, v17, 0 op_sel:[0,1,0] op_sel_hi:[0,1,0]
	s_delay_alu instid0(VALU_DEP_2)
	v_add3_u32 v5, v6, v5, v13
	scratch_load_b32 v6, off, off offset:944 th:TH_LOAD_LU ; 4-byte Folded Reload
	s_wait_loadcnt 0x2
	v_add_f32_e32 v7, v7, v0
	scratch_load_b32 v0, off, off offset:824 th:TH_LOAD_LU ; 4-byte Folded Reload
	v_mov_b32_e32 v205, v228
	s_wait_loadcnt 0x2
	v_mul_i32_i24_e32 v1, v110, v1
	v_dual_mov_b32 v51, v8 :: v_dual_mov_b32 v50, v7
	s_clause 0x1
	scratch_load_b32 v7, off, off offset:36 th:TH_LOAD_LU
	scratch_load_b32 v8, off, off offset:364 th:TH_LOAD_LU
	v_mul_i32_i24_e32 v13, v83, v253
	v_mul_i32_i24_e32 v30, v233, v73
	s_wait_loadcnt 0x3
	v_mul_lo_u32 v5, v5, v6
	scratch_load_b32 v6, off, off offset:32 th:TH_LOAD_LU ; 4-byte Folded Reload
	s_wait_loadcnt 0x3
	v_mul_i32_i24_e32 v0, v108, v0
	s_wait_loadcnt 0x2
	v_mul_i32_i24_e32 v7, v106, v7
	v_cvt_f32_i32_e32 v5, v5
	s_wait_loadcnt 0x1
	v_mul_i32_i24_e32 v8, v78, v8
	s_delay_alu instid0(VALU_DEP_2)
	v_fma_mix_f32 v2, v18, v5, v2 op_sel_hi:[1,0,0]
	scratch_load_b32 v5, off, off offset:940 th:TH_LOAD_LU ; 4-byte Folded Reload
	s_wait_loadcnt 0x1
	v_mul_i32_i24_e32 v6, v105, v6
	s_wait_loadcnt 0x0
	v_fma_mix_f32 v4, v5, v18, v4 op_sel:[0,1,0] op_sel_hi:[0,1,0]
	scratch_load_b32 v5, off, off offset:924 ; 4-byte Folded Reload
	s_wait_loadcnt 0x0
	v_dual_mov_b32 v139, v162 :: v_dual_mul_f32 v4, v4, v5
	scratch_load_b32 v5, off, off offset:916 ; 4-byte Folded Reload
	s_wait_loadcnt 0x0
	v_fma_f32 v2, v2, v5, -v4
	v_mul_i32_i24_e32 v5, v233, v3
	v_fma_mix_f32 v4, v33, v17, 0 op_sel:[0,1,0] op_sel_hi:[0,1,0]
	v_mul_i32_i24_e32 v3, v3, v40
	s_delay_alu instid0(VALU_DEP_4) | instskip(NEXT) | instid1(VALU_DEP_4)
	v_dual_mov_b32 v133, v161 :: v_dual_add_f32 v254, v254, v2
	v_add3_u32 v5, v210, v216, v5
	s_clause 0x1
	scratch_load_b32 v216, off, off offset:952 th:TH_LOAD_LU
	scratch_load_b32 v210, off, off offset:948 th:TH_LOAD_LU
	v_fma_mix_f32 v2, v17, v9, 0 op_sel_hi:[1,0,0]
	v_add3_u32 v3, v12, v11, v3
	s_clause 0x2
	scratch_load_b32 v9, off, off offset:368 th:TH_LOAD_LU
	scratch_load_b32 v11, off, off offset:76 th:TH_LOAD_LU
	;; [unrolled: 1-line block ×3, first 2 shown]
	v_mul_lo_u32 v3, v3, v46
	s_delay_alu instid0(VALU_DEP_1)
	v_cvt_f32_i32_e32 v3, v3
	s_wait_loadcnt 0x4
	v_mul_lo_u32 v5, v5, v216
	s_wait_loadcnt 0x3
	v_fma_mix_f32 v4, v210, v18, v4 op_sel:[0,1,0] op_sel_hi:[0,1,0]
	v_mov_b32_e32 v161, v230
	s_wait_loadcnt 0x2
	v_mul_i32_i24_e32 v9, v79, v9
	s_wait_loadcnt 0x1
	v_mul_i32_i24_e32 v11, v81, v11
	v_mul_f32_e32 v4, v4, v232
	s_wait_loadcnt 0x0
	v_mul_i32_i24_e32 v12, v82, v12
	v_cvt_f32_i32_e32 v5, v5
	s_delay_alu instid0(VALU_DEP_1) | instskip(SKIP_3) | instid1(VALU_DEP_2)
	v_fma_mix_f32 v2, v18, v5, v2 op_sel_hi:[1,0,0]
	scratch_load_b32 v5, off, off offset:28 th:TH_LOAD_LU ; 4-byte Folded Reload
	v_fma_f32 v2, v2, v151, -v4
	v_fma_mix_f32 v4, v17, v42, 0 op_sel:[1,0,0] op_sel_hi:[1,0,0]
	v_add_f32_e32 v143, v143, v2
	v_fma_mix_f32 v2, v17, v10, 0 op_sel_hi:[1,0,0]
	scratch_load_b32 v10, off, off offset:372 th:TH_LOAD_LU ; 4-byte Folded Reload
	v_mul_i32_i24_e32 v17, v87, v169
	v_fma_mix_f32 v2, v18, v3, v2 op_sel_hi:[1,0,0]
	v_fma_mix_f32 v3, v18, v190, v4 op_sel:[1,0,0] op_sel_hi:[1,0,0]
	s_clause 0x1
	scratch_load_b32 v4, off, off offset:24 th:TH_LOAD_LU
	scratch_load_b32 v18, off, off offset:88 th:TH_LOAD_LU
	v_mul_f32_e32 v3, v3, v128
	s_delay_alu instid0(VALU_DEP_1)
	v_fma_f32 v2, v2, v114, -v3
	scratch_load_b32 v3, off, off offset:4 th:TH_LOAD_LU ; 4-byte Folded Reload
	v_add_f32_e32 v228, v144, v2
	scratch_load_b32 v2, off, off offset:8 th:TH_LOAD_LU ; 4-byte Folded Reload
	s_wait_loadcnt 0x5
	v_mul_i32_i24_e32 v5, v104, v5
	s_wait_loadcnt 0x4
	v_mul_i32_i24_e32 v10, v80, v10
	;; [unrolled: 2-line block ×4, first 2 shown]
	s_wait_loadcnt 0x1
	v_mad_i32_i24 v0, v98, v3, v0
	scratch_load_b32 v3, off, off offset:20 th:TH_LOAD_LU ; 4-byte Folded Reload
	s_wait_loadcnt 0x1
	v_mul_i32_i24_e32 v2, v111, v2
	s_delay_alu instid0(VALU_DEP_1)
	v_add3_u32 v0, v0, v1, v2
	s_clause 0x1
	scratch_load_b32 v1, off, off offset:12 th:TH_LOAD_LU
	scratch_load_b32 v2, off, off offset:16 th:TH_LOAD_LU
	s_wait_loadcnt 0x2
	v_mul_i32_i24_e32 v3, v102, v3
	s_wait_loadcnt 0x1
	v_mul_i32_i24_e32 v1, v99, v1
	;; [unrolled: 2-line block ×3, first 2 shown]
	s_delay_alu instid0(VALU_DEP_1)
	v_add3_u32 v0, v0, v1, v2
	scratch_load_b32 v1, off, off offset:836 th:TH_LOAD_LU ; 4-byte Folded Reload
	v_mul_i32_i24_e32 v2, v75, v226
	v_add3_u32 v0, v0, v3, v4
	scratch_load_b32 v3, off, off offset:348 th:TH_LOAD_LU ; 4-byte Folded Reload
	v_mul_i32_i24_e32 v4, v77, v218
	v_add3_u32 v0, v0, v5, v6
	s_clause 0x1
	scratch_load_b32 v5, off, off offset:352 th:TH_LOAD_LU
	scratch_load_b32 v6, off, off offset:356 th:TH_LOAD_LU
	v_add3_u32 v0, v0, v7, v8
	scratch_load_b32 v8, off, off offset:40 th:TH_LOAD_LU ; 4-byte Folded Reload
	v_mul_i32_i24_e32 v7, v37, v245
	v_add3_u32 v0, v0, v9, v10
	scratch_load_b32 v10, off, off offset:64 th:TH_LOAD_LU ; 4-byte Folded Reload
	v_mul_i32_i24_e32 v9, v39, v247
	v_add3_u32 v0, v0, v11, v12
	s_clause 0x1
	scratch_load_b32 v11, off, off offset:68 th:TH_LOAD_LU
	scratch_load_b32 v12, off, off offset:360 th:TH_LOAD_LU
	v_add3_u32 v0, v0, v13, v14
	v_mul_i32_i24_e32 v13, v56, v235
	v_mul_i32_i24_e32 v14, v57, v227
	s_delay_alu instid0(VALU_DEP_3) | instskip(SKIP_2) | instid1(VALU_DEP_3)
	v_add3_u32 v0, v0, v15, v16
	v_mul_i32_i24_e32 v15, v58, v242
	v_mul_i32_i24_e32 v16, v59, v244
	v_add3_u32 v0, v0, v17, v18
	scratch_load_b32 v18, off, off offset:1060 th:TH_LOAD_LU ; 4-byte Folded Reload
	v_mul_i32_i24_e32 v17, v60, v243
	v_add3_u32 v0, v0, v19, v20
	scratch_load_b32 v19, off, off offset:828 th:TH_LOAD_LU ; 4-byte Folded Reload
	;; [unrolled: 3-line block ×3, first 2 shown]
	v_mul_i32_i24_e32 v22, v65, v251
	v_add3_u32 v0, v0, v23, v24
	v_mul_i32_i24_e32 v23, v66, v252
	v_mul_i32_i24_e32 v24, v67, v208
	s_delay_alu instid0(VALU_DEP_3) | instskip(SKIP_2) | instid1(VALU_DEP_3)
	v_add3_u32 v0, v0, v25, v26
	v_mul_i32_i24_e32 v25, v68, v239
	v_mul_i32_i24_e32 v26, v69, v246
	v_add3_u32 v0, v0, v27, v28
	v_mul_i32_i24_e32 v27, v70, v212
	v_mul_i32_i24_e32 v28, v71, v214
	s_wait_loadcnt 0xa
	s_delay_alu instid0(VALU_DEP_3)
	v_mul_lo_u32 v0, v0, v1
	v_fma_mix_f32 v1, v33, v31, 0 op_sel:[0,1,0] op_sel_hi:[0,1,0]
	v_mov_b32_e32 v33, v61
	v_mov_b32_e32 v61, v52
	s_wait_loadcnt 0x9
	v_mul_i32_i24_e32 v3, v76, v3
	v_fma_mix_f32 v1, v210, v32, v1 op_sel:[0,1,0] op_sel_hi:[0,1,0]
	v_cvt_f32_i32_e32 v0, v0
	s_wait_loadcnt 0x8
	v_mad_i32_i24 v2, v74, v5, v2
	v_mul_i32_i24_e32 v5, v35, v224
	s_wait_loadcnt 0x7
	v_mul_i32_i24_e32 v6, v36, v6
	v_fma_mix_f32 v0, v31, v0, 0 op_sel_hi:[1,0,0]
	v_mul_f32_e32 v1, v1, v232
	v_add3_u32 v2, v2, v3, v4
	v_mul_i32_i24_e32 v3, v33, v223
	v_mul_i32_i24_e32 v4, v34, v225
	s_wait_loadcnt 0x6
	v_mul_i32_i24_e32 v8, v38, v8
	s_wait_loadcnt 0x5
	v_mul_i32_i24_e32 v10, v41, v10
	v_add3_u32 v2, v2, v3, v4
	v_mul_i32_i24_e32 v3, v102, v187
	v_mul_i32_i24_e32 v4, v103, v240
	s_wait_loadcnt 0x4
	v_mul_i32_i24_e32 v11, v54, v11
	s_wait_loadcnt 0x3
	v_mul_i32_i24_e32 v12, v55, v12
	v_add3_u32 v2, v2, v5, v6
	s_clause 0x1
	scratch_load_b32 v5, off, off offset:808 th:TH_LOAD_LU
	scratch_load_b32 v6, off, off offset:812 th:TH_LOAD_LU
	v_add3_u32 v2, v2, v7, v8
	scratch_load_b32 v7, off, off offset:816 th:TH_LOAD_LU ; 4-byte Folded Reload
	v_mul_i32_i24_e32 v8, v78, v249
	v_add3_u32 v2, v2, v9, v10
	v_mul_i32_i24_e32 v9, v79, v213
	v_mul_i32_i24_e32 v10, v80, v201
	s_wait_loadcnt 0x5
	v_mul_i32_i24_e32 v18, v61, v18
	v_add3_u32 v2, v2, v11, v12
	v_mul_i32_i24_e32 v11, v81, v188
	v_mul_i32_i24_e32 v12, v82, v241
	s_wait_loadcnt 0x4
	;; [unrolled: 5-line block ×3, first 2 shown]
	v_mul_i32_i24_e32 v21, v64, v21
	v_add3_u32 v2, v2, v15, v16
	v_mul_i32_i24_e32 v15, v85, v193
	v_mul_i32_i24_e32 v16, v86, v194
	s_delay_alu instid0(VALU_DEP_3) | instskip(SKIP_2) | instid1(VALU_DEP_3)
	v_add3_u32 v2, v2, v17, v18
	v_mul_i32_i24_e32 v17, v87, v206
	v_mul_i32_i24_e32 v18, v88, v204
	v_add3_u32 v2, v2, v19, v20
	v_mul_i32_i24_e32 v19, v89, v203
	v_mul_i32_i24_e32 v20, v90, v152
	s_delay_alu instid0(VALU_DEP_3) | instskip(SKIP_2) | instid1(VALU_DEP_3)
	v_add3_u32 v2, v2, v21, v22
	v_mul_i32_i24_e32 v21, v91, v195
	;; [unrolled: 7-line block ×4, first 2 shown]
	v_mul_i32_i24_e32 v30, v34, v137
	v_mul_lo_u32 v2, v2, v216
	s_delay_alu instid0(VALU_DEP_1) | instskip(NEXT) | instid1(VALU_DEP_1)
	v_cvt_f32_i32_e32 v2, v2
	v_fma_mix_f32 v0, v32, v2, v0 op_sel_hi:[1,0,0]
	v_mul_i32_i24_e32 v2, v111, v248
	s_delay_alu instid0(VALU_DEP_2) | instskip(SKIP_1) | instid1(VALU_DEP_2)
	v_fma_f32 v0, v0, v151, -v1
	v_mul_i32_i24_e32 v1, v110, v215
	v_add_f32_e32 v118, v43, v0
	v_mul_i32_i24_e32 v0, v108, v222
	s_delay_alu instid0(VALU_DEP_1) | instskip(NEXT) | instid1(VALU_DEP_1)
	v_mad_i32_i24 v0, v98, v219, v0
	v_add3_u32 v0, v0, v1, v2
	v_mul_i32_i24_e32 v1, v99, v220
	v_mul_i32_i24_e32 v2, v100, v221
	s_delay_alu instid0(VALU_DEP_1) | instskip(SKIP_1) | instid1(VALU_DEP_2)
	v_add3_u32 v0, v0, v1, v2
	v_mul_i32_i24_e32 v2, v75, v197
	v_add3_u32 v0, v0, v3, v4
	v_mul_i32_i24_e32 v3, v76, v160
	v_mul_i32_i24_e32 v4, v77, v191
	s_delay_alu instid0(VALU_DEP_4)
	v_mad_i32_i24 v2, v74, v142, v2
	s_wait_loadcnt 0x2
	v_mul_i32_i24_e32 v5, v104, v5
	s_wait_loadcnt 0x1
	v_mul_i32_i24_e32 v6, v105, v6
	;; [unrolled: 2-line block ×3, first 2 shown]
	s_delay_alu instid0(VALU_DEP_2) | instskip(SKIP_2) | instid1(VALU_DEP_3)
	v_add3_u32 v0, v0, v5, v6
	v_mul_i32_i24_e32 v6, v68, v238
	v_mul_i32_i24_e32 v5, v71, v170
	v_add3_u32 v0, v0, v7, v8
	v_mul_i32_i24_e32 v8, v66, v183
	v_mul_i32_i24_e32 v7, v69, v163
	s_delay_alu instid0(VALU_DEP_3) | instskip(SKIP_1) | instid1(VALU_DEP_2)
	v_add3_u32 v0, v0, v9, v10
	v_mul_i32_i24_e32 v10, v64, v200
	v_add3_u32 v0, v0, v11, v12
	v_mul_i32_i24_e32 v12, v62, v131
	v_mul_i32_i24_e32 v11, v65, v174
	s_delay_alu instid0(VALU_DEP_3) | instskip(SKIP_2) | instid1(VALU_DEP_3)
	v_add3_u32 v0, v0, v13, v14
	v_mul_i32_i24_e32 v14, v60, v205
	v_mul_i32_i24_e32 v13, v63, v209
	v_add3_u32 v0, v0, v15, v16
	v_mul_i32_i24_e32 v16, v58, v236
	v_mul_i32_i24_e32 v15, v61, v171
	s_delay_alu instid0(VALU_DEP_3) | instskip(SKIP_2) | instid1(VALU_DEP_3)
	v_add3_u32 v0, v0, v17, v18
	v_mul_i32_i24_e32 v18, v56, v173
	;; [unrolled: 7-line block ×4, first 2 shown]
	v_mul_i32_i24_e32 v25, v38, v181
	v_add3_u32 v0, v0, v27, v28
	v_add3_u32 v28, v2, v3, v4
	v_mul_i32_i24_e32 v27, v36, v166
	v_mul_i32_i24_e32 v4, v70, v164
	v_mul_i32_i24_e32 v2, v72, v165
	v_mul_lo_u32 v0, v0, v153
	v_add3_u32 v28, v28, v29, v30
	v_mul_i32_i24_e32 v3, v73, v40
	s_delay_alu instid0(VALU_DEP_2) | instskip(NEXT) | instid1(VALU_DEP_4)
	v_add3_u32 v26, v28, v26, v27
	v_cvt_f32_i32_e32 v0, v0
	s_delay_alu instid0(VALU_DEP_2) | instskip(NEXT) | instid1(VALU_DEP_2)
	v_add3_u32 v24, v26, v24, v25
	v_fma_mix_f32 v1, v31, v0, 0 op_sel_hi:[1,0,0]
	v_fma_mix_f32 v0, v31, v42, 0 op_sel:[1,0,0] op_sel_hi:[1,0,0]
	s_delay_alu instid0(VALU_DEP_3) | instskip(NEXT) | instid1(VALU_DEP_2)
	v_add3_u32 v22, v24, v22, v23
	v_fma_mix_f32 v0, v32, v190, v0 op_sel:[1,0,0] op_sel_hi:[1,0,0]
	s_delay_alu instid0(VALU_DEP_2) | instskip(NEXT) | instid1(VALU_DEP_2)
	v_add3_u32 v20, v22, v20, v21
	v_mul_f32_e32 v0, v0, v128
	v_mul_i32_i24_e32 v9, v67, v237
	s_delay_alu instid0(VALU_DEP_3) | instskip(NEXT) | instid1(VALU_DEP_1)
	v_add3_u32 v18, v20, v18, v19
	v_add3_u32 v16, v18, v16, v17
	s_delay_alu instid0(VALU_DEP_1) | instskip(NEXT) | instid1(VALU_DEP_1)
	v_add3_u32 v14, v16, v14, v15
	v_add3_u32 v12, v14, v12, v13
	s_delay_alu instid0(VALU_DEP_1) | instskip(NEXT) | instid1(VALU_DEP_1)
	;; [unrolled: 3-line block ×4, first 2 shown]
	v_add3_u32 v2, v4, v2, v3
	v_mul_lo_u32 v2, v2, v46
	s_delay_alu instid0(VALU_DEP_1) | instskip(NEXT) | instid1(VALU_DEP_1)
	v_cvt_f32_i32_e32 v2, v2
	v_fma_mix_f32 v1, v32, v2, v1 op_sel_hi:[1,0,0]
	s_delay_alu instid0(VALU_DEP_1) | instskip(NEXT) | instid1(VALU_DEP_1)
	v_fma_f32 v0, v1, v114, -v0
	v_add_f32_e32 v44, v44, v0
	s_cbranch_scc1 .LBB152_8
; %bb.9:                                ;   in Loop: Header=BB152_5 Depth=1
	s_add_co_i32 s10, s10, 1
	s_wait_storecnt 0x0
	s_cmp_eq_u32 s10, s17
	s_barrier_signal -1
	s_barrier_wait -1
	global_inv scope:SCOPE_SE
	s_cbranch_scc1 .LBB152_13
; %bb.10:                               ;   in Loop: Header=BB152_5 Depth=1
	s_clause 0x1
	scratch_load_b32 v158, off, off offset:1756
	scratch_load_b32 v36, off, off offset:1760
	s_branch .LBB152_5
.LBB152_11:
	v_dual_mov_b32 v0, 0 :: v_dual_mov_b32 v3, 0
	v_dual_mov_b32 v2, 0 :: v_dual_mov_b32 v21, 0
	v_dual_mov_b32 v14, 0 :: v_dual_mov_b32 v5, 0
	v_dual_mov_b32 v28, 0 :: v_dual_mov_b32 v19, 0
	v_dual_mov_b32 v8, 0 :: v_dual_mov_b32 v23, 0
	v_dual_mov_b32 v16, 0 :: v_dual_mov_b32 v1, 0
	v_dual_mov_b32 v26, 0 :: v_dual_mov_b32 v13, 0
	v_dual_mov_b32 v30, 0 :: v_dual_mov_b32 v17, 0
	v_dual_mov_b32 v6, 0 :: v_dual_mov_b32 v27, 0
	v_dual_mov_b32 v20, 0 :: v_dual_mov_b32 v7, 0
	v_dual_mov_b32 v24, 0 :: v_dual_mov_b32 v15, 0
	v_dual_mov_b32 v18, 0 :: v_dual_mov_b32 v25, 0
	v_dual_mov_b32 v22, 0 :: v_dual_mov_b32 v29, 0
	v_mov_b32_e32 v11, 0
	s_mov_b32 s0, exec_lo
	v_cmpx_gt_u32_e64 s6, v10
	s_cbranch_execnz .LBB152_14
.LBB152_12:
	s_nop 0
	s_sendmsg sendmsg(MSG_DEALLOC_VGPRS)
	s_endpgm
.LBB152_13:
	scratch_load_b64 v[1:2], off, off offset:564 th:TH_LOAD_LU ; 8-byte Folded Reload
	v_cvt_f16_f32_e32 v4, v50
	v_cvt_f16_f32_e64 v7, v254
	v_cvt_f16_f32_e64 v6, v143
	;; [unrolled: 1-line block ×3, first 2 shown]
	s_wait_loadcnt 0x0
	v_cvt_f16_f32_e32 v0, v2
	scratch_load_b64 v[2:3], off, off offset:504 th:TH_LOAD_LU ; 8-byte Folded Reload
	v_cvt_f16_f32_e32 v1, v1
	s_delay_alu instid0(VALU_DEP_1)
	v_pack_b32_f16 v28, v1, v0
	scratch_load_b32 v0, off, off offset:596 th:TH_LOAD_LU ; 4-byte Folded Reload
	s_wait_loadcnt 0x1
	v_cvt_f16_f32_e32 v11, v2
	scratch_load_b32 v2, off, off offset:552 th:TH_LOAD_LU ; 4-byte Folded Reload
	s_wait_loadcnt 0x1
	v_cvt_f16_f32_e32 v27, v0
	s_wait_loadcnt 0x0
	v_cvt_f16_f32_e32 v30, v2
	scratch_load_b32 v2, off, off offset:588 th:TH_LOAD_LU ; 4-byte Folded Reload
	s_wait_loadcnt 0x0
	v_cvt_f16_f32_e32 v29, v2
	scratch_load_b64 v[1:2], off, off offset:556 th:TH_LOAD_LU ; 8-byte Folded Reload
	s_wait_loadcnt 0x0
	v_cvt_f16_f32_e32 v0, v2
	scratch_load_b32 v2, off, off offset:548 th:TH_LOAD_LU ; 4-byte Folded Reload
	v_cvt_f16_f32_e32 v1, v1
	s_delay_alu instid0(VALU_DEP_1)
	v_pack_b32_f16 v21, v1, v0
	scratch_load_b32 v0, off, off offset:572 th:TH_LOAD_LU ; 4-byte Folded Reload
	s_wait_loadcnt 0x1
	v_cvt_f16_f32_e32 v26, v2
	scratch_load_b32 v2, off, off offset:576 th:TH_LOAD_LU ; 4-byte Folded Reload
	s_wait_loadcnt 0x0
	v_cvt_f16_f32_e32 v25, v2
	scratch_load_b32 v2, off, off offset:584 th:TH_LOAD_LU ; 4-byte Folded Reload
	s_wait_loadcnt 0x0
	v_cvt_f16_f32_e32 v24, v2
	scratch_load_b32 v2, off, off offset:592 th:TH_LOAD_LU ; 4-byte Folded Reload
	s_wait_loadcnt 0x0
	v_cvt_f16_f32_e32 v23, v2
	scratch_load_b64 v[1:2], off, off offset:540 th:TH_LOAD_LU ; 8-byte Folded Reload
	v_cvt_f16_f32_e32 v22, v0
	scratch_load_b32 v0, off, off offset:580 th:TH_LOAD_LU ; 4-byte Folded Reload
	s_wait_loadcnt 0x1
	v_cvt_f16_f32_e32 v1, v1
	s_wait_loadcnt 0x0
	v_cvt_f16_f32_e32 v20, v0
	v_cvt_f16_f32_e32 v0, v2
	scratch_load_b32 v2, off, off offset:536 th:TH_LOAD_LU ; 4-byte Folded Reload
	v_pack_b32_f16 v14, v1, v0
	v_cvt_f16_f32_e64 v1, v167
	scratch_load_b32 v0, off, off offset:512 th:TH_LOAD_LU ; 4-byte Folded Reload
	s_wait_loadcnt 0x1
	v_cvt_f16_f32_e32 v19, v2
	scratch_load_b32 v2, off, off offset:516 th:TH_LOAD_LU ; 4-byte Folded Reload
	s_wait_loadcnt 0x1
	v_cvt_f16_f32_e32 v15, v0
	;; [unrolled: 3-line block ×6, first 2 shown]
	v_cvt_f16_f32_e64 v0, v168
	s_delay_alu instid0(VALU_DEP_1)
	v_pack_b32_f16 v3, v1, v0
	v_cvt_f16_f32_e32 v1, v118
	v_cvt_f16_f32_e32 v0, v44
	s_wait_loadcnt 0x0
	v_cvt_f16_f32_e32 v16, v2
	v_cvt_f16_f32_e32 v2, v51
	s_delay_alu instid0(VALU_DEP_1)
	v_pack_b32_f16 v2, v4, v2
	s_clause 0x2
	scratch_load_b32 v4, off, off offset:2120 th:TH_LOAD_LU
	scratch_load_b32 v9, off, off offset:2124 th:TH_LOAD_LU
	scratch_load_b32 v10, off, off offset:2128
	s_mov_b32 s0, exec_lo
	s_wait_loadcnt 0x0
	v_cmpx_gt_u32_e64 s6, v10
	s_cbranch_execz .LBB152_12
.LBB152_14:
	v_add_nc_u32_e32 v9, s16, v9
	v_mul_lo_u32 v31, v10, s14
	s_delay_alu instid0(VALU_DEP_2)
	v_cmp_gt_u32_e32 vcc_lo, s14, v9
	s_and_saveexec_b32 s1, vcc_lo
	s_cbranch_execz .LBB152_16
; %bb.15:
	s_delay_alu instid0(VALU_DEP_2) | instskip(NEXT) | instid1(VALU_DEP_1)
	v_dual_mov_b32 v33, 0 :: v_dual_add_nc_u32 v32, v9, v31
	v_lshlrev_b64_e32 v[32:33], 1, v[32:33]
	s_wait_kmcnt 0x0
	s_delay_alu instid0(VALU_DEP_1) | instskip(NEXT) | instid1(VALU_DEP_1)
	v_add_co_u32 v32, s0, s8, v32
	v_add_co_ci_u32_e64 v33, null, s9, v33, s0
	global_store_b16 v[32:33], v28, off
.LBB152_16:
	s_or_b32 exec_lo, exec_lo, s1
	v_add_nc_u32_e32 v10, 32, v9
	s_delay_alu instid0(VALU_DEP_1)
	v_cmp_gt_u32_e64 s0, s14, v10
	s_and_saveexec_b32 s2, s0
	s_cbranch_execz .LBB152_18
; %bb.17:
	v_dual_mov_b32 v33, 0 :: v_dual_add_nc_u32 v32, v10, v31
	s_delay_alu instid0(VALU_DEP_1) | instskip(SKIP_1) | instid1(VALU_DEP_1)
	v_lshlrev_b64_e32 v[32:33], 1, v[32:33]
	s_wait_kmcnt 0x0
	v_add_co_u32 v32, s1, s8, v32
	s_wait_alu 0xf1ff
	s_delay_alu instid0(VALU_DEP_2)
	v_add_co_ci_u32_e64 v33, null, s9, v33, s1
	global_store_b16 v[32:33], v11, off
.LBB152_18:
	s_wait_alu 0xfffe
	s_or_b32 exec_lo, exec_lo, s2
	v_add_nc_u32_e32 v11, 64, v9
	s_delay_alu instid0(VALU_DEP_1)
	v_cmp_gt_u32_e64 s1, s14, v11
	s_and_saveexec_b32 s3, s1
	s_cbranch_execz .LBB152_20
; %bb.19:
	v_dual_mov_b32 v33, 0 :: v_dual_add_nc_u32 v32, v11, v31
	s_delay_alu instid0(VALU_DEP_1) | instskip(SKIP_1) | instid1(VALU_DEP_1)
	v_lshlrev_b64_e32 v[32:33], 1, v[32:33]
	s_wait_kmcnt 0x0
	v_add_co_u32 v32, s2, s8, v32
	s_wait_alu 0xf1ff
	s_delay_alu instid0(VALU_DEP_2)
	v_add_co_ci_u32_e64 v33, null, s9, v33, s2
	global_store_b16 v[32:33], v2, off
.LBB152_20:
	s_wait_alu 0xfffe
	;; [unrolled: 18-line block ×3, first 2 shown]
	s_or_b32 exec_lo, exec_lo, s4
	v_add3_u32 v30, v4, s15, 8
	s_delay_alu instid0(VALU_DEP_1)
	v_cmp_gt_u32_e64 s3, s6, v30
	s_and_b32 exec_lo, exec_lo, s3
	s_cbranch_execz .LBB152_12
; %bb.23:
	v_mul_lo_u32 v30, v30, s14
	s_and_saveexec_b32 s4, vcc_lo
	s_cbranch_execnz .LBB152_63
; %bb.24:
	s_wait_alu 0xfffe
	s_or_b32 exec_lo, exec_lo, s4
	s_and_saveexec_b32 s4, s0
	s_cbranch_execnz .LBB152_64
.LBB152_25:
	s_wait_alu 0xfffe
	s_or_b32 exec_lo, exec_lo, s4
	s_and_saveexec_b32 s4, s1
	s_cbranch_execnz .LBB152_65
.LBB152_26:
	s_wait_alu 0xfffe
	s_or_b32 exec_lo, exec_lo, s4
	s_and_saveexec_b32 s4, s2
	s_cbranch_execz .LBB152_28
.LBB152_27:
	v_dual_mov_b32 v28, 0 :: v_dual_add_nc_u32 v27, v30, v12
	s_delay_alu instid0(VALU_DEP_1) | instskip(SKIP_1) | instid1(VALU_DEP_1)
	v_lshlrev_b64_e32 v[27:28], 1, v[27:28]
	s_wait_kmcnt 0x0
	v_add_co_u32 v27, s3, s8, v27
	s_wait_alu 0xf1ff
	s_delay_alu instid0(VALU_DEP_2)
	v_add_co_ci_u32_e64 v28, null, s9, v28, s3
	global_store_b16 v[27:28], v26, off
.LBB152_28:
	s_wait_alu 0xfffe
	s_or_b32 exec_lo, exec_lo, s4
	v_add3_u32 v26, v4, s15, 16
	s_delay_alu instid0(VALU_DEP_1)
	v_cmp_gt_u32_e64 s3, s6, v26
	s_and_b32 exec_lo, exec_lo, s3
	s_cbranch_execz .LBB152_12
; %bb.29:
	v_mul_lo_u32 v26, v26, s14
	s_and_saveexec_b32 s4, vcc_lo
	s_cbranch_execnz .LBB152_66
; %bb.30:
	s_wait_alu 0xfffe
	s_or_b32 exec_lo, exec_lo, s4
	s_and_saveexec_b32 s4, s0
	s_cbranch_execnz .LBB152_67
.LBB152_31:
	s_wait_alu 0xfffe
	s_or_b32 exec_lo, exec_lo, s4
	s_and_saveexec_b32 s4, s1
	s_cbranch_execnz .LBB152_68
.LBB152_32:
	s_wait_alu 0xfffe
	s_or_b32 exec_lo, exec_lo, s4
	s_and_saveexec_b32 s4, s2
	s_cbranch_execz .LBB152_34
.LBB152_33:
	v_dual_mov_b32 v25, 0 :: v_dual_add_nc_u32 v24, v26, v12
	s_delay_alu instid0(VALU_DEP_1) | instskip(SKIP_1) | instid1(VALU_DEP_1)
	v_lshlrev_b64_e32 v[24:25], 1, v[24:25]
	s_wait_kmcnt 0x0
	v_add_co_u32 v24, s3, s8, v24
	s_wait_alu 0xf1ff
	s_delay_alu instid0(VALU_DEP_2)
	v_add_co_ci_u32_e64 v25, null, s9, v25, s3
	global_store_b16 v[24:25], v23, off
.LBB152_34:
	s_wait_alu 0xfffe
	s_or_b32 exec_lo, exec_lo, s4
	v_add3_u32 v23, v4, s15, 24
	s_delay_alu instid0(VALU_DEP_1)
	v_cmp_gt_u32_e64 s3, s6, v23
	s_and_b32 exec_lo, exec_lo, s3
	s_cbranch_execz .LBB152_12
; %bb.35:
	v_mul_lo_u32 v23, v23, s14
	s_and_saveexec_b32 s4, vcc_lo
	s_cbranch_execnz .LBB152_69
; %bb.36:
	s_wait_alu 0xfffe
	s_or_b32 exec_lo, exec_lo, s4
	s_and_saveexec_b32 s4, s0
	s_cbranch_execnz .LBB152_70
.LBB152_37:
	s_wait_alu 0xfffe
	s_or_b32 exec_lo, exec_lo, s4
	s_and_saveexec_b32 s4, s1
	s_cbranch_execnz .LBB152_71
.LBB152_38:
	s_wait_alu 0xfffe
	s_or_b32 exec_lo, exec_lo, s4
	s_and_saveexec_b32 s4, s2
	s_cbranch_execz .LBB152_40
.LBB152_39:
	v_dual_mov_b32 v21, 0 :: v_dual_add_nc_u32 v20, v23, v12
	s_delay_alu instid0(VALU_DEP_1) | instskip(SKIP_1) | instid1(VALU_DEP_1)
	v_lshlrev_b64_e32 v[20:21], 1, v[20:21]
	s_wait_kmcnt 0x0
	v_add_co_u32 v20, s3, s8, v20
	s_wait_alu 0xf1ff
	s_delay_alu instid0(VALU_DEP_2)
	v_add_co_ci_u32_e64 v21, null, s9, v21, s3
	global_store_b16 v[20:21], v19, off
.LBB152_40:
	s_wait_alu 0xfffe
	s_or_b32 exec_lo, exec_lo, s4
	v_add3_u32 v19, v4, s15, 32
	s_delay_alu instid0(VALU_DEP_1)
	v_cmp_gt_u32_e64 s3, s6, v19
	s_and_b32 exec_lo, exec_lo, s3
	s_cbranch_execz .LBB152_12
; %bb.41:
	v_mul_lo_u32 v19, v19, s14
	s_and_saveexec_b32 s4, vcc_lo
	s_cbranch_execnz .LBB152_72
; %bb.42:
	s_wait_alu 0xfffe
	s_or_b32 exec_lo, exec_lo, s4
	s_and_saveexec_b32 s4, s0
	s_cbranch_execnz .LBB152_73
.LBB152_43:
	s_wait_alu 0xfffe
	s_or_b32 exec_lo, exec_lo, s4
	s_and_saveexec_b32 s4, s1
	s_cbranch_execnz .LBB152_74
.LBB152_44:
	s_wait_alu 0xfffe
	s_or_b32 exec_lo, exec_lo, s4
	s_and_saveexec_b32 s4, s2
	s_cbranch_execz .LBB152_46
.LBB152_45:
	v_dual_mov_b32 v18, 0 :: v_dual_add_nc_u32 v17, v19, v12
	s_delay_alu instid0(VALU_DEP_1) | instskip(SKIP_1) | instid1(VALU_DEP_1)
	v_lshlrev_b64_e32 v[17:18], 1, v[17:18]
	s_wait_kmcnt 0x0
	v_add_co_u32 v17, s3, s8, v17
	s_wait_alu 0xf1ff
	s_delay_alu instid0(VALU_DEP_2)
	v_add_co_ci_u32_e64 v18, null, s9, v18, s3
	global_store_b16 v[17:18], v16, off
.LBB152_46:
	s_wait_alu 0xfffe
	s_or_b32 exec_lo, exec_lo, s4
	v_add3_u32 v16, v4, s15, 40
	s_delay_alu instid0(VALU_DEP_1)
	v_cmp_gt_u32_e64 s3, s6, v16
	s_and_b32 exec_lo, exec_lo, s3
	s_cbranch_execz .LBB152_12
; %bb.47:
	v_mul_lo_u32 v16, v16, s14
	s_and_saveexec_b32 s4, vcc_lo
	s_cbranch_execnz .LBB152_75
; %bb.48:
	s_wait_alu 0xfffe
	s_or_b32 exec_lo, exec_lo, s4
	s_and_saveexec_b32 s4, s0
	s_cbranch_execnz .LBB152_76
.LBB152_49:
	s_wait_alu 0xfffe
	s_or_b32 exec_lo, exec_lo, s4
	s_and_saveexec_b32 s4, s1
	s_cbranch_execnz .LBB152_77
.LBB152_50:
	s_wait_alu 0xfffe
	s_or_b32 exec_lo, exec_lo, s4
	s_and_saveexec_b32 s4, s2
	s_cbranch_execz .LBB152_52
.LBB152_51:
	v_dual_mov_b32 v14, 0 :: v_dual_add_nc_u32 v13, v16, v12
	s_delay_alu instid0(VALU_DEP_1) | instskip(SKIP_1) | instid1(VALU_DEP_1)
	v_lshlrev_b64_e32 v[13:14], 1, v[13:14]
	s_wait_kmcnt 0x0
	v_add_co_u32 v13, s3, s8, v13
	s_wait_alu 0xf1ff
	s_delay_alu instid0(VALU_DEP_2)
	v_add_co_ci_u32_e64 v14, null, s9, v14, s3
	global_store_b16 v[13:14], v8, off
.LBB152_52:
	s_wait_alu 0xfffe
	s_or_b32 exec_lo, exec_lo, s4
	v_add3_u32 v8, v4, s15, 48
	s_delay_alu instid0(VALU_DEP_1)
	v_cmp_gt_u32_e64 s3, s6, v8
	s_and_b32 exec_lo, exec_lo, s3
	s_cbranch_execz .LBB152_12
; %bb.53:
	v_mul_lo_u32 v8, v8, s14
	s_and_saveexec_b32 s4, vcc_lo
	s_cbranch_execnz .LBB152_78
; %bb.54:
	s_wait_alu 0xfffe
	s_or_b32 exec_lo, exec_lo, s4
	s_and_saveexec_b32 s4, s0
	s_cbranch_execnz .LBB152_79
.LBB152_55:
	s_wait_alu 0xfffe
	s_or_b32 exec_lo, exec_lo, s4
	s_and_saveexec_b32 s4, s1
	s_cbranch_execnz .LBB152_80
.LBB152_56:
	s_wait_alu 0xfffe
	s_or_b32 exec_lo, exec_lo, s4
	s_and_saveexec_b32 s4, s2
	s_cbranch_execz .LBB152_58
.LBB152_57:
	v_dual_mov_b32 v7, 0 :: v_dual_add_nc_u32 v6, v8, v12
	s_delay_alu instid0(VALU_DEP_1) | instskip(SKIP_1) | instid1(VALU_DEP_1)
	v_lshlrev_b64_e32 v[6:7], 1, v[6:7]
	s_wait_kmcnt 0x0
	v_add_co_u32 v6, s3, s8, v6
	s_wait_alu 0xf1ff
	s_delay_alu instid0(VALU_DEP_2)
	v_add_co_ci_u32_e64 v7, null, s9, v7, s3
	global_store_b16 v[6:7], v5, off
.LBB152_58:
	s_wait_alu 0xfffe
	s_or_b32 exec_lo, exec_lo, s4
	v_add3_u32 v4, v4, s15, 56
	s_delay_alu instid0(VALU_DEP_1)
	v_cmp_gt_u32_e64 s3, s6, v4
	s_and_b32 exec_lo, exec_lo, s3
	s_cbranch_execz .LBB152_12
; %bb.59:
	v_mul_lo_u32 v4, v4, s14
	s_and_saveexec_b32 s3, vcc_lo
	s_cbranch_execnz .LBB152_81
; %bb.60:
	s_wait_alu 0xfffe
	s_or_b32 exec_lo, exec_lo, s3
	s_and_saveexec_b32 s3, s0
	s_cbranch_execnz .LBB152_82
.LBB152_61:
	s_wait_alu 0xfffe
	s_or_b32 exec_lo, exec_lo, s3
	s_and_saveexec_b32 s0, s1
	s_cbranch_execnz .LBB152_83
.LBB152_62:
	s_wait_alu 0xfffe
	s_or_b32 exec_lo, exec_lo, s0
	s_delay_alu instid0(SALU_CYCLE_1)
	s_and_b32 exec_lo, exec_lo, s2
	s_cbranch_execz .LBB152_12
	s_branch .LBB152_84
.LBB152_63:
	s_delay_alu instid0(VALU_DEP_1) | instskip(NEXT) | instid1(VALU_DEP_1)
	v_dual_mov_b32 v32, 0 :: v_dual_add_nc_u32 v31, v30, v9
	v_lshlrev_b64_e32 v[31:32], 1, v[31:32]
	s_wait_kmcnt 0x0
	s_delay_alu instid0(VALU_DEP_1) | instskip(SKIP_1) | instid1(VALU_DEP_2)
	v_add_co_u32 v31, s3, s8, v31
	s_wait_alu 0xf1ff
	v_add_co_ci_u32_e64 v32, null, s9, v32, s3
	global_store_d16_hi_b16 v[31:32], v28, off
	s_wait_alu 0xfffe
	s_or_b32 exec_lo, exec_lo, s4
	s_and_saveexec_b32 s4, s0
	s_cbranch_execz .LBB152_25
.LBB152_64:
	s_delay_alu instid0(VALU_DEP_1) | instskip(NEXT) | instid1(VALU_DEP_1)
	v_dual_mov_b32 v32, 0 :: v_dual_add_nc_u32 v31, v30, v10
	v_lshlrev_b64_e32 v[31:32], 1, v[31:32]
	s_wait_kmcnt 0x0
	s_delay_alu instid0(VALU_DEP_1) | instskip(SKIP_1) | instid1(VALU_DEP_2)
	v_add_co_u32 v31, s3, s8, v31
	s_wait_alu 0xf1ff
	v_add_co_ci_u32_e64 v32, null, s9, v32, s3
	global_store_b16 v[31:32], v29, off
	s_wait_alu 0xfffe
	s_or_b32 exec_lo, exec_lo, s4
	s_and_saveexec_b32 s4, s1
	s_cbranch_execz .LBB152_26
.LBB152_65:
	v_dual_mov_b32 v29, 0 :: v_dual_add_nc_u32 v28, v30, v11
	s_delay_alu instid0(VALU_DEP_1) | instskip(SKIP_1) | instid1(VALU_DEP_1)
	v_lshlrev_b64_e32 v[28:29], 1, v[28:29]
	s_wait_kmcnt 0x0
	v_add_co_u32 v28, s3, s8, v28
	s_wait_alu 0xf1ff
	s_delay_alu instid0(VALU_DEP_2)
	v_add_co_ci_u32_e64 v29, null, s9, v29, s3
	global_store_b16 v[28:29], v27, off
	s_wait_alu 0xfffe
	s_or_b32 exec_lo, exec_lo, s4
	s_and_saveexec_b32 s4, s2
	s_cbranch_execnz .LBB152_27
	s_branch .LBB152_28
.LBB152_66:
	s_delay_alu instid0(VALU_DEP_1) | instskip(NEXT) | instid1(VALU_DEP_1)
	v_dual_mov_b32 v28, 0 :: v_dual_add_nc_u32 v27, v26, v9
	v_lshlrev_b64_e32 v[27:28], 1, v[27:28]
	s_wait_kmcnt 0x0
	s_delay_alu instid0(VALU_DEP_1) | instskip(SKIP_1) | instid1(VALU_DEP_2)
	v_add_co_u32 v27, s3, s8, v27
	s_wait_alu 0xf1ff
	v_add_co_ci_u32_e64 v28, null, s9, v28, s3
	global_store_b16 v[27:28], v21, off
	s_wait_alu 0xfffe
	s_or_b32 exec_lo, exec_lo, s4
	s_and_saveexec_b32 s4, s0
	s_cbranch_execz .LBB152_31
.LBB152_67:
	s_delay_alu instid0(VALU_DEP_1) | instskip(NEXT) | instid1(VALU_DEP_1)
	v_dual_mov_b32 v28, 0 :: v_dual_add_nc_u32 v27, v26, v10
	v_lshlrev_b64_e32 v[27:28], 1, v[27:28]
	s_wait_kmcnt 0x0
	s_delay_alu instid0(VALU_DEP_1) | instskip(SKIP_1) | instid1(VALU_DEP_2)
	v_add_co_u32 v27, s3, s8, v27
	s_wait_alu 0xf1ff
	v_add_co_ci_u32_e64 v28, null, s9, v28, s3
	global_store_b16 v[27:28], v25, off
	s_wait_alu 0xfffe
	s_or_b32 exec_lo, exec_lo, s4
	s_and_saveexec_b32 s4, s1
	s_cbranch_execz .LBB152_32
.LBB152_68:
	v_dual_mov_b32 v28, 0 :: v_dual_add_nc_u32 v27, v26, v11
	s_delay_alu instid0(VALU_DEP_1) | instskip(SKIP_1) | instid1(VALU_DEP_1)
	v_lshlrev_b64_e32 v[27:28], 1, v[27:28]
	s_wait_kmcnt 0x0
	v_add_co_u32 v27, s3, s8, v27
	s_wait_alu 0xf1ff
	s_delay_alu instid0(VALU_DEP_2)
	v_add_co_ci_u32_e64 v28, null, s9, v28, s3
	global_store_b16 v[27:28], v24, off
	s_wait_alu 0xfffe
	s_or_b32 exec_lo, exec_lo, s4
	s_and_saveexec_b32 s4, s2
	s_cbranch_execnz .LBB152_33
	s_branch .LBB152_34
.LBB152_69:
	s_delay_alu instid0(VALU_DEP_1) | instskip(NEXT) | instid1(VALU_DEP_1)
	v_dual_mov_b32 v25, 0 :: v_dual_add_nc_u32 v24, v23, v9
	v_lshlrev_b64_e32 v[24:25], 1, v[24:25]
	s_wait_kmcnt 0x0
	s_delay_alu instid0(VALU_DEP_1) | instskip(SKIP_1) | instid1(VALU_DEP_2)
	v_add_co_u32 v24, s3, s8, v24
	s_wait_alu 0xf1ff
	v_add_co_ci_u32_e64 v25, null, s9, v25, s3
	global_store_d16_hi_b16 v[24:25], v21, off
	s_wait_alu 0xfffe
	s_or_b32 exec_lo, exec_lo, s4
	s_and_saveexec_b32 s4, s0
	s_cbranch_execz .LBB152_37
.LBB152_70:
	s_delay_alu instid0(VALU_DEP_1) | instskip(NEXT) | instid1(VALU_DEP_1)
	v_dual_mov_b32 v25, 0 :: v_dual_add_nc_u32 v24, v23, v10
	v_lshlrev_b64_e32 v[24:25], 1, v[24:25]
	s_wait_kmcnt 0x0
	s_delay_alu instid0(VALU_DEP_1) | instskip(SKIP_1) | instid1(VALU_DEP_2)
	v_add_co_u32 v24, s3, s8, v24
	s_wait_alu 0xf1ff
	v_add_co_ci_u32_e64 v25, null, s9, v25, s3
	global_store_b16 v[24:25], v22, off
	s_wait_alu 0xfffe
	s_or_b32 exec_lo, exec_lo, s4
	s_and_saveexec_b32 s4, s1
	s_cbranch_execz .LBB152_38
.LBB152_71:
	v_dual_mov_b32 v22, 0 :: v_dual_add_nc_u32 v21, v23, v11
	s_delay_alu instid0(VALU_DEP_1) | instskip(SKIP_1) | instid1(VALU_DEP_1)
	v_lshlrev_b64_e32 v[21:22], 1, v[21:22]
	s_wait_kmcnt 0x0
	v_add_co_u32 v21, s3, s8, v21
	s_wait_alu 0xf1ff
	s_delay_alu instid0(VALU_DEP_2)
	v_add_co_ci_u32_e64 v22, null, s9, v22, s3
	global_store_b16 v[21:22], v20, off
	s_wait_alu 0xfffe
	s_or_b32 exec_lo, exec_lo, s4
	s_and_saveexec_b32 s4, s2
	s_cbranch_execnz .LBB152_39
	s_branch .LBB152_40
.LBB152_72:
	s_delay_alu instid0(VALU_DEP_1) | instskip(NEXT) | instid1(VALU_DEP_1)
	v_dual_mov_b32 v21, 0 :: v_dual_add_nc_u32 v20, v19, v9
	v_lshlrev_b64_e32 v[20:21], 1, v[20:21]
	s_wait_kmcnt 0x0
	s_delay_alu instid0(VALU_DEP_1) | instskip(SKIP_1) | instid1(VALU_DEP_2)
	v_add_co_u32 v20, s3, s8, v20
	s_wait_alu 0xf1ff
	v_add_co_ci_u32_e64 v21, null, s9, v21, s3
	global_store_b16 v[20:21], v14, off
	s_wait_alu 0xfffe
	s_or_b32 exec_lo, exec_lo, s4
	s_and_saveexec_b32 s4, s0
	s_cbranch_execz .LBB152_43
.LBB152_73:
	s_delay_alu instid0(VALU_DEP_1) | instskip(NEXT) | instid1(VALU_DEP_1)
	v_dual_mov_b32 v21, 0 :: v_dual_add_nc_u32 v20, v19, v10
	v_lshlrev_b64_e32 v[20:21], 1, v[20:21]
	s_wait_kmcnt 0x0
	s_delay_alu instid0(VALU_DEP_1) | instskip(SKIP_1) | instid1(VALU_DEP_2)
	v_add_co_u32 v20, s3, s8, v20
	s_wait_alu 0xf1ff
	v_add_co_ci_u32_e64 v21, null, s9, v21, s3
	global_store_b16 v[20:21], v18, off
	s_wait_alu 0xfffe
	s_or_b32 exec_lo, exec_lo, s4
	s_and_saveexec_b32 s4, s1
	s_cbranch_execz .LBB152_44
.LBB152_74:
	v_dual_mov_b32 v21, 0 :: v_dual_add_nc_u32 v20, v19, v11
	s_delay_alu instid0(VALU_DEP_1) | instskip(SKIP_1) | instid1(VALU_DEP_1)
	v_lshlrev_b64_e32 v[20:21], 1, v[20:21]
	s_wait_kmcnt 0x0
	v_add_co_u32 v20, s3, s8, v20
	s_wait_alu 0xf1ff
	s_delay_alu instid0(VALU_DEP_2)
	v_add_co_ci_u32_e64 v21, null, s9, v21, s3
	global_store_b16 v[20:21], v17, off
	s_wait_alu 0xfffe
	s_or_b32 exec_lo, exec_lo, s4
	s_and_saveexec_b32 s4, s2
	s_cbranch_execnz .LBB152_45
	s_branch .LBB152_46
.LBB152_75:
	s_delay_alu instid0(VALU_DEP_1) | instskip(NEXT) | instid1(VALU_DEP_1)
	v_dual_mov_b32 v18, 0 :: v_dual_add_nc_u32 v17, v16, v9
	v_lshlrev_b64_e32 v[17:18], 1, v[17:18]
	s_wait_kmcnt 0x0
	s_delay_alu instid0(VALU_DEP_1) | instskip(SKIP_1) | instid1(VALU_DEP_2)
	v_add_co_u32 v17, s3, s8, v17
	s_wait_alu 0xf1ff
	v_add_co_ci_u32_e64 v18, null, s9, v18, s3
	global_store_d16_hi_b16 v[17:18], v14, off
	s_wait_alu 0xfffe
	s_or_b32 exec_lo, exec_lo, s4
	s_and_saveexec_b32 s4, s0
	s_cbranch_execz .LBB152_49
.LBB152_76:
	s_delay_alu instid0(VALU_DEP_1) | instskip(NEXT) | instid1(VALU_DEP_1)
	v_dual_mov_b32 v18, 0 :: v_dual_add_nc_u32 v17, v16, v10
	v_lshlrev_b64_e32 v[17:18], 1, v[17:18]
	s_wait_kmcnt 0x0
	s_delay_alu instid0(VALU_DEP_1) | instskip(SKIP_1) | instid1(VALU_DEP_2)
	v_add_co_u32 v17, s3, s8, v17
	s_wait_alu 0xf1ff
	v_add_co_ci_u32_e64 v18, null, s9, v18, s3
	global_store_b16 v[17:18], v15, off
	s_wait_alu 0xfffe
	s_or_b32 exec_lo, exec_lo, s4
	s_and_saveexec_b32 s4, s1
	s_cbranch_execz .LBB152_50
.LBB152_77:
	v_dual_mov_b32 v15, 0 :: v_dual_add_nc_u32 v14, v16, v11
	s_delay_alu instid0(VALU_DEP_1) | instskip(SKIP_1) | instid1(VALU_DEP_1)
	v_lshlrev_b64_e32 v[14:15], 1, v[14:15]
	s_wait_kmcnt 0x0
	v_add_co_u32 v14, s3, s8, v14
	s_wait_alu 0xf1ff
	s_delay_alu instid0(VALU_DEP_2)
	v_add_co_ci_u32_e64 v15, null, s9, v15, s3
	global_store_b16 v[14:15], v13, off
	s_wait_alu 0xfffe
	s_or_b32 exec_lo, exec_lo, s4
	s_and_saveexec_b32 s4, s2
	s_cbranch_execnz .LBB152_51
	s_branch .LBB152_52
.LBB152_78:
	s_delay_alu instid0(VALU_DEP_1) | instskip(NEXT) | instid1(VALU_DEP_1)
	v_dual_mov_b32 v14, 0 :: v_dual_add_nc_u32 v13, v8, v9
	v_lshlrev_b64_e32 v[13:14], 1, v[13:14]
	s_wait_kmcnt 0x0
	s_delay_alu instid0(VALU_DEP_1) | instskip(SKIP_1) | instid1(VALU_DEP_2)
	v_add_co_u32 v13, s3, s8, v13
	s_wait_alu 0xf1ff
	v_add_co_ci_u32_e64 v14, null, s9, v14, s3
	global_store_b16 v[13:14], v3, off
	s_wait_alu 0xfffe
	s_or_b32 exec_lo, exec_lo, s4
	s_and_saveexec_b32 s4, s0
	s_cbranch_execz .LBB152_55
.LBB152_79:
	s_delay_alu instid0(VALU_DEP_1) | instskip(NEXT) | instid1(VALU_DEP_1)
	v_dual_mov_b32 v14, 0 :: v_dual_add_nc_u32 v13, v8, v10
	v_lshlrev_b64_e32 v[13:14], 1, v[13:14]
	s_wait_kmcnt 0x0
	s_delay_alu instid0(VALU_DEP_1) | instskip(SKIP_1) | instid1(VALU_DEP_2)
	v_add_co_u32 v13, s3, s8, v13
	s_wait_alu 0xf1ff
	v_add_co_ci_u32_e64 v14, null, s9, v14, s3
	global_store_b16 v[13:14], v7, off
	s_wait_alu 0xfffe
	s_or_b32 exec_lo, exec_lo, s4
	s_and_saveexec_b32 s4, s1
	s_cbranch_execz .LBB152_56
.LBB152_80:
	v_dual_mov_b32 v14, 0 :: v_dual_add_nc_u32 v13, v8, v11
	s_delay_alu instid0(VALU_DEP_1) | instskip(SKIP_1) | instid1(VALU_DEP_1)
	v_lshlrev_b64_e32 v[13:14], 1, v[13:14]
	s_wait_kmcnt 0x0
	v_add_co_u32 v13, s3, s8, v13
	s_wait_alu 0xf1ff
	s_delay_alu instid0(VALU_DEP_2)
	v_add_co_ci_u32_e64 v14, null, s9, v14, s3
	global_store_b16 v[13:14], v6, off
	s_wait_alu 0xfffe
	s_or_b32 exec_lo, exec_lo, s4
	s_and_saveexec_b32 s4, s2
	s_cbranch_execnz .LBB152_57
	s_branch .LBB152_58
.LBB152_81:
	s_delay_alu instid0(VALU_DEP_1) | instskip(NEXT) | instid1(VALU_DEP_1)
	v_dual_mov_b32 v6, 0 :: v_dual_add_nc_u32 v5, v4, v9
	v_lshlrev_b64_e32 v[5:6], 1, v[5:6]
	s_wait_kmcnt 0x0
	s_delay_alu instid0(VALU_DEP_1) | instskip(SKIP_1) | instid1(VALU_DEP_2)
	v_add_co_u32 v5, vcc_lo, s8, v5
	s_wait_alu 0xfffd
	v_add_co_ci_u32_e64 v6, null, s9, v6, vcc_lo
	global_store_d16_hi_b16 v[5:6], v3, off
	s_wait_alu 0xfffe
	s_or_b32 exec_lo, exec_lo, s3
	s_and_saveexec_b32 s3, s0
	s_cbranch_execz .LBB152_61
.LBB152_82:
	s_delay_alu instid0(VALU_DEP_1) | instskip(NEXT) | instid1(VALU_DEP_1)
	v_dual_mov_b32 v6, 0 :: v_dual_add_nc_u32 v5, v4, v10
	v_lshlrev_b64_e32 v[5:6], 1, v[5:6]
	s_wait_kmcnt 0x0
	s_delay_alu instid0(VALU_DEP_1) | instskip(SKIP_1) | instid1(VALU_DEP_2)
	v_add_co_u32 v5, vcc_lo, s8, v5
	s_wait_alu 0xfffd
	v_add_co_ci_u32_e64 v6, null, s9, v6, vcc_lo
	global_store_d16_hi_b16 v[5:6], v2, off
	s_wait_alu 0xfffe
	s_or_b32 exec_lo, exec_lo, s3
	s_and_saveexec_b32 s0, s1
	s_cbranch_execz .LBB152_62
.LBB152_83:
	v_dual_mov_b32 v3, 0 :: v_dual_add_nc_u32 v2, v4, v11
	s_delay_alu instid0(VALU_DEP_1) | instskip(SKIP_1) | instid1(VALU_DEP_1)
	v_lshlrev_b64_e32 v[2:3], 1, v[2:3]
	s_wait_kmcnt 0x0
	v_add_co_u32 v2, vcc_lo, s8, v2
	s_wait_alu 0xfffd
	s_delay_alu instid0(VALU_DEP_2) | instskip(SKIP_3) | instid1(SALU_CYCLE_1)
	v_add_co_ci_u32_e64 v3, null, s9, v3, vcc_lo
	global_store_b16 v[2:3], v1, off
	s_wait_alu 0xfffe
	s_or_b32 exec_lo, exec_lo, s0
	s_and_b32 exec_lo, exec_lo, s2
	s_cbranch_execz .LBB152_12
.LBB152_84:
	v_dual_mov_b32 v2, 0 :: v_dual_add_nc_u32 v1, v4, v12
	s_delay_alu instid0(VALU_DEP_1) | instskip(SKIP_1) | instid1(VALU_DEP_1)
	v_lshlrev_b64_e32 v[1:2], 1, v[1:2]
	s_wait_kmcnt 0x0
	v_add_co_u32 v1, vcc_lo, s8, v1
	s_wait_alu 0xfffd
	s_delay_alu instid0(VALU_DEP_2)
	v_add_co_ci_u32_e64 v2, null, s9, v2, vcc_lo
	global_store_b16 v[1:2], v0, off
	s_nop 0
	s_sendmsg sendmsg(MSG_DEALLOC_VGPRS)
	s_endpgm
	.section	.rodata,"a",@progbits
	.p2align	6, 0x0
	.amdhsa_kernel _ZL12mul_mat_q4_KIN3c104HalfELb1EEvPKvS3_PT_iiiii
		.amdhsa_group_segment_fixed_size 28752
		.amdhsa_private_segment_fixed_size 2136
		.amdhsa_kernarg_size 44
		.amdhsa_user_sgpr_count 2
		.amdhsa_user_sgpr_dispatch_ptr 0
		.amdhsa_user_sgpr_queue_ptr 0
		.amdhsa_user_sgpr_kernarg_segment_ptr 1
		.amdhsa_user_sgpr_dispatch_id 0
		.amdhsa_user_sgpr_private_segment_size 0
		.amdhsa_wavefront_size32 1
		.amdhsa_uses_dynamic_stack 0
		.amdhsa_enable_private_segment 1
		.amdhsa_system_sgpr_workgroup_id_x 1
		.amdhsa_system_sgpr_workgroup_id_y 1
		.amdhsa_system_sgpr_workgroup_id_z 0
		.amdhsa_system_sgpr_workgroup_info 0
		.amdhsa_system_vgpr_workitem_id 1
		.amdhsa_next_free_vgpr 256
		.amdhsa_next_free_sgpr 18
		.amdhsa_reserve_vcc 1
		.amdhsa_float_round_mode_32 0
		.amdhsa_float_round_mode_16_64 0
		.amdhsa_float_denorm_mode_32 3
		.amdhsa_float_denorm_mode_16_64 3
		.amdhsa_fp16_overflow 0
		.amdhsa_workgroup_processor_mode 1
		.amdhsa_memory_ordered 1
		.amdhsa_forward_progress 1
		.amdhsa_inst_pref_size 255
		.amdhsa_round_robin_scheduling 0
		.amdhsa_exception_fp_ieee_invalid_op 0
		.amdhsa_exception_fp_denorm_src 0
		.amdhsa_exception_fp_ieee_div_zero 0
		.amdhsa_exception_fp_ieee_overflow 0
		.amdhsa_exception_fp_ieee_underflow 0
		.amdhsa_exception_fp_ieee_inexact 0
		.amdhsa_exception_int_div_zero 0
	.end_amdhsa_kernel
	.section	.text._ZL12mul_mat_q4_KIN3c104HalfELb1EEvPKvS3_PT_iiiii,"axG",@progbits,_ZL12mul_mat_q4_KIN3c104HalfELb1EEvPKvS3_PT_iiiii,comdat
.Lfunc_end152:
	.size	_ZL12mul_mat_q4_KIN3c104HalfELb1EEvPKvS3_PT_iiiii, .Lfunc_end152-_ZL12mul_mat_q4_KIN3c104HalfELb1EEvPKvS3_PT_iiiii
                                        ; -- End function
	.set _ZL12mul_mat_q4_KIN3c104HalfELb1EEvPKvS3_PT_iiiii.num_vgpr, 256
	.set _ZL12mul_mat_q4_KIN3c104HalfELb1EEvPKvS3_PT_iiiii.num_agpr, 0
	.set _ZL12mul_mat_q4_KIN3c104HalfELb1EEvPKvS3_PT_iiiii.numbered_sgpr, 18
	.set _ZL12mul_mat_q4_KIN3c104HalfELb1EEvPKvS3_PT_iiiii.num_named_barrier, 0
	.set _ZL12mul_mat_q4_KIN3c104HalfELb1EEvPKvS3_PT_iiiii.private_seg_size, 2136
	.set _ZL12mul_mat_q4_KIN3c104HalfELb1EEvPKvS3_PT_iiiii.uses_vcc, 1
	.set _ZL12mul_mat_q4_KIN3c104HalfELb1EEvPKvS3_PT_iiiii.uses_flat_scratch, 1
	.set _ZL12mul_mat_q4_KIN3c104HalfELb1EEvPKvS3_PT_iiiii.has_dyn_sized_stack, 0
	.set _ZL12mul_mat_q4_KIN3c104HalfELb1EEvPKvS3_PT_iiiii.has_recursion, 0
	.set _ZL12mul_mat_q4_KIN3c104HalfELb1EEvPKvS3_PT_iiiii.has_indirect_call, 0
	.section	.AMDGPU.csdata,"",@progbits
; Kernel info:
; codeLenInByte = 108828
; TotalNumSgprs: 20
; NumVgprs: 256
; ScratchSize: 2136
; MemoryBound: 0
; FloatMode: 240
; IeeeMode: 1
; LDSByteSize: 28752 bytes/workgroup (compile time only)
; SGPRBlocks: 0
; VGPRBlocks: 31
; NumSGPRsForWavesPerEU: 20
; NumVGPRsForWavesPerEU: 256
; Occupancy: 5
; WaveLimiterHint : 0
; COMPUTE_PGM_RSRC2:SCRATCH_EN: 1
; COMPUTE_PGM_RSRC2:USER_SGPR: 2
; COMPUTE_PGM_RSRC2:TRAP_HANDLER: 0
; COMPUTE_PGM_RSRC2:TGID_X_EN: 1
; COMPUTE_PGM_RSRC2:TGID_Y_EN: 1
; COMPUTE_PGM_RSRC2:TGID_Z_EN: 0
; COMPUTE_PGM_RSRC2:TIDIG_COMP_CNT: 1
	.section	.text._ZL12mul_mat_q5_KIN3c104HalfELb0EEvPKvS3_PT_iiiii,"axG",@progbits,_ZL12mul_mat_q5_KIN3c104HalfELb0EEvPKvS3_PT_iiiii,comdat
	.globl	_ZL12mul_mat_q5_KIN3c104HalfELb0EEvPKvS3_PT_iiiii ; -- Begin function _ZL12mul_mat_q5_KIN3c104HalfELb0EEvPKvS3_PT_iiiii
	.p2align	8
	.type	_ZL12mul_mat_q5_KIN3c104HalfELb0EEvPKvS3_PT_iiiii,@function
_ZL12mul_mat_q5_KIN3c104HalfELb0EEvPKvS3_PT_iiiii: ; @_ZL12mul_mat_q5_KIN3c104HalfELb0EEvPKvS3_PT_iiiii
; %bb.0:
	s_clause 0x1
	s_load_b32 s10, s[0:1], 0x18
	s_load_b96 s[4:6], s[0:1], 0x20
	v_bfe_u32 v1, v0, 10, 10
	v_and_b32_e32 v32, 0x3ff, v0
	s_lshl_b32 s7, ttmp7, 6
	scratch_store_b32 off, v1, off offset:204 ; 4-byte Folded Spill
	s_wait_kmcnt 0x0
	s_cmp_gt_i32 s10, 0xff
	s_cbranch_scc1 .LBB153_2
; %bb.1:
	v_bfe_u32 v4, v0, 10, 10
	v_and_b32_e32 v9, 0x3ff, v0
	s_mov_b32 s2, 0
	s_delay_alu instid0(VALU_DEP_2)
	v_add_nc_u32_e32 v10, s7, v4
	s_branch .LBB153_3
.LBB153_2:
	s_mov_b32 s2, -1
                                        ; implicit-def: $vgpr4
                                        ; implicit-def: $vgpr9
                                        ; implicit-def: $vgpr10
.LBB153_3:
	s_load_b64 s[8:9], s[0:1], 0x10
	s_lshl_b32 s14, ttmp9, 7
	s_and_not1_b32 vcc_lo, exec_lo, s2
	s_mov_b32 s11, 0
	s_cbranch_vccnz .LBB153_11
; %bb.4:
	s_ashr_i32 s12, s10, 31
	v_bfe_u32 v24, v0, 10, 10
	s_lshr_b32 s12, s12, 24
	s_ashr_i32 s13, s5, 31
	s_add_co_i32 s10, s10, s12
	s_lshr_b32 s13, s13, 27
	s_ashr_i32 s15, s10, 8
	v_add_nc_u32_e32 v17, s7, v24
	s_lshl_b32 s16, s15, 3
	s_add_co_i32 s10, s4, -1
	v_mad_i32_i24 v6, s15, v24, s16
	v_cvt_f64_i32_e32 v[1:2], s10
	v_cvt_f64_u32_e32 v[3:4], v17
	v_lshlrev_b32_e32 v31, 3, v24
	s_add_co_i32 s5, s5, s13
	v_dual_mov_b32 v131, 0 :: v_dual_add_nc_u32 v10, s16, v6
	scratch_store_b32 off, v6, off offset:208 ; 4-byte Folded Spill
	v_add_nc_u32_e32 v5, 8, v17
	v_add_nc_u32_e32 v7, 16, v17
	v_add_nc_u32_e32 v14, s16, v10
	scratch_store_b32 off, v10, off offset:212 ; 4-byte Folded Spill
	v_dual_mov_b32 v174, v131 :: v_dual_add_nc_u32 v9, 24, v17
	v_dual_mov_b32 v38, v131 :: v_dual_add_nc_u32 v11, 32, v17
	;; [unrolled: 1-line block ×3, first 2 shown]
	scratch_store_b32 off, v14, off offset:216 ; 4-byte Folded Spill
	v_dual_mov_b32 v166, v131 :: v_dual_add_nc_u32 v13, 40, v17
	v_dual_mov_b32 v86, v131 :: v_dual_add_nc_u32 v19, s16, v18
	scratch_store_b32 off, v18, off offset:220 ; 4-byte Folded Spill
	v_dual_mov_b32 v146, v131 :: v_dual_add_nc_u32 v15, 48, v17
	v_add_nc_u32_e32 v21, s16, v19
	scratch_store_b32 off, v19, off offset:224 ; 4-byte Folded Spill
	v_bfe_u32 v19, v0, 2, 8
	v_mov_b32_e32 v132, v131
	v_cvt_f64_u32_e32 v[5:6], v5
	v_cvt_f64_u32_e32 v[9:10], v9
	;; [unrolled: 1-line block ×3, first 2 shown]
	v_and_b32_e32 v23, 6, v19
	scratch_store_b32 off, v17, off offset:412 ; 4-byte Folded Spill
	v_dual_mov_b32 v88, v131 :: v_dual_add_nc_u32 v17, 56, v17
	v_cvt_f64_u32_e32 v[13:14], v13
	v_cvt_f64_u32_e32 v[15:16], v15
	v_mov_b32_e32 v138, v131
	v_cvt_f64_u32_e32 v[7:8], v7
	v_cvt_f64_u32_e32 v[17:18], v17
	v_lshlrev_b32_e32 v89, 2, v32
	v_dual_mov_b32 v169, v131 :: v_dual_and_b32 v20, 7, v0
	v_add_nc_u32_e32 v22, s16, v21
	scratch_store_b32 off, v21, off offset:232 ; 4-byte Folded Spill
	v_dual_mov_b32 v90, v131 :: v_dual_and_b32 v21, 0x7c, v89
	v_dual_mov_b32 v139, v131 :: v_dual_lshlrev_b32 v20, 2, v20
	v_add_nc_u32_e32 v25, s16, v22
	s_clause 0x1
	scratch_store_b32 off, v21, off offset:240
	scratch_store_b32 off, v22, off offset:236
	v_dual_mov_b32 v176, v131 :: v_dual_lshlrev_b32 v21, 3, v32
	v_dual_mov_b32 v135, v132 :: v_dual_lshlrev_b32 v92, 5, v24
	scratch_store_b32 off, v23, off offset:244 ; 4-byte Folded Spill
	v_and_or_b32 v20, 0xc0, v21, v20
	v_or_b32_e32 v21, 1, v23
	v_mov_b32_e32 v134, v131
	s_clause 0x1
	scratch_store_b32 off, v21, off offset:256
	scratch_store_b32 off, v25, off offset:248
	v_add_nc_u32_e32 v21, s16, v25
	v_min_num_f64_e32 v[3:4], v[3:4], v[1:2]
	v_min_num_f64_e32 v[5:6], v[5:6], v[1:2]
	v_min_num_f64_e32 v[9:10], v[9:10], v[1:2]
	v_min_num_f64_e32 v[11:12], v[11:12], v[1:2]
	v_add_nc_u32_e32 v26, v92, v32
	s_ashr_i32 s5, s5, 5
	v_dual_mov_b32 v137, v132 :: v_dual_mov_b32 v136, v131
	v_min_num_f64_e32 v[13:14], v[13:14], v[1:2]
	v_min_num_f64_e32 v[15:16], v[15:16], v[1:2]
	v_dual_mov_b32 v148, v132 :: v_dual_add_nc_u32 v23, s16, v21
	v_min_num_f64_e32 v[7:8], v[7:8], v[1:2]
	v_min_num_f64_e32 v[1:2], v[17:18], v[1:2]
	v_add_nc_u32_e32 v18, 48, v24
	s_delay_alu instid0(VALU_DEP_4) | instskip(SKIP_3) | instid1(VALU_DEP_4)
	v_dual_mov_b32 v168, v132 :: v_dual_add_nc_u32 v25, s16, v23
	v_and_b32_e32 v17, 3, v0
	v_mov_b32_e32 v147, v131
	v_mul_u32_u24_e32 v22, 0x41, v24
	v_add_nc_u32_e32 v27, s16, v25
	s_load_b128 s[0:3], s[0:1], 0x0
	v_mov_b32_e32 v171, v132
	v_cmp_gt_u32_e32 vcc_lo, 2, v17
	v_bfe_u32 v33, v0, 5, 5
	v_add_nc_u32_e32 v29, s16, v27
	scratch_store_b32 off, v27, off offset:276 ; 4-byte Folded Spill
	v_lshrrev_b32_e32 v27, 3, v26
	v_and_b32_e32 v26, 0x7f, v26
	v_lshl_add_u32 v20, v22, 2, v20
	v_add_nc_u32_e32 v35, s16, v29
	v_bfe_u32 v144, v0, 3, 7
	v_and_b32_e32 v27, 12, v27
	v_lshlrev_b32_e32 v30, 2, v26
	v_mul_i32_i24_e32 v26, s15, v26
	scratch_store_b32 off, v29, off offset:280 ; 4-byte Folded Spill
	v_add_nc_u32_e32 v29, 0xfe, v17
	v_dual_mov_b32 v73, v131 :: v_dual_add_nc_u32 v22, 24, v24
	scratch_store_b32 off, v26, off offset:292 ; 4-byte Folded Spill
	v_add3_u32 v26, v30, v27, 0xae40
	v_and_b32_e32 v29, 0xff, v29
	v_cvt_i32_f64_e32 v3, v[3:4]
	v_cvt_i32_f64_e32 v4, v[5:6]
	v_mov_b32_e32 v30, v131
	v_dual_mov_b32 v145, v131 :: v_dual_and_b32 v34, 28, v89
	v_cndmask_b32_e32 v27, v29, v17, vcc_lo
	v_cmp_ne_u32_e32 vcc_lo, 0, v17
	v_and_b32_e32 v29, 4, v89
	v_cvt_i32_f64_e32 v6, v[7:8]
	v_cvt_i32_f64_e32 v7, v[9:10]
	;; [unrolled: 1-line block ×3, first 2 shown]
	s_wait_alu 0xfffd
	v_add_co_ci_u32_e64 v5, null, 0, v27, vcc_lo
	v_cmp_lt_u32_e32 vcc_lo, 1, v17
	v_cvt_i32_f64_e32 v1, v[1:2]
	v_lshlrev_b32_e32 v2, 1, v27
	v_lshlrev_b32_e32 v14, 2, v17
	v_dual_mov_b32 v167, v131 :: v_dual_add_nc_u32 v28, 56, v24
	s_wait_alu 0xfffd
	v_cndmask_b32_e32 v8, 0, v29, vcc_lo
	s_clause 0x1
	scratch_store_b32 off, v26, off offset:296
	scratch_store_b32 off, v2, off offset:304
	v_add_nc_u32_e32 v26, v19, v31
	v_cndmask_b32_e64 v13, 0, 1, vcc_lo
	scratch_store_b32 off, v8, off offset:300 ; 4-byte Folded Spill
	v_cvt_i32_f64_e32 v8, v[11:12]
	v_cvt_i32_f64_e32 v12, v[15:16]
	v_and_b32_e32 v9, 0x7f, v26
	v_add_nc_u16 v11, v19, v31
	v_and_b32_e32 v19, 63, v26
	s_mul_i32 s12, s15, s14
	v_lshlrev_b32_e32 v151, 5, v22
	v_xor_b32_e32 v15, 64, v9
	v_lshrrev_b16 v11, 1, v11
	v_lshl_or_b32 v2, v9, 4, v14
	v_mul_i32_i24_e32 v9, s15, v9
	v_or_b32_e32 v26, s7, v19
	v_lshrrev_b32_e32 v16, 1, v15
	v_and_b32_e32 v11, 60, v11
	v_mul_lo_u32 v133, s5, v3
	v_mul_lo_u32 v140, s5, v4
	v_lshlrev_b32_e32 v3, 7, v24
	v_and_b32_e32 v16, 60, v16
	v_add3_u32 v2, v2, v11, 0xa200
	scratch_store_b32 off, v9, off offset:308 ; 4-byte Folded Spill
	v_lshl_or_b32 v9, v15, 4, v14
	v_mul_i32_i24_e32 v11, s15, v15
	v_mul_lo_u32 v74, s5, v6
	scratch_store_b32 off, v2, off offset:312 ; 4-byte Folded Spill
	v_mul_lo_u32 v72, s5, v7
	v_add3_u32 v9, v9, v16, 0xa200
	scratch_store_b32 off, v11, off offset:316 ; 4-byte Folded Spill
	v_lshl_or_b32 v11, v19, 4, v14
	v_mul_lo_u32 v69, s5, v10
	v_mul_lo_u32 v75, s5, v1
	scratch_store_b32 off, v9, off offset:320 ; 4-byte Folded Spill
	v_min_i32_e32 v9, s10, v26
	v_and_b32_e32 v2, 31, v0
	s_clause 0x1
	scratch_store_b32 off, v23, off offset:268
	scratch_store_b32 off, v25, off offset:272
	v_add_nc_u32_e32 v102, 0xaa40, v11
	v_mad_co_u64_u32 v[14:15], null, v9, s5, v[17:18]
	v_mul_lo_u32 v71, s5, v8
	v_mul_lo_u32 v70, s5, v12
	s_movk_i32 s5, 0x2080
	scratch_store_b32 off, v35, off offset:284 ; 4-byte Folded Spill
	s_wait_alu 0xfffe
	v_mad_u32_u24 v161, 0x104, v32, s5
	s_movk_i32 s5, 0x4100
	v_add_nc_u32_e32 v35, s16, v35
	s_wait_alu 0xfffe
	v_mad_u32_u24 v0, 0x104, v32, s5
	s_movk_i32 s5, 0x6180
	s_clause 0x4
	scratch_store_b32 off, v20, off offset:264
	scratch_store_b32 off, v21, off offset:260
	;; [unrolled: 1-line block ×4, first 2 shown]
	scratch_store_b64 off, v[14:15], off offset:324
	v_add_nc_u32_e32 v10, 32, v32
	v_add_nc_u32_e32 v11, 64, v32
	;; [unrolled: 1-line block ×3, first 2 shown]
	s_wait_alu 0xfffe
	v_mad_u32_u24 v0, 0x104, v32, s5
	v_dual_mov_b32 v87, v131 :: v_dual_add_nc_u32 v20, 8, v24
	v_dual_mov_b32 v170, v131 :: v_dual_add_nc_u32 v21, 16, v24
	v_add_nc_u32_e32 v23, 32, v24
	v_add_nc_u32_e32 v25, 40, v24
	s_clause 0x1
	scratch_store_b32 off, v35, off offset:288
	scratch_store_b32 off, v32, off offset:408
	v_lshrrev_b32_e32 v141, 3, v10
	v_lshrrev_b32_e32 v142, 3, v11
	;; [unrolled: 1-line block ×3, first 2 shown]
	s_clause 0x1
	scratch_store_b32 off, v0, off offset:12
	scratch_store_b32 off, v34, off offset:252
	v_lshlrev_b32_e32 v0, 2, v5
	v_lshl_or_b32 v2, v2, 2, 0x8200
	v_lshlrev_b32_e32 v4, 7, v20
	v_lshlrev_b32_e32 v6, 7, v21
	;; [unrolled: 1-line block ×8, first 2 shown]
	v_and_b32_e32 v16, 60, v141
	v_and_b32_e32 v17, 60, v142
	;; [unrolled: 1-line block ×3, first 2 shown]
	scratch_store_b32 off, v0, off offset:332 ; 4-byte Folded Spill
	v_lshlrev_b32_e32 v0, 2, v13
	s_wait_kmcnt 0x0
	v_add_co_u32 v33, s5, s2, v34
	s_ashr_i32 s13, s12, 31
	v_add3_u32 v106, v15, v89, 0xae40
	v_add3_u32 v104, v89, v16, 0xae40
	;; [unrolled: 1-line block ×4, first 2 shown]
	v_lshlrev_b32_e32 v149, 5, v20
	v_lshlrev_b32_e32 v150, 5, v21
	;; [unrolled: 1-line block ×6, first 2 shown]
	v_mul_u32_u24_e32 v156, 0x104, v32
	v_lshlrev_b32_e32 v157, 4, v10
	v_lshlrev_b32_e32 v29, 4, v11
	v_lshlrev_b32_e32 v164, 4, v12
	s_wait_alu 0xf1ff
	v_add_co_ci_u32_e64 v34, null, s3, 0, s5
	scratch_store_b32 off, v0, off offset:336 ; 4-byte Folded Spill
	v_add_nc_u32_e32 v37, v2, v3
	v_add_nc_u32_e32 v35, v2, v4
	;; [unrolled: 1-line block ×8, first 2 shown]
	v_dual_mov_b32 v0, v131 :: v_dual_mov_b32 v31, v131
	v_mov_b32_e32 v32, v131
	s_mul_u64 s[12:13], s[12:13], 0xb0
	s_mov_b32 s10, s11
	s_add_nc_u64 s[0:1], s[0:1], s[12:13]
	s_clause 0x1c
	scratch_store_b32 off, v0, off
	scratch_store_b32 off, v0, off offset:4
	scratch_store_b32 off, v89, off offset:340
	;; [unrolled: 1-line block ×19, first 2 shown]
	scratch_store_b64 off, v[33:34], off offset:368
	scratch_store_b32 off, v37, off offset:376
	scratch_store_b32 off, v35, off offset:380
	;; [unrolled: 1-line block ×8, first 2 shown]
.LBB153_5:                              ; =>This Loop Header: Depth=1
                                        ;     Child Loop BB153_6 Depth 2
                                        ;     Child Loop BB153_8 Depth 2
	s_clause 0x1
	scratch_load_b32 v0, off, off offset:228
	scratch_load_b32 v28, off, off offset:252
	s_wait_alu 0xfffe
	s_mul_u64 s[12:13], s[10:11], 0xb0
	s_clause 0x3
	scratch_load_b32 v24, off, off offset:240
	scratch_load_b32 v2, off, off offset:208
	;; [unrolled: 1-line block ×4, first 2 shown]
	s_wait_alu 0xfffe
	s_add_nc_u64 s[12:13], s[0:1], s[12:13]
	s_lshl_b32 s5, s10, 3
	s_mov_b32 s16, 0
	s_wait_loadcnt 0x5
	s_wait_alu 0xfffe
	v_mad_co_u64_u32 v[8:9], null, 0xb0, v0, s[12:13]
	scratch_load_b32 v0, off, off offset:204 ; 4-byte Folded Reload
	s_wait_loadcnt 0x3
	v_mad_co_u64_u32 v[2:3], null, 0xb0, v2, v[8:9]
	s_wait_loadcnt 0x2
	v_mad_co_u64_u32 v[4:5], null, 0xb0, v4, v[8:9]
	;; [unrolled: 2-line block ×3, first 2 shown]
	s_wait_loadcnt 0x0
	v_mul_i32_i24_e32 v0, s15, v0
	s_delay_alu instid0(VALU_DEP_1) | instskip(NEXT) | instid1(VALU_DEP_1)
	v_mad_co_u64_u32 v[0:1], null, 0xb0, v0, v[8:9]
	v_add_co_u32 v6, vcc_lo, v0, v24
	s_wait_alu 0xfffd
	s_delay_alu instid0(VALU_DEP_2)
	v_add_co_ci_u32_e64 v7, null, 0, v1, vcc_lo
	v_add_co_u32 v0, vcc_lo, v0, v28
	s_wait_alu 0xfffd
	v_add_co_ci_u32_e64 v1, null, 0, v1, vcc_lo
	v_add_co_u32 v10, vcc_lo, v2, v24
	s_wait_alu 0xfffd
	;; [unrolled: 3-line block ×4, first 2 shown]
	v_add_co_ci_u32_e64 v15, null, 0, v5, vcc_lo
	v_add_co_u32 v16, vcc_lo, v4, v28
	scratch_load_b32 v4, off, off offset:220 ; 4-byte Folded Reload
	s_wait_alu 0xfffd
	v_add_co_ci_u32_e64 v17, null, 0, v5, vcc_lo
	v_add_co_u32 v18, vcc_lo, v12, v24
	s_wait_alu 0xfffd
	v_add_co_ci_u32_e64 v19, null, 0, v13, vcc_lo
	v_add_co_u32 v12, vcc_lo, v12, v28
	s_wait_alu 0xfffd
	v_add_co_ci_u32_e64 v13, null, 0, v13, vcc_lo
	s_wait_loadcnt 0x0
	v_mad_co_u64_u32 v[20:21], null, 0xb0, v4, v[8:9]
	s_clause 0x7
	global_load_b32 v7, v[6:7], off offset:48
	global_load_b32 v6, v[0:1], off offset:16
	;; [unrolled: 1-line block ×8, first 2 shown]
	s_clause 0x2
	scratch_load_b32 v10, off, off offset:224
	scratch_load_b32 v18, off, off offset:232
	;; [unrolled: 1-line block ×3, first 2 shown]
	v_add_co_u32 v12, vcc_lo, v20, v24
	s_wait_alu 0xfffd
	v_add_co_ci_u32_e64 v13, null, 0, v21, vcc_lo
	v_add_co_u32 v14, vcc_lo, v20, v28
	scratch_load_b32 v20, off, off offset:236 ; 4-byte Folded Reload
	s_wait_alu 0xfffd
	v_add_co_ci_u32_e64 v15, null, 0, v21, vcc_lo
	s_wait_loadcnt 0x3
	v_mad_co_u64_u32 v[10:11], null, 0xb0, v10, v[8:9]
	s_wait_loadcnt 0x2
	v_mad_co_u64_u32 v[18:19], null, 0xb0, v18, v[8:9]
	;; [unrolled: 2-line block ×3, first 2 shown]
	s_delay_alu instid0(VALU_DEP_3) | instskip(SKIP_1) | instid1(VALU_DEP_4)
	v_add_co_u32 v16, vcc_lo, v10, v24
	s_wait_alu 0xfffd
	v_add_co_ci_u32_e64 v17, null, 0, v11, vcc_lo
	s_wait_loadcnt 0x0
	v_mad_co_u64_u32 v[20:21], null, 0xb0, v20, v[8:9]
	v_add_co_u32 v10, vcc_lo, v10, v28
	s_wait_alu 0xfffd
	v_add_co_ci_u32_e64 v11, null, 0, v11, vcc_lo
	v_add_co_u32 v22, vcc_lo, v18, v24
	s_wait_alu 0xfffd
	v_add_co_ci_u32_e64 v23, null, 0, v19, vcc_lo
	;; [unrolled: 3-line block ×5, first 2 shown]
	s_clause 0x7
	global_load_b32 v41, v[12:13], off offset:48
	global_load_b32 v42, v[14:15], off offset:16
	;; [unrolled: 1-line block ×8, first 2 shown]
	s_clause 0x1
	scratch_load_b32 v10, off, off offset:260
	scratch_load_b32 v18, off, off offset:268
	v_add_co_u32 v12, vcc_lo, v39, v24
	s_wait_alu 0xfffd
	v_add_co_ci_u32_e64 v13, null, 0, v40, vcc_lo
	v_add_co_u32 v14, vcc_lo, v39, v28
	s_wait_alu 0xfffd
	v_add_co_ci_u32_e64 v15, null, 0, v40, vcc_lo
	s_wait_loadcnt 0x5
	v_and_b32_e32 v76, 0xf0f0f0f, v45
	v_lshrrev_b32_e32 v45, 4, v45
	s_wait_loadcnt 0x3
	v_and_b32_e32 v78, 0xf0f0f0f, v47
	v_lshrrev_b32_e32 v47, 4, v47
	s_wait_loadcnt 0x1
	v_mad_co_u64_u32 v[10:11], null, 0xb0, v10, v[8:9]
	s_wait_loadcnt 0x0
	v_mad_co_u64_u32 v[18:19], null, 0xb0, v18, v[8:9]
	v_and_b32_e32 v45, 0xf0f0f0f, v45
	v_and_b32_e32 v47, 0xf0f0f0f, v47
	s_delay_alu instid0(VALU_DEP_4)
	v_add_co_u32 v16, vcc_lo, v10, v24
	s_wait_alu 0xfffd
	v_add_co_ci_u32_e64 v17, null, 0, v11, vcc_lo
	v_add_co_u32 v10, vcc_lo, v10, v28
	s_clause 0x2
	global_load_b32 v49, v[12:13], off offset:48
	global_load_b32 v50, v[14:15], off offset:16
	;; [unrolled: 1-line block ×3, first 2 shown]
	s_wait_alu 0xfffd
	v_add_co_ci_u32_e64 v11, null, 0, v11, vcc_lo
	v_add_co_u32 v12, vcc_lo, v18, v24
	s_wait_alu 0xfffd
	v_add_co_ci_u32_e64 v13, null, 0, v19, vcc_lo
	v_add_co_u32 v14, vcc_lo, v18, v28
	s_wait_alu 0xfffd
	v_add_co_ci_u32_e64 v15, null, 0, v19, vcc_lo
	s_clause 0x2
	global_load_b32 v52, v[10:11], off offset:16
	global_load_b32 v53, v[12:13], off offset:48
	;; [unrolled: 1-line block ×3, first 2 shown]
	s_clause 0x1
	scratch_load_b32 v10, off, off offset:272
	scratch_load_b32 v14, off, off offset:276
	s_wait_loadcnt 0x7
	v_and_b32_e32 v80, 0xf0f0f0f, v49
	v_lshrrev_b32_e32 v49, 4, v49
	s_wait_loadcnt 0x5
	v_and_b32_e32 v82, 0xf0f0f0f, v51
	v_lshrrev_b32_e32 v51, 4, v51
	s_delay_alu instid0(VALU_DEP_3) | instskip(NEXT) | instid1(VALU_DEP_2)
	v_and_b32_e32 v49, 0xf0f0f0f, v49
	v_and_b32_e32 v51, 0xf0f0f0f, v51
	s_wait_loadcnt 0x3
	v_and_b32_e32 v84, 0xf0f0f0f, v53
	v_lshrrev_b32_e32 v53, 4, v53
	s_wait_loadcnt 0x1
	v_mad_co_u64_u32 v[10:11], null, 0xb0, v10, v[8:9]
	s_wait_loadcnt 0x0
	v_mad_co_u64_u32 v[14:15], null, 0xb0, v14, v[8:9]
	s_delay_alu instid0(VALU_DEP_2) | instskip(SKIP_1) | instid1(VALU_DEP_3)
	v_add_co_u32 v12, vcc_lo, v10, v24
	s_wait_alu 0xfffd
	v_add_co_ci_u32_e64 v13, null, 0, v11, vcc_lo
	v_add_co_u32 v10, vcc_lo, v10, v28
	s_wait_alu 0xfffd
	v_add_co_ci_u32_e64 v11, null, 0, v11, vcc_lo
	s_clause 0x1
	global_load_b32 v55, v[12:13], off offset:48
	global_load_b32 v56, v[10:11], off offset:16
	s_clause 0x2
	scratch_load_b32 v10, off, off offset:280
	scratch_load_b32 v18, off, off offset:284
	scratch_load_b32 v20, off, off offset:288
	v_add_co_u32 v12, vcc_lo, v14, v24
	s_wait_alu 0xfffd
	v_add_co_ci_u32_e64 v13, null, 0, v15, vcc_lo
	v_add_co_u32 v14, vcc_lo, v14, v28
	s_wait_alu 0xfffd
	v_add_co_ci_u32_e64 v15, null, 0, v15, vcc_lo
	s_wait_loadcnt 0x2
	v_mad_co_u64_u32 v[10:11], null, 0xb0, v10, v[8:9]
	s_wait_loadcnt 0x1
	v_mad_co_u64_u32 v[18:19], null, 0xb0, v18, v[8:9]
	;; [unrolled: 2-line block ×3, first 2 shown]
	s_delay_alu instid0(VALU_DEP_3) | instskip(SKIP_1) | instid1(VALU_DEP_4)
	v_add_co_u32 v16, vcc_lo, v10, v24
	s_wait_alu 0xfffd
	v_add_co_ci_u32_e64 v17, null, 0, v11, vcc_lo
	v_add_co_u32 v10, vcc_lo, v10, v28
	s_wait_alu 0xfffd
	v_add_co_ci_u32_e64 v11, null, 0, v11, vcc_lo
	;; [unrolled: 3-line block ×4, first 2 shown]
	v_add_co_u32 v22, vcc_lo, v8, v24
	scratch_load_b32 v24, off, off offset:308 ; 4-byte Folded Reload
	s_wait_alu 0xfffd
	v_add_co_ci_u32_e64 v23, null, 0, v9, vcc_lo
	v_add_co_u32 v8, vcc_lo, v8, v28
	s_wait_alu 0xfffd
	v_add_co_ci_u32_e64 v9, null, 0, v9, vcc_lo
	s_clause 0x7
	global_load_b32 v57, v[12:13], off offset:48
	global_load_b32 v58, v[14:15], off offset:16
	global_load_b32 v59, v[16:17], off offset:48
	global_load_b32 v60, v[10:11], off offset:16
	global_load_b32 v61, v[20:21], off offset:48
	global_load_b32 v62, v[18:19], off offset:16
	global_load_b32 v63, v[22:23], off offset:48
	global_load_b32 v64, v[8:9], off offset:16
	s_clause 0x3
	scratch_load_b32 v8, off, off offset:292
	scratch_load_b32 v10, off, off offset:316
	;; [unrolled: 1-line block ×4, first 2 shown]
	v_add_nc_u32_e32 v20, s5, v144
	s_delay_alu instid0(VALU_DEP_1) | instskip(SKIP_3) | instid1(VALU_DEP_4)
	v_add_nc_u32_e32 v22, v20, v70
	v_add_nc_u32_e32 v21, v20, v69
	v_and_b32_e32 v69, 0xf0f0f0f, v1
	v_lshrrev_b32_e32 v1, 4, v1
	v_mad_co_i64_i32 v[22:23], null, v22, 36, v[33:34]
	s_delay_alu instid0(VALU_DEP_2)
	v_and_b32_e32 v1, 0xf0f0f0f, v1
	s_wait_loadcnt 0xc
	v_mad_co_u64_u32 v[25:26], null, 0xb0, v24, s[12:13]
	s_wait_loadcnt 0x3
	v_mad_co_u64_u32 v[8:9], null, 0xb0, v8, s[12:13]
	;; [unrolled: 2-line block ×3, first 2 shown]
	s_wait_loadcnt 0x1
	s_delay_alu instid0(VALU_DEP_3)
	v_add_co_u32 v12, vcc_lo, v25, v16
	s_wait_alu 0xfffd
	v_add_co_ci_u32_e64 v13, null, 0, v26, vcc_lo
	s_wait_loadcnt 0x0
	v_add_co_u32 v14, vcc_lo, v25, v18
	s_wait_alu 0xfffd
	v_add_co_ci_u32_e64 v15, null, 0, v26, vcc_lo
	v_add_co_u32 v16, vcc_lo, v10, v16
	s_wait_alu 0xfffd
	v_add_co_ci_u32_e64 v17, null, 0, v11, vcc_lo
	;; [unrolled: 3-line block ×3, first 2 shown]
	s_clause 0x3
	global_load_b32 v65, v[12:13], off offset:4
	global_load_b32 v66, v[14:15], off offset:4
	;; [unrolled: 1-line block ×4, first 2 shown]
	scratch_load_b64 v[10:11], off, off offset:324 ; 8-byte Folded Reload
	v_add_nc_u32_e32 v18, v20, v133
	v_add_nc_u32_e32 v14, v20, v74
	;; [unrolled: 1-line block ×5, first 2 shown]
	v_and_b32_e32 v74, 0xf0f0f0f, v43
	v_mad_co_i64_i32 v[14:15], null, v14, 36, v[33:34]
	v_mad_co_i64_i32 v[25:26], null, v25, 36, v[33:34]
	;; [unrolled: 1-line block ×4, first 2 shown]
	v_lshrrev_b32_e32 v43, 4, v43
	s_mov_b32 s12, -1
	s_delay_alu instid0(VALU_DEP_1)
	v_and_b32_e32 v43, 0xf0f0f0f, v43
	s_wait_loadcnt 0x0
	v_add_nc_u32_e32 v24, s5, v10
	v_mad_co_i64_i32 v[10:11], null, v18, 36, v[33:34]
	v_add_nc_u32_e32 v18, v20, v71
	v_mad_co_i64_i32 v[20:21], null, v21, 36, v[33:34]
	scratch_store_b32 off, v24, off offset:16 ; 4-byte Folded Spill
	v_mad_co_u64_u32 v[39:40], null, v24, 36, s[2:3]
	v_mad_co_i64_i32 v[18:19], null, v18, 36, v[33:34]
	global_load_b32 v8, v[8:9], off
	s_clause 0x8
	global_load_b32 v9, v[10:11], off offset:4
	global_load_b32 v10, v[14:15], off offset:4
	;; [unrolled: 1-line block ×8, first 2 shown]
	global_load_b32 v13, v[39:40], off
	s_clause 0x2
	scratch_load_b32 v28, off, off offset:264
	scratch_load_b32 v24, off, off offset:244
	;; [unrolled: 1-line block ×3, first 2 shown]
	v_and_b32_e32 v22, 0xf0f0f0f, v7
	v_lshrrev_b32_e32 v7, 4, v7
	v_and_b32_e32 v25, 0xf0f0f0f, v5
	v_lshrrev_b32_e32 v5, 4, v5
	;; [unrolled: 2-line block ×4, first 2 shown]
	v_and_b32_e32 v7, 0xf0f0f0f, v7
	v_and_b32_e32 v5, 0xf0f0f0f, v5
	;; [unrolled: 1-line block ×3, first 2 shown]
	s_delay_alu instid0(VALU_DEP_4)
	v_and_b32_e32 v41, 0xf0f0f0f, v41
	s_wait_loadcnt 0x2
	v_add_nc_u32_e32 v17, 0x800, v28
	s_wait_loadcnt 0x1
	v_ashrrev_i32_e32 v23, v24, v6
	s_wait_loadcnt 0x0
	v_ashrrev_i32_e32 v6, v27, v6
	v_ashrrev_i32_e32 v26, v24, v4
	;; [unrolled: 1-line block ×11, first 2 shown]
	v_lshlrev_b32_e32 v23, 4, v23
	v_lshlrev_b32_e32 v6, 4, v6
	v_ashrrev_i32_e32 v77, v24, v46
	v_ashrrev_i32_e32 v46, v27, v46
	v_lshlrev_b32_e32 v26, 4, v26
	v_lshlrev_b32_e32 v4, 4, v4
	v_ashrrev_i32_e32 v79, v24, v48
	v_ashrrev_i32_e32 v48, v27, v48
	v_lshlrev_b32_e32 v40, 4, v40
	v_lshlrev_b32_e32 v2, 4, v2
	v_ashrrev_i32_e32 v81, v24, v50
	v_ashrrev_i32_e32 v50, v27, v50
	v_lshlrev_b32_e32 v70, 4, v70
	v_lshlrev_b32_e32 v0, 4, v0
	;; [unrolled: 1-line block ×6, first 2 shown]
	v_and_or_b32 v22, 0x10101010, v23, v22
	v_and_or_b32 v6, 0x10101010, v6, v7
	v_lshlrev_b32_e32 v77, 4, v77
	v_lshlrev_b32_e32 v46, 4, v46
	v_and_or_b32 v7, 0x10101010, v26, v25
	v_and_or_b32 v4, 0x10101010, v4, v5
	v_add_nc_u32_e32 v19, 0x1000, v28
	v_lshlrev_b32_e32 v79, 4, v79
	v_lshlrev_b32_e32 v48, 4, v48
	v_and_or_b32 v5, 0x10101010, v40, v39
	v_and_or_b32 v2, 0x10101010, v2, v3
	v_add_nc_u32_e32 v20, 0x1800, v28
	v_ashrrev_i32_e32 v83, v24, v52
	v_ashrrev_i32_e32 v52, v27, v52
	v_lshlrev_b32_e32 v81, 4, v81
	v_lshlrev_b32_e32 v50, 4, v50
	v_and_or_b32 v3, 0x10101010, v70, v69
	v_and_or_b32 v0, 0x10101010, v0, v1
	v_add_nc_u32_e32 v21, 0x2000, v28
	v_ashrrev_i32_e32 v85, v24, v54
	v_ashrrev_i32_e32 v54, v27, v54
	v_and_or_b32 v1, 0x10101010, v72, v71
	v_and_or_b32 v23, 0x10101010, v42, v41
	;; [unrolled: 1-line block ×4, first 2 shown]
	ds_store_2addr_b32 v28, v22, v6 offset1:8
	ds_store_2addr_b32 v17, v7, v4 offset0:8 offset1:16
	ds_store_2addr_b32 v19, v5, v2 offset0:16 offset1:24
	;; [unrolled: 1-line block ×3, first 2 shown]
	v_add_nc_u32_e32 v0, 0x2800, v28
	v_and_or_b32 v39, 0x10101010, v77, v76
	v_and_or_b32 v40, 0x10101010, v46, v45
	v_add_nc_u32_e32 v2, 0x3000, v28
	v_and_or_b32 v41, 0x10101010, v79, v78
	v_and_or_b32 v42, 0x10101010, v48, v47
	v_add_nc_u32_e32 v3, 0x3800, v28
	v_lshlrev_b32_e32 v83, 4, v83
	v_lshlrev_b32_e32 v52, 4, v52
	v_and_or_b32 v43, 0x10101010, v81, v80
	v_and_or_b32 v44, 0x10101010, v50, v49
	v_add_nc_u32_e32 v4, 0x4000, v28
	ds_store_2addr_b32 v21, v1, v23 offset0:32 offset1:40
	ds_store_2addr_b32 v0, v25, v26 offset0:40 offset1:48
	;; [unrolled: 1-line block ×5, first 2 shown]
	v_and_b32_e32 v0, 0xf0f0f0f, v53
	v_lshlrev_b32_e32 v1, 4, v54
	v_lshrrev_b32_e32 v3, 4, v55
	v_ashrrev_i32_e32 v5, v24, v56
	v_ashrrev_i32_e32 v6, v27, v56
	v_lshlrev_b32_e32 v85, 4, v85
	v_and_or_b32 v45, 0x10101010, v83, v82
	v_and_or_b32 v2, 0x10101010, v52, v51
	v_lshrrev_b32_e32 v7, 4, v57
	v_ashrrev_i32_e32 v17, v24, v58
	v_ashrrev_i32_e32 v19, v27, v58
	v_add_nc_u32_e32 v21, 0x4800, v28
	v_and_or_b32 v0, 0x10101010, v1, v0
	v_and_b32_e32 v1, 0xf0f0f0f, v55
	v_and_b32_e32 v3, 0xf0f0f0f, v3
	v_lshlrev_b32_e32 v5, 4, v5
	v_lshlrev_b32_e32 v6, 4, v6
	v_and_or_b32 v4, 0x10101010, v85, v84
	v_and_b32_e32 v20, 0xf0f0f0f, v57
	v_and_b32_e32 v7, 0xf0f0f0f, v7
	v_lshlrev_b32_e32 v17, 4, v17
	v_lshlrev_b32_e32 v19, 4, v19
	ds_store_2addr_b32 v21, v45, v2 offset0:72 offset1:80
	v_add_nc_u32_e32 v2, 0x5000, v28
	v_and_or_b32 v1, 0x10101010, v5, v1
	v_and_or_b32 v3, 0x10101010, v6, v3
	v_add_nc_u32_e32 v5, 0x5800, v28
	v_and_or_b32 v6, 0x10101010, v17, v20
	v_and_or_b32 v7, 0x10101010, v19, v7
	v_add_nc_u32_e32 v17, 0x6000, v28
	ds_store_2addr_b32 v2, v4, v0 offset0:80 offset1:88
	ds_store_2addr_b32 v5, v1, v3 offset0:88 offset1:96
	v_ashrrev_i32_e32 v1, v24, v60
	v_ashrrev_i32_e32 v4, v24, v62
	v_lshrrev_b32_e32 v0, 4, v59
	ds_store_2addr_b32 v17, v6, v7 offset0:96 offset1:104
	v_ashrrev_i32_e32 v2, v27, v60
	v_and_b32_e32 v3, 0xf0f0f0f, v59
	v_lshlrev_b32_e32 v1, 4, v1
	v_ashrrev_i32_e32 v7, v27, v62
	v_and_b32_e32 v5, 0xf0f0f0f, v61
	v_lshlrev_b32_e32 v4, 4, v4
	v_and_b32_e32 v0, 0xf0f0f0f, v0
	v_lshlrev_b32_e32 v2, 4, v2
	v_lshrrev_b32_e32 v6, 4, v61
	v_and_or_b32 v1, 0x10101010, v1, v3
	v_lshlrev_b32_e32 v3, 4, v7
	v_ashrrev_i32_e32 v7, v24, v64
	s_clause 0x1
	scratch_load_b32 v20, off, off offset:300
	scratch_load_b32 v22, off, off offset:304
	v_and_or_b32 v4, 0x10101010, v4, v5
	v_lshrrev_b32_e32 v5, 4, v63
	v_ashrrev_i32_e32 v17, v27, v64
	v_and_or_b32 v0, 0x10101010, v2, v0
	v_and_b32_e32 v2, 0xf0f0f0f, v6
	v_and_b32_e32 v6, 0xf0f0f0f, v63
	v_lshlrev_b32_e32 v7, 4, v7
	v_and_b32_e32 v5, 0xf0f0f0f, v5
	v_lshlrev_b32_e32 v17, 4, v17
	v_and_or_b32 v2, 0x10101010, v3, v2
	v_mov_b32_e32 v24, v73
	v_and_or_b32 v3, 0x10101010, v7, v6
	v_add_nc_u32_e32 v6, 0x6800, v28
	v_add_nc_u32_e32 v7, 0x7000, v28
	v_and_or_b32 v5, 0x10101010, v17, v5
	v_add_nc_u32_e32 v17, 0x7800, v28
	ds_store_2addr_b32 v6, v1, v0 offset0:104 offset1:112
	ds_store_2addr_b32 v7, v4, v2 offset0:112 offset1:120
	;; [unrolled: 1-line block ×3, first 2 shown]
	scratch_load_b32 v0, off, off offset:312 ; 4-byte Folded Reload
	v_mov_b32_e32 v25, v86
	v_dual_mov_b32 v27, v87 :: v_dual_mov_b32 v28, v88
	s_wait_loadcnt 0x2
	v_ashrrev_i32_e32 v19, v20, v65
	s_wait_loadcnt 0x1
	v_ashrrev_i32_e32 v21, v22, v66
	v_ashrrev_i32_e32 v20, v20, v67
	;; [unrolled: 1-line block ×3, first 2 shown]
	v_and_b32_e32 v19, 0xf0f0f0f, v19
	s_delay_alu instid0(VALU_DEP_3) | instskip(NEXT) | instid1(VALU_DEP_2)
	v_and_b32_e32 v20, 0xf0f0f0f, v20
	v_and_or_b32 v19, 0x30303030, v21, v19
	s_delay_alu instid0(VALU_DEP_2)
	v_and_or_b32 v20, 0x30303030, v22, v20
	s_wait_loadcnt 0x0
	ds_store_b32 v0, v19
	scratch_load_b32 v0, off, off offset:320 ; 4-byte Folded Reload
	s_wait_loadcnt 0x0
	ds_store_b32 v0, v20
	ds_store_b32 v37, v9
	;; [unrolled: 1-line block ×5, first 2 shown]
	scratch_load_b32 v0, off, off offset:296 ; 4-byte Folded Reload
	s_wait_loadcnt 0x0
	ds_store_b32 v0, v8
	ds_store_b32 v35, v12
	;; [unrolled: 1-line block ×6, first 2 shown]
	s_wait_storecnt_dscnt 0x0
	s_barrier_signal -1
	s_barrier_wait -1
	global_inv scope:SCOPE_SE
	ds_load_b32 v0, v106
	ds_load_b32 v1, v104 offset:128
	ds_load_b32 v2, v105 offset:256
	;; [unrolled: 1-line block ×3, first 2 shown]
	s_wait_dscnt 0x3
	v_lshrrev_b32_e32 v4, 16, v0
	v_cvt_f32_f16_e32 v74, v0
	s_wait_dscnt 0x2
	v_lshrrev_b32_e32 v0, 16, v1
	v_cvt_f32_f16_e32 v76, v1
	s_wait_dscnt 0x0
	v_lshrrev_b32_e32 v1, 16, v3
	v_cvt_f32_f16_e32 v75, v4
	v_lshrrev_b32_e32 v4, 16, v2
	v_cvt_f32_f16_e32 v77, v2
	v_cvt_f32_f16_e32 v78, v0
	v_cvt_f32_f16_e64 v180, v3
	v_cvt_f32_f16_e64 v181, v1
	;; [unrolled: 1-line block ×3, first 2 shown]
	v_dual_mov_b32 v182, v74 :: v_dual_mov_b32 v183, v75
.LBB153_6:                              ;   Parent Loop BB153_5 Depth=1
                                        ; =>  This Inner Loop Header: Depth=2
	s_lshl_b32 s13, s16, 1
	v_lshlrev_b32_e32 v0, 2, v144
	v_dual_mov_b32 v100, v90 :: v_dual_lshlrev_b32 v1, 2, v89
	s_lshr_b32 s18, s16, 2
	s_wait_alu 0xfffe
	v_or_b32_e32 v10, s13, v149
	v_lshlrev_b32_e32 v6, 2, v141
	s_lshl_b32 s17, s16, 3
	s_add_co_i32 s16, s18, 0xa200
	s_wait_alu 0xfffe
	v_add_nc_u32_e32 v11, s17, v156
	v_add3_u32 v80, s16, v0, v1
	v_add_nc_u32_e32 v79, s17, v161
	v_lshlrev_b32_e32 v4, 2, v10
	v_add3_u32 v104, s16, v6, v157
	s_clause 0x1
	scratch_store_b32 off, v0, off offset:40
	scratch_store_b32 off, v1, off offset:44
	ds_load_u16 v81, v80 offset:8
	ds_load_2addr_b32 v[43:44], v11 offset1:1
	ds_load_b128 v[0:3], v4 offset:33280
	ds_load_b128 v[83:86], v4 offset:33296
	scratch_store_b32 off, v6, off offset:48 ; 4-byte Folded Spill
	ds_load_2addr_b32 v[6:7], v79 offset0:2 offset1:3
	ds_load_u16 v105, v104 offset:8
	ds_load_2addr_b32 v[8:9], v79 offset1:1
	scratch_load_b32 v13, off, off offset:8 ; 4-byte Folded Reload
	v_lshlrev_b32_e32 v16, 2, v143
	v_or_b32_e32 v127, s13, v150
	v_or_b32_e32 v230, s13, v152
	;; [unrolled: 1-line block ×3, first 2 shown]
	s_and_b32 vcc_lo, exec_lo, s12
	v_add3_u32 v109, s16, v16, v164
	v_lshlrev_b32_e32 v128, 2, v127
	v_lshlrev_b32_e32 v231, 2, v230
	;; [unrolled: 1-line block ×3, first 2 shown]
	s_mov_b32 s12, 0
	s_wait_dscnt 0x4
	v_dot4_i32_iu8 v5, v0, v43, 0 neg_lo:[1,1,0]
	s_wait_dscnt 0x0
	v_dot4_i32_iu8 v12, v8, v0, 0 neg_lo:[1,1,0]
	s_delay_alu instid0(VALU_DEP_2) | instskip(NEXT) | instid1(VALU_DEP_2)
	v_dot4_i32_iu8 v5, v1, v44, v5 neg_lo:[1,1,0]
	v_dot4_i32_iu8 v12, v9, v1, v12 neg_lo:[1,1,0]
	s_wait_loadcnt 0x0
	v_add_nc_u32_e32 v14, s17, v13
	ds_load_2addr_b32 v[61:62], v14 offset1:1
	ds_load_2addr_b32 v[53:54], v14 offset0:2 offset1:3
	ds_load_2addr_b32 v[22:23], v14 offset0:4 offset1:5
	;; [unrolled: 1-line block ×3, first 2 shown]
	scratch_load_b32 v15, off, off offset:12 ; 4-byte Folded Reload
	scratch_store_b32 off, v16, off offset:52 ; 4-byte Folded Spill
	s_wait_dscnt 0x3
	v_dot4_i32_iu8 v13, v0, v61, 0 neg_lo:[1,1,0]
	s_delay_alu instid0(VALU_DEP_1)
	v_dot4_i32_iu8 v13, v1, v62, v13 neg_lo:[1,1,0]
	s_wait_loadcnt 0x0
	v_add_nc_u32_e32 v90, s17, v15
	ds_load_2addr_b32 v[63:64], v90 offset0:2 offset1:3
	ds_load_u16 v106, v109 offset:8
	ds_load_2addr_b32 v[65:66], v90 offset1:1
	ds_load_2addr_b32 v[69:70], v11 offset0:2 offset1:3
	ds_load_2addr_b32 v[55:56], v11 offset0:4 offset1:5
	;; [unrolled: 1-line block ×4, first 2 shown]
	ds_load_b128 v[110:113], v4 offset:33312
	ds_load_b128 v[114:117], v4 offset:33328
	s_wait_dscnt 0x6
	v_dot4_i32_iu8 v0, v0, v65, 0 neg_lo:[1,1,0]
	s_delay_alu instid0(VALU_DEP_1)
	v_dot4_i32_iu8 v0, v1, v66, v0 neg_lo:[1,1,0]
	s_wait_dscnt 0x5
	v_dot4_i32_iu8 v1, v2, v69, v5 neg_lo:[1,1,0]
	v_dot4_i32_iu8 v5, v6, v2, v12 neg_lo:[1,1,0]
	;; [unrolled: 1-line block ×4, first 2 shown]
	s_delay_alu instid0(VALU_DEP_4) | instskip(NEXT) | instid1(VALU_DEP_4)
	v_dot4_i32_iu8 v87, v3, v70, v1 neg_lo:[1,1,0]
	v_dot4_i32_iu8 v93, v7, v3, v5 neg_lo:[1,1,0]
	s_delay_alu instid0(VALU_DEP_4) | instskip(NEXT) | instid1(VALU_DEP_4)
	v_dot4_i32_iu8 v96, v3, v54, v12 neg_lo:[1,1,0]
	v_dot4_i32_iu8 v101, v3, v64, v0 neg_lo:[1,1,0]
	ds_load_2addr_b32 v[2:3], v79 offset0:8 offset1:9
	ds_load_2addr_b32 v[4:5], v79 offset0:10 offset1:11
	;; [unrolled: 1-line block ×10, first 2 shown]
	s_wait_dscnt 0xb
	v_dot4_i32_iu8 v0, v110, v39, 0 neg_lo:[1,1,0]
	v_dot4_i32_iu8 v96, v83, v22, v96 neg_lo:[1,1,0]
	s_delay_alu instid0(VALU_DEP_2) | instskip(NEXT) | instid1(VALU_DEP_2)
	v_dot4_i32_iu8 v0, v111, v40, v0 neg_lo:[1,1,0]
	v_dot4_i32_iu8 v96, v84, v23, v96 neg_lo:[1,1,0]
	s_delay_alu instid0(VALU_DEP_1) | instskip(SKIP_3) | instid1(VALU_DEP_3)
	v_dot4_i32_iu8 v96, v85, v18, v96 neg_lo:[1,1,0]
	s_wait_dscnt 0x6
	v_dot4_i32_iu8 v20, v110, v51, 0 neg_lo:[1,1,0]
	v_dot4_i32_iu8 v1, v2, v110, 0 neg_lo:[1,1,0]
	;; [unrolled: 1-line block ×3, first 2 shown]
	s_delay_alu instid0(VALU_DEP_3) | instskip(SKIP_3) | instid1(VALU_DEP_2)
	v_dot4_i32_iu8 v67, v111, v52, v20 neg_lo:[1,1,0]
	s_wait_dscnt 0x2
	v_dot4_i32_iu8 v20, v110, v57, 0 neg_lo:[1,1,0]
	v_dot4_i32_iu8 v1, v3, v111, v1 neg_lo:[1,1,0]
	;; [unrolled: 1-line block ×3, first 2 shown]
	ds_load_2addr_b32 v[59:60], v11 offset0:10 offset1:11
	ds_load_2addr_b32 v[41:42], v11 offset0:12 offset1:13
	;; [unrolled: 1-line block ×3, first 2 shown]
	ds_load_u16 v26, v104
	v_dot4_i32_iu8 v1, v4, v112, v1 neg_lo:[1,1,0]
	v_dot4_i32_iu8 v11, v112, v45, v67 neg_lo:[1,1,0]
	s_wait_dscnt 0x5
	v_dot4_i32_iu8 v67, v112, v49, v68 neg_lo:[1,1,0]
	s_delay_alu instid0(VALU_DEP_3) | instskip(NEXT) | instid1(VALU_DEP_3)
	v_dot4_i32_iu8 v103, v5, v113, v1 neg_lo:[1,1,0]
	v_dot4_i32_iu8 v122, v113, v46, v11 neg_lo:[1,1,0]
	s_delay_alu instid0(VALU_DEP_3) | instskip(SKIP_2) | instid1(VALU_DEP_1)
	v_dot4_i32_iu8 v126, v113, v50, v67 neg_lo:[1,1,0]
	s_wait_dscnt 0x3
	v_dot4_i32_iu8 v0, v112, v59, v0 neg_lo:[1,1,0]
	v_dot4_i32_iu8 v102, v113, v60, v0 neg_lo:[1,1,0]
	v_lshrrev_b32_e32 v0, 1, v10
	ds_load_b64 v[0:1], v0 offset:43584
	ds_load_b128 v[110:113], v128 offset:33280
	s_wait_dscnt 0x0
	v_dot4_i32_iu8 v10, v110, v43, 0 neg_lo:[1,1,0]
	v_dot4_i32_iu8 v11, v8, v110, 0 neg_lo:[1,1,0]
	;; [unrolled: 1-line block ×4, first 2 shown]
	s_delay_alu instid0(VALU_DEP_4) | instskip(NEXT) | instid1(VALU_DEP_4)
	v_dot4_i32_iu8 v10, v111, v44, v10 neg_lo:[1,1,0]
	v_dot4_i32_iu8 v11, v9, v111, v11 neg_lo:[1,1,0]
	s_delay_alu instid0(VALU_DEP_4) | instskip(NEXT) | instid1(VALU_DEP_4)
	v_dot4_i32_iu8 v67, v111, v62, v67 neg_lo:[1,1,0]
	v_dot4_i32_iu8 v68, v111, v66, v68 neg_lo:[1,1,0]
	;; [unrolled: 3-line block ×6, first 2 shown]
	ds_load_b128 v[110:113], v128 offset:33312
	ds_load_b128 v[118:121], v128 offset:33296
	s_wait_dscnt 0x1
	v_dot4_i32_iu8 v10, v110, v39, 0 neg_lo:[1,1,0]
	v_dot4_i32_iu8 v11, v2, v110, 0 neg_lo:[1,1,0]
	;; [unrolled: 1-line block ×4, first 2 shown]
	s_delay_alu instid0(VALU_DEP_4) | instskip(NEXT) | instid1(VALU_DEP_4)
	v_dot4_i32_iu8 v10, v111, v40, v10 neg_lo:[1,1,0]
	v_dot4_i32_iu8 v11, v3, v111, v11 neg_lo:[1,1,0]
	s_delay_alu instid0(VALU_DEP_4) | instskip(NEXT) | instid1(VALU_DEP_4)
	v_dot4_i32_iu8 v67, v111, v52, v67 neg_lo:[1,1,0]
	v_dot4_i32_iu8 v68, v111, v58, v68 neg_lo:[1,1,0]
	;; [unrolled: 3-line block ×4, first 2 shown]
	s_delay_alu instid0(VALU_DEP_4) | instskip(SKIP_4) | instid1(VALU_DEP_4)
	v_dot4_i32_iu8 v218, v113, v60, v10 neg_lo:[1,1,0]
	v_or_b32_e32 v10, s13, v151
	v_dot4_i32_iu8 v219, v5, v113, v11 neg_lo:[1,1,0]
	v_dot4_i32_iu8 v220, v113, v46, v67 neg_lo:[1,1,0]
	;; [unrolled: 1-line block ×3, first 2 shown]
	v_lshlrev_b32_e32 v11, 2, v10
	ds_load_b128 v[110:113], v11 offset:33280
	ds_load_b128 v[184:187], v11 offset:33296
	v_lshrrev_b32_e32 v10, 1, v10
	s_wait_dscnt 0x1
	v_dot4_i32_iu8 v67, v110, v43, 0 neg_lo:[1,1,0]
	v_dot4_i32_iu8 v68, v8, v110, 0 neg_lo:[1,1,0]
	v_dot4_i32_iu8 v82, v110, v61, 0 neg_lo:[1,1,0]
	v_dot4_i32_iu8 v88, v110, v65, 0 neg_lo:[1,1,0]
	s_delay_alu instid0(VALU_DEP_4) | instskip(NEXT) | instid1(VALU_DEP_4)
	v_dot4_i32_iu8 v67, v111, v44, v67 neg_lo:[1,1,0]
	v_dot4_i32_iu8 v68, v9, v111, v68 neg_lo:[1,1,0]
	s_delay_alu instid0(VALU_DEP_4) | instskip(NEXT) | instid1(VALU_DEP_4)
	v_dot4_i32_iu8 v82, v111, v62, v82 neg_lo:[1,1,0]
	v_dot4_i32_iu8 v88, v111, v66, v88 neg_lo:[1,1,0]
	;; [unrolled: 3-line block ×6, first 2 shown]
	ds_load_b128 v[110:113], v11 offset:33312
	ds_load_b128 v[188:191], v11 offset:33328
	s_wait_dscnt 0x1
	v_dot4_i32_iu8 v11, v110, v39, 0 neg_lo:[1,1,0]
	v_dot4_i32_iu8 v67, v2, v110, 0 neg_lo:[1,1,0]
	;; [unrolled: 1-line block ×4, first 2 shown]
	s_delay_alu instid0(VALU_DEP_4) | instskip(NEXT) | instid1(VALU_DEP_4)
	v_dot4_i32_iu8 v11, v111, v40, v11 neg_lo:[1,1,0]
	v_dot4_i32_iu8 v67, v3, v111, v67 neg_lo:[1,1,0]
	s_delay_alu instid0(VALU_DEP_4) | instskip(NEXT) | instid1(VALU_DEP_4)
	v_dot4_i32_iu8 v68, v111, v52, v68 neg_lo:[1,1,0]
	v_dot4_i32_iu8 v82, v111, v58, v82 neg_lo:[1,1,0]
	s_delay_alu instid0(VALU_DEP_4) | instskip(NEXT) | instid1(VALU_DEP_4)
	v_dot4_i32_iu8 v11, v112, v59, v11 neg_lo:[1,1,0]
	v_dot4_i32_iu8 v67, v4, v112, v67 neg_lo:[1,1,0]
	s_delay_alu instid0(VALU_DEP_4) | instskip(NEXT) | instid1(VALU_DEP_4)
	v_dot4_i32_iu8 v68, v112, v45, v68 neg_lo:[1,1,0]
	v_dot4_i32_iu8 v82, v112, v49, v82 neg_lo:[1,1,0]
	s_delay_alu instid0(VALU_DEP_4) | instskip(NEXT) | instid1(VALU_DEP_4)
	v_dot4_i32_iu8 v226, v113, v60, v11 neg_lo:[1,1,0]
	v_dot4_i32_iu8 v227, v5, v113, v67 neg_lo:[1,1,0]
	s_delay_alu instid0(VALU_DEP_4) | instskip(NEXT) | instid1(VALU_DEP_4)
	v_dot4_i32_iu8 v228, v113, v46, v68 neg_lo:[1,1,0]
	v_dot4_i32_iu8 v229, v113, v50, v82 neg_lo:[1,1,0]
	ds_load_b64 v[10:11], v10 offset:43584
	ds_load_b128 v[110:113], v231 offset:33280
	s_wait_dscnt 0x0
	v_dot4_i32_iu8 v67, v110, v43, 0 neg_lo:[1,1,0]
	v_dot4_i32_iu8 v68, v8, v110, 0 neg_lo:[1,1,0]
	;; [unrolled: 1-line block ×4, first 2 shown]
	s_delay_alu instid0(VALU_DEP_4) | instskip(NEXT) | instid1(VALU_DEP_4)
	v_dot4_i32_iu8 v67, v111, v44, v67 neg_lo:[1,1,0]
	v_dot4_i32_iu8 v68, v9, v111, v68 neg_lo:[1,1,0]
	s_delay_alu instid0(VALU_DEP_4) | instskip(NEXT) | instid1(VALU_DEP_4)
	v_dot4_i32_iu8 v82, v111, v62, v82 neg_lo:[1,1,0]
	v_dot4_i32_iu8 v88, v111, v66, v88 neg_lo:[1,1,0]
	;; [unrolled: 3-line block ×6, first 2 shown]
	ds_load_b128 v[110:113], v231 offset:33312
	ds_load_b128 v[192:195], v231 offset:33296
	s_wait_dscnt 0x1
	v_dot4_i32_iu8 v67, v110, v39, 0 neg_lo:[1,1,0]
	v_dot4_i32_iu8 v68, v2, v110, 0 neg_lo:[1,1,0]
	;; [unrolled: 1-line block ×4, first 2 shown]
	s_delay_alu instid0(VALU_DEP_4) | instskip(NEXT) | instid1(VALU_DEP_4)
	v_dot4_i32_iu8 v67, v111, v40, v67 neg_lo:[1,1,0]
	v_dot4_i32_iu8 v68, v3, v111, v68 neg_lo:[1,1,0]
	s_delay_alu instid0(VALU_DEP_4) | instskip(NEXT) | instid1(VALU_DEP_4)
	v_dot4_i32_iu8 v82, v111, v52, v82 neg_lo:[1,1,0]
	v_dot4_i32_iu8 v88, v111, v58, v88 neg_lo:[1,1,0]
	;; [unrolled: 3-line block ×4, first 2 shown]
	s_delay_alu instid0(VALU_DEP_4) | instskip(SKIP_4) | instid1(VALU_DEP_4)
	v_dot4_i32_iu8 v236, v113, v60, v67 neg_lo:[1,1,0]
	v_or_b32_e32 v67, s13, v153
	v_dot4_i32_iu8 v237, v5, v113, v68 neg_lo:[1,1,0]
	v_dot4_i32_iu8 v238, v113, v46, v82 neg_lo:[1,1,0]
	;; [unrolled: 1-line block ×3, first 2 shown]
	v_lshlrev_b32_e32 v68, 2, v67
	ds_load_b128 v[110:113], v68 offset:33280
	ds_load_b128 v[196:199], v68 offset:33296
	v_lshrrev_b32_e32 v67, 1, v67
	s_wait_dscnt 0x1
	v_dot4_i32_iu8 v82, v110, v43, 0 neg_lo:[1,1,0]
	v_dot4_i32_iu8 v88, v8, v110, 0 neg_lo:[1,1,0]
	;; [unrolled: 1-line block ×4, first 2 shown]
	s_delay_alu instid0(VALU_DEP_4) | instskip(NEXT) | instid1(VALU_DEP_4)
	v_dot4_i32_iu8 v82, v111, v44, v82 neg_lo:[1,1,0]
	v_dot4_i32_iu8 v88, v9, v111, v88 neg_lo:[1,1,0]
	s_delay_alu instid0(VALU_DEP_4) | instskip(NEXT) | instid1(VALU_DEP_4)
	v_dot4_i32_iu8 v98, v111, v62, v98 neg_lo:[1,1,0]
	v_dot4_i32_iu8 v99, v111, v66, v99 neg_lo:[1,1,0]
	;; [unrolled: 3-line block ×6, first 2 shown]
	ds_load_b128 v[110:113], v68 offset:33312
	ds_load_b128 v[200:203], v68 offset:33328
	s_wait_dscnt 0x1
	v_dot4_i32_iu8 v82, v2, v110, 0 neg_lo:[1,1,0]
	v_dot4_i32_iu8 v88, v110, v51, 0 neg_lo:[1,1,0]
	;; [unrolled: 1-line block ×4, first 2 shown]
	s_delay_alu instid0(VALU_DEP_4) | instskip(NEXT) | instid1(VALU_DEP_4)
	v_dot4_i32_iu8 v82, v3, v111, v82 neg_lo:[1,1,0]
	v_dot4_i32_iu8 v88, v111, v52, v88 neg_lo:[1,1,0]
	s_delay_alu instid0(VALU_DEP_4) | instskip(NEXT) | instid1(VALU_DEP_4)
	v_dot4_i32_iu8 v68, v111, v40, v68 neg_lo:[1,1,0]
	v_dot4_i32_iu8 v98, v111, v58, v98 neg_lo:[1,1,0]
	s_delay_alu instid0(VALU_DEP_4) | instskip(NEXT) | instid1(VALU_DEP_4)
	v_dot4_i32_iu8 v82, v4, v112, v82 neg_lo:[1,1,0]
	v_dot4_i32_iu8 v88, v112, v45, v88 neg_lo:[1,1,0]
	s_delay_alu instid0(VALU_DEP_4) | instskip(NEXT) | instid1(VALU_DEP_4)
	v_dot4_i32_iu8 v68, v112, v59, v68 neg_lo:[1,1,0]
	v_dot4_i32_iu8 v98, v112, v49, v98 neg_lo:[1,1,0]
	s_delay_alu instid0(VALU_DEP_4) | instskip(SKIP_4) | instid1(VALU_DEP_4)
	v_dot4_i32_iu8 v245, v5, v113, v82 neg_lo:[1,1,0]
	v_or_b32_e32 v82, s13, v155
	v_dot4_i32_iu8 v246, v113, v46, v88 neg_lo:[1,1,0]
	v_dot4_i32_iu8 v244, v113, v60, v68 neg_lo:[1,1,0]
	;; [unrolled: 1-line block ×3, first 2 shown]
	v_lshlrev_b32_e32 v88, 2, v82
	ds_load_b128 v[110:113], v88 offset:33280
	ds_load_b128 v[204:207], v88 offset:33296
	s_wait_dscnt 0x1
	v_dot4_i32_iu8 v68, v110, v43, 0 neg_lo:[1,1,0]
	v_dot4_i32_iu8 v98, v110, v61, 0 neg_lo:[1,1,0]
	;; [unrolled: 1-line block ×4, first 2 shown]
	s_delay_alu instid0(VALU_DEP_4) | instskip(NEXT) | instid1(VALU_DEP_4)
	v_dot4_i32_iu8 v68, v111, v44, v68 neg_lo:[1,1,0]
	v_dot4_i32_iu8 v98, v111, v62, v98 neg_lo:[1,1,0]
	s_delay_alu instid0(VALU_DEP_4) | instskip(NEXT) | instid1(VALU_DEP_4)
	v_dot4_i32_iu8 v99, v9, v111, v99 neg_lo:[1,1,0]
	v_dot4_i32_iu8 v107, v111, v66, v107 neg_lo:[1,1,0]
	;; [unrolled: 3-line block ×6, first 2 shown]
	ds_load_b64 v[67:68], v67 offset:43584
	ds_load_b128 v[110:113], v253 offset:33280
	s_wait_dscnt 0x0
	v_dot4_i32_iu8 v98, v110, v43, 0 neg_lo:[1,1,0]
	v_dot4_i32_iu8 v99, v110, v61, 0 neg_lo:[1,1,0]
	;; [unrolled: 1-line block ×4, first 2 shown]
	s_delay_alu instid0(VALU_DEP_4) | instskip(NEXT) | instid1(VALU_DEP_4)
	v_dot4_i32_iu8 v98, v111, v44, v98 neg_lo:[1,1,0]
	v_dot4_i32_iu8 v99, v111, v62, v99 neg_lo:[1,1,0]
	s_delay_alu instid0(VALU_DEP_4) | instskip(NEXT) | instid1(VALU_DEP_4)
	v_dot4_i32_iu8 v107, v111, v66, v107 neg_lo:[1,1,0]
	v_dot4_i32_iu8 v108, v9, v111, v108 neg_lo:[1,1,0]
	;; [unrolled: 3-line block ×6, first 2 shown]
	ds_load_b128 v[110:113], v253 offset:33312
	ds_load_b128 v[208:211], v253 offset:33296
	s_wait_dscnt 0x1
	v_dot4_i32_iu8 v98, v110, v39, 0 neg_lo:[1,1,0]
	v_dot4_i32_iu8 v99, v2, v110, 0 neg_lo:[1,1,0]
	;; [unrolled: 1-line block ×4, first 2 shown]
	s_delay_alu instid0(VALU_DEP_4) | instskip(NEXT) | instid1(VALU_DEP_4)
	v_dot4_i32_iu8 v98, v111, v40, v98 neg_lo:[1,1,0]
	v_dot4_i32_iu8 v99, v3, v111, v99 neg_lo:[1,1,0]
	s_delay_alu instid0(VALU_DEP_4) | instskip(NEXT) | instid1(VALU_DEP_4)
	v_dot4_i32_iu8 v107, v111, v52, v107 neg_lo:[1,1,0]
	v_dot4_i32_iu8 v108, v111, v58, v108 neg_lo:[1,1,0]
	;; [unrolled: 3-line block ×6, first 2 shown]
	ds_load_b128 v[110:113], v88 offset:33312
	ds_load_b128 v[212:215], v88 offset:33328
	s_wait_dscnt 0x1
	v_dot4_i32_iu8 v88, v2, v110, 0 neg_lo:[1,1,0]
	v_dot4_i32_iu8 v98, v110, v39, 0 neg_lo:[1,1,0]
	;; [unrolled: 1-line block ×4, first 2 shown]
	s_delay_alu instid0(VALU_DEP_4) | instskip(NEXT) | instid1(VALU_DEP_4)
	v_dot4_i32_iu8 v88, v3, v111, v88 neg_lo:[1,1,0]
	v_dot4_i32_iu8 v98, v111, v40, v98 neg_lo:[1,1,0]
	s_delay_alu instid0(VALU_DEP_4) | instskip(NEXT) | instid1(VALU_DEP_4)
	v_dot4_i32_iu8 v99, v111, v52, v99 neg_lo:[1,1,0]
	v_dot4_i32_iu8 v107, v111, v58, v107 neg_lo:[1,1,0]
	;; [unrolled: 3-line block ×6, first 2 shown]
	v_dot4_i32_iu8 v107, v83, v55, v87 neg_lo:[1,1,0]
	ds_load_2addr_b32 v[87:88], v79 offset0:4 offset1:5
	ds_load_2addr_b32 v[98:99], v90 offset0:4 offset1:5
	s_wait_dscnt 0x1
	v_dot4_i32_iu8 v93, v87, v83, v93 neg_lo:[1,1,0]
	s_wait_dscnt 0x0
	v_dot4_i32_iu8 v83, v83, v98, v101 neg_lo:[1,1,0]
	v_dot4_i32_iu8 v101, v84, v56, v107 neg_lo:[1,1,0]
	s_delay_alu instid0(VALU_DEP_3) | instskip(NEXT) | instid1(VALU_DEP_3)
	v_dot4_i32_iu8 v93, v88, v84, v93 neg_lo:[1,1,0]
	v_dot4_i32_iu8 v83, v84, v99, v83 neg_lo:[1,1,0]
	s_delay_alu instid0(VALU_DEP_3) | instskip(NEXT) | instid1(VALU_DEP_3)
	;; [unrolled: 3-line block ×3, first 2 shown]
	v_dot4_i32_iu8 v83, v85, v71, v83 neg_lo:[1,1,0]
	v_dot4_i32_iu8 v91, v86, v48, v84 neg_lo:[1,1,0]
	;; [unrolled: 1-line block ×3, first 2 shown]
	s_delay_alu instid0(VALU_DEP_4) | instskip(NEXT) | instid1(VALU_DEP_4)
	v_dot4_i32_iu8 v93, v13, v86, v93 neg_lo:[1,1,0]
	v_dot4_i32_iu8 v95, v86, v72, v83 neg_lo:[1,1,0]
	v_lshlrev_b32_e32 v83, 2, v142
	s_delay_alu instid0(VALU_DEP_4)
	v_dot4_i32_iu8 v84, v115, v17, v84 neg_lo:[1,1,0]
	v_dot4_i32_iu8 v86, v118, v98, v217 neg_lo:[1,1,0]
	scratch_store_b32 off, v83, off offset:56 ; 4-byte Folded Spill
	v_add3_u32 v83, s16, v83, v29
	ds_load_u16 v94, v83
	ds_load_u16 v97, v83 offset:8
	v_dot4_i32_iu8 v83, v114, v41, v102 neg_lo:[1,1,0]
	ds_load_2addr_b32 v[101:102], v79 offset0:12 offset1:13
	ds_load_2addr_b32 v[107:108], v79 offset0:14 offset1:15
	;; [unrolled: 1-line block ×4, first 2 shown]
	v_dot4_i32_iu8 v84, v116, v14, v84 neg_lo:[1,1,0]
	v_dot4_i32_iu8 v86, v119, v99, v86 neg_lo:[1,1,0]
	;; [unrolled: 1-line block ×3, first 2 shown]
	s_mov_b32 s16, 8
	s_delay_alu instid0(VALU_DEP_2) | instskip(NEXT) | instid1(VALU_DEP_2)
	v_dot4_i32_iu8 v86, v120, v71, v86 neg_lo:[1,1,0]
	v_dot4_i32_iu8 v83, v116, v20, v83 neg_lo:[1,1,0]
	s_delay_alu instid0(VALU_DEP_1)
	v_dot4_i32_iu8 v90, v117, v21, v83 neg_lo:[1,1,0]
	v_dot4_i32_iu8 v83, v118, v55, v129 neg_lo:[1,1,0]
	s_wait_dscnt 0x3
	v_dot4_i32_iu8 v79, v101, v114, v103 neg_lo:[1,1,0]
	s_wait_dscnt 0x1
	v_dot4_i32_iu8 v85, v114, v122, v126 neg_lo:[1,1,0]
	v_dot4_i32_iu8 v103, v117, v15, v84 neg_lo:[1,1,0]
	v_dot4_i32_iu8 v84, v87, v118, v130 neg_lo:[1,1,0]
	v_dot4_i32_iu8 v83, v119, v56, v83 neg_lo:[1,1,0]
	v_dot4_i32_iu8 v79, v102, v115, v79 neg_lo:[1,1,0]
	v_dot4_i32_iu8 v85, v115, v123, v85 neg_lo:[1,1,0]
	s_delay_alu instid0(VALU_DEP_4) | instskip(NEXT) | instid1(VALU_DEP_4)
	v_dot4_i32_iu8 v84, v88, v119, v84 neg_lo:[1,1,0]
	v_dot4_i32_iu8 v83, v120, v47, v83 neg_lo:[1,1,0]
	s_delay_alu instid0(VALU_DEP_4) | instskip(SKIP_3) | instid1(VALU_DEP_3)
	v_dot4_i32_iu8 v79, v107, v116, v79 neg_lo:[1,1,0]
	s_wait_dscnt 0x0
	v_dot4_i32_iu8 v85, v116, v124, v85 neg_lo:[1,1,0]
	v_dot4_i32_iu8 v84, v12, v120, v84 neg_lo:[1,1,0]
	;; [unrolled: 1-line block ×3, first 2 shown]
	s_delay_alu instid0(VALU_DEP_3) | instskip(SKIP_1) | instid1(VALU_DEP_4)
	v_dot4_i32_iu8 v126, v117, v125, v85 neg_lo:[1,1,0]
	v_dot4_i32_iu8 v85, v118, v22, v216 neg_lo:[1,1,0]
	;; [unrolled: 1-line block ×3, first 2 shown]
	s_delay_alu instid0(VALU_DEP_2) | instskip(NEXT) | instid1(VALU_DEP_1)
	v_dot4_i32_iu8 v85, v119, v23, v85 neg_lo:[1,1,0]
	v_dot4_i32_iu8 v85, v120, v18, v85 neg_lo:[1,1,0]
	;; [unrolled: 1-line block ×3, first 2 shown]
	v_lshrrev_b32_e32 v83, 1, v127
	s_delay_alu instid0(VALU_DEP_3)
	v_dot4_i32_iu8 v130, v121, v19, v85 neg_lo:[1,1,0]
	v_dot4_i32_iu8 v121, v121, v72, v86 neg_lo:[1,1,0]
	ds_load_b64 v[114:115], v83 offset:43584
	ds_load_b128 v[83:86], v128 offset:33328
	s_wait_dscnt 0x0
	v_dot4_i32_iu8 v116, v101, v83, v219 neg_lo:[1,1,0]
	v_dot4_i32_iu8 v117, v83, v16, v220 neg_lo:[1,1,0]
	;; [unrolled: 1-line block ×4, first 2 shown]
	s_delay_alu instid0(VALU_DEP_4) | instskip(NEXT) | instid1(VALU_DEP_4)
	v_dot4_i32_iu8 v116, v102, v84, v116 neg_lo:[1,1,0]
	v_dot4_i32_iu8 v117, v84, v17, v117 neg_lo:[1,1,0]
	s_delay_alu instid0(VALU_DEP_4) | instskip(NEXT) | instid1(VALU_DEP_4)
	v_dot4_i32_iu8 v118, v84, v123, v118 neg_lo:[1,1,0]
	v_dot4_i32_iu8 v83, v84, v42, v83 neg_lo:[1,1,0]
	;; [unrolled: 3-line block ×4, first 2 shown]
	v_dot4_i32_iu8 v85, v184, v22, v224 neg_lo:[1,1,0]
	v_dot4_i32_iu8 v127, v108, v86, v84 neg_lo:[1,1,0]
	;; [unrolled: 1-line block ×9, first 2 shown]
	s_delay_alu instid0(VALU_DEP_4) | instskip(NEXT) | instid1(VALU_DEP_4)
	v_dot4_i32_iu8 v83, v185, v56, v83 neg_lo:[1,1,0]
	v_dot4_i32_iu8 v84, v88, v185, v84 neg_lo:[1,1,0]
	s_delay_alu instid0(VALU_DEP_4) | instskip(NEXT) | instid1(VALU_DEP_4)
	v_dot4_i32_iu8 v86, v185, v99, v86 neg_lo:[1,1,0]
	v_dot4_i32_iu8 v85, v186, v18, v85 neg_lo:[1,1,0]
	;; [unrolled: 3-line block ×4, first 2 shown]
	v_dot4_i32_iu8 v85, v188, v16, v228 neg_lo:[1,1,0]
	v_dot4_i32_iu8 v184, v187, v48, v83 neg_lo:[1,1,0]
	;; [unrolled: 1-line block ×9, first 2 shown]
	s_delay_alu instid0(VALU_DEP_4) | instskip(NEXT) | instid1(VALU_DEP_4)
	v_dot4_i32_iu8 v84, v102, v189, v84 neg_lo:[1,1,0]
	v_dot4_i32_iu8 v86, v189, v123, v86 neg_lo:[1,1,0]
	s_delay_alu instid0(VALU_DEP_4) | instskip(NEXT) | instid1(VALU_DEP_4)
	v_dot4_i32_iu8 v83, v190, v20, v83 neg_lo:[1,1,0]
	v_dot4_i32_iu8 v85, v190, v14, v85 neg_lo:[1,1,0]
	;; [unrolled: 3-line block ×3, first 2 shown]
	s_delay_alu instid0(VALU_DEP_4)
	v_dot4_i32_iu8 v188, v191, v21, v83 neg_lo:[1,1,0]
	v_dot4_i32_iu8 v83, v192, v55, v232 neg_lo:[1,1,0]
	;; [unrolled: 1-line block ×9, first 2 shown]
	s_delay_alu instid0(VALU_DEP_4) | instskip(NEXT) | instid1(VALU_DEP_4)
	v_dot4_i32_iu8 v84, v88, v193, v84 neg_lo:[1,1,0]
	v_dot4_i32_iu8 v85, v193, v23, v85 neg_lo:[1,1,0]
	s_delay_alu instid0(VALU_DEP_4) | instskip(NEXT) | instid1(VALU_DEP_4)
	v_dot4_i32_iu8 v86, v193, v99, v86 neg_lo:[1,1,0]
	v_dot4_i32_iu8 v83, v194, v47, v83 neg_lo:[1,1,0]
	;; [unrolled: 3-line block ×4, first 2 shown]
	v_lshrrev_b32_e32 v83, 1, v230
	v_dot4_i32_iu8 v193, v13, v195, v84 neg_lo:[1,1,0]
	v_dot4_i32_iu8 v194, v195, v19, v85 neg_lo:[1,1,0]
	;; [unrolled: 1-line block ×3, first 2 shown]
	ds_load_b64 v[116:117], v83 offset:43584
	ds_load_b128 v[83:86], v231 offset:33328
	s_wait_dscnt 0x0
	v_dot4_i32_iu8 v118, v101, v83, v237 neg_lo:[1,1,0]
	v_dot4_i32_iu8 v119, v83, v16, v238 neg_lo:[1,1,0]
	;; [unrolled: 1-line block ×4, first 2 shown]
	s_delay_alu instid0(VALU_DEP_4) | instskip(NEXT) | instid1(VALU_DEP_4)
	v_dot4_i32_iu8 v118, v102, v84, v118 neg_lo:[1,1,0]
	v_dot4_i32_iu8 v119, v84, v17, v119 neg_lo:[1,1,0]
	s_delay_alu instid0(VALU_DEP_4) | instskip(NEXT) | instid1(VALU_DEP_4)
	v_dot4_i32_iu8 v218, v84, v123, v218 neg_lo:[1,1,0]
	v_dot4_i32_iu8 v83, v84, v42, v83 neg_lo:[1,1,0]
	;; [unrolled: 3-line block ×4, first 2 shown]
	v_dot4_i32_iu8 v85, v196, v22, v242 neg_lo:[1,1,0]
	v_dot4_i32_iu8 v218, v108, v86, v84 neg_lo:[1,1,0]
	v_dot4_i32_iu8 v219, v86, v15, v118 neg_lo:[1,1,0]
	v_dot4_i32_iu8 v220, v86, v125, v119 neg_lo:[1,1,0]
	v_dot4_i32_iu8 v221, v86, v21, v83 neg_lo:[1,1,0]
	v_dot4_i32_iu8 v83, v196, v55, v240 neg_lo:[1,1,0]
	v_dot4_i32_iu8 v84, v87, v196, v241 neg_lo:[1,1,0]
	v_dot4_i32_iu8 v86, v196, v98, v243 neg_lo:[1,1,0]
	v_dot4_i32_iu8 v85, v197, v23, v85 neg_lo:[1,1,0]
	s_delay_alu instid0(VALU_DEP_4) | instskip(NEXT) | instid1(VALU_DEP_4)
	v_dot4_i32_iu8 v83, v197, v56, v83 neg_lo:[1,1,0]
	v_dot4_i32_iu8 v84, v88, v197, v84 neg_lo:[1,1,0]
	s_delay_alu instid0(VALU_DEP_4) | instskip(NEXT) | instid1(VALU_DEP_4)
	v_dot4_i32_iu8 v86, v197, v99, v86 neg_lo:[1,1,0]
	v_dot4_i32_iu8 v85, v198, v18, v85 neg_lo:[1,1,0]
	;; [unrolled: 3-line block ×4, first 2 shown]
	v_dot4_i32_iu8 v85, v200, v16, v246 neg_lo:[1,1,0]
	v_dot4_i32_iu8 v196, v199, v48, v83 neg_lo:[1,1,0]
	;; [unrolled: 1-line block ×9, first 2 shown]
	s_delay_alu instid0(VALU_DEP_4) | instskip(NEXT) | instid1(VALU_DEP_4)
	v_dot4_i32_iu8 v84, v102, v201, v84 neg_lo:[1,1,0]
	v_dot4_i32_iu8 v86, v201, v123, v86 neg_lo:[1,1,0]
	s_delay_alu instid0(VALU_DEP_4) | instskip(NEXT) | instid1(VALU_DEP_4)
	v_dot4_i32_iu8 v83, v202, v20, v83 neg_lo:[1,1,0]
	v_dot4_i32_iu8 v85, v202, v14, v85 neg_lo:[1,1,0]
	s_delay_alu instid0(VALU_DEP_4) | instskip(NEXT) | instid1(VALU_DEP_4)
	v_dot4_i32_iu8 v84, v107, v202, v84 neg_lo:[1,1,0]
	v_dot4_i32_iu8 v86, v202, v124, v86 neg_lo:[1,1,0]
	s_delay_alu instid0(VALU_DEP_4)
	v_dot4_i32_iu8 v200, v203, v21, v83 neg_lo:[1,1,0]
	v_dot4_i32_iu8 v83, v208, v55, v254 neg_lo:[1,1,0]
	;; [unrolled: 1-line block ×9, first 2 shown]
	s_delay_alu instid0(VALU_DEP_4) | instskip(NEXT) | instid1(VALU_DEP_4)
	v_dot4_i32_iu8 v84, v88, v209, v84 neg_lo:[1,1,0]
	v_dot4_i32_iu8 v85, v209, v23, v85 neg_lo:[1,1,0]
	s_delay_alu instid0(VALU_DEP_4) | instskip(NEXT) | instid1(VALU_DEP_4)
	v_dot4_i32_iu8 v86, v209, v99, v86 neg_lo:[1,1,0]
	v_dot4_i32_iu8 v83, v210, v47, v83 neg_lo:[1,1,0]
	;; [unrolled: 3-line block ×4, first 2 shown]
	v_lshrrev_b32_e32 v83, 1, v252
	v_dot4_i32_iu8 v160, v13, v211, v84 neg_lo:[1,1,0]
	v_dot4_i32_iu8 v208, v211, v19, v85 neg_lo:[1,1,0]
	;; [unrolled: 1-line block ×3, first 2 shown]
	ds_load_b64 v[118:119], v83 offset:43584
	ds_load_b128 v[83:86], v253 offset:33328
	s_wait_dscnt 0x0
	v_dot4_i32_iu8 v163, v101, v83, v163 neg_lo:[1,1,0]
	v_dot4_i32_iu8 v165, v83, v16, v165 neg_lo:[1,1,0]
	;; [unrolled: 1-line block ×4, first 2 shown]
	s_delay_alu instid0(VALU_DEP_4) | instskip(NEXT) | instid1(VALU_DEP_4)
	v_dot4_i32_iu8 v162, v102, v84, v163 neg_lo:[1,1,0]
	v_dot4_i32_iu8 v163, v84, v17, v165 neg_lo:[1,1,0]
	s_delay_alu instid0(VALU_DEP_4) | instskip(NEXT) | instid1(VALU_DEP_4)
	v_dot4_i32_iu8 v73, v84, v123, v73 neg_lo:[1,1,0]
	v_dot4_i32_iu8 v83, v84, v42, v83 neg_lo:[1,1,0]
	;; [unrolled: 3-line block ×4, first 2 shown]
	v_dot4_i32_iu8 v85, v204, v22, v250 neg_lo:[1,1,0]
	v_dot4_i32_iu8 v163, v108, v86, v84 neg_lo:[1,1,0]
	;; [unrolled: 1-line block ×9, first 2 shown]
	s_delay_alu instid0(VALU_DEP_4) | instskip(NEXT) | instid1(VALU_DEP_4)
	v_dot4_i32_iu8 v83, v88, v205, v83 neg_lo:[1,1,0]
	v_dot4_i32_iu8 v84, v205, v56, v84 neg_lo:[1,1,0]
	s_delay_alu instid0(VALU_DEP_4) | instskip(NEXT) | instid1(VALU_DEP_4)
	v_dot4_i32_iu8 v86, v205, v99, v86 neg_lo:[1,1,0]
	v_dot4_i32_iu8 v85, v206, v18, v85 neg_lo:[1,1,0]
	;; [unrolled: 3-line block ×4, first 2 shown]
	v_dot4_i32_iu8 v85, v212, v16, v112 neg_lo:[1,1,0]
	v_dot4_i32_iu8 v204, v13, v207, v83 neg_lo:[1,1,0]
	;; [unrolled: 1-line block ×8, first 2 shown]
	s_delay_alu instid0(VALU_DEP_4) | instskip(NEXT) | instid1(VALU_DEP_4)
	v_dot4_i32_iu8 v83, v102, v213, v83 neg_lo:[1,1,0]
	v_dot4_i32_iu8 v84, v213, v42, v84 neg_lo:[1,1,0]
	s_delay_alu instid0(VALU_DEP_4) | instskip(NEXT) | instid1(VALU_DEP_4)
	v_dot4_i32_iu8 v86, v213, v123, v86 neg_lo:[1,1,0]
	v_dot4_i32_iu8 v85, v214, v14, v85 neg_lo:[1,1,0]
	;; [unrolled: 3-line block ×3, first 2 shown]
	s_delay_alu instid0(VALU_DEP_4)
	v_dot4_i32_iu8 v86, v214, v124, v86 neg_lo:[1,1,0]
	v_or_b32_e32 v214, s13, v92
	v_dot4_i32_iu8 v212, v215, v15, v85 neg_lo:[1,1,0]
	v_dot4_i32_iu8 v210, v108, v215, v83 neg_lo:[1,1,0]
	;; [unrolled: 1-line block ×4, first 2 shown]
	v_lshlrev_b32_e32 v215, 2, v214
	ds_load_b128 v[83:86], v215 offset:33280
	ds_load_b128 v[110:113], v215 offset:33296
	s_wait_dscnt 0x1
	v_dot4_i32_iu8 v43, v83, v43, 0 neg_lo:[1,1,0]
	v_perm_b32 v222, v83, v84, 0xc0c0400
	v_perm_b32 v223, v86, v85, 0x4000c0c
	s_delay_alu instid0(VALU_DEP_3) | instskip(SKIP_3) | instid1(VALU_DEP_4)
	v_dot4_i32_iu8 v43, v84, v44, v43 neg_lo:[1,1,0]
	v_dot4_i32_iu8 v44, v83, v61, 0 neg_lo:[1,1,0]
	;; [unrolled: 1-line block ×3, first 2 shown]
	v_perm_b32 v65, v83, v84, 0xc0c0501
	v_dot4_i32_iu8 v43, v85, v69, v43 neg_lo:[1,1,0]
	s_delay_alu instid0(VALU_DEP_4) | instskip(NEXT) | instid1(VALU_DEP_4)
	v_dot4_i32_iu8 v44, v84, v62, v44 neg_lo:[1,1,0]
	v_dot4_i32_iu8 v61, v84, v66, v61 neg_lo:[1,1,0]
	v_perm_b32 v69, v83, v84, 0xc0c0703
	v_perm_b32 v83, v83, v84, 0xc0c0602
	v_dot4_i32_iu8 v43, v86, v70, v43 neg_lo:[1,1,0]
	v_dot4_i32_iu8 v44, v85, v53, v44 neg_lo:[1,1,0]
	;; [unrolled: 1-line block ×3, first 2 shown]
	v_perm_b32 v84, v86, v85, 0x6020c0c
	v_perm_b32 v66, v86, v85, 0x5010c0c
	s_wait_dscnt 0x0
	v_dot4_i32_iu8 v43, v110, v55, v43 neg_lo:[1,1,0]
	v_dot4_i32_iu8 v44, v86, v54, v44 neg_lo:[1,1,0]
	;; [unrolled: 1-line block ×3, first 2 shown]
	v_perm_b32 v70, v86, v85, 0x7030c0c
	v_perm_b32 v85, v113, v112, 0x5010c0c
	v_dot4_i32_iu8 v43, v111, v56, v43 neg_lo:[1,1,0]
	v_dot4_i32_iu8 v22, v110, v22, v44 neg_lo:[1,1,0]
	v_perm_b32 v44, v111, v110, 0xc0c0400
	s_delay_alu instid0(VALU_DEP_3) | instskip(NEXT) | instid1(VALU_DEP_3)
	v_dot4_i32_iu8 v43, v112, v47, v43 neg_lo:[1,1,0]
	v_dot4_i32_iu8 v22, v111, v23, v22 neg_lo:[1,1,0]
	;; [unrolled: 1-line block ×3, first 2 shown]
	ds_load_b128 v[53:56], v215 offset:33312
	ds_load_b128 v[61:64], v215 offset:33328
	v_perm_b32 v47, v113, v112, 0x4000c0c
	v_dot4_i32_iu8 v43, v113, v48, v43 neg_lo:[1,1,0]
	v_dot4_i32_iu8 v18, v112, v18, v22 neg_lo:[1,1,0]
	;; [unrolled: 1-line block ×3, first 2 shown]
	v_perm_b32 v22, v111, v110, 0xc0c0602
	v_or_b32_e32 v44, v47, v44
	v_perm_b32 v47, v7, v6, 0x7030c0c
	v_dot4_i32_iu8 v18, v113, v19, v18 neg_lo:[1,1,0]
	v_dot4_i32_iu8 v19, v112, v71, v23 neg_lo:[1,1,0]
	v_perm_b32 v23, v113, v112, 0x6020c0c
	v_perm_b32 v48, v111, v110, 0xc0c0703
	;; [unrolled: 1-line block ×3, first 2 shown]
	s_delay_alu instid0(VALU_DEP_4) | instskip(NEXT) | instid1(VALU_DEP_4)
	v_dot4_i32_iu8 v19, v113, v72, v19 neg_lo:[1,1,0]
	v_or_b32_e32 v22, v23, v22
	v_perm_b32 v72, v111, v110, 0xc0c0501
	s_delay_alu instid0(VALU_DEP_4) | instskip(SKIP_2) | instid1(VALU_DEP_1)
	v_or_b32_e32 v48, v71, v48
	s_wait_dscnt 0x1
	v_dot4_i32_iu8 v39, v53, v39, 0 neg_lo:[1,1,0]
	v_dot4_i32_iu8 v39, v54, v40, v39 neg_lo:[1,1,0]
	;; [unrolled: 1-line block ×4, first 2 shown]
	v_perm_b32 v57, v56, v55, 0x4000c0c
	s_delay_alu instid0(VALU_DEP_4) | instskip(NEXT) | instid1(VALU_DEP_4)
	v_dot4_i32_iu8 v39, v55, v59, v39 neg_lo:[1,1,0]
	v_dot4_i32_iu8 v40, v54, v52, v40 neg_lo:[1,1,0]
	s_delay_alu instid0(VALU_DEP_4)
	v_dot4_i32_iu8 v51, v54, v58, v51 neg_lo:[1,1,0]
	v_perm_b32 v52, v53, v54, 0xc0c0400
	v_perm_b32 v58, v13, v12, 0x6020c0c
	v_dot4_i32_iu8 v39, v56, v60, v39 neg_lo:[1,1,0]
	v_dot4_i32_iu8 v40, v55, v45, v40 neg_lo:[1,1,0]
	;; [unrolled: 1-line block ×3, first 2 shown]
	v_perm_b32 v49, v56, v55, 0x5010c0c
	v_perm_b32 v51, v56, v55, 0x7030c0c
	s_wait_dscnt 0x0
	v_dot4_i32_iu8 v39, v61, v41, v39 neg_lo:[1,1,0]
	v_dot4_i32_iu8 v40, v56, v46, v40 neg_lo:[1,1,0]
	;; [unrolled: 1-line block ×3, first 2 shown]
	v_perm_b32 v46, v53, v54, 0xc0c0501
	v_perm_b32 v50, v53, v54, 0xc0c0703
	;; [unrolled: 1-line block ×6, first 2 shown]
	v_dot4_i32_iu8 v16, v61, v16, v40 neg_lo:[1,1,0]
	v_dot4_i32_iu8 v39, v62, v42, v39 neg_lo:[1,1,0]
	;; [unrolled: 1-line block ×3, first 2 shown]
	v_perm_b32 v40, v62, v61, 0xc0c0703
	v_or_b32_e32 v55, v56, v55
	v_perm_b32 v56, v88, v87, 0xc0c0602
	v_dot4_i32_iu8 v16, v62, v17, v16 neg_lo:[1,1,0]
	v_dot4_i32_iu8 v20, v63, v20, v39 neg_lo:[1,1,0]
	v_perm_b32 v39, v64, v63, 0x4000c0c
	v_dot4_i32_iu8 v45, v62, v123, v45 neg_lo:[1,1,0]
	v_or_b32_e32 v56, v58, v56
	v_or_b32_e32 v58, v84, v83
	v_dot4_i32_iu8 v14, v63, v14, v16 neg_lo:[1,1,0]
	v_perm_b32 v16, v64, v63, 0x6020c0c
	v_dot4_i32_iu8 v20, v64, v21, v20 neg_lo:[1,1,0]
	v_perm_b32 v21, v62, v61, 0xc0c0400
	;; [unrolled: 2-line block ×3, first 2 shown]
	v_perm_b32 v6, v7, v6, 0x5010c0c
	v_perm_b32 v7, v88, v87, 0xc0c0501
	v_dot4_i32_iu8 v14, v64, v15, v14 neg_lo:[1,1,0]
	v_dot4_i32_iu8 v22, v56, v22, v23 neg_lo:[1,1,0]
	v_perm_b32 v23, v8, v9, 0xc0c0400
	v_perm_b32 v56, v13, v12, 0x4000c0c
	;; [unrolled: 1-line block ×3, first 2 shown]
	v_dot4_i32_iu8 v17, v63, v124, v45 neg_lo:[1,1,0]
	v_perm_b32 v41, v64, v63, 0x7030c0c
	v_or_b32_e32 v23, v55, v23
	v_perm_b32 v55, v88, v87, 0xc0c0400
	v_perm_b32 v42, v62, v61, 0xc0c0501
	;; [unrolled: 1-line block ×3, first 2 shown]
	v_dot4_i32_iu8 v17, v64, v125, v17 neg_lo:[1,1,0]
	s_delay_alu instid0(VALU_DEP_4) | instskip(SKIP_1) | instid1(VALU_DEP_1)
	v_or_b32_e32 v55, v56, v55
	v_or_b32_e32 v56, v223, v222
	v_dot4_i32_iu8 v23, v23, v56, 0 neg_lo:[1,1,0]
	s_delay_alu instid0(VALU_DEP_1)
	v_dot4_i32_iu8 v23, v55, v44, v23 neg_lo:[1,1,0]
	v_perm_b32 v44, v8, v9, 0xc0c0703
	v_perm_b32 v8, v8, v9, 0xc0c0501
	v_perm_b32 v9, v13, v12, 0x5010c0c
	v_perm_b32 v55, v13, v12, 0x7030c0c
	v_or_b32_e32 v12, v16, v15
	v_or_b32_e32 v13, v39, v21
	;; [unrolled: 1-line block ×7, first 2 shown]
	v_perm_b32 v47, v88, v87, 0xc0c0703
	v_dot4_i32_iu8 v6, v6, v8, 0 neg_lo:[1,1,0]
	v_perm_b32 v8, v5, v4, 0x6020c0c
	v_or_b32_e32 v15, v41, v40
	v_cvt_f32_ubyte1_e32 v21, v105
	v_or_b32_e32 v47, v55, v47
	v_dot4_i32_iu8 v6, v7, v9, v6 neg_lo:[1,1,0]
	v_perm_b32 v7, v2, v3, 0xc0c0602
	v_perm_b32 v9, v108, v107, 0x6020c0c
	v_or_b32_e32 v55, v70, v69
	v_cvt_f32_ubyte1_e32 v39, v81
	s_delay_alu instid0(VALU_DEP_4) | instskip(SKIP_1) | instid1(VALU_DEP_4)
	v_or_b32_e32 v7, v8, v7
	v_perm_b32 v8, v102, v101, 0xc0c0602
	v_dot4_i32_iu8 v44, v44, v55, 0 neg_lo:[1,1,0]
	s_delay_alu instid0(VALU_DEP_2) | instskip(SKIP_1) | instid1(VALU_DEP_3)
	v_or_b32_e32 v8, v9, v8
	v_or_b32_e32 v9, v54, v53
	v_dot4_i32_iu8 v44, v47, v48, v44 neg_lo:[1,1,0]
	s_delay_alu instid0(VALU_DEP_2) | instskip(SKIP_1) | instid1(VALU_DEP_2)
	v_dot4_i32_iu8 v7, v7, v9, 0 neg_lo:[1,1,0]
	v_perm_b32 v9, v5, v4, 0x4000c0c
	v_dot4_i32_iu8 v7, v8, v12, v7 neg_lo:[1,1,0]
	v_perm_b32 v8, v2, v3, 0xc0c0400
	v_perm_b32 v12, v108, v107, 0x4000c0c
	s_delay_alu instid0(VALU_DEP_2) | instskip(SKIP_1) | instid1(VALU_DEP_1)
	v_or_b32_e32 v8, v9, v8
	v_perm_b32 v9, v102, v101, 0xc0c0400
	v_or_b32_e32 v9, v12, v9
	v_or_b32_e32 v12, v57, v52
	s_delay_alu instid0(VALU_DEP_1) | instskip(SKIP_1) | instid1(VALU_DEP_2)
	v_dot4_i32_iu8 v8, v8, v12, 0 neg_lo:[1,1,0]
	v_perm_b32 v12, v5, v4, 0x7030c0c
	v_dot4_i32_iu8 v8, v9, v13, v8 neg_lo:[1,1,0]
	v_perm_b32 v9, v2, v3, 0xc0c0703
	v_perm_b32 v13, v108, v107, 0x7030c0c
	v_perm_b32 v2, v2, v3, 0xc0c0501
	v_perm_b32 v3, v5, v4, 0x5010c0c
	v_perm_b32 v4, v102, v101, 0xc0c0501
	v_or_b32_e32 v9, v12, v9
	v_perm_b32 v12, v102, v101, 0xc0c0703
	v_perm_b32 v5, v108, v107, 0x5010c0c
	v_or_b32_e32 v2, v3, v2
	s_delay_alu instid0(VALU_DEP_3) | instskip(SKIP_1) | instid1(VALU_DEP_4)
	v_or_b32_e32 v12, v13, v12
	v_or_b32_e32 v13, v51, v50
	;; [unrolled: 1-line block ×5, first 2 shown]
	s_delay_alu instid0(VALU_DEP_4) | instskip(NEXT) | instid1(VALU_DEP_3)
	v_dot4_i32_iu8 v9, v9, v13, 0 neg_lo:[1,1,0]
	v_dot4_i32_iu8 v2, v2, v4, 0 neg_lo:[1,1,0]
	v_lshrrev_b16 v4, 8, v26
	s_delay_alu instid0(VALU_DEP_3) | instskip(SKIP_1) | instid1(VALU_DEP_4)
	v_dot4_i32_iu8 v9, v12, v15, v9 neg_lo:[1,1,0]
	v_and_b32_e32 v12, 0xff, v94
	v_dot4_i32_iu8 v2, v3, v5, v2 neg_lo:[1,1,0]
	v_add_nc_u32_e32 v3, v6, v44
	v_and_b32_e32 v4, 0xffff, v4
	v_and_b32_e32 v6, 0xff, v26
	ds_load_u16 v5, v80
	v_add_nc_u32_e32 v2, v2, v9
	v_add3_u32 v3, v23, v22, v3
	v_mul_lo_u32 v13, v18, v12
	v_cvt_f32_ubyte0_e32 v18, v97
	v_cvt_f32_ubyte0_e32 v22, v106
	v_add3_u32 v2, v8, v7, v2
	v_mul_lo_u32 v3, v3, v6
	v_cvt_f32_ubyte0_e32 v26, v81
	v_cvt_f32_ubyte1_e32 v23, v106
	v_fma_mix_f32 v47, v18, v0, 0 op_sel:[0,1,0] op_sel_hi:[0,1,0]
	v_mul_lo_u32 v2, v2, v4
	v_lshrrev_b32_e32 v4, 1, v214
	v_cvt_f32_i32_e32 v13, v13
	v_fma_mix_f32 v48, v0, v22, 0 op_sel:[1,0,0] op_sel_hi:[1,0,0]
	v_cvt_f32_i32_e32 v8, v3
	v_cvt_f32_i32_e32 v7, v2
	ds_load_b64 v[2:3], v4 offset:43584
	v_fma_mix_f32 v48, v1, v23, v48 op_sel:[1,0,0] op_sel_hi:[1,0,0]
	s_wait_dscnt 0x0
	v_fma_mix_f32 v4, v2, v8, 0 op_sel_hi:[1,0,0]
	v_fma_mix_f32 v13, v2, v13, 0 op_sel_hi:[1,0,0]
	v_fma_mix_f32 v41, v2, v18, 0 op_sel:[1,0,0] op_sel_hi:[1,0,0]
	v_fma_mix_f32 v42, v2, v22, 0 op_sel:[1,0,0] op_sel_hi:[1,0,0]
	s_delay_alu instid0(VALU_DEP_4) | instskip(SKIP_2) | instid1(VALU_DEP_4)
	v_fma_mix_f32 v4, v3, v7, v4 op_sel_hi:[1,0,0]
	v_lshrrev_b16 v7, 8, v5
	v_and_b32_e32 v5, 0xff, v5
	v_fma_mix_f32 v42, v3, v23, v42 op_sel:[1,0,0] op_sel_hi:[1,0,0]
	s_delay_alu instid0(VALU_DEP_3) | instskip(NEXT) | instid1(VALU_DEP_3)
	v_and_b32_e32 v7, 0xffff, v7
	v_mul_lo_u32 v8, v43, v5
	s_delay_alu instid0(VALU_DEP_2) | instskip(SKIP_2) | instid1(VALU_DEP_4)
	v_mul_lo_u32 v9, v20, v7
	v_cvt_f32_ubyte0_e32 v20, v105
	v_mul_lo_u32 v43, v90, v7
	v_cvt_f32_i32_e32 v8, v8
	s_delay_alu instid0(VALU_DEP_3) | instskip(SKIP_1) | instid1(VALU_DEP_3)
	v_fma_mix_f32 v40, v2, v20, 0 op_sel:[1,0,0] op_sel_hi:[1,0,0]
	v_cvt_f32_i32_e32 v9, v9
	v_fma_mix_f32 v8, v2, v8, 0 op_sel_hi:[1,0,0]
	v_cvt_f32_i32_e32 v43, v43
	s_delay_alu instid0(VALU_DEP_4) | instskip(NEXT) | instid1(VALU_DEP_3)
	v_fma_mix_f32 v40, v3, v21, v40 op_sel:[1,0,0] op_sel_hi:[1,0,0]
	v_fma_mix_f32 v8, v3, v9, v8 op_sel_hi:[1,0,0]
	v_lshrrev_b16 v9, 8, v94
	s_delay_alu instid0(VALU_DEP_1) | instskip(NEXT) | instid1(VALU_DEP_1)
	v_and_b32_e32 v9, 0xffff, v9
	v_mul_lo_u32 v14, v14, v9
	v_mul_lo_u32 v45, v103, v9
	s_delay_alu instid0(VALU_DEP_2) | instskip(NEXT) | instid1(VALU_DEP_2)
	v_cvt_f32_i32_e32 v14, v14
	v_cvt_f32_i32_e32 v45, v45
	s_delay_alu instid0(VALU_DEP_2) | instskip(SKIP_4) | instid1(VALU_DEP_2)
	v_fma_mix_f32 v13, v3, v14, v13 op_sel_hi:[1,0,0]
	ds_load_u16 v14, v109
	s_wait_dscnt 0x0
	v_lshrrev_b16 v15, 8, v14
	v_and_b32_e32 v14, 0xff, v14
	v_and_b32_e32 v15, 0xffff, v15
	s_delay_alu instid0(VALU_DEP_2) | instskip(SKIP_1) | instid1(VALU_DEP_3)
	v_mul_lo_u32 v16, v19, v14
	v_cvt_f32_ubyte1_e32 v19, v97
	v_mul_lo_u32 v17, v17, v15
	v_mul_lo_u32 v46, v126, v15
	s_delay_alu instid0(VALU_DEP_3) | instskip(SKIP_3) | instid1(VALU_DEP_2)
	v_fma_mix_f32 v41, v3, v19, v41 op_sel:[1,0,0] op_sel_hi:[1,0,0]
	v_fma_mix_f32 v47, v19, v1, v47 op_sel:[0,1,0] op_sel_hi:[0,1,0]
	v_cvt_f32_i32_e32 v16, v16
	v_cvt_f32_i32_e32 v17, v17
	v_fma_mix_f32 v16, v2, v16, 0 op_sel_hi:[1,0,0]
	v_fma_mix_f32 v2, v26, v2, 0 op_sel:[0,1,0] op_sel_hi:[0,1,0]
	v_cvt_f32_i32_e32 v46, v46
	s_delay_alu instid0(VALU_DEP_3) | instskip(NEXT) | instid1(VALU_DEP_3)
	v_fma_mix_f32 v16, v3, v17, v16 op_sel_hi:[1,0,0]
	v_fma_mix_f32 v2, v39, v3, v2 op_sel:[0,1,0] op_sel_hi:[0,1,0]
	v_mul_lo_u32 v3, v91, v5
	ds_load_u8 v17, v104 offset:1
	v_cvt_f32_i32_e32 v3, v3
	s_delay_alu instid0(VALU_DEP_1) | instskip(NEXT) | instid1(VALU_DEP_1)
	v_fma_mix_f32 v3, v0, v3, 0 op_sel_hi:[1,0,0]
	v_fma_mix_f32 v3, v1, v43, v3 op_sel_hi:[1,0,0]
	v_mul_lo_u32 v43, v93, v6
	s_wait_dscnt 0x0
	v_mul_lo_u32 v44, v79, v17
	s_delay_alu instid0(VALU_DEP_2) | instskip(NEXT) | instid1(VALU_DEP_2)
	v_cvt_f32_i32_e32 v43, v43
	v_cvt_f32_i32_e32 v44, v44
	s_delay_alu instid0(VALU_DEP_2) | instskip(NEXT) | instid1(VALU_DEP_1)
	v_fma_mix_f32 v43, v0, v43, 0 op_sel_hi:[1,0,0]
	v_fma_mix_f32 v43, v1, v44, v43 op_sel_hi:[1,0,0]
	v_mul_lo_u32 v44, v96, v12
	s_delay_alu instid0(VALU_DEP_1) | instskip(NEXT) | instid1(VALU_DEP_1)
	v_cvt_f32_i32_e32 v44, v44
	v_fma_mix_f32 v44, v0, v44, 0 op_sel_hi:[1,0,0]
	s_delay_alu instid0(VALU_DEP_1) | instskip(SKIP_1) | instid1(VALU_DEP_1)
	v_fma_mix_f32 v44, v1, v45, v44 op_sel_hi:[1,0,0]
	v_mul_lo_u32 v45, v95, v14
	v_cvt_f32_i32_e32 v45, v45
	s_delay_alu instid0(VALU_DEP_1) | instskip(NEXT) | instid1(VALU_DEP_1)
	v_fma_mix_f32 v45, v0, v45, 0 op_sel_hi:[1,0,0]
	v_fma_mix_f32 v45, v1, v46, v45 op_sel_hi:[1,0,0]
	v_fma_mix_f32 v46, v20, v0, 0 op_sel:[0,1,0] op_sel_hi:[0,1,0]
	v_fma_mix_f32 v0, v26, v0, 0 op_sel:[0,1,0] op_sel_hi:[0,1,0]
	s_delay_alu instid0(VALU_DEP_2) | instskip(NEXT) | instid1(VALU_DEP_2)
	v_fma_mix_f32 v46, v21, v1, v46 op_sel:[0,1,0] op_sel_hi:[0,1,0]
	v_fma_mix_f32 v49, v39, v1, v0 op_sel:[0,1,0] op_sel_hi:[0,1,0]
	v_mul_lo_u32 v0, v120, v5
	v_mul_lo_u32 v1, v217, v7
	s_delay_alu instid0(VALU_DEP_2) | instskip(NEXT) | instid1(VALU_DEP_2)
	v_cvt_f32_i32_e32 v0, v0
	v_cvt_f32_i32_e32 v1, v1
	s_delay_alu instid0(VALU_DEP_2) | instskip(NEXT) | instid1(VALU_DEP_1)
	v_fma_mix_f32 v0, v114, v0, 0 op_sel_hi:[1,0,0]
	v_fma_mix_f32 v50, v115, v1, v0 op_sel_hi:[1,0,0]
	v_mul_lo_u32 v0, v129, v6
	v_mul_lo_u32 v1, v127, v17
	s_delay_alu instid0(VALU_DEP_2) | instskip(NEXT) | instid1(VALU_DEP_2)
	v_cvt_f32_i32_e32 v0, v0
	v_cvt_f32_i32_e32 v1, v1
	s_delay_alu instid0(VALU_DEP_2) | instskip(NEXT) | instid1(VALU_DEP_1)
	v_fma_mix_f32 v0, v114, v0, 0 op_sel_hi:[1,0,0]
	v_fma_mix_f32 v51, v115, v1, v0 op_sel_hi:[1,0,0]
	;; [unrolled: 8-line block ×4, first 2 shown]
	v_fma_mix_f32 v0, v20, v114, 0 op_sel:[0,1,0] op_sel_hi:[0,1,0]
	v_mul_lo_u32 v1, v188, v7
	s_delay_alu instid0(VALU_DEP_2) | instskip(SKIP_1) | instid1(VALU_DEP_3)
	v_fma_mix_f32 v54, v21, v115, v0 op_sel:[0,1,0] op_sel_hi:[0,1,0]
	v_fma_mix_f32 v0, v18, v114, 0 op_sel:[0,1,0] op_sel_hi:[0,1,0]
	v_cvt_f32_i32_e32 v1, v1
	s_delay_alu instid0(VALU_DEP_2) | instskip(SKIP_1) | instid1(VALU_DEP_1)
	v_fma_mix_f32 v55, v19, v115, v0 op_sel:[0,1,0] op_sel_hi:[0,1,0]
	v_fma_mix_f32 v0, v114, v22, 0 op_sel:[1,0,0] op_sel_hi:[1,0,0]
	;; [unrolled: 1-line block ×4, first 2 shown]
	s_delay_alu instid0(VALU_DEP_1) | instskip(SKIP_1) | instid1(VALU_DEP_1)
	v_fma_mix_f32 v57, v39, v115, v0 op_sel:[0,1,0] op_sel_hi:[0,1,0]
	v_mul_lo_u32 v0, v184, v5
	v_cvt_f32_i32_e32 v0, v0
	s_delay_alu instid0(VALU_DEP_1) | instskip(NEXT) | instid1(VALU_DEP_1)
	v_fma_mix_f32 v0, v10, v0, 0 op_sel_hi:[1,0,0]
	v_fma_mix_f32 v58, v11, v1, v0 op_sel_hi:[1,0,0]
	v_mul_lo_u32 v0, v185, v6
	v_mul_lo_u32 v1, v189, v17
	s_delay_alu instid0(VALU_DEP_2) | instskip(NEXT) | instid1(VALU_DEP_2)
	v_cvt_f32_i32_e32 v0, v0
	v_cvt_f32_i32_e32 v1, v1
	s_delay_alu instid0(VALU_DEP_2) | instskip(NEXT) | instid1(VALU_DEP_1)
	v_fma_mix_f32 v0, v10, v0, 0 op_sel_hi:[1,0,0]
	v_fma_mix_f32 v59, v11, v1, v0 op_sel_hi:[1,0,0]
	v_mul_lo_u32 v0, v186, v12
	v_mul_lo_u32 v1, v190, v9
	s_delay_alu instid0(VALU_DEP_2) | instskip(NEXT) | instid1(VALU_DEP_2)
	v_cvt_f32_i32_e32 v0, v0
	v_cvt_f32_i32_e32 v1, v1
	s_delay_alu instid0(VALU_DEP_2) | instskip(NEXT) | instid1(VALU_DEP_1)
	;; [unrolled: 8-line block ×3, first 2 shown]
	v_fma_mix_f32 v0, v10, v0, 0 op_sel_hi:[1,0,0]
	v_fma_mix_f32 v61, v11, v1, v0 op_sel_hi:[1,0,0]
	v_fma_mix_f32 v0, v20, v10, 0 op_sel:[0,1,0] op_sel_hi:[0,1,0]
	v_mul_lo_u32 v1, v221, v7
	s_delay_alu instid0(VALU_DEP_2) | instskip(SKIP_1) | instid1(VALU_DEP_3)
	v_fma_mix_f32 v62, v21, v11, v0 op_sel:[0,1,0] op_sel_hi:[0,1,0]
	v_fma_mix_f32 v0, v18, v10, 0 op_sel:[0,1,0] op_sel_hi:[0,1,0]
	v_cvt_f32_i32_e32 v1, v1
	s_delay_alu instid0(VALU_DEP_2) | instskip(SKIP_1) | instid1(VALU_DEP_1)
	v_fma_mix_f32 v63, v19, v11, v0 op_sel:[0,1,0] op_sel_hi:[0,1,0]
	v_fma_mix_f32 v0, v10, v22, 0 op_sel:[1,0,0] op_sel_hi:[1,0,0]
	;; [unrolled: 1-line block ×4, first 2 shown]
	s_delay_alu instid0(VALU_DEP_1) | instskip(SKIP_1) | instid1(VALU_DEP_2)
	v_fma_mix_f32 v10, v39, v11, v0 op_sel:[0,1,0] op_sel_hi:[0,1,0]
	v_mul_lo_u32 v0, v192, v5
	v_mul_f32_e32 v10, v10, v183
	s_delay_alu instid0(VALU_DEP_2) | instskip(NEXT) | instid1(VALU_DEP_2)
	v_cvt_f32_i32_e32 v0, v0
	v_fma_f32 v10, v58, v182, -v10
	s_delay_alu instid0(VALU_DEP_2) | instskip(NEXT) | instid1(VALU_DEP_2)
	v_fma_mix_f32 v0, v116, v0, 0 op_sel_hi:[1,0,0]
	v_add_f32_e32 v137, v137, v10
	s_delay_alu instid0(VALU_DEP_2) | instskip(SKIP_2) | instid1(VALU_DEP_2)
	v_fma_mix_f32 v11, v117, v1, v0 op_sel_hi:[1,0,0]
	v_mul_lo_u32 v0, v193, v6
	v_mul_lo_u32 v1, v218, v17
	v_cvt_f32_i32_e32 v0, v0
	s_delay_alu instid0(VALU_DEP_2) | instskip(NEXT) | instid1(VALU_DEP_2)
	v_cvt_f32_i32_e32 v1, v1
	v_fma_mix_f32 v0, v116, v0, 0 op_sel_hi:[1,0,0]
	s_delay_alu instid0(VALU_DEP_1) | instskip(SKIP_2) | instid1(VALU_DEP_2)
	v_fma_mix_f32 v65, v117, v1, v0 op_sel_hi:[1,0,0]
	v_mul_lo_u32 v0, v194, v12
	v_mul_lo_u32 v1, v219, v9
	v_cvt_f32_i32_e32 v0, v0
	s_delay_alu instid0(VALU_DEP_2) | instskip(NEXT) | instid1(VALU_DEP_2)
	v_cvt_f32_i32_e32 v1, v1
	v_fma_mix_f32 v0, v116, v0, 0 op_sel_hi:[1,0,0]
	s_delay_alu instid0(VALU_DEP_1) | instskip(SKIP_2) | instid1(VALU_DEP_2)
	;; [unrolled: 8-line block ×3, first 2 shown]
	v_fma_mix_f32 v69, v117, v1, v0 op_sel_hi:[1,0,0]
	v_fma_mix_f32 v0, v20, v116, 0 op_sel:[0,1,0] op_sel_hi:[0,1,0]
	v_mul_lo_u32 v1, v200, v7
	v_fma_mix_f32 v70, v21, v117, v0 op_sel:[0,1,0] op_sel_hi:[0,1,0]
	v_fma_mix_f32 v0, v18, v116, 0 op_sel:[0,1,0] op_sel_hi:[0,1,0]
	s_delay_alu instid0(VALU_DEP_3) | instskip(NEXT) | instid1(VALU_DEP_2)
	v_cvt_f32_i32_e32 v1, v1
	v_fma_mix_f32 v71, v19, v117, v0 op_sel:[0,1,0] op_sel_hi:[0,1,0]
	v_fma_mix_f32 v0, v116, v22, 0 op_sel:[1,0,0] op_sel_hi:[1,0,0]
	s_delay_alu instid0(VALU_DEP_1) | instskip(SKIP_1) | instid1(VALU_DEP_1)
	v_fma_mix_f32 v72, v117, v23, v0 op_sel:[1,0,0] op_sel_hi:[1,0,0]
	v_fma_mix_f32 v0, v26, v116, 0 op_sel:[0,1,0] op_sel_hi:[0,1,0]
	;; [unrolled: 1-line block ×3, first 2 shown]
	v_mul_lo_u32 v0, v196, v5
	s_delay_alu instid0(VALU_DEP_1) | instskip(NEXT) | instid1(VALU_DEP_1)
	v_cvt_f32_i32_e32 v0, v0
	v_fma_mix_f32 v0, v67, v0, 0 op_sel_hi:[1,0,0]
	s_delay_alu instid0(VALU_DEP_1) | instskip(SKIP_2) | instid1(VALU_DEP_2)
	v_fma_mix_f32 v80, v68, v1, v0 op_sel_hi:[1,0,0]
	v_mul_lo_u32 v0, v197, v6
	v_mul_lo_u32 v1, v201, v17
	v_cvt_f32_i32_e32 v0, v0
	s_delay_alu instid0(VALU_DEP_2) | instskip(NEXT) | instid1(VALU_DEP_2)
	v_cvt_f32_i32_e32 v1, v1
	v_fma_mix_f32 v0, v67, v0, 0 op_sel_hi:[1,0,0]
	s_delay_alu instid0(VALU_DEP_1) | instskip(SKIP_2) | instid1(VALU_DEP_2)
	v_fma_mix_f32 v81, v68, v1, v0 op_sel_hi:[1,0,0]
	v_mul_lo_u32 v0, v198, v12
	v_mul_lo_u32 v1, v202, v9
	v_cvt_f32_i32_e32 v0, v0
	s_delay_alu instid0(VALU_DEP_2) | instskip(NEXT) | instid1(VALU_DEP_2)
	;; [unrolled: 8-line block ×3, first 2 shown]
	v_cvt_f32_i32_e32 v1, v1
	v_fma_mix_f32 v0, v67, v0, 0 op_sel_hi:[1,0,0]
	s_delay_alu instid0(VALU_DEP_1) | instskip(SKIP_2) | instid1(VALU_DEP_2)
	v_fma_mix_f32 v84, v68, v1, v0 op_sel_hi:[1,0,0]
	v_fma_mix_f32 v0, v20, v67, 0 op_sel:[0,1,0] op_sel_hi:[0,1,0]
	v_mul_lo_u32 v1, v165, v7
	v_fma_mix_f32 v85, v21, v68, v0 op_sel:[0,1,0] op_sel_hi:[0,1,0]
	v_fma_mix_f32 v0, v18, v67, 0 op_sel:[0,1,0] op_sel_hi:[0,1,0]
	s_delay_alu instid0(VALU_DEP_3) | instskip(NEXT) | instid1(VALU_DEP_2)
	v_cvt_f32_i32_e32 v1, v1
	v_fma_mix_f32 v86, v19, v68, v0 op_sel:[0,1,0] op_sel_hi:[0,1,0]
	v_fma_mix_f32 v0, v67, v22, 0 op_sel:[1,0,0] op_sel_hi:[1,0,0]
	s_delay_alu instid0(VALU_DEP_1) | instskip(SKIP_1) | instid1(VALU_DEP_1)
	v_fma_mix_f32 v87, v68, v23, v0 op_sel:[1,0,0] op_sel_hi:[1,0,0]
	v_fma_mix_f32 v0, v26, v67, 0 op_sel:[0,1,0] op_sel_hi:[0,1,0]
	;; [unrolled: 1-line block ×3, first 2 shown]
	v_mul_lo_u32 v0, v158, v5
	v_mul_lo_u32 v5, v205, v5
	s_delay_alu instid0(VALU_DEP_2) | instskip(NEXT) | instid1(VALU_DEP_2)
	v_cvt_f32_i32_e32 v0, v0
	v_cvt_f32_i32_e32 v5, v5
	s_delay_alu instid0(VALU_DEP_2) | instskip(NEXT) | instid1(VALU_DEP_1)
	v_fma_mix_f32 v0, v118, v0, 0 op_sel_hi:[1,0,0]
	v_fma_mix_f32 v68, v119, v1, v0 op_sel_hi:[1,0,0]
	v_mul_lo_u32 v0, v160, v6
	v_mul_lo_u32 v1, v163, v17
	;; [unrolled: 1-line block ×3, first 2 shown]
	s_delay_alu instid0(VALU_DEP_3) | instskip(NEXT) | instid1(VALU_DEP_3)
	v_cvt_f32_i32_e32 v0, v0
	v_cvt_f32_i32_e32 v1, v1
	s_delay_alu instid0(VALU_DEP_3) | instskip(NEXT) | instid1(VALU_DEP_3)
	v_cvt_f32_i32_e32 v17, v17
	v_fma_mix_f32 v0, v118, v0, 0 op_sel_hi:[1,0,0]
	s_delay_alu instid0(VALU_DEP_1) | instskip(SKIP_2) | instid1(VALU_DEP_2)
	v_fma_mix_f32 v88, v119, v1, v0 op_sel_hi:[1,0,0]
	v_mul_lo_u32 v0, v208, v12
	v_mul_lo_u32 v1, v162, v9
	v_cvt_f32_i32_e32 v0, v0
	s_delay_alu instid0(VALU_DEP_2) | instskip(NEXT) | instid1(VALU_DEP_2)
	v_cvt_f32_i32_e32 v1, v1
	v_fma_mix_f32 v0, v118, v0, 0 op_sel_hi:[1,0,0]
	s_delay_alu instid0(VALU_DEP_1) | instskip(SKIP_3) | instid1(VALU_DEP_3)
	v_fma_mix_f32 v90, v119, v1, v0 op_sel_hi:[1,0,0]
	v_mul_lo_u32 v0, v209, v14
	v_mul_lo_u32 v1, v73, v15
	;; [unrolled: 1-line block ×3, first 2 shown]
	v_cvt_f32_i32_e32 v0, v0
	s_delay_alu instid0(VALU_DEP_3) | instskip(NEXT) | instid1(VALU_DEP_2)
	v_cvt_f32_i32_e32 v1, v1
	v_fma_mix_f32 v0, v118, v0, 0 op_sel_hi:[1,0,0]
	s_delay_alu instid0(VALU_DEP_1) | instskip(SKIP_1) | instid1(VALU_DEP_1)
	v_fma_mix_f32 v73, v119, v1, v0 op_sel_hi:[1,0,0]
	v_fma_mix_f32 v0, v20, v118, 0 op_sel:[0,1,0] op_sel_hi:[0,1,0]
	v_fma_mix_f32 v91, v21, v119, v0 op_sel:[0,1,0] op_sel_hi:[0,1,0]
	;; [unrolled: 1-line block ×3, first 2 shown]
	s_delay_alu instid0(VALU_DEP_1) | instskip(SKIP_1) | instid1(VALU_DEP_1)
	v_fma_mix_f32 v93, v19, v119, v0 op_sel:[0,1,0] op_sel_hi:[0,1,0]
	v_fma_mix_f32 v0, v118, v22, 0 op_sel:[1,0,0] op_sel_hi:[1,0,0]
	v_fma_mix_f32 v94, v119, v23, v0 op_sel:[1,0,0] op_sel_hi:[1,0,0]
	v_fma_mix_f32 v0, v26, v118, 0 op_sel:[0,1,0] op_sel_hi:[0,1,0]
	s_delay_alu instid0(VALU_DEP_1)
	v_fma_mix_f32 v95, v39, v119, v0 op_sel:[0,1,0] op_sel_hi:[0,1,0]
	v_lshrrev_b32_e32 v0, 1, v82
	ds_load_b64 v[0:1], v0 offset:43584
	s_wait_dscnt 0x0
	v_fma_mix_f32 v18, v18, v0, 0 op_sel:[0,1,0] op_sel_hi:[0,1,0]
	v_fma_mix_f32 v20, v0, v20, 0 op_sel:[1,0,0] op_sel_hi:[1,0,0]
	v_fma_mix_f32 v5, v0, v5, 0 op_sel_hi:[1,0,0]
	s_delay_alu instid0(VALU_DEP_3)
	v_fma_mix_f32 v18, v19, v1, v18 op_sel:[0,1,0] op_sel_hi:[0,1,0]
	v_fma_mix_f32 v19, v0, v22, 0 op_sel:[1,0,0] op_sel_hi:[1,0,0]
	v_mul_f32_e32 v22, v64, v181
	v_mul_lo_u32 v7, v211, v7
	v_fma_mix_f32 v20, v1, v21, v20 op_sel:[1,0,0] op_sel_hi:[1,0,0]
	v_fma_mix_f32 v21, v26, v0, 0 op_sel:[0,1,0] op_sel_hi:[0,1,0]
	;; [unrolled: 1-line block ×3, first 2 shown]
	v_dual_mul_f32 v23, v79, v75 :: v_dual_mul_f32 v26, v70, v78
	v_mul_lo_u32 v9, v212, v9
	s_delay_alu instid0(VALU_DEP_4) | instskip(SKIP_1) | instid1(VALU_DEP_4)
	v_fma_mix_f32 v21, v39, v1, v21 op_sel:[0,1,0] op_sel_hi:[0,1,0]
	v_cvt_f32_i32_e32 v7, v7
	v_fma_f32 v11, v11, v74, -v23
	v_mul_f32_e32 v23, v67, v183
	v_mul_lo_u32 v12, v206, v12
	v_mul_lo_u32 v6, v204, v6
	v_fma_mix_f32 v5, v1, v7, v5 op_sel_hi:[1,0,0]
	v_mul_f32_e32 v39, v71, v179
	v_mul_lo_u32 v14, v207, v14
	v_cvt_f32_i32_e32 v9, v9
	v_mul_f32_e32 v21, v21, v183
	v_fma_f32 v22, v61, v180, -v22
	v_cvt_f32_i32_e32 v7, v12
	v_cvt_f32_i32_e32 v6, v6
	;; [unrolled: 1-line block ×3, first 2 shown]
	v_mul_f32_e32 v15, v55, v179
	v_fma_f32 v23, v80, v182, -v23
	v_fma_mix_f32 v7, v0, v7, 0 op_sel_hi:[1,0,0]
	v_fma_mix_f32 v6, v0, v6, 0 op_sel_hi:[1,0,0]
	v_fma_f32 v26, v65, v76, -v26
	v_fma_f32 v15, v52, v77, -v15
	;; [unrolled: 1-line block ×3, first 2 shown]
	v_fma_mix_f32 v7, v1, v9, v7 op_sel_hi:[1,0,0]
	v_cvt_f32_i32_e32 v9, v14
	v_fma_mix_f32 v6, v1, v17, v6 op_sel_hi:[1,0,0]
	v_mul_f32_e32 v14, v54, v78
	v_mul_f32_e32 v17, v62, v78
	v_add_f32_e32 v27, v27, v22
	v_fma_mix_f32 v0, v0, v9, 0 op_sel_hi:[1,0,0]
	v_mul_f32_e32 v9, v47, v179
	v_fma_f32 v14, v51, v76, -v14
	v_fma_f32 v17, v59, v76, -v17
	v_add_f32_e32 v169, v169, v39
	v_fma_mix_f32 v0, v1, v12, v0 op_sel_hi:[1,0,0]
	v_mul_f32_e32 v1, v40, v78
	v_mul_f32_e32 v12, v48, v181
	v_fma_f32 v9, v44, v77, -v9
	v_mul_f32_e32 v40, v72, v181
	v_dual_add_f32 v132, v132, v14 :: v_dual_add_f32 v147, v147, v11
	v_fma_f32 v1, v4, v76, -v1
	v_mul_f32_e32 v4, v20, v78
	v_mul_f32_e32 v20, v63, v179
	v_fma_f32 v12, v45, v180, -v12
	v_mul_f32_e32 v45, v93, v179
	v_add_f32_e32 v131, v131, v1
	v_mul_f32_e32 v1, v2, v75
	v_fma_f32 v20, v60, v77, -v20
	v_fma_f32 v4, v6, v76, -v4
	v_mul_f32_e32 v6, v42, v181
	v_mul_f32_e32 v2, v49, v183
	v_fma_f32 v1, v8, v74, -v1
	v_mul_f32_e32 v8, v46, v78
	v_dual_mul_f32 v44, v95, v75 :: v_dual_add_f32 v145, v145, v12
	v_fma_f32 v6, v16, v180, -v6
	s_delay_alu instid0(VALU_DEP_4)
	v_dual_add_f32 v134, v134, v1 :: v_dual_add_f32 v25, v25, v20
	scratch_load_b32 v1, off, off           ; 4-byte Folded Reload
	v_dual_mul_f32 v42, v86, v179 :: v_dual_add_f32 v139, v139, v6
	v_fma_f32 v2, v3, v182, -v2
	v_mul_f32_e32 v3, v41, v179
	v_mul_f32_e32 v18, v18, v179
	s_delay_alu instid0(VALU_DEP_4)
	v_fma_f32 v42, v83, v77, -v42
	v_add_f32_e32 v28, v28, v15
	v_fma_f32 v8, v43, v76, -v8
	v_fma_f32 v3, v13, v77, -v3
	v_dual_mul_f32 v13, v57, v75 :: v_dual_mul_f32 v16, v56, v181
	v_mul_f32_e32 v41, v85, v78
	v_mul_f32_e32 v43, v87, v181
	;; [unrolled: 1-line block ×3, first 2 shown]
	v_fma_f32 v45, v90, v77, -v45
	v_mov_b32_e32 v90, v100
	v_fma_f32 v5, v5, v182, -v21
	v_mul_f32_e32 v21, v91, v78
	v_add_f32_e32 v135, v135, v2
	v_fma_f32 v7, v7, v77, -v18
	v_mul_f32_e32 v18, v19, v181
	v_fma_f32 v13, v50, v74, -v13
	v_fma_f32 v16, v53, v180, -v16
	;; [unrolled: 1-line block ×9, first 2 shown]
	v_add_f32_e32 v138, v138, v8
	v_add_f32_e32 v146, v146, v9
	v_dual_add_f32 v90, v90, v16 :: v_dual_add_f32 v159, v159, v21
	v_dual_add_f32 v174, v174, v17 :: v_dual_add_f32 v167, v167, v3
	;; [unrolled: 1-line block ×4, first 2 shown]
	v_add_f32_e32 v148, v148, v23
	v_add_f32_e32 v166, v166, v41
	v_add_f32_e32 v176, v176, v43
	v_add_f32_e32 v170, v170, v44
	v_add_f32_e32 v168, v168, v4
	v_add_f32_e32 v30, v30, v7
	s_wait_loadcnt 0x0
	v_dual_add_f32 v32, v32, v0 :: v_dual_add_f32 v1, v1, v42
	scratch_store_b32 off, v1, off          ; 4-byte Folded Spill
	scratch_load_b32 v1, off, off offset:4  ; 4-byte Folded Reload
	s_wait_loadcnt 0x0
	v_dual_add_f32 v136, v136, v13 :: v_dual_add_f32 v1, v1, v46
	scratch_store_b32 off, v1, off offset:4 ; 4-byte Folded Spill
	s_wait_alu 0xfffe
	s_cbranch_vccnz .LBB153_6
; %bb.7:                                ;   in Loop: Header=BB153_5 Depth=1
	s_wait_storecnt 0x0
	s_barrier_signal -1
	s_barrier_wait -1
	global_inv scope:SCOPE_SE
	s_clause 0x5
	scratch_load_b32 v1, off, off offset:164
	scratch_load_b32 v5, off, off offset:168
	scratch_load_b32 v7, off, off offset:172
	scratch_load_b32 v9, off, off offset:184
	scratch_load_b32 v12, off, off offset:176
	scratch_load_b32 v13, off, off offset:180
	v_dual_mov_b32 v73, v24 :: v_dual_add_nc_u32 v10, s5, v141
	v_mov_b32_e32 v88, v28
	s_mov_b32 s5, 16
	v_mov_b32_e32 v86, v25
	s_delay_alu instid0(VALU_DEP_3) | instskip(SKIP_1) | instid1(VALU_DEP_1)
	v_add_nc_u32_e32 v0, v10, v133
	v_add_nc_u32_e32 v2, v10, v140
	v_mad_co_i64_i32 v[2:3], null, v2, 36, v[33:34]
	s_wait_loadcnt 0x4
	v_add_nc_u32_e32 v6, v10, v5
	s_wait_loadcnt 0x3
	v_add_nc_u32_e32 v8, v10, v7
	;; [unrolled: 2-line block ×5, first 2 shown]
	scratch_load_b32 v13, off, off offset:16 th:TH_LOAD_LU ; 4-byte Folded Reload
	v_add_nc_u32_e32 v4, v10, v1
	v_mad_co_i64_i32 v[10:11], null, v11, 36, v[33:34]
	v_mad_co_i64_i32 v[0:1], null, v0, 36, v[33:34]
	s_delay_alu instid0(VALU_DEP_3)
	v_mad_co_i64_i32 v[4:5], null, v4, 36, v[33:34]
	v_mad_co_i64_i32 v[6:7], null, v6, 36, v[33:34]
	;; [unrolled: 1-line block ×4, first 2 shown]
	s_wait_loadcnt 0x0
	v_add_nc_u32_e32 v16, 4, v13
	v_mad_co_i64_i32 v[12:13], null, v12, 36, v[33:34]
	s_delay_alu instid0(VALU_DEP_2)
	v_mad_co_u64_u32 v[16:17], null, v16, 36, s[2:3]
	s_clause 0x8
	global_load_b32 v10, v[10:11], off offset:4
	global_load_b32 v0, v[0:1], off offset:4
	;; [unrolled: 1-line block ×8, first 2 shown]
	global_load_b32 v7, v[16:17], off
	s_wait_loadcnt 0x8
	ds_store_b32 v36, v10
	s_wait_loadcnt 0x7
	ds_store_b32 v37, v0
	;; [unrolled: 2-line block ×8, first 2 shown]
	scratch_load_b32 v0, off, off offset:160 ; 4-byte Folded Reload
	s_wait_loadcnt 0x0
	ds_store_b32 v0, v7
	s_wait_dscnt 0x0
	s_barrier_signal -1
	s_barrier_wait -1
	global_inv scope:SCOPE_SE
	s_clause 0x3
	scratch_load_b32 v0, off, off offset:188
	scratch_load_b32 v1, off, off offset:192
	;; [unrolled: 1-line block ×4, first 2 shown]
	s_wait_loadcnt 0x3
	ds_load_b32 v0, v0
	s_wait_loadcnt 0x2
	ds_load_b32 v1, v1 offset:128
	s_wait_loadcnt 0x1
	ds_load_b32 v2, v2 offset:256
	s_wait_loadcnt 0x0
	ds_load_b32 v3, v3 offset:384
	s_wait_dscnt 0x3
	v_cvt_f32_f16_e32 v6, v0
	s_wait_dscnt 0x2
	v_lshrrev_b32_e32 v4, 16, v1
	v_cvt_f32_f16_e32 v1, v1
	s_wait_dscnt 0x1
	v_lshrrev_b32_e32 v5, 16, v2
	v_lshrrev_b32_e32 v0, 16, v0
	scratch_store_b32 off, v1, off offset:124 ; 4-byte Folded Spill
	v_cvt_f32_f16_e32 v1, v2
	v_cvt_f32_f16_e32 v2, v4
	;; [unrolled: 1-line block ×3, first 2 shown]
	s_clause 0x1
	scratch_store_b32 off, v1, off offset:128
	scratch_store_b32 off, v2, off offset:136
	s_wait_dscnt 0x0
	v_lshrrev_b32_e32 v1, 16, v3
	v_cvt_f32_f16_e32 v2, v5
	s_delay_alu instid0(VALU_DEP_2)
	v_cvt_f32_f16_e32 v1, v1
	scratch_store_b32 off, v2, off offset:140 ; 4-byte Folded Spill
	v_cvt_f32_f16_e32 v2, v3
	s_clause 0x5
	scratch_store_b32 off, v2, off offset:144
	scratch_store_b32 off, v1, off offset:148
	;; [unrolled: 1-line block ×6, first 2 shown]
.LBB153_8:                              ;   Parent Loop BB153_5 Depth=1
                                        ; =>  This Inner Loop Header: Depth=2
	s_clause 0x6
	scratch_store_b32 off, v88, off offset:68
	scratch_store_b32 off, v86, off offset:64
	;; [unrolled: 1-line block ×3, first 2 shown]
	scratch_store_b64 off, v[134:135], off offset:32
	scratch_store_b32 off, v146, off offset:28
	scratch_store_b64 off, v[147:148], off offset:20
	scratch_store_b32 off, v90, off offset:16
	scratch_load_b32 v0, off, off offset:12 ; 4-byte Folded Reload
	s_wait_alu 0xfffe
	s_lshl_b32 s12, s5, 1
	s_lshr_b32 s13, s5, 2
	s_lshl_b32 s16, s5, 3
	s_wait_alu 0xfffe
	s_and_b32 s17, s13, 0x3ffffffe
	s_and_b32 s13, s12, 16
	v_dual_mov_b32 v208, v145 :: v_dual_add_nc_u32 v79, s16, v161
	s_wait_alu 0xfffe
	v_or_b32_e32 v84, s13, v149
	v_mov_b32_e32 v205, v137
	s_add_co_i32 s12, s17, 0xa200
	v_dual_mov_b32 v206, v139 :: v_dual_add_nc_u32 v87, s16, v156
	s_delay_alu instid0(VALU_DEP_3)
	v_lshlrev_b32_e32 v80, 2, v84
	v_or_b32_e32 v242, s13, v151
	v_mov_b32_e32 v198, v171
	v_or_b32_e32 v249, s13, v153
	v_dual_mov_b32 v197, v170 :: v_dual_mov_b32 v184, v156
	v_mov_b32_e32 v37, v38
	v_lshlrev_b32_e32 v243, 2, v242
	s_delay_alu instid0(VALU_DEP_4)
	v_dual_mov_b32 v207, v138 :: v_dual_lshlrev_b32 v106, 2, v249
	v_mov_b32_e32 v204, v136
	v_dual_mov_b32 v170, v92 :: v_dual_mov_b32 v181, v154
	s_wait_loadcnt 0x0
	v_dual_mov_b32 v171, v149 :: v_dual_add_nc_u32 v8, s16, v0
	ds_load_2addr_b32 v[61:62], v79 offset1:1
	ds_load_2addr_b32 v[59:60], v79 offset0:2 offset1:3
	ds_load_2addr_b32 v[57:58], v79 offset0:4 offset1:5
	;; [unrolled: 1-line block ×4, first 2 shown]
	ds_load_b128 v[0:3], v80 offset:33280
	scratch_load_b32 v5, off, off offset:8  ; 4-byte Folded Reload
	s_wait_dscnt 0x0
	v_dot4_i32_iu8 v4, v0, v61, 0 neg_lo:[1,1,0]
	v_bfe_i32 v16, v0, 0, 8
	v_perm_b32 v17, v0, v0, 0xc0c0201
	v_perm_b32 v18, v1, v0, 0x6050403
	;; [unrolled: 1-line block ×3, first 2 shown]
	v_dot4_i32_iu8 v4, v1, v62, v4 neg_lo:[1,1,0]
	v_perm_b32 v20, v3, v2, 0x6050403
	s_delay_alu instid0(VALU_DEP_2) | instskip(NEXT) | instid1(VALU_DEP_1)
	v_dot4_i32_iu8 v4, v2, v59, v4 neg_lo:[1,1,0]
	v_dot4_i32_iu8 v9, v3, v60, v4 neg_lo:[1,1,0]
	s_wait_loadcnt 0x0
	v_add_nc_u32_e32 v85, s16, v5
	scratch_load_b32 v5, off, off offset:56 ; 4-byte Folded Reload
	s_wait_loadcnt 0x0
	s_wait_alu 0xfffe
	v_add3_u32 v81, s12, v5, v29
	ds_load_u16 v195, v81 offset:8
	ds_load_2addr_b32 v[71:72], v85 offset1:1
	scratch_load_b32 v6, off, off offset:52 ; 4-byte Folded Reload
	s_wait_dscnt 0x0
	v_dot4_i32_iu8 v5, v0, v71, 0 neg_lo:[1,1,0]
	s_delay_alu instid0(VALU_DEP_1)
	v_dot4_i32_iu8 v5, v1, v72, v5 neg_lo:[1,1,0]
	s_wait_loadcnt 0x0
	v_add3_u32 v86, s12, v6, v164
	ds_load_2addr_b32 v[69:70], v8 offset0:2 offset1:3
	ds_load_2addr_b32 v[63:64], v8 offset0:4 offset1:5
	ds_load_u16 v196, v86 offset:8
	ds_load_2addr_b32 v[75:76], v8 offset1:1
	ds_load_2addr_b32 v[73:74], v85 offset0:2 offset1:3
	ds_load_2addr_b32 v[67:68], v85 offset0:4 offset1:5
	;; [unrolled: 1-line block ×4, first 2 shown]
	s_wait_dscnt 0x3
	v_dot4_i32_iu8 v5, v2, v73, v5 neg_lo:[1,1,0]
	v_dot4_i32_iu8 v6, v0, v75, 0 neg_lo:[1,1,0]
	s_delay_alu instid0(VALU_DEP_2) | instskip(NEXT) | instid1(VALU_DEP_2)
	v_dot4_i32_iu8 v10, v3, v74, v5 neg_lo:[1,1,0]
	v_dot4_i32_iu8 v6, v1, v76, v6 neg_lo:[1,1,0]
	s_delay_alu instid0(VALU_DEP_1) | instskip(NEXT) | instid1(VALU_DEP_1)
	v_dot4_i32_iu8 v6, v2, v69, v6 neg_lo:[1,1,0]
	v_dot4_i32_iu8 v11, v3, v70, v6 neg_lo:[1,1,0]
	ds_load_b128 v[4:7], v80 offset:33296
	ds_load_b128 v[12:15], v80 offset:33312
	s_wait_dscnt 0x1
	v_perm_b32 v21, v4, v3, 0x6050403
	ds_load_b32 v22, v87 offset:16
	ds_load_2addr_b32 v[0:1], v87 offset1:1
	ds_load_2addr_b32 v[2:3], v87 offset0:2 offset1:3
	s_wait_dscnt 0x1
	v_bfe_i32 v193, v0, 0, 8
	v_perm_b32 v194, v0, v0, 0xc0c0201
	v_perm_b32 v192, v1, v0, 0x6050403
	s_wait_dscnt 0x0
	v_perm_b32 v190, v2, v1, 0x6050403
	v_perm_b32 v191, v3, v2, 0x6050403
	v_mul_i32_i24_e32 v0, v16, v193
	v_perm_b32 v189, v22, v3, 0x6050403
	v_ashrrev_i32_e32 v1, 24, v4
	v_dot4_i32_iu8 v2, v4, v67, v10 neg_lo:[1,1,0]
	v_dot4_i32_iu8 v3, v4, v63, v11 neg_lo:[1,1,0]
	;; [unrolled: 1-line block ×3, first 2 shown]
	s_delay_alu instid0(VALU_DEP_3) | instskip(NEXT) | instid1(VALU_DEP_3)
	v_dot4_i32_iu8 v2, v5, v68, v2 neg_lo:[1,1,0]
	v_dot4_i32_iu8 v3, v5, v64, v3 neg_lo:[1,1,0]
	s_delay_alu instid0(VALU_DEP_3) | instskip(NEXT) | instid1(VALU_DEP_3)
	v_dot4_i32_iu8 v0, v18, v192, v0 neg_lo:[1,1,0]
	v_dot4_i32_iu8 v2, v6, v65, v2 neg_lo:[1,1,0]
	s_delay_alu instid0(VALU_DEP_2) | instskip(NEXT) | instid1(VALU_DEP_1)
	v_dot4_i32_iu8 v0, v19, v190, v0 neg_lo:[1,1,0]
	v_dot4_i32_iu8 v0, v20, v191, v0 neg_lo:[1,1,0]
	s_delay_alu instid0(VALU_DEP_1)
	v_dot4_i32_iu8 v0, v21, v189, v0 neg_lo:[1,1,0]
	ds_load_b128 v[16:19], v87 offset:19
	ds_load_b128 v[20:23], v87 offset:35
	ds_load_2addr_b32 v[77:78], v8 offset0:6 offset1:7
	ds_load_2addr_b32 v[51:52], v8 offset0:8 offset1:9
	;; [unrolled: 1-line block ×4, first 2 shown]
	s_wait_dscnt 0x3
	v_dot4_i32_iu8 v3, v6, v77, v3 neg_lo:[1,1,0]
	v_bfe_i32 v26, v16, 0, 8
	v_perm_b32 v83, v17, v16, 0x4030201
	v_perm_b32 v88, v18, v17, 0x4030201
	;; [unrolled: 1-line block ×4, first 2 shown]
	v_mad_i32_i24 v0, v26, v1, v0
	v_dot4_i32_iu8 v1, v4, v57, v9 neg_lo:[1,1,0]
	v_or_b32_e32 v9, s13, v150
	v_perm_b32 v225, v21, v20, 0x6050403
	v_perm_b32 v224, v22, v21, 0x6050403
	v_dot4_i32_iu8 v0, v83, v5, v0 neg_lo:[1,1,0]
	v_dot4_i32_iu8 v1, v5, v58, v1 neg_lo:[1,1,0]
	v_lshlrev_b32_e32 v105, 2, v9
	v_perm_b32 v219, v23, v22, 0x6050403
	v_perm_b32 v223, v16, v16, 0xc0c0100
	v_dot4_i32_iu8 v0, v88, v6, v0 neg_lo:[1,1,0]
	v_dot4_i32_iu8 v1, v6, v55, v1 neg_lo:[1,1,0]
	v_perm_b32 v222, v16, v16, 0xc0c0302
	v_perm_b32 v218, v17, v17, 0xc0c0100
	;; [unrolled: 1-line block ×3, first 2 shown]
	v_dot4_i32_iu8 v0, v7, v90, v0 neg_lo:[1,1,0]
	v_dot4_i32_iu8 v1, v7, v56, v1 neg_lo:[1,1,0]
	v_perm_b32 v203, v18, v18, 0xc0c0100
	v_bfe_i32 v235, v19, 8, 8
	v_bfe_i32 v234, v19, 16, 8
	s_clause 0x1
	scratch_store_b32 off, v0, off offset:84
	scratch_store_b32 off, v1, off offset:100
	v_dot4_i32_iu8 v1, v7, v66, v2 neg_lo:[1,1,0]
	v_lshrrev_b32_e32 v0, 1, v9
	v_perm_b32 v221, v19, v18, 0xc040302
	scratch_store_b32 off, v1, off offset:96 ; 4-byte Folded Spill
	v_dot4_i32_iu8 v1, v7, v78, v3 neg_lo:[1,1,0]
	scratch_store_b32 off, v1, off offset:92 ; 4-byte Folded Spill
	ds_load_b64 v[41:42], v0 offset:43584
	ds_load_b128 v[1:4], v243 offset:33280
	s_wait_dscnt 0x0
	v_dot4_i32_iu8 v0, v1, v61, 0 neg_lo:[1,1,0]
	v_dot4_i32_iu8 v5, v1, v71, 0 neg_lo:[1,1,0]
	;; [unrolled: 1-line block ×3, first 2 shown]
	v_bfe_i32 v48, v1, 0, 8
	v_perm_b32 v53, v1, v1, 0xc0c0201
	v_dot4_i32_iu8 v0, v2, v62, v0 neg_lo:[1,1,0]
	v_dot4_i32_iu8 v5, v2, v72, v5 neg_lo:[1,1,0]
	;; [unrolled: 1-line block ×3, first 2 shown]
	v_mul_i32_i24_e32 v48, v48, v193
	v_perm_b32 v54, v2, v1, 0x6050403
	v_dot4_i32_iu8 v0, v3, v59, v0 neg_lo:[1,1,0]
	v_dot4_i32_iu8 v5, v3, v73, v5 neg_lo:[1,1,0]
	;; [unrolled: 1-line block ×3, first 2 shown]
	v_perm_b32 v82, v3, v2, 0x6050403
	v_perm_b32 v91, v4, v3, 0x6050403
	v_dot4_i32_iu8 v10, v4, v60, v0 neg_lo:[1,1,0]
	v_dot4_i32_iu8 v11, v4, v74, v5 neg_lo:[1,1,0]
	;; [unrolled: 1-line block ×3, first 2 shown]
	ds_load_b128 v[5:8], v243 offset:33296
	ds_load_b128 v[0:3], v243 offset:33312
	v_dot4_i32_iu8 v48, v53, v194, v48 neg_lo:[1,1,0]
	s_delay_alu instid0(VALU_DEP_1) | instskip(NEXT) | instid1(VALU_DEP_1)
	v_dot4_i32_iu8 v48, v54, v192, v48 neg_lo:[1,1,0]
	v_dot4_i32_iu8 v48, v82, v190, v48 neg_lo:[1,1,0]
	s_delay_alu instid0(VALU_DEP_1)
	v_dot4_i32_iu8 v48, v91, v191, v48 neg_lo:[1,1,0]
	s_wait_dscnt 0x1
	v_perm_b32 v4, v5, v4, 0x6050403
	v_dot4_i32_iu8 v10, v5, v57, v10 neg_lo:[1,1,0]
	v_dot4_i32_iu8 v11, v5, v67, v11 neg_lo:[1,1,0]
	s_wait_dscnt 0x0
	v_bfe_i32 v137, v0, 0, 8
	v_bfe_i32 v35, v0, 8, 8
	v_dot4_i32_iu8 v4, v4, v189, v48 neg_lo:[1,1,0]
	v_ashrrev_i32_e32 v48, 24, v5
	v_dot4_i32_iu8 v5, v5, v63, v47 neg_lo:[1,1,0]
	v_dot4_i32_iu8 v10, v6, v58, v10 neg_lo:[1,1,0]
	;; [unrolled: 1-line block ×3, first 2 shown]
	v_perm_b32 v180, v1, v0, 0x5040302
	v_mad_i32_i24 v4, v26, v48, v4
	v_dot4_i32_iu8 v5, v6, v64, v5 neg_lo:[1,1,0]
	v_dot4_i32_iu8 v10, v7, v55, v10 neg_lo:[1,1,0]
	;; [unrolled: 1-line block ×3, first 2 shown]
	v_perm_b32 v185, v2, v1, 0x5040302
	v_dot4_i32_iu8 v4, v83, v6, v4 neg_lo:[1,1,0]
	v_dot4_i32_iu8 v5, v7, v77, v5 neg_lo:[1,1,0]
	v_dot4_i32_iu8 v10, v8, v56, v10 neg_lo:[1,1,0]
	s_delay_alu instid0(VALU_DEP_3) | instskip(NEXT) | instid1(VALU_DEP_3)
	v_dot4_i32_iu8 v4, v88, v7, v4 neg_lo:[1,1,0]
	v_dot4_i32_iu8 v5, v8, v78, v5 neg_lo:[1,1,0]
	scratch_store_b32 off, v10, off offset:88 ; 4-byte Folded Spill
	v_dot4_i32_iu8 v10, v8, v66, v11 neg_lo:[1,1,0]
	v_dot4_i32_iu8 v4, v8, v90, v4 neg_lo:[1,1,0]
	s_clause 0x2
	scratch_store_b32 off, v5, off offset:76
	scratch_store_b32 off, v10, off offset:80
	;; [unrolled: 1-line block ×3, first 2 shown]
	ds_load_b128 v[4:7], v105 offset:33280
	ds_load_b128 v[8:11], v105 offset:33296
	s_wait_dscnt 0x1
	v_bfe_i32 v54, v4, 0, 8
	v_perm_b32 v82, v4, v4, 0xc0c0201
	v_dot4_i32_iu8 v47, v4, v61, 0 neg_lo:[1,1,0]
	v_dot4_i32_iu8 v48, v4, v71, 0 neg_lo:[1,1,0]
	;; [unrolled: 1-line block ×3, first 2 shown]
	v_mul_i32_i24_e32 v54, v54, v193
	v_perm_b32 v4, v5, v4, 0x6050403
	v_dot4_i32_iu8 v47, v5, v62, v47 neg_lo:[1,1,0]
	v_dot4_i32_iu8 v48, v5, v72, v48 neg_lo:[1,1,0]
	v_dot4_i32_iu8 v53, v5, v76, v53 neg_lo:[1,1,0]
	v_dot4_i32_iu8 v54, v82, v194, v54 neg_lo:[1,1,0]
	v_perm_b32 v5, v6, v5, 0x6050403
	v_dot4_i32_iu8 v47, v6, v59, v47 neg_lo:[1,1,0]
	v_dot4_i32_iu8 v48, v6, v73, v48 neg_lo:[1,1,0]
	v_dot4_i32_iu8 v53, v6, v69, v53 neg_lo:[1,1,0]
	v_dot4_i32_iu8 v4, v4, v192, v54 neg_lo:[1,1,0]
	;; [unrolled: 5-line block ×3, first 2 shown]
	s_wait_dscnt 0x0
	v_perm_b32 v7, v8, v7, 0x6050403
	v_ashrrev_i32_e32 v5, 24, v8
	s_delay_alu instid0(VALU_DEP_3) | instskip(SKIP_1) | instid1(VALU_DEP_2)
	v_dot4_i32_iu8 v4, v6, v191, v4 neg_lo:[1,1,0]
	v_dot4_i32_iu8 v6, v8, v67, v48 neg_lo:[1,1,0]
	;; [unrolled: 1-line block ×4, first 2 shown]
	s_delay_alu instid0(VALU_DEP_3) | instskip(NEXT) | instid1(VALU_DEP_3)
	v_dot4_i32_iu8 v6, v9, v68, v6 neg_lo:[1,1,0]
	v_mad_i32_i24 v4, v26, v5, v4
	v_dot4_i32_iu8 v5, v8, v57, v47 neg_lo:[1,1,0]
	s_delay_alu instid0(VALU_DEP_4) | instskip(NEXT) | instid1(VALU_DEP_4)
	v_dot4_i32_iu8 v7, v9, v64, v7 neg_lo:[1,1,0]
	v_dot4_i32_iu8 v6, v10, v65, v6 neg_lo:[1,1,0]
	s_delay_alu instid0(VALU_DEP_4) | instskip(NEXT) | instid1(VALU_DEP_4)
	v_dot4_i32_iu8 v4, v83, v9, v4 neg_lo:[1,1,0]
	v_dot4_i32_iu8 v5, v9, v58, v5 neg_lo:[1,1,0]
	s_delay_alu instid0(VALU_DEP_4) | instskip(SKIP_1) | instid1(VALU_DEP_4)
	v_dot4_i32_iu8 v7, v10, v77, v7 neg_lo:[1,1,0]
	v_or_b32_e32 v9, s13, v152
	v_dot4_i32_iu8 v4, v88, v10, v4 neg_lo:[1,1,0]
	s_delay_alu instid0(VALU_DEP_4) | instskip(NEXT) | instid1(VALU_DEP_3)
	v_dot4_i32_iu8 v5, v10, v55, v5 neg_lo:[1,1,0]
	v_lshlrev_b32_e32 v110, 2, v9
	s_delay_alu instid0(VALU_DEP_3) | instskip(NEXT) | instid1(VALU_DEP_3)
	v_dot4_i32_iu8 v4, v11, v90, v4 neg_lo:[1,1,0]
	v_dot4_i32_iu8 v210, v11, v56, v5 neg_lo:[1,1,0]
	;; [unrolled: 1-line block ×3, first 2 shown]
	scratch_store_b32 off, v4, off offset:104 ; 4-byte Folded Spill
	v_lshrrev_b32_e32 v4, 1, v9
	scratch_store_b32 off, v5, off offset:112 ; 4-byte Folded Spill
	v_dot4_i32_iu8 v5, v11, v78, v7 neg_lo:[1,1,0]
	scratch_store_b32 off, v5, off offset:108 ; 4-byte Folded Spill
	ds_load_b64 v[47:48], v4 offset:43584
	ds_load_b128 v[5:8], v106 offset:33280
	s_wait_dscnt 0x0
	v_dot4_i32_iu8 v4, v5, v61, 0 neg_lo:[1,1,0]
	v_dot4_i32_iu8 v10, v5, v71, 0 neg_lo:[1,1,0]
	;; [unrolled: 1-line block ×3, first 2 shown]
	v_bfe_i32 v54, v5, 0, 8
	v_perm_b32 v82, v5, v5, 0xc0c0201
	v_dot4_i32_iu8 v4, v6, v62, v4 neg_lo:[1,1,0]
	v_dot4_i32_iu8 v10, v6, v72, v10 neg_lo:[1,1,0]
	;; [unrolled: 1-line block ×3, first 2 shown]
	v_mul_i32_i24_e32 v54, v54, v193
	v_perm_b32 v91, v6, v5, 0x6050403
	v_dot4_i32_iu8 v4, v7, v59, v4 neg_lo:[1,1,0]
	v_dot4_i32_iu8 v10, v7, v73, v10 neg_lo:[1,1,0]
	;; [unrolled: 1-line block ×3, first 2 shown]
	v_perm_b32 v93, v7, v6, 0x6050403
	v_perm_b32 v94, v8, v7, 0x6050403
	v_dot4_i32_iu8 v53, v8, v60, v4 neg_lo:[1,1,0]
	ds_load_b128 v[101:104], v106 offset:33296
	ds_load_b128 v[4:7], v106 offset:33312
	v_dot4_i32_iu8 v54, v82, v194, v54 neg_lo:[1,1,0]
	v_dot4_i32_iu8 v10, v8, v74, v10 neg_lo:[1,1,0]
	;; [unrolled: 1-line block ×3, first 2 shown]
	s_delay_alu instid0(VALU_DEP_3) | instskip(NEXT) | instid1(VALU_DEP_1)
	v_dot4_i32_iu8 v54, v91, v192, v54 neg_lo:[1,1,0]
	v_dot4_i32_iu8 v54, v93, v190, v54 neg_lo:[1,1,0]
	s_delay_alu instid0(VALU_DEP_1)
	v_dot4_i32_iu8 v54, v94, v191, v54 neg_lo:[1,1,0]
	s_wait_dscnt 0x1
	v_perm_b32 v8, v101, v8, 0x6050403
	v_dot4_i32_iu8 v53, v101, v57, v53 neg_lo:[1,1,0]
	v_dot4_i32_iu8 v10, v101, v67, v10 neg_lo:[1,1,0]
	;; [unrolled: 1-line block ×3, first 2 shown]
	s_wait_dscnt 0x0
	v_bfe_i32 v187, v4, 0, 8
	v_dot4_i32_iu8 v8, v8, v189, v54 neg_lo:[1,1,0]
	v_ashrrev_i32_e32 v54, 24, v101
	v_dot4_i32_iu8 v53, v102, v58, v53 neg_lo:[1,1,0]
	v_dot4_i32_iu8 v10, v102, v68, v10 neg_lo:[1,1,0]
	;; [unrolled: 1-line block ×3, first 2 shown]
	v_bfe_i32 v188, v4, 8, 8
	v_mad_i32_i24 v8, v26, v54, v8
	v_dot4_i32_iu8 v53, v103, v55, v53 neg_lo:[1,1,0]
	v_dot4_i32_iu8 v10, v103, v65, v10 neg_lo:[1,1,0]
	;; [unrolled: 1-line block ×3, first 2 shown]
	v_perm_b32 v179, v5, v4, 0x5040302
	v_dot4_i32_iu8 v8, v83, v102, v8 neg_lo:[1,1,0]
	v_dot4_i32_iu8 v212, v104, v56, v53 neg_lo:[1,1,0]
	;; [unrolled: 1-line block ×4, first 2 shown]
	v_perm_b32 v182, v6, v5, 0x5040302
	v_dot4_i32_iu8 v8, v88, v103, v8 neg_lo:[1,1,0]
	v_perm_b32 v36, v7, v6, 0x5040302
	s_delay_alu instid0(VALU_DEP_2)
	v_dot4_i32_iu8 v8, v104, v90, v8 neg_lo:[1,1,0]
	scratch_store_b32 off, v8, off offset:116 ; 4-byte Folded Spill
	ds_load_b128 v[8:11], v110 offset:33280
	ds_load_b128 v[101:104], v110 offset:33296
	s_wait_dscnt 0x1
	v_bfe_i32 v91, v8, 0, 8
	v_perm_b32 v93, v8, v8, 0xc0c0201
	v_dot4_i32_iu8 v53, v8, v61, 0 neg_lo:[1,1,0]
	v_dot4_i32_iu8 v54, v8, v71, 0 neg_lo:[1,1,0]
	;; [unrolled: 1-line block ×3, first 2 shown]
	v_mul_i32_i24_e32 v91, v91, v193
	v_perm_b32 v8, v9, v8, 0x6050403
	v_dot4_i32_iu8 v53, v9, v62, v53 neg_lo:[1,1,0]
	v_dot4_i32_iu8 v54, v9, v72, v54 neg_lo:[1,1,0]
	v_dot4_i32_iu8 v82, v9, v76, v82 neg_lo:[1,1,0]
	v_dot4_i32_iu8 v91, v93, v194, v91 neg_lo:[1,1,0]
	v_perm_b32 v9, v10, v9, 0x6050403
	v_dot4_i32_iu8 v53, v10, v59, v53 neg_lo:[1,1,0]
	v_dot4_i32_iu8 v54, v10, v73, v54 neg_lo:[1,1,0]
	v_dot4_i32_iu8 v82, v10, v69, v82 neg_lo:[1,1,0]
	v_dot4_i32_iu8 v8, v8, v192, v91 neg_lo:[1,1,0]
	;; [unrolled: 5-line block ×3, first 2 shown]
	s_wait_dscnt 0x0
	v_perm_b32 v11, v101, v11, 0x6050403
	v_ashrrev_i32_e32 v9, 24, v101
	s_delay_alu instid0(VALU_DEP_3) | instskip(SKIP_1) | instid1(VALU_DEP_2)
	v_dot4_i32_iu8 v8, v10, v191, v8 neg_lo:[1,1,0]
	v_dot4_i32_iu8 v10, v101, v67, v54 neg_lo:[1,1,0]
	;; [unrolled: 1-line block ×4, first 2 shown]
	s_delay_alu instid0(VALU_DEP_3) | instskip(NEXT) | instid1(VALU_DEP_3)
	v_dot4_i32_iu8 v10, v102, v68, v10 neg_lo:[1,1,0]
	v_mad_i32_i24 v8, v26, v9, v8
	v_dot4_i32_iu8 v9, v101, v57, v53 neg_lo:[1,1,0]
	s_delay_alu instid0(VALU_DEP_4)
	v_dot4_i32_iu8 v11, v102, v64, v11 neg_lo:[1,1,0]
	v_or_b32_e32 v53, s13, v154
	v_dot4_i32_iu8 v10, v103, v65, v10 neg_lo:[1,1,0]
	v_dot4_i32_iu8 v8, v83, v102, v8 neg_lo:[1,1,0]
	;; [unrolled: 1-line block ×4, first 2 shown]
	v_lshlrev_b32_e32 v109, 2, v53
	v_dot4_i32_iu8 v228, v104, v66, v10 neg_lo:[1,1,0]
	v_dot4_i32_iu8 v8, v88, v103, v8 neg_lo:[1,1,0]
	;; [unrolled: 1-line block ×4, first 2 shown]
	s_delay_alu instid0(VALU_DEP_3) | instskip(NEXT) | instid1(VALU_DEP_3)
	v_dot4_i32_iu8 v226, v104, v90, v8 neg_lo:[1,1,0]
	v_dot4_i32_iu8 v229, v104, v56, v9 neg_lo:[1,1,0]
	ds_load_b128 v[8:11], v109 offset:33280
	ds_load_b128 v[101:104], v109 offset:33296
	s_wait_dscnt 0x1
	v_bfe_i32 v93, v8, 0, 8
	v_perm_b32 v94, v8, v8, 0xc0c0201
	v_dot4_i32_iu8 v54, v8, v61, 0 neg_lo:[1,1,0]
	v_dot4_i32_iu8 v82, v8, v71, 0 neg_lo:[1,1,0]
	v_dot4_i32_iu8 v91, v8, v75, 0 neg_lo:[1,1,0]
	v_mul_i32_i24_e32 v93, v93, v193
	v_perm_b32 v8, v9, v8, 0x6050403
	v_dot4_i32_iu8 v54, v9, v62, v54 neg_lo:[1,1,0]
	v_dot4_i32_iu8 v82, v9, v72, v82 neg_lo:[1,1,0]
	v_dot4_i32_iu8 v91, v9, v76, v91 neg_lo:[1,1,0]
	v_dot4_i32_iu8 v93, v94, v194, v93 neg_lo:[1,1,0]
	v_perm_b32 v9, v10, v9, 0x6050403
	v_dot4_i32_iu8 v54, v10, v59, v54 neg_lo:[1,1,0]
	v_dot4_i32_iu8 v82, v10, v73, v82 neg_lo:[1,1,0]
	v_dot4_i32_iu8 v91, v10, v69, v91 neg_lo:[1,1,0]
	v_dot4_i32_iu8 v8, v8, v192, v93 neg_lo:[1,1,0]
	;; [unrolled: 5-line block ×3, first 2 shown]
	s_wait_dscnt 0x0
	v_perm_b32 v11, v101, v11, 0x6050403
	v_ashrrev_i32_e32 v9, 24, v101
	s_delay_alu instid0(VALU_DEP_3) | instskip(SKIP_2) | instid1(VALU_DEP_3)
	v_dot4_i32_iu8 v8, v10, v191, v8 neg_lo:[1,1,0]
	v_dot4_i32_iu8 v10, v101, v67, v82 neg_lo:[1,1,0]
	v_or_b32_e32 v82, s13, v155
	v_dot4_i32_iu8 v8, v11, v189, v8 neg_lo:[1,1,0]
	v_dot4_i32_iu8 v11, v101, v63, v91 neg_lo:[1,1,0]
	s_delay_alu instid0(VALU_DEP_4) | instskip(NEXT) | instid1(VALU_DEP_4)
	v_dot4_i32_iu8 v10, v102, v68, v10 neg_lo:[1,1,0]
	v_lshlrev_b32_e32 v112, 2, v82
	s_delay_alu instid0(VALU_DEP_4) | instskip(SKIP_3) | instid1(VALU_DEP_4)
	v_mad_i32_i24 v8, v26, v9, v8
	v_dot4_i32_iu8 v9, v101, v57, v54 neg_lo:[1,1,0]
	v_dot4_i32_iu8 v11, v102, v64, v11 neg_lo:[1,1,0]
	;; [unrolled: 1-line block ×4, first 2 shown]
	s_delay_alu instid0(VALU_DEP_4) | instskip(NEXT) | instid1(VALU_DEP_4)
	v_dot4_i32_iu8 v9, v102, v58, v9 neg_lo:[1,1,0]
	v_dot4_i32_iu8 v11, v103, v77, v11 neg_lo:[1,1,0]
	s_delay_alu instid0(VALU_DEP_4) | instskip(NEXT) | instid1(VALU_DEP_4)
	v_dot4_i32_iu8 v215, v104, v66, v10 neg_lo:[1,1,0]
	v_dot4_i32_iu8 v8, v88, v103, v8 neg_lo:[1,1,0]
	;; [unrolled: 3-line block ×3, first 2 shown]
	s_delay_alu instid0(VALU_DEP_3) | instskip(SKIP_1) | instid1(VALU_DEP_4)
	v_dot4_i32_iu8 v213, v104, v90, v8 neg_lo:[1,1,0]
	v_lshrrev_b32_e32 v8, 1, v53
	v_dot4_i32_iu8 v216, v104, v56, v9 neg_lo:[1,1,0]
	ds_load_b64 v[53:54], v8 offset:43584
	ds_load_b128 v[101:104], v112 offset:33280
	s_wait_dscnt 0x0
	v_dot4_i32_iu8 v8, v101, v61, 0 neg_lo:[1,1,0]
	v_dot4_i32_iu8 v9, v101, v71, 0 neg_lo:[1,1,0]
	;; [unrolled: 1-line block ×3, first 2 shown]
	v_bfe_i32 v95, v101, 0, 8
	v_perm_b32 v96, v101, v101, 0xc0c0201
	v_dot4_i32_iu8 v8, v102, v62, v8 neg_lo:[1,1,0]
	v_dot4_i32_iu8 v9, v102, v72, v9 neg_lo:[1,1,0]
	;; [unrolled: 1-line block ×3, first 2 shown]
	v_mul_i32_i24_e32 v95, v95, v193
	v_perm_b32 v97, v102, v101, 0x6050403
	v_dot4_i32_iu8 v8, v103, v59, v8 neg_lo:[1,1,0]
	v_dot4_i32_iu8 v9, v103, v73, v9 neg_lo:[1,1,0]
	;; [unrolled: 1-line block ×4, first 2 shown]
	v_perm_b32 v98, v103, v102, 0x6050403
	v_dot4_i32_iu8 v91, v104, v60, v8 neg_lo:[1,1,0]
	v_dot4_i32_iu8 v93, v104, v74, v9 neg_lo:[1,1,0]
	;; [unrolled: 1-line block ×3, first 2 shown]
	ds_load_b128 v[113:116], v112 offset:33296
	ds_load_b128 v[8:11], v112 offset:33312
	scratch_load_b32 v24, off, off offset:48 ; 4-byte Folded Reload
	v_dot4_i32_iu8 v95, v97, v192, v95 neg_lo:[1,1,0]
	v_perm_b32 v99, v104, v103, 0x6050403
	s_delay_alu instid0(VALU_DEP_2) | instskip(SKIP_1) | instid1(VALU_DEP_2)
	v_dot4_i32_iu8 v95, v98, v190, v95 neg_lo:[1,1,0]
	v_perm_b32 v98, v15, v14, 0x5040302
	v_dot4_i32_iu8 v95, v99, v191, v95 neg_lo:[1,1,0]
	s_wait_dscnt 0x1
	v_perm_b32 v101, v113, v104, 0x6050403
	v_ashrrev_i32_e32 v96, 24, v113
	s_delay_alu instid0(VALU_DEP_2) | instskip(NEXT) | instid1(VALU_DEP_1)
	v_dot4_i32_iu8 v95, v101, v189, v95 neg_lo:[1,1,0]
	v_mad_i32_i24 v26, v26, v96, v95
	v_perm_b32 v96, v14, v13, 0x5040302
	s_delay_alu instid0(VALU_DEP_2) | instskip(SKIP_2) | instid1(VALU_DEP_3)
	v_dot4_i32_iu8 v26, v83, v114, v26 neg_lo:[1,1,0]
	v_dot4_i32_iu8 v83, v113, v67, v93 neg_lo:[1,1,0]
	v_perm_b32 v93, v13, v12, 0x5040302
	v_dot4_i32_iu8 v26, v88, v115, v26 neg_lo:[1,1,0]
	s_delay_alu instid0(VALU_DEP_3) | instskip(SKIP_1) | instid1(VALU_DEP_3)
	v_dot4_i32_iu8 v83, v114, v68, v83 neg_lo:[1,1,0]
	v_dot4_i32_iu8 v88, v113, v63, v94 neg_lo:[1,1,0]
	v_dot4_i32_iu8 v233, v116, v90, v26 neg_lo:[1,1,0]
	v_dot4_i32_iu8 v26, v113, v57, v91 neg_lo:[1,1,0]
	s_delay_alu instid0(VALU_DEP_4)
	v_dot4_i32_iu8 v83, v115, v65, v83 neg_lo:[1,1,0]
	v_or_b32_e32 v113, s13, v92
	v_dot4_i32_iu8 v88, v114, v64, v88 neg_lo:[1,1,0]
	v_bfe_i32 v90, v12, 8, 8
	v_dot4_i32_iu8 v26, v114, v58, v26 neg_lo:[1,1,0]
	v_dot4_i32_iu8 v237, v116, v66, v83 neg_lo:[1,1,0]
	v_lshlrev_b32_e32 v114, 2, v113
	v_dot4_i32_iu8 v88, v115, v77, v88 neg_lo:[1,1,0]
	v_lshrrev_b32_e32 v91, 1, v113
	v_dot4_i32_iu8 v26, v115, v55, v26 neg_lo:[1,1,0]
	s_delay_alu instid0(VALU_DEP_3) | instskip(SKIP_1) | instid1(VALU_DEP_3)
	v_dot4_i32_iu8 v236, v116, v78, v88 neg_lo:[1,1,0]
	v_bfe_i32 v88, v12, 0, 8
	v_dot4_i32_iu8 v238, v56, v116, v26 neg_lo:[1,1,0]
	s_wait_loadcnt 0x0
	v_add3_u32 v83, s12, v24, v157
	ds_load_u16 v26, v83
	ds_load_u16 v111, v83 offset:8
	ds_load_i8 v83, v87 offset:63
	ds_load_b96 v[20:22], v87 offset:51
	ds_load_b128 v[16:19], v114 offset:33280
	ds_load_b128 v[101:104], v114 offset:33296
	s_wait_dscnt 0x1
	v_dot4_i32_iu8 v61, v61, v16, 0 neg_lo:[1,1,0]
	v_bfe_i32 v240, v16, 0, 8
	v_perm_b32 v241, v16, v16, 0xc0c0201
	v_perm_b32 v239, v17, v16, 0x6050403
	s_wait_dscnt 0x0
	v_perm_b32 v199, v101, v19, 0x6050403
	v_dot4_i32_iu8 v61, v62, v17, v61 neg_lo:[1,1,0]
	v_dot4_i32_iu8 v62, v71, v16, 0 neg_lo:[1,1,0]
	v_dot4_i32_iu8 v71, v75, v16, 0 neg_lo:[1,1,0]
	v_perm_b32 v220, v20, v23, 0x6050403
	v_perm_b32 v231, v102, v101, 0xc0c0403
	v_dot4_i32_iu8 v59, v59, v18, v61 neg_lo:[1,1,0]
	v_dot4_i32_iu8 v62, v72, v17, v62 neg_lo:[1,1,0]
	v_dot4_i32_iu8 v71, v76, v17, v71 neg_lo:[1,1,0]
	v_perm_b32 v230, v102, v102, 0xc0c0201
	;; [unrolled: 5-line block ×4, first 2 shown]
	v_lshrrev_b32_e32 v57, 1, v84
	v_dot4_i32_iu8 v16, v58, v102, v16 neg_lo:[1,1,0]
	v_dot4_i32_iu8 v17, v67, v101, v60 neg_lo:[1,1,0]
	;; [unrolled: 1-line block ×12, first 2 shown]
	v_mov_b32_e32 v72, v27
	v_perm_b32 v69, v11, v10, 0x5040302
	v_dot4_i32_iu8 v60, v14, v49, v60 neg_lo:[1,1,0]
	v_perm_b32 v20, v21, v20, 0x6050403
	v_dot4_i32_iu8 v201, v66, v104, v16 neg_lo:[1,1,0]
	v_dot4_i32_iu8 v16, v77, v103, v18 neg_lo:[1,1,0]
	v_perm_b32 v77, v103, v103, 0xc0c0201
	v_perm_b32 v21, v22, v21, 0x6050403
	s_delay_alu instid0(VALU_DEP_3)
	v_dot4_i32_iu8 v200, v78, v104, v16 neg_lo:[1,1,0]
	ds_load_u16 v84, v86
	ds_load_2addr_b32 v[16:17], v79 offset0:8 offset1:9
	ds_load_2addr_b32 v[18:19], v79 offset0:10 offset1:11
	;; [unrolled: 1-line block ×6, first 2 shown]
	v_dot4_i32_iu8 v86, v15, v50, v60 neg_lo:[1,1,0]
	ds_load_b128 v[115:118], v80 offset:33328
	v_perm_b32 v78, v103, v102, 0xc0c0403
	s_wait_dscnt 0x6
	v_dot4_i32_iu8 v58, v16, v12, 0 neg_lo:[1,1,0]
	s_wait_dscnt 0x3
	v_dot4_i32_iu8 v59, v14, v65, v59 neg_lo:[1,1,0]
	s_delay_alu instid0(VALU_DEP_2) | instskip(NEXT) | instid1(VALU_DEP_2)
	v_dot4_i32_iu8 v58, v17, v13, v58 neg_lo:[1,1,0]
	v_dot4_i32_iu8 v68, v15, v66, v59 neg_lo:[1,1,0]
	ds_load_b64 v[59:60], v57 offset:43584
	s_wait_dscnt 0x1
	v_perm_b32 v99, v115, v15, 0x5040302
	v_perm_b32 v102, v116, v115, 0x5040302
	v_dot4_i32_iu8 v58, v18, v14, v58 neg_lo:[1,1,0]
	v_dot4_i32_iu8 v13, v115, v63, v68 neg_lo:[1,1,0]
	;; [unrolled: 1-line block ×3, first 2 shown]
	v_perm_b32 v103, v117, v116, 0x5040302
	v_perm_b32 v107, v118, v118, 0xc0c0302
	v_dot4_i32_iu8 v67, v19, v15, v58 neg_lo:[1,1,0]
	ds_load_u16 v85, v81
	ds_load_i8 v12, v79 offset:63
	ds_load_2addr_b32 v[57:58], v79 offset0:14 offset1:15
	v_dot4_i32_iu8 v13, v116, v64, v13 neg_lo:[1,1,0]
	v_dot4_i32_iu8 v14, v116, v46, v14 neg_lo:[1,1,0]
	v_perm_b32 v79, v118, v117, 0x5040302
	s_delay_alu instid0(VALU_DEP_3) | instskip(NEXT) | instid1(VALU_DEP_3)
	v_dot4_i32_iu8 v13, v117, v61, v13 neg_lo:[1,1,0]
	v_dot4_i32_iu8 v14, v117, v39, v14 neg_lo:[1,1,0]
	s_delay_alu instid0(VALU_DEP_2) | instskip(NEXT) | instid1(VALU_DEP_2)
	v_dot4_i32_iu8 v87, v118, v62, v13 neg_lo:[1,1,0]
	v_dot4_i32_iu8 v86, v118, v40, v14 neg_lo:[1,1,0]
	s_wait_dscnt 0x0
	v_perm_b32 v108, v12, v58, 0x4020100
	v_dot4_i32_iu8 v12, v55, v115, v67 neg_lo:[1,1,0]
	s_delay_alu instid0(VALU_DEP_1) | instskip(NEXT) | instid1(VALU_DEP_1)
	v_dot4_i32_iu8 v12, v56, v116, v12 neg_lo:[1,1,0]
	v_dot4_i32_iu8 v12, v57, v117, v12 neg_lo:[1,1,0]
	s_delay_alu instid0(VALU_DEP_1)
	v_dot4_i32_iu8 v101, v118, v108, v12 neg_lo:[1,1,0]
	ds_load_b128 v[115:118], v114 offset:33312
	ds_load_b128 v[12:15], v114 offset:33328
	ds_load_i8 v94, v114 offset:33343
	s_clause 0x1
	scratch_load_b32 v23, off, off offset:40
	scratch_load_b32 v24, off, off offset:44
	s_wait_dscnt 0x2
	v_dot4_i32_iu8 v67, v115, v43, 0 neg_lo:[1,1,0]
	v_dot4_i32_iu8 v68, v115, v51, 0 neg_lo:[1,1,0]
	v_perm_b32 v245, v118, v117, 0x5040302
	s_wait_dscnt 0x1
	v_perm_b32 v244, v12, v118, 0x5040302
	v_perm_b32 v248, v118, v117, 0x5010c0c
	v_dot4_i32_iu8 v67, v116, v44, v67 neg_lo:[1,1,0]
	v_dot4_i32_iu8 v68, v116, v52, v68 neg_lo:[1,1,0]
	v_perm_b32 v251, v118, v117, 0x7030c0c
	v_perm_b32 v253, v118, v117, 0x4000c0c
	v_perm_b32 v104, v118, v117, 0x6020c0c
	v_dot4_i32_iu8 v67, v117, v65, v67 neg_lo:[1,1,0]
	v_dot4_i32_iu8 v68, v117, v49, v68 neg_lo:[1,1,0]
	v_perm_b32 v114, v15, v14, 0x5040302
	;; [unrolled: 5-line block ×3, first 2 shown]
	v_perm_b32 v118, v15, v14, 0x7030c0c
	v_perm_b32 v70, v15, v14, 0x5010c0c
	v_dot4_i32_iu8 v67, v12, v63, v67 neg_lo:[1,1,0]
	v_dot4_i32_iu8 v68, v12, v45, v68 neg_lo:[1,1,0]
	v_lshrrev_b16 v255, 8, v115
	v_bfe_i32 v81, v115, 0, 8
	v_perm_b32 v254, v116, v115, 0x5040302
	v_dot4_i32_iu8 v67, v13, v64, v67 neg_lo:[1,1,0]
	v_dot4_i32_iu8 v68, v13, v46, v68 neg_lo:[1,1,0]
	v_perm_b32 v247, v115, v116, 0xc0c0501
	v_perm_b32 v250, v115, v116, 0xc0c0703
	;; [unrolled: 1-line block ×3, first 2 shown]
	v_dot4_i32_iu8 v95, v14, v61, v67 neg_lo:[1,1,0]
	v_dot4_i32_iu8 v97, v14, v39, v68 neg_lo:[1,1,0]
	v_perm_b32 v80, v115, v116, 0xc0c0602
	v_perm_b32 v115, v14, v13, 0x5040302
	;; [unrolled: 1-line block ×8, first 2 shown]
	s_wait_loadcnt 0x0
	v_add3_u32 v158, s12, v23, v24
	ds_load_u16 v160, v158 offset:8
	ds_load_b64 v[67:68], v91 offset:43584
	ds_load_b128 v[122:125], v105 offset:33312
	ds_load_b128 v[127:130], v105 offset:33328
	s_wait_dscnt 0x4
	v_perm_b32 v91, v94, v15, 0x4020100
	v_dual_mov_b32 v24, v169 :: v_dual_mov_b32 v169, v131
	v_perm_b32 v131, v3, v2, 0x5040302
	s_add_co_i32 s12, s5, 8
	s_cmp_lt_u32 s5, 24
	s_wait_alu 0xfffe
	s_mov_b32 s5, s12
	s_wait_dscnt 0x1
	v_dot4_i32_iu8 v15, v122, v43, 0 neg_lo:[1,1,0]
	v_dot4_i32_iu8 v14, v16, v122, 0 neg_lo:[1,1,0]
	;; [unrolled: 1-line block ×3, first 2 shown]
	v_bfe_i32 v165, v122, 0, 8
	v_bfe_i32 v92, v122, 8, 8
	v_dot4_i32_iu8 v15, v123, v44, v15 neg_lo:[1,1,0]
	v_dot4_i32_iu8 v14, v17, v123, v14 neg_lo:[1,1,0]
	v_dot4_i32_iu8 v105, v123, v52, v105 neg_lo:[1,1,0]
	v_perm_b32 v89, v123, v122, 0x5040302
	v_perm_b32 v27, v124, v123, 0x5040302
	v_dot4_i32_iu8 v15, v124, v65, v15 neg_lo:[1,1,0]
	v_dot4_i32_iu8 v122, v0, v43, 0 neg_lo:[1,1,0]
	;; [unrolled: 1-line block ×10, first 2 shown]
	v_lshrrev_b32_e32 v14, 1, v242
	v_dot4_i32_iu8 v15, v17, v1, v15 neg_lo:[1,1,0]
	v_dot4_i32_iu8 v122, v2, v65, v122 neg_lo:[1,1,0]
	v_dot4_i32_iu8 v123, v2, v49, v123 neg_lo:[1,1,0]
	v_dot4_i32_iu8 v105, v125, v50, v105 neg_lo:[1,1,0]
	v_perm_b32 v28, v125, v124, 0x5040302
	v_dot4_i32_iu8 v15, v18, v2, v15 neg_lo:[1,1,0]
	s_wait_dscnt 0x0
	v_perm_b32 v100, v127, v125, 0x5040302
	v_dot4_i32_iu8 v154, v3, v66, v122 neg_lo:[1,1,0]
	v_dot4_i32_iu8 v156, v3, v50, v123 neg_lo:[1,1,0]
	ds_load_b128 v[122:125], v243 offset:33328
	v_dot4_i32_iu8 v242, v19, v3, v15 neg_lo:[1,1,0]
	ds_load_b64 v[14:15], v14 offset:43584
	v_dot4_i32_iu8 v0, v55, v127, v162 neg_lo:[1,1,0]
	v_dot4_i32_iu8 v1, v127, v63, v163 neg_lo:[1,1,0]
	;; [unrolled: 1-line block ×3, first 2 shown]
	v_perm_b32 v12, v128, v127, 0x5040302
	v_perm_b32 v133, v129, v128, 0x5040302
	v_dot4_i32_iu8 v0, v56, v128, v0 neg_lo:[1,1,0]
	v_dot4_i32_iu8 v1, v128, v64, v1 neg_lo:[1,1,0]
	;; [unrolled: 1-line block ×3, first 2 shown]
	s_delay_alu instid0(VALU_DEP_3) | instskip(NEXT) | instid1(VALU_DEP_3)
	v_dot4_i32_iu8 v0, v57, v129, v0 neg_lo:[1,1,0]
	v_dot4_i32_iu8 v1, v129, v61, v1 neg_lo:[1,1,0]
	s_delay_alu instid0(VALU_DEP_3) | instskip(SKIP_1) | instid1(VALU_DEP_4)
	v_dot4_i32_iu8 v2, v129, v39, v2 neg_lo:[1,1,0]
	v_perm_b32 v129, v130, v129, 0x5040302
	v_dot4_i32_iu8 v105, v130, v108, v0 neg_lo:[1,1,0]
	s_delay_alu instid0(VALU_DEP_4) | instskip(NEXT) | instid1(VALU_DEP_4)
	v_dot4_i32_iu8 v162, v130, v62, v1 neg_lo:[1,1,0]
	v_dot4_i32_iu8 v163, v130, v40, v2 neg_lo:[1,1,0]
	s_wait_dscnt 0x1
	v_dot4_i32_iu8 v0, v55, v122, v242 neg_lo:[1,1,0]
	v_dot4_i32_iu8 v1, v122, v63, v154 neg_lo:[1,1,0]
	v_dot4_i32_iu8 v2, v122, v45, v156 neg_lo:[1,1,0]
	v_perm_b32 v243, v122, v3, 0x5040302
	v_perm_b32 v134, v123, v122, 0x5040302
	v_dot4_i32_iu8 v0, v56, v123, v0 neg_lo:[1,1,0]
	v_dot4_i32_iu8 v1, v123, v64, v1 neg_lo:[1,1,0]
	v_dot4_i32_iu8 v2, v123, v46, v2 neg_lo:[1,1,0]
	v_perm_b32 v135, v124, v123, 0x5040302
	v_perm_b32 v136, v125, v124, 0x5040302
	v_dot4_i32_iu8 v0, v57, v124, v0 neg_lo:[1,1,0]
	v_dot4_i32_iu8 v1, v124, v61, v1 neg_lo:[1,1,0]
	v_dot4_i32_iu8 v2, v124, v39, v2 neg_lo:[1,1,0]
	v_perm_b32 v138, v125, v125, 0xc0c0302
	v_perm_b32 v130, v130, v130, 0xc0c0302
	v_dot4_i32_iu8 v154, v125, v108, v0 neg_lo:[1,1,0]
	v_dot4_i32_iu8 v156, v125, v62, v1 neg_lo:[1,1,0]
	;; [unrolled: 1-line block ×3, first 2 shown]
	ds_load_b128 v[0:3], v110 offset:33312
	ds_load_b128 v[122:125], v110 offset:33328
	s_wait_dscnt 0x1
	v_dot4_i32_iu8 v110, v16, v0, 0 neg_lo:[1,1,0]
	v_dot4_i32_iu8 v127, v0, v43, 0 neg_lo:[1,1,0]
	;; [unrolled: 1-line block ×3, first 2 shown]
	v_perm_b32 v146, v1, v0, 0x5040302
	v_perm_b32 v25, v2, v1, 0x5040302
	v_dot4_i32_iu8 v110, v17, v1, v110 neg_lo:[1,1,0]
	v_dot4_i32_iu8 v127, v1, v44, v127 neg_lo:[1,1,0]
	;; [unrolled: 1-line block ×3, first 2 shown]
	v_perm_b32 v175, v3, v2, 0x5040302
	s_wait_dscnt 0x0
	v_perm_b32 v23, v122, v3, 0x5040302
	v_dot4_i32_iu8 v110, v18, v2, v110 neg_lo:[1,1,0]
	v_dot4_i32_iu8 v127, v2, v65, v127 neg_lo:[1,1,0]
	;; [unrolled: 1-line block ×11, first 2 shown]
	v_bfe_i32 v143, v0, 0, 8
	v_bfe_i32 v145, v0, 8, 8
	v_dot4_i32_iu8 v3, v5, v52, v3 neg_lo:[1,1,0]
	v_lshrrev_b32_e32 v0, 1, v249
	v_dot4_i32_iu8 v1, v18, v6, v1 neg_lo:[1,1,0]
	v_dot4_i32_iu8 v2, v6, v65, v2 neg_lo:[1,1,0]
	;; [unrolled: 1-line block ×4, first 2 shown]
	ds_load_b64 v[127:128], v0 offset:43584
	v_dot4_i32_iu8 v249, v19, v7, v1 neg_lo:[1,1,0]
	v_dot4_i32_iu8 v177, v7, v66, v2 neg_lo:[1,1,0]
	;; [unrolled: 1-line block ×4, first 2 shown]
	ds_load_b128 v[0:3], v106 offset:33328
	v_dot4_i32_iu8 v6, v122, v45, v142 neg_lo:[1,1,0]
	v_dot4_i32_iu8 v4, v56, v123, v4 neg_lo:[1,1,0]
	;; [unrolled: 1-line block ×3, first 2 shown]
	v_perm_b32 v122, v123, v122, 0x5040302
	s_delay_alu instid0(VALU_DEP_4) | instskip(NEXT) | instid1(VALU_DEP_4)
	v_dot4_i32_iu8 v6, v123, v46, v6 neg_lo:[1,1,0]
	v_dot4_i32_iu8 v4, v57, v124, v4 neg_lo:[1,1,0]
	s_delay_alu instid0(VALU_DEP_4) | instskip(SKIP_1) | instid1(VALU_DEP_4)
	v_dot4_i32_iu8 v5, v124, v61, v5 neg_lo:[1,1,0]
	v_perm_b32 v123, v124, v123, 0x5040302
	v_dot4_i32_iu8 v6, v124, v39, v6 neg_lo:[1,1,0]
	s_delay_alu instid0(VALU_DEP_4) | instskip(NEXT) | instid1(VALU_DEP_4)
	v_dot4_i32_iu8 v110, v125, v108, v4 neg_lo:[1,1,0]
	v_dot4_i32_iu8 v140, v125, v62, v5 neg_lo:[1,1,0]
	v_perm_b32 v124, v125, v124, 0x5040302
	s_delay_alu instid0(VALU_DEP_4)
	v_dot4_i32_iu8 v142, v125, v40, v6 neg_lo:[1,1,0]
	v_perm_b32 v125, v125, v125, 0xc0c0302
	s_wait_dscnt 0x0
	v_dot4_i32_iu8 v4, v55, v0, v249 neg_lo:[1,1,0]
	v_dot4_i32_iu8 v5, v0, v63, v177 neg_lo:[1,1,0]
	;; [unrolled: 1-line block ×3, first 2 shown]
	v_perm_b32 v106, v0, v7, 0x5040302
	v_perm_b32 v139, v1, v0, 0x5040302
	v_dot4_i32_iu8 v4, v56, v1, v4 neg_lo:[1,1,0]
	v_dot4_i32_iu8 v5, v1, v64, v5 neg_lo:[1,1,0]
	;; [unrolled: 1-line block ×3, first 2 shown]
	v_perm_b32 v141, v2, v1, 0x5040302
	v_perm_b32 v144, v3, v2, 0x5040302
	v_dot4_i32_iu8 v4, v57, v2, v4 neg_lo:[1,1,0]
	v_dot4_i32_iu8 v5, v2, v61, v5 neg_lo:[1,1,0]
	;; [unrolled: 1-line block ×3, first 2 shown]
	v_perm_b32 v147, v3, v3, 0xc0c0302
	s_delay_alu instid0(VALU_DEP_4) | instskip(NEXT) | instid1(VALU_DEP_4)
	v_dot4_i32_iu8 v177, v3, v108, v4 neg_lo:[1,1,0]
	v_dot4_i32_iu8 v178, v3, v62, v5 neg_lo:[1,1,0]
	s_delay_alu instid0(VALU_DEP_4)
	v_dot4_i32_iu8 v249, v3, v40, v6 neg_lo:[1,1,0]
	ds_load_b128 v[0:3], v109 offset:33312
	ds_load_b128 v[4:7], v109 offset:33328
	s_wait_dscnt 0x1
	v_dot4_i32_iu8 v109, v16, v0, 0 neg_lo:[1,1,0]
	v_dot4_i32_iu8 v148, v0, v43, 0 neg_lo:[1,1,0]
	;; [unrolled: 1-line block ×3, first 2 shown]
	v_bfe_i32 v172, v0, 0, 8
	v_bfe_i32 v173, v0, 8, 8
	v_perm_b32 v183, v1, v0, 0x5040302
	v_dot4_i32_iu8 v0, v8, v43, 0 neg_lo:[1,1,0]
	v_dot4_i32_iu8 v109, v17, v1, v109 neg_lo:[1,1,0]
	v_dot4_i32_iu8 v148, v1, v44, v148 neg_lo:[1,1,0]
	v_dot4_i32_iu8 v149, v1, v52, v149 neg_lo:[1,1,0]
	v_perm_b32 v186, v2, v1, 0x5040302
	v_dot4_i32_iu8 v0, v9, v44, v0 neg_lo:[1,1,0]
	v_dot4_i32_iu8 v1, v8, v51, 0 neg_lo:[1,1,0]
	;; [unrolled: 1-line block ×13, first 2 shown]
	v_perm_b32 v34, v3, v2, 0x5040302
	s_wait_dscnt 0x0
	v_perm_b32 v33, v4, v3, 0x5040302
	v_bfe_i32 v52, v8, 0, 8
	v_dot4_i32_iu8 v49, v11, v50, v0 neg_lo:[1,1,0]
	v_dot4_i32_iu8 v1, v17, v9, v1 neg_lo:[1,1,0]
	v_lshrrev_b32_e32 v0, 1, v82
	v_bfe_i32 v65, v8, 8, 8
	v_perm_b32 v66, v9, v8, 0x5040302
	v_perm_b32 v82, v10, v9, 0x5040302
	v_dot4_i32_iu8 v1, v18, v10, v1 neg_lo:[1,1,0]
	ds_load_b64 v[43:44], v0 offset:43584
	v_dot4_i32_iu8 v8, v55, v4, v109 neg_lo:[1,1,0]
	v_dot4_i32_iu8 v9, v4, v63, v148 neg_lo:[1,1,0]
	;; [unrolled: 1-line block ×4, first 2 shown]
	ds_load_b128 v[0:3], v112 offset:33328
	v_dot4_i32_iu8 v8, v56, v5, v8 neg_lo:[1,1,0]
	v_dot4_i32_iu8 v9, v5, v64, v9 neg_lo:[1,1,0]
	;; [unrolled: 1-line block ×3, first 2 shown]
	v_perm_b32 v148, v5, v4, 0x5040302
	v_perm_b32 v149, v6, v5, 0x5040302
	v_dot4_i32_iu8 v8, v57, v6, v8 neg_lo:[1,1,0]
	v_dot4_i32_iu8 v9, v6, v61, v9 neg_lo:[1,1,0]
	;; [unrolled: 1-line block ×3, first 2 shown]
	v_perm_b32 v38, v7, v6, 0x5040302
	v_mul_i32_i24_e32 v52, v52, v235
	s_delay_alu instid0(VALU_DEP_4) | instskip(NEXT) | instid1(VALU_DEP_4)
	v_dot4_i32_iu8 v109, v7, v62, v9 neg_lo:[1,1,0]
	v_dot4_i32_iu8 v13, v7, v40, v10 neg_lo:[1,1,0]
	v_perm_b32 v10, v7, v7, 0xc0c0302
	s_delay_alu instid0(VALU_DEP_4)
	v_mad_i32_i24 v52, v65, v234, v52
	v_perm_b32 v65, v58, v57, 0x6020c0c
	s_wait_dscnt 0x0
	v_dot4_i32_iu8 v4, v0, v63, v51 neg_lo:[1,1,0]
	v_dot4_i32_iu8 v5, v0, v45, v49 neg_lo:[1,1,0]
	;; [unrolled: 1-line block ×3, first 2 shown]
	v_perm_b32 v49, v1, v0, 0x5040302
	v_perm_b32 v50, v2, v1, 0x5040302
	v_dot4_i32_iu8 v4, v1, v64, v4 neg_lo:[1,1,0]
	v_dot4_i32_iu8 v5, v1, v46, v5 neg_lo:[1,1,0]
	;; [unrolled: 1-line block ×3, first 2 shown]
	v_lshrrev_b16 v1, 8, v26
	v_perm_b32 v63, v83, v22, 0xc0c0403
	v_perm_b32 v64, v94, v22, 0xc0c0403
	v_and_b32_e32 v22, 0xff, v26
	v_and_b32_e32 v83, 0xff, v85
	;; [unrolled: 1-line block ×3, first 2 shown]
	scratch_load_b32 v1, off, off offset:100 th:TH_LOAD_LU ; 4-byte Folded Reload
	v_perm_b32 v112, v0, v11, 0x5040302
	v_mul_i32_i24_e32 v0, v88, v235
	v_dot4_i32_iu8 v6, v57, v2, v6 neg_lo:[1,1,0]
	v_dot4_i32_iu8 v4, v2, v61, v4 neg_lo:[1,1,0]
	;; [unrolled: 1-line block ×3, first 2 shown]
	v_perm_b32 v51, v3, v2, 0x5040302
	v_mad_i32_i24 v0, v90, v234, v0
	v_mul_lo_u32 v2, v101, v26
	v_dot4_i32_iu8 v39, v3, v62, v4 neg_lo:[1,1,0]
	v_dot4_i32_iu8 v46, v3, v40, v5 neg_lo:[1,1,0]
	;; [unrolled: 1-line block ×4, first 2 shown]
	v_cvt_f32_ubyte0_e32 v97, v111
	v_dot4_i32_iu8 v62, v62, v91, v95 neg_lo:[1,1,0]
	v_cvt_f32_ubyte0_e32 v95, v195
	v_cvt_f32_i32_e32 v2, v2
	v_dot4_i32_iu8 v0, v96, v225, v0 neg_lo:[1,1,0]
	v_cvt_f32_ubyte1_e32 v96, v195
	v_cvt_f32_ubyte0_e32 v93, v160
	v_cvt_f32_ubyte1_e32 v101, v196
	v_dot4_i32_iu8 v45, v108, v3, v6 neg_lo:[1,1,0]
	v_dot4_i32_iu8 v0, v98, v224, v0 neg_lo:[1,1,0]
	v_cvt_f32_ubyte1_e32 v98, v111
	v_perm_b32 v61, v3, v3, 0xc0c0302
	v_mul_lo_u32 v3, v210, v22
	v_mul_lo_u32 v4, v105, v26
	v_dot4_i32_iu8 v0, v99, v219, v0 neg_lo:[1,1,0]
	v_cvt_f32_ubyte0_e32 v99, v196
	v_cvt_f32_ubyte1_e32 v94, v160
	v_dot4_i32_iu8 v11, v7, v108, v8 neg_lo:[1,1,0]
	v_dot4_i32_iu8 v52, v66, v232, v52 neg_lo:[1,1,0]
	;; [unrolled: 1-line block ×3, first 2 shown]
	v_cvt_f32_i32_e32 v3, v3
	v_cvt_f32_i32_e32 v4, v4
	v_or_b32_e32 v66, v126, v121
	v_dot4_i32_iu8 v52, v82, v225, v52 neg_lo:[1,1,0]
	v_dot4_i32_iu8 v0, v103, v20, v0 neg_lo:[1,1,0]
	v_fma_mix_f32 v3, v41, v3, 0 op_sel_hi:[1,0,0]
	scratch_load_b32 v5, off, off offset:88 th:TH_LOAD_LU ; 4-byte Folded Reload
	v_dot4_i32_iu8 v52, v69, v224, v52 neg_lo:[1,1,0]
	v_dot4_i32_iu8 v0, v79, v21, v0 neg_lo:[1,1,0]
	s_delay_alu instid0(VALU_DEP_2) | instskip(NEXT) | instid1(VALU_DEP_2)
	v_dot4_i32_iu8 v52, v112, v219, v52 neg_lo:[1,1,0]
	v_dot4_i32_iu8 v0, v63, v107, v0 neg_lo:[1,1,0]
	s_delay_alu instid0(VALU_DEP_2) | instskip(SKIP_1) | instid1(VALU_DEP_2)
	v_dot4_i32_iu8 v49, v49, v220, v52 neg_lo:[1,1,0]
	v_fma_mix_f32 v52, v95, v43, 0 op_sel:[0,1,0] op_sel_hi:[0,1,0]
	v_dot4_i32_iu8 v49, v50, v20, v49 neg_lo:[1,1,0]
	s_delay_alu instid0(VALU_DEP_2) | instskip(NEXT) | instid1(VALU_DEP_2)
	v_fma_mix_f32 v52, v96, v44, v52 op_sel:[0,1,0] op_sel_hi:[0,1,0]
	v_dot4_i32_iu8 v49, v51, v21, v49 neg_lo:[1,1,0]
	v_fma_mix_f32 v51, v93, v43, 0 op_sel:[0,1,0] op_sel_hi:[0,1,0]
	s_delay_alu instid0(VALU_DEP_2) | instskip(SKIP_1) | instid1(VALU_DEP_3)
	v_dot4_i32_iu8 v49, v63, v61, v49 neg_lo:[1,1,0]
	v_bfe_i32 v61, v255, 0, 8
	v_fma_mix_f32 v51, v94, v44, v51 op_sel:[0,1,0] op_sel_hi:[0,1,0]
	s_wait_loadcnt 0x1
	v_mul_lo_u32 v1, v1, v22
	s_delay_alu instid0(VALU_DEP_1) | instskip(NEXT) | instid1(VALU_DEP_1)
	v_cvt_f32_i32_e32 v1, v1
	v_fma_mix_f32 v1, v59, v1, 0 op_sel_hi:[1,0,0]
	s_delay_alu instid0(VALU_DEP_1) | instskip(SKIP_1) | instid1(VALU_DEP_1)
	v_fma_mix_f32 v79, v60, v2, v1 op_sel_hi:[1,0,0]
	v_lshrrev_b16 v1, 8, v85
	v_and_b32_e32 v85, 0xffff, v1
	scratch_load_b32 v1, off, off offset:96 th:TH_LOAD_LU ; 4-byte Folded Reload
	v_mul_lo_u32 v2, v87, v85
	s_delay_alu instid0(VALU_DEP_1) | instskip(SKIP_2) | instid1(VALU_DEP_1)
	v_cvt_f32_i32_e32 v2, v2
	s_wait_loadcnt 0x0
	v_mul_lo_u32 v1, v1, v83
	v_cvt_f32_i32_e32 v1, v1
	s_delay_alu instid0(VALU_DEP_1) | instskip(NEXT) | instid1(VALU_DEP_1)
	v_fma_mix_f32 v1, v59, v1, 0 op_sel_hi:[1,0,0]
	v_fma_mix_f32 v87, v60, v2, v1 op_sel_hi:[1,0,0]
	v_lshrrev_b16 v1, 8, v84
	v_and_b32_e32 v84, 0xff, v84
	s_delay_alu instid0(VALU_DEP_2) | instskip(SKIP_2) | instid1(VALU_DEP_1)
	v_and_b32_e32 v88, 0xffff, v1
	scratch_load_b32 v1, off, off offset:92 th:TH_LOAD_LU ; 4-byte Folded Reload
	v_mul_lo_u32 v2, v86, v88
	v_cvt_f32_i32_e32 v2, v2
	s_wait_loadcnt 0x0
	v_mul_lo_u32 v1, v1, v84
	s_delay_alu instid0(VALU_DEP_1) | instskip(NEXT) | instid1(VALU_DEP_1)
	v_cvt_f32_i32_e32 v1, v1
	v_fma_mix_f32 v1, v59, v1, 0 op_sel_hi:[1,0,0]
	s_delay_alu instid0(VALU_DEP_1)
	v_fma_mix_f32 v86, v60, v2, v1 op_sel_hi:[1,0,0]
	ds_load_u16 v1, v158
	s_wait_dscnt 0x0
	v_lshrrev_b16 v2, 8, v1
	v_and_b32_e32 v90, 0xff, v1
	scratch_load_b32 v1, off, off offset:84 th:TH_LOAD_LU ; 4-byte Folded Reload
	v_and_b32_e32 v91, 0xffff, v2
	v_fma_mix_f32 v2, v97, v59, 0 op_sel:[0,1,0] op_sel_hi:[0,1,0]
	s_delay_alu instid0(VALU_DEP_2) | instskip(NEXT) | instid1(VALU_DEP_2)
	v_mul_lo_u32 v0, v0, v91
	v_fma_mix_f32 v102, v98, v60, v2 op_sel:[0,1,0] op_sel_hi:[0,1,0]
	v_fma_mix_f32 v2, v95, v59, 0 op_sel:[0,1,0] op_sel_hi:[0,1,0]
	s_delay_alu instid0(VALU_DEP_1) | instskip(NEXT) | instid1(VALU_DEP_4)
	v_fma_mix_f32 v103, v96, v60, v2 op_sel:[0,1,0] op_sel_hi:[0,1,0]
	v_cvt_f32_i32_e32 v0, v0
	v_fma_mix_f32 v2, v59, v99, 0 op_sel:[1,0,0] op_sel_hi:[1,0,0]
	s_wait_loadcnt 0x0
	v_mul_lo_u32 v1, v1, v90
	s_delay_alu instid0(VALU_DEP_1) | instskip(NEXT) | instid1(VALU_DEP_1)
	v_cvt_f32_i32_e32 v1, v1
	v_fma_mix_f32 v1, v59, v1, 0 op_sel_hi:[1,0,0]
	s_delay_alu instid0(VALU_DEP_1) | instskip(SKIP_3) | instid1(VALU_DEP_3)
	v_fma_mix_f32 v0, v60, v0, v1 op_sel_hi:[1,0,0]
	v_fma_mix_f32 v1, v93, v59, 0 op_sel:[0,1,0] op_sel_hi:[0,1,0]
	v_fma_mix_f32 v59, v60, v101, v2 op_sel:[1,0,0] op_sel_hi:[1,0,0]
	v_mul_i32_i24_e32 v2, v165, v235
	v_fma_mix_f32 v1, v94, v60, v1 op_sel:[0,1,0] op_sel_hi:[0,1,0]
	s_delay_alu instid0(VALU_DEP_2) | instskip(NEXT) | instid1(VALU_DEP_1)
	v_mad_i32_i24 v2, v92, v234, v2
	v_dot4_i32_iu8 v2, v89, v232, v2 neg_lo:[1,1,0]
	s_delay_alu instid0(VALU_DEP_1) | instskip(SKIP_4) | instid1(VALU_DEP_1)
	v_dot4_i32_iu8 v2, v27, v225, v2 neg_lo:[1,1,0]
	v_fma_mix_f32 v27, v42, v4, v3 op_sel_hi:[1,0,0]
	scratch_load_b32 v3, off, off offset:112 th:TH_LOAD_LU ; 4-byte Folded Reload
	v_mul_lo_u32 v4, v162, v85
	v_dot4_i32_iu8 v2, v28, v224, v2 neg_lo:[1,1,0]
	v_dot4_i32_iu8 v2, v100, v219, v2 neg_lo:[1,1,0]
	s_delay_alu instid0(VALU_DEP_3) | instskip(NEXT) | instid1(VALU_DEP_2)
	v_cvt_f32_i32_e32 v4, v4
	v_dot4_i32_iu8 v2, v12, v220, v2 neg_lo:[1,1,0]
	v_or_b32_e32 v12, v70, v71
	s_delay_alu instid0(VALU_DEP_2) | instskip(NEXT) | instid1(VALU_DEP_1)
	v_dot4_i32_iu8 v2, v133, v20, v2 neg_lo:[1,1,0]
	v_dot4_i32_iu8 v2, v129, v21, v2 neg_lo:[1,1,0]
	s_delay_alu instid0(VALU_DEP_1) | instskip(SKIP_1) | instid1(VALU_DEP_2)
	v_dot4_i32_iu8 v2, v63, v130, v2 neg_lo:[1,1,0]
	v_fma_mix_f32 v130, v95, v53, 0 op_sel:[0,1,0] op_sel_hi:[0,1,0]
	v_mul_lo_u32 v2, v2, v91
	s_delay_alu instid0(VALU_DEP_2) | instskip(NEXT) | instid1(VALU_DEP_2)
	v_fma_mix_f32 v130, v96, v54, v130 op_sel:[0,1,0] op_sel_hi:[0,1,0]
	v_cvt_f32_i32_e32 v2, v2
	s_wait_loadcnt 0x0
	v_mul_lo_u32 v3, v3, v83
	s_delay_alu instid0(VALU_DEP_1) | instskip(NEXT) | instid1(VALU_DEP_1)
	v_cvt_f32_i32_e32 v3, v3
	v_fma_mix_f32 v3, v41, v3, 0 op_sel_hi:[1,0,0]
	s_delay_alu instid0(VALU_DEP_1) | instskip(SKIP_2) | instid1(VALU_DEP_1)
	v_fma_mix_f32 v28, v42, v4, v3 op_sel_hi:[1,0,0]
	scratch_load_b32 v3, off, off offset:108 th:TH_LOAD_LU ; 4-byte Folded Reload
	v_mul_lo_u32 v4, v163, v88
	v_cvt_f32_i32_e32 v4, v4
	s_wait_loadcnt 0x0
	v_mul_lo_u32 v3, v3, v84
	s_delay_alu instid0(VALU_DEP_1) | instskip(NEXT) | instid1(VALU_DEP_1)
	v_cvt_f32_i32_e32 v3, v3
	v_fma_mix_f32 v3, v41, v3, 0 op_sel_hi:[1,0,0]
	s_delay_alu instid0(VALU_DEP_1) | instskip(SKIP_2) | instid1(VALU_DEP_1)
	v_fma_mix_f32 v60, v42, v4, v3 op_sel_hi:[1,0,0]
	scratch_load_b32 v3, off, off offset:104 th:TH_LOAD_LU ; 4-byte Folded Reload
	v_fma_mix_f32 v4, v97, v41, 0 op_sel:[0,1,0] op_sel_hi:[0,1,0]
	v_fma_mix_f32 v89, v98, v42, v4 op_sel:[0,1,0] op_sel_hi:[0,1,0]
	;; [unrolled: 1-line block ×3, first 2 shown]
	s_delay_alu instid0(VALU_DEP_1) | instskip(SKIP_3) | instid1(VALU_DEP_1)
	v_fma_mix_f32 v92, v96, v42, v4 op_sel:[0,1,0] op_sel_hi:[0,1,0]
	v_fma_mix_f32 v4, v41, v99, 0 op_sel:[1,0,0] op_sel_hi:[1,0,0]
	s_wait_loadcnt 0x0
	v_mul_lo_u32 v3, v3, v90
	v_cvt_f32_i32_e32 v3, v3
	s_delay_alu instid0(VALU_DEP_1) | instskip(NEXT) | instid1(VALU_DEP_1)
	v_fma_mix_f32 v3, v41, v3, 0 op_sel_hi:[1,0,0]
	v_fma_mix_f32 v2, v42, v2, v3 op_sel_hi:[1,0,0]
	v_fma_mix_f32 v3, v93, v41, 0 op_sel:[0,1,0] op_sel_hi:[0,1,0]
	v_fma_mix_f32 v41, v42, v101, v4 op_sel:[1,0,0] op_sel_hi:[1,0,0]
	v_mul_i32_i24_e32 v4, v137, v235
	s_delay_alu instid0(VALU_DEP_3) | instskip(NEXT) | instid1(VALU_DEP_2)
	v_fma_mix_f32 v3, v94, v42, v3 op_sel:[0,1,0] op_sel_hi:[0,1,0]
	v_mad_i32_i24 v4, v35, v234, v4
	scratch_load_b32 v35, off, off offset:128 ; 4-byte Folded Reload
	v_dot4_i32_iu8 v4, v180, v232, v4 neg_lo:[1,1,0]
	s_delay_alu instid0(VALU_DEP_1) | instskip(NEXT) | instid1(VALU_DEP_1)
	v_dot4_i32_iu8 v4, v185, v225, v4 neg_lo:[1,1,0]
	v_dot4_i32_iu8 v4, v131, v224, v4 neg_lo:[1,1,0]
	v_mov_b32_e32 v131, v169
	v_mul_lo_u32 v5, v5, v22
	v_mov_b32_e32 v169, v24
	v_mul_lo_u32 v6, v154, v26
	v_mov_b32_e32 v154, v181
	v_dot4_i32_iu8 v4, v243, v219, v4 neg_lo:[1,1,0]
	v_mul_lo_u32 v7, v229, v22
	v_mul_lo_u32 v8, v110, v26
	;; [unrolled: 1-line block ×3, first 2 shown]
	v_cvt_f32_i32_e32 v5, v5
	v_dot4_i32_iu8 v4, v134, v220, v4 neg_lo:[1,1,0]
	v_cvt_f32_i32_e32 v6, v6
	v_mul_lo_u32 v24, v177, v26
	v_mul_lo_u32 v11, v11, v26
	v_fma_mix_f32 v5, v14, v5, 0 op_sel_hi:[1,0,0]
	v_dot4_i32_iu8 v4, v135, v20, v4 neg_lo:[1,1,0]
	v_cvt_f32_i32_e32 v7, v7
	v_cvt_f32_i32_e32 v8, v8
	;; [unrolled: 1-line block ×3, first 2 shown]
	v_fma_mix_f32 v42, v15, v6, v5 op_sel_hi:[1,0,0]
	scratch_load_b32 v5, off, off offset:80 th:TH_LOAD_LU ; 4-byte Folded Reload
	v_mul_lo_u32 v6, v156, v85
	v_dot4_i32_iu8 v4, v136, v21, v4 neg_lo:[1,1,0]
	v_dual_mov_b32 v136, v204 :: v_dual_mov_b32 v137, v205
	v_mov_b32_e32 v156, v184
	v_fma_mix_f32 v7, v47, v7, 0 op_sel_hi:[1,0,0]
	s_delay_alu instid0(VALU_DEP_4)
	v_dot4_i32_iu8 v4, v63, v138, v4 neg_lo:[1,1,0]
	v_cvt_f32_i32_e32 v24, v24
	v_cvt_f32_i32_e32 v6, v6
	v_fma_mix_f32 v9, v127, v9, 0 op_sel_hi:[1,0,0]
	v_cvt_f32_i32_e32 v11, v11
	v_mul_lo_u32 v4, v4, v91
	v_mul_lo_u32 v109, v109, v85
	;; [unrolled: 1-line block ×3, first 2 shown]
	v_fma_mix_f32 v24, v128, v24, v9 op_sel_hi:[1,0,0]
	v_mul_lo_u32 v9, v211, v83
	v_mul_lo_u32 v45, v45, v26
	v_mul_lo_u32 v39, v39, v85
	v_mul_lo_u32 v46, v46, v88
	v_cvt_f32_i32_e32 v4, v4
	v_cvt_f32_i32_e32 v109, v109
	;; [unrolled: 1-line block ×3, first 2 shown]
	v_mul_lo_u32 v49, v49, v91
	v_cvt_f32_i32_e32 v9, v9
	v_cvt_f32_i32_e32 v45, v45
	;; [unrolled: 1-line block ×3, first 2 shown]
	v_fma_mix_f32 v50, v43, v50, 0 op_sel_hi:[1,0,0]
	v_cvt_f32_i32_e32 v46, v46
	v_fma_mix_f32 v9, v127, v9, 0 op_sel_hi:[1,0,0]
	v_mul_lo_u32 v40, v40, v88
	v_cvt_f32_i32_e32 v49, v49
	v_fma_mix_f32 v45, v44, v45, v50 op_sel_hi:[1,0,0]
	v_mul_lo_u32 v50, v237, v83
	s_delay_alu instid0(VALU_DEP_1) | instskip(NEXT) | instid1(VALU_DEP_1)
	v_cvt_f32_i32_e32 v50, v50
	v_fma_mix_f32 v50, v43, v50, 0 op_sel_hi:[1,0,0]
	s_delay_alu instid0(VALU_DEP_1) | instskip(SKIP_2) | instid1(VALU_DEP_1)
	v_fma_mix_f32 v39, v44, v39, v50 op_sel_hi:[1,0,0]
	s_wait_loadcnt 0x0
	v_mul_lo_u32 v5, v5, v83
	v_cvt_f32_i32_e32 v5, v5
	s_delay_alu instid0(VALU_DEP_1) | instskip(NEXT) | instid1(VALU_DEP_1)
	v_fma_mix_f32 v5, v14, v5, 0 op_sel_hi:[1,0,0]
	v_fma_mix_f32 v100, v15, v6, v5 op_sel_hi:[1,0,0]
	scratch_load_b32 v5, off, off offset:76 th:TH_LOAD_LU ; 4-byte Folded Reload
	v_mul_lo_u32 v6, v242, v88
	s_delay_alu instid0(VALU_DEP_1) | instskip(SKIP_2) | instid1(VALU_DEP_1)
	v_cvt_f32_i32_e32 v6, v6
	s_wait_loadcnt 0x0
	v_mul_lo_u32 v5, v5, v84
	v_cvt_f32_i32_e32 v5, v5
	s_delay_alu instid0(VALU_DEP_1) | instskip(NEXT) | instid1(VALU_DEP_1)
	v_fma_mix_f32 v5, v14, v5, 0 op_sel_hi:[1,0,0]
	v_fma_mix_f32 v105, v15, v6, v5 op_sel_hi:[1,0,0]
	scratch_load_b32 v5, off, off offset:72 th:TH_LOAD_LU ; 4-byte Folded Reload
	v_fma_mix_f32 v6, v97, v14, 0 op_sel:[0,1,0] op_sel_hi:[0,1,0]
	s_delay_alu instid0(VALU_DEP_1) | instskip(SKIP_1) | instid1(VALU_DEP_1)
	v_fma_mix_f32 v107, v98, v15, v6 op_sel:[0,1,0] op_sel_hi:[0,1,0]
	v_fma_mix_f32 v6, v95, v14, 0 op_sel:[0,1,0] op_sel_hi:[0,1,0]
	v_fma_mix_f32 v108, v96, v15, v6 op_sel:[0,1,0] op_sel_hi:[0,1,0]
	v_fma_mix_f32 v6, v14, v99, 0 op_sel:[1,0,0] op_sel_hi:[1,0,0]
	s_wait_loadcnt 0x0
	v_mul_lo_u32 v5, v5, v90
	s_delay_alu instid0(VALU_DEP_1) | instskip(NEXT) | instid1(VALU_DEP_1)
	v_cvt_f32_i32_e32 v5, v5
	v_fma_mix_f32 v5, v14, v5, 0 op_sel_hi:[1,0,0]
	s_delay_alu instid0(VALU_DEP_1) | instskip(SKIP_3) | instid1(VALU_DEP_3)
	v_fma_mix_f32 v4, v15, v4, v5 op_sel_hi:[1,0,0]
	v_fma_mix_f32 v5, v93, v14, 0 op_sel:[0,1,0] op_sel_hi:[0,1,0]
	v_fma_mix_f32 v14, v15, v101, v6 op_sel:[1,0,0] op_sel_hi:[1,0,0]
	v_mul_i32_i24_e32 v6, v143, v235
	v_fma_mix_f32 v5, v94, v15, v5 op_sel:[0,1,0] op_sel_hi:[0,1,0]
	v_fma_mix_f32 v15, v48, v8, v7 op_sel_hi:[1,0,0]
	s_delay_alu instid0(VALU_DEP_3) | instskip(SKIP_3) | instid1(VALU_DEP_4)
	v_mad_i32_i24 v6, v145, v234, v6
	v_mul_lo_u32 v7, v228, v83
	v_mul_lo_u32 v8, v140, v85
	v_mov_b32_e32 v145, v208
	v_dot4_i32_iu8 v6, v146, v232, v6 neg_lo:[1,1,0]
	scratch_load_b32 v146, off, off offset:28 th:TH_LOAD_LU ; 4-byte Folded Reload
	v_cvt_f32_i32_e32 v7, v7
	v_dot4_i32_iu8 v6, v25, v225, v6 neg_lo:[1,1,0]
	v_cvt_f32_i32_e32 v8, v8
	s_delay_alu instid0(VALU_DEP_3) | instskip(NEXT) | instid1(VALU_DEP_3)
	v_fma_mix_f32 v7, v47, v7, 0 op_sel_hi:[1,0,0]
	v_dot4_i32_iu8 v6, v175, v224, v6 neg_lo:[1,1,0]
	s_delay_alu instid0(VALU_DEP_2) | instskip(NEXT) | instid1(VALU_DEP_2)
	v_fma_mix_f32 v25, v48, v8, v7 op_sel_hi:[1,0,0]
	v_dot4_i32_iu8 v6, v23, v219, v6 neg_lo:[1,1,0]
	v_mul_lo_u32 v7, v227, v84
	v_mul_lo_u32 v8, v142, v88
	v_mul_lo_u32 v23, v62, v85
	s_delay_alu instid0(VALU_DEP_4) | instskip(NEXT) | instid1(VALU_DEP_4)
	v_dot4_i32_iu8 v6, v122, v220, v6 neg_lo:[1,1,0]
	v_cvt_f32_i32_e32 v7, v7
	s_delay_alu instid0(VALU_DEP_2) | instskip(SKIP_2) | instid1(VALU_DEP_4)
	v_dot4_i32_iu8 v6, v123, v20, v6 neg_lo:[1,1,0]
	v_cvt_f32_i32_e32 v8, v8
	v_fma_mix_f32 v123, v97, v127, 0 op_sel:[0,1,0] op_sel_hi:[0,1,0]
	v_fma_mix_f32 v7, v47, v7, 0 op_sel_hi:[1,0,0]
	s_delay_alu instid0(VALU_DEP_4) | instskip(SKIP_1) | instid1(VALU_DEP_4)
	v_dot4_i32_iu8 v6, v124, v21, v6 neg_lo:[1,1,0]
	v_fma_mix_f32 v124, v95, v127, 0 op_sel:[0,1,0] op_sel_hi:[0,1,0]
	v_fma_mix_f32 v123, v98, v128, v123 op_sel:[0,1,0] op_sel_hi:[0,1,0]
	s_delay_alu instid0(VALU_DEP_4) | instskip(NEXT) | instid1(VALU_DEP_4)
	v_fma_mix_f32 v110, v48, v8, v7 op_sel_hi:[1,0,0]
	v_dot4_i32_iu8 v6, v63, v125, v6 neg_lo:[1,1,0]
	v_mul_lo_u32 v7, v226, v90
	v_fma_mix_f32 v8, v97, v47, 0 op_sel:[0,1,0] op_sel_hi:[0,1,0]
	v_fma_mix_f32 v125, v127, v99, 0 op_sel:[1,0,0] op_sel_hi:[1,0,0]
	;; [unrolled: 1-line block ×3, first 2 shown]
	v_mul_lo_u32 v6, v6, v91
	s_delay_alu instid0(VALU_DEP_4) | instskip(SKIP_4) | instid1(VALU_DEP_3)
	v_fma_mix_f32 v111, v98, v48, v8 op_sel:[0,1,0] op_sel_hi:[0,1,0]
	v_fma_mix_f32 v8, v95, v47, 0 op_sel:[0,1,0] op_sel_hi:[0,1,0]
	v_cvt_f32_i32_e32 v7, v7
	v_fma_mix_f32 v125, v128, v101, v125 op_sel:[1,0,0] op_sel_hi:[1,0,0]
	v_cvt_f32_i32_e32 v6, v6
	v_fma_mix_f32 v7, v47, v7, 0 op_sel_hi:[1,0,0]
	v_fma_mix_f32 v122, v96, v48, v8 op_sel:[0,1,0] op_sel_hi:[0,1,0]
	v_fma_mix_f32 v8, v47, v99, 0 op_sel:[1,0,0] op_sel_hi:[1,0,0]
	s_delay_alu instid0(VALU_DEP_3) | instskip(SKIP_1) | instid1(VALU_DEP_3)
	v_fma_mix_f32 v6, v48, v6, v7 op_sel_hi:[1,0,0]
	v_fma_mix_f32 v7, v93, v47, 0 op_sel:[0,1,0] op_sel_hi:[0,1,0]
	v_fma_mix_f32 v47, v48, v101, v8 op_sel:[1,0,0] op_sel_hi:[1,0,0]
	v_mul_i32_i24_e32 v8, v187, v235
	s_delay_alu instid0(VALU_DEP_3) | instskip(SKIP_1) | instid1(VALU_DEP_3)
	v_fma_mix_f32 v7, v94, v48, v7 op_sel:[0,1,0] op_sel_hi:[0,1,0]
	v_mul_lo_u32 v48, v178, v85
	v_mad_i32_i24 v8, v188, v234, v8
	s_delay_alu instid0(VALU_DEP_1) | instskip(NEXT) | instid1(VALU_DEP_3)
	v_dot4_i32_iu8 v8, v179, v232, v8 neg_lo:[1,1,0]
	v_cvt_f32_i32_e32 v48, v48
	s_delay_alu instid0(VALU_DEP_2) | instskip(NEXT) | instid1(VALU_DEP_2)
	v_dot4_i32_iu8 v8, v182, v225, v8 neg_lo:[1,1,0]
	v_fma_mix_f32 v48, v128, v48, v9 op_sel_hi:[1,0,0]
	v_mul_lo_u32 v9, v209, v84
	s_delay_alu instid0(VALU_DEP_3) | instskip(SKIP_4) | instid1(VALU_DEP_3)
	v_dot4_i32_iu8 v8, v36, v224, v8 neg_lo:[1,1,0]
	scratch_load_b32 v36, off, off offset:136 ; 4-byte Folded Reload
	v_dot4_i32_iu8 v8, v106, v219, v8 neg_lo:[1,1,0]
	v_mul_lo_u32 v106, v249, v88
	v_cvt_f32_i32_e32 v9, v9
	v_dot4_i32_iu8 v8, v139, v220, v8 neg_lo:[1,1,0]
	v_mov_b32_e32 v139, v206
	s_delay_alu instid0(VALU_DEP_3) | instskip(SKIP_1) | instid1(VALU_DEP_4)
	v_fma_mix_f32 v9, v127, v9, 0 op_sel_hi:[1,0,0]
	v_cvt_f32_i32_e32 v106, v106
	v_dot4_i32_iu8 v8, v141, v20, v8 neg_lo:[1,1,0]
	s_delay_alu instid0(VALU_DEP_2) | instskip(SKIP_2) | instid1(VALU_DEP_1)
	v_fma_mix_f32 v106, v128, v106, v9 op_sel_hi:[1,0,0]
	scratch_load_b32 v9, off, off offset:116 th:TH_LOAD_LU ; 4-byte Folded Reload
	v_dot4_i32_iu8 v8, v144, v21, v8 neg_lo:[1,1,0]
	v_dot4_i32_iu8 v8, v63, v147, v8 neg_lo:[1,1,0]
	s_delay_alu instid0(VALU_DEP_1) | instskip(NEXT) | instid1(VALU_DEP_1)
	v_mul_lo_u32 v8, v8, v91
	v_cvt_f32_i32_e32 v8, v8
	s_wait_loadcnt 0x0
	v_mul_lo_u32 v9, v9, v90
	s_delay_alu instid0(VALU_DEP_1) | instskip(NEXT) | instid1(VALU_DEP_1)
	v_cvt_f32_i32_e32 v9, v9
	v_fma_mix_f32 v9, v127, v9, 0 op_sel_hi:[1,0,0]
	s_delay_alu instid0(VALU_DEP_1) | instskip(SKIP_2) | instid1(VALU_DEP_2)
	v_fma_mix_f32 v8, v128, v8, v9 op_sel_hi:[1,0,0]
	v_fma_mix_f32 v9, v93, v127, 0 op_sel:[0,1,0] op_sel_hi:[0,1,0]
	v_mul_i32_i24_e32 v127, v172, v235
	v_fma_mix_f32 v9, v94, v128, v9 op_sel:[0,1,0] op_sel_hi:[0,1,0]
	v_mul_lo_u32 v128, v216, v22
	s_delay_alu instid0(VALU_DEP_3) | instskip(NEXT) | instid1(VALU_DEP_1)
	v_mad_i32_i24 v127, v173, v234, v127
	v_dot4_i32_iu8 v127, v183, v232, v127 neg_lo:[1,1,0]
	s_delay_alu instid0(VALU_DEP_3) | instskip(NEXT) | instid1(VALU_DEP_2)
	v_cvt_f32_i32_e32 v128, v128
	v_dot4_i32_iu8 v127, v186, v225, v127 neg_lo:[1,1,0]
	s_delay_alu instid0(VALU_DEP_2) | instskip(NEXT) | instid1(VALU_DEP_2)
	v_fma_mix_f32 v128, v53, v128, 0 op_sel_hi:[1,0,0]
	v_dot4_i32_iu8 v127, v34, v224, v127 neg_lo:[1,1,0]
	scratch_load_b32 v34, off, off offset:124 ; 4-byte Folded Reload
	v_fma_mix_f32 v128, v54, v11, v128 op_sel_hi:[1,0,0]
	v_mul_lo_u32 v11, v215, v83
	v_dot4_i32_iu8 v127, v33, v219, v127 neg_lo:[1,1,0]
	scratch_load_b32 v33, off, off offset:4 ; 4-byte Folded Reload
	v_dot4_i32_iu8 v127, v148, v220, v127 neg_lo:[1,1,0]
	v_cvt_f32_i32_e32 v11, v11
	scratch_load_b64 v[147:148], off, off offset:20 th:TH_LOAD_LU ; 8-byte Folded Reload
	v_dot4_i32_iu8 v127, v149, v20, v127 neg_lo:[1,1,0]
	v_fma_mix_f32 v11, v53, v11, 0 op_sel_hi:[1,0,0]
	v_mov_b32_e32 v149, v171
	v_mul_lo_u32 v50, v236, v84
	s_delay_alu instid0(VALU_DEP_4) | instskip(NEXT) | instid1(VALU_DEP_4)
	v_dot4_i32_iu8 v127, v38, v21, v127 neg_lo:[1,1,0]
	v_fma_mix_f32 v109, v54, v109, v11 op_sel_hi:[1,0,0]
	v_mul_lo_u32 v11, v214, v84
	v_mov_b32_e32 v38, v37
	scratch_load_b32 v37, off, off offset:140 ; 4-byte Folded Reload
	v_dot4_i32_iu8 v127, v63, v10, v127 neg_lo:[1,1,0]
	v_mul_lo_u32 v10, v13, v88
	v_perm_b32 v63, v19, v18, 0x6020c0c
	v_cvt_f32_i32_e32 v50, v50
	scratch_load_b32 v88, off, off offset:68 th:TH_LOAD_LU ; 4-byte Folded Reload
	v_cvt_f32_i32_e32 v11, v11
	v_fma_mix_f32 v50, v43, v50, 0 op_sel_hi:[1,0,0]
	v_cvt_f32_i32_e32 v10, v10
	s_delay_alu instid0(VALU_DEP_3) | instskip(NEXT) | instid1(VALU_DEP_3)
	v_fma_mix_f32 v11, v53, v11, 0 op_sel_hi:[1,0,0]
	v_fma_mix_f32 v46, v44, v46, v50 op_sel_hi:[1,0,0]
	v_mul_lo_u32 v50, v233, v90
	s_delay_alu instid0(VALU_DEP_3) | instskip(SKIP_4) | instid1(VALU_DEP_2)
	v_fma_mix_f32 v129, v54, v10, v11 op_sel_hi:[1,0,0]
	v_mul_lo_u32 v10, v213, v90
	v_mul_lo_u32 v11, v127, v91
	v_fma_mix_f32 v127, v97, v53, 0 op_sel:[0,1,0] op_sel_hi:[0,1,0]
	v_cvt_f32_i32_e32 v50, v50
	v_fma_mix_f32 v127, v98, v54, v127 op_sel:[0,1,0] op_sel_hi:[0,1,0]
	v_cvt_f32_i32_e32 v10, v10
	v_cvt_f32_i32_e32 v11, v11
	s_delay_alu instid0(VALU_DEP_4) | instskip(NEXT) | instid1(VALU_DEP_3)
	v_fma_mix_f32 v50, v43, v50, 0 op_sel_hi:[1,0,0]
	v_fma_mix_f32 v10, v53, v10, 0 op_sel_hi:[1,0,0]
	s_delay_alu instid0(VALU_DEP_2) | instskip(SKIP_1) | instid1(VALU_DEP_3)
	v_fma_mix_f32 v49, v44, v49, v50 op_sel_hi:[1,0,0]
	v_fma_mix_f32 v50, v43, v97, 0 op_sel:[1,0,0] op_sel_hi:[1,0,0]
	v_fma_mix_f32 v10, v54, v11, v10 op_sel_hi:[1,0,0]
	v_fma_mix_f32 v11, v93, v53, 0 op_sel:[0,1,0] op_sel_hi:[0,1,0]
	v_fma_mix_f32 v53, v53, v99, 0 op_sel:[1,0,0] op_sel_hi:[1,0,0]
	;; [unrolled: 1-line block ×4, first 2 shown]
	s_delay_alu instid0(VALU_DEP_4) | instskip(NEXT) | instid1(VALU_DEP_4)
	v_fma_mix_f32 v11, v94, v54, v11 op_sel:[0,1,0] op_sel_hi:[0,1,0]
	v_fma_mix_f32 v53, v54, v101, v53 op_sel:[1,0,0] op_sel_hi:[1,0,0]
	v_mul_i32_i24_e32 v54, v81, v235
	v_fma_mix_f32 v43, v44, v101, v43 op_sel:[1,0,0] op_sel_hi:[1,0,0]
	v_mul_i32_i24_e32 v44, v193, v240
	v_or_b32_e32 v81, v118, v117
	s_delay_alu instid0(VALU_DEP_4) | instskip(SKIP_1) | instid1(VALU_DEP_4)
	v_mad_i32_i24 v54, v61, v234, v54
	v_perm_b32 v61, v16, v17, 0xc0c0602
	v_dot4_i32_iu8 v44, v194, v241, v44 neg_lo:[1,1,0]
	s_delay_alu instid0(VALU_DEP_3) | instskip(NEXT) | instid1(VALU_DEP_3)
	v_dot4_i32_iu8 v54, v254, v232, v54 neg_lo:[1,1,0]
	v_or_b32_e32 v61, v63, v61
	v_perm_b32 v63, v56, v55, 0xc0c0602
	s_delay_alu instid0(VALU_DEP_4) | instskip(NEXT) | instid1(VALU_DEP_2)
	v_dot4_i32_iu8 v44, v192, v239, v44 neg_lo:[1,1,0]
	v_or_b32_e32 v63, v65, v63
	v_or_b32_e32 v65, v104, v80
	;; [unrolled: 1-line block ×3, first 2 shown]
	s_delay_alu instid0(VALU_DEP_2) | instskip(SKIP_1) | instid1(VALU_DEP_2)
	v_dot4_i32_iu8 v61, v61, v65, 0 neg_lo:[1,1,0]
	v_perm_b32 v65, v19, v18, 0x4000c0c
	v_dot4_i32_iu8 v61, v63, v66, v61 neg_lo:[1,1,0]
	v_perm_b32 v63, v16, v17, 0xc0c0400
	v_perm_b32 v66, v58, v57, 0x4000c0c
	s_delay_alu instid0(VALU_DEP_2) | instskip(SKIP_1) | instid1(VALU_DEP_1)
	v_or_b32_e32 v63, v65, v63
	v_perm_b32 v65, v56, v55, 0xc0c0400
	v_or_b32_e32 v65, v66, v65
	v_or_b32_e32 v66, v253, v252
	s_delay_alu instid0(VALU_DEP_1) | instskip(SKIP_1) | instid1(VALU_DEP_2)
	v_dot4_i32_iu8 v63, v63, v66, 0 neg_lo:[1,1,0]
	v_perm_b32 v66, v19, v18, 0x7030c0c
	v_dot4_i32_iu8 v63, v65, v80, v63 neg_lo:[1,1,0]
	v_perm_b32 v65, v16, v17, 0xc0c0703
	v_perm_b32 v16, v16, v17, 0xc0c0501
	;; [unrolled: 1-line block ×5, first 2 shown]
	v_or_b32_e32 v65, v66, v65
	v_perm_b32 v66, v56, v55, 0xc0c0703
	scratch_load_b32 v55, off, off offset:148 ; 4-byte Folded Reload
	v_or_b32_e32 v16, v17, v16
	v_or_b32_e32 v17, v19, v18
	;; [unrolled: 1-line block ×3, first 2 shown]
	v_perm_b32 v80, v58, v57, 0x7030c0c
	v_fma_mix_f32 v19, v67, v95, 0 op_sel:[1,0,0] op_sel_hi:[1,0,0]
	s_delay_alu instid0(VALU_DEP_3) | instskip(SKIP_1) | instid1(VALU_DEP_4)
	v_dot4_i32_iu8 v13, v16, v18, 0 neg_lo:[1,1,0]
	v_dot4_i32_iu8 v16, v246, v225, v54 neg_lo:[1,1,0]
	v_or_b32_e32 v66, v80, v66
	v_or_b32_e32 v80, v251, v250
	scratch_load_b32 v54, off, off offset:144 ; 4-byte Folded Reload
	v_dot4_i32_iu8 v12, v17, v12, v13 neg_lo:[1,1,0]
	v_dot4_i32_iu8 v13, v190, v74, v44 neg_lo:[1,1,0]
	;; [unrolled: 1-line block ×4, first 2 shown]
	v_fma_mix_f32 v18, v67, v97, 0 op_sel:[1,0,0] op_sel_hi:[1,0,0]
	v_fma_mix_f32 v19, v68, v96, v19 op_sel:[1,0,0] op_sel_hi:[1,0,0]
	v_dot4_i32_iu8 v13, v191, v73, v13 neg_lo:[1,1,0]
	v_dot4_i32_iu8 v16, v244, v219, v16 neg_lo:[1,1,0]
	;; [unrolled: 1-line block ×3, first 2 shown]
	v_fma_mix_f32 v18, v68, v98, v18 op_sel:[1,0,0] op_sel_hi:[1,0,0]
	scratch_load_b32 v73, off, off offset:60 th:TH_LOAD_LU ; 4-byte Folded Reload
	v_dot4_i32_iu8 v13, v189, v199, v13 neg_lo:[1,1,0]
	v_dot4_i32_iu8 v16, v116, v220, v16 neg_lo:[1,1,0]
	v_add_nc_u32_e32 v12, v12, v65
	v_fma_mix_f32 v17, v93, v67, 0 op_sel:[0,1,0] op_sel_hi:[0,1,0]
	s_delay_alu instid0(VALU_DEP_4) | instskip(NEXT) | instid1(VALU_DEP_4)
	v_dot4_i32_iu8 v13, v231, v223, v13 neg_lo:[1,1,0]
	v_dot4_i32_iu8 v16, v115, v20, v16 neg_lo:[1,1,0]
	s_delay_alu instid0(VALU_DEP_4)
	v_add3_u32 v12, v63, v61, v12
	v_fma_mix_f32 v20, v67, v99, 0 op_sel:[1,0,0] op_sel_hi:[1,0,0]
	v_fma_mix_f32 v17, v94, v68, v17 op_sel:[0,1,0] op_sel_hi:[0,1,0]
	v_dot4_i32_iu8 v13, v230, v222, v13 neg_lo:[1,1,0]
	v_dot4_i32_iu8 v16, v114, v21, v16 neg_lo:[1,1,0]
	v_mul_lo_u32 v21, v202, v22
	v_mul_lo_u32 v12, v12, v26
	;; [unrolled: 1-line block ×3, first 2 shown]
	v_dot4_i32_iu8 v13, v78, v218, v13 neg_lo:[1,1,0]
	v_dot4_i32_iu8 v16, v113, v64, v16 neg_lo:[1,1,0]
	v_mul_lo_u32 v26, v200, v84
	v_fma_mix_f32 v20, v68, v101, v20 op_sel:[1,0,0] op_sel_hi:[1,0,0]
	v_mov_b32_e32 v138, v207
	v_dot4_i32_iu8 v13, v77, v217, v13 neg_lo:[1,1,0]
	v_cvt_f32_i32_e32 v21, v21
	v_cvt_f32_i32_e32 v12, v12
	v_mul_lo_u32 v16, v16, v91
	s_delay_alu instid0(VALU_DEP_4) | instskip(NEXT) | instid1(VALU_DEP_4)
	v_dot4_i32_iu8 v13, v75, v203, v13 neg_lo:[1,1,0]
	v_fma_mix_f32 v21, v67, v21, 0 op_sel_hi:[1,0,0]
	s_delay_alu instid0(VALU_DEP_2) | instskip(NEXT) | instid1(VALU_DEP_2)
	v_dot4_i32_iu8 v13, v76, v221, v13 neg_lo:[1,1,0]
	v_fma_mix_f32 v12, v68, v12, v21 op_sel_hi:[1,0,0]
	v_cvt_f32_i32_e32 v21, v22
	v_cvt_f32_i32_e32 v22, v23
	v_cvt_f32_i32_e32 v23, v40
	v_mul_lo_u32 v13, v13, v90
	v_cvt_f32_i32_e32 v16, v16
	v_fma_mix_f32 v21, v67, v21, 0 op_sel_hi:[1,0,0]
	scratch_load_b32 v90, off, off offset:16 th:TH_LOAD_LU ; 4-byte Folded Reload
	v_fma_mix_f32 v21, v68, v22, v21 op_sel_hi:[1,0,0]
	v_cvt_f32_i32_e32 v22, v26
	v_cvt_f32_i32_e32 v13, v13
	s_delay_alu instid0(VALU_DEP_2) | instskip(NEXT) | instid1(VALU_DEP_2)
	v_fma_mix_f32 v22, v67, v22, 0 op_sel_hi:[1,0,0]
	v_fma_mix_f32 v13, v67, v13, 0 op_sel_hi:[1,0,0]
	s_delay_alu instid0(VALU_DEP_2) | instskip(NEXT) | instid1(VALU_DEP_2)
	v_fma_mix_f32 v22, v68, v23, v22 op_sel_hi:[1,0,0]
	v_fma_mix_f32 v13, v68, v16, v13 op_sel_hi:[1,0,0]
	v_mul_f32_e32 v16, v18, v36
	v_mul_f32_e32 v23, v89, v36
	;; [unrolled: 1-line block ×3, first 2 shown]
	s_wait_loadcnt 0x8
	s_delay_alu instid0(VALU_DEP_2)
	v_fma_f32 v23, v27, v34, -v23
	s_wait_loadcnt 0x5
	v_mul_f32_e32 v26, v92, v37
	v_mov_b32_e32 v92, v170
	v_dual_mov_b32 v170, v197 :: v_dual_mov_b32 v171, v198
	s_wait_loadcnt 0x3
	v_mul_f32_e32 v27, v41, v55
	v_fma_f32 v12, v12, v34, -v16
	v_mul_f32_e32 v40, v108, v37
	v_dual_mul_f32 v16, v19, v37 :: v_dual_mul_f32 v19, v20, v55
	v_mul_f32_e32 v41, v111, v36
	s_delay_alu instid0(VALU_DEP_4)
	v_add_f32_e32 v131, v131, v12
	scratch_load_b32 v12, off, off          ; 4-byte Folded Reload
	v_fma_f32 v26, v28, v35, -v26
	v_fma_f32 v16, v21, v35, -v16
	;; [unrolled: 1-line block ×3, first 2 shown]
	v_mul_f32_e32 v41, v122, v37
	s_wait_loadcnt 0x3
	v_fma_f32 v19, v22, v54, -v19
	v_mul_f32_e32 v22, v59, v55
	v_fma_f32 v27, v60, v54, -v27
	v_mul_f32_e32 v14, v14, v55
	;; [unrolled: 2-line block ×5, first 2 shown]
	v_add_f32_e32 v169, v169, v25
	v_add_f32_e32 v145, v145, v22
	v_fma_f32 v28, v42, v34, -v28
	v_mul_f32_e32 v42, v123, v36
	v_mul_f32_e32 v21, v103, v37
	v_fma_f32 v45, v128, v34, -v45
	v_add_f32_e32 v139, v139, v19
	v_dual_add_f32 v132, v132, v23 :: v_dual_add_f32 v167, v167, v16
	v_fma_f32 v24, v24, v34, -v42
	v_mul_f32_e32 v42, v124, v37
	scratch_load_b32 v16, off, off offset:156 ; 4-byte Folded Reload
	v_fma_f32 v21, v87, v35, -v21
	v_dual_add_f32 v38, v38, v15 :: v_dual_add_f32 v159, v159, v45
	v_fma_f32 v42, v48, v35, -v42
	v_mul_f32_e32 v48, v53, v55
	scratch_load_b32 v15, off, off offset:152 ; 4-byte Folded Reload
	v_fma_f32 v40, v100, v35, -v40
	v_mul_f32_e32 v47, v130, v37
	v_dual_mul_f32 v20, v102, v36 :: v_dual_mul_f32 v43, v43, v55
	v_fma_f32 v48, v129, v54, -v48
	v_add_f32_e32 v146, v146, v21
	s_delay_alu instid0(VALU_DEP_4)
	v_fma_f32 v47, v109, v35, -v47
	v_mul_f32_e32 v50, v52, v37
	v_fma_f32 v20, v79, v34, -v20
	v_add_f32_e32 v33, v33, v48
	v_fma_f32 v41, v110, v54, -v41
	v_fma_f32 v43, v46, v54, -v43
	v_add_f32_e32 v31, v31, v47
	v_fma_f32 v39, v39, v35, -v50
	v_add_f32_e32 v168, v168, v18
	scratch_store_b32 off, v33, off offset:4 ; 4-byte Folded Spill
	v_add_f32_e32 v32, v32, v43
	v_add_f32_e32 v30, v30, v39
	s_wait_loadcnt 0x3
	v_dual_add_f32 v90, v90, v27 :: v_dual_mov_b32 v27, v72
	v_fma_f32 v14, v105, v54, -v14
	s_delay_alu instid0(VALU_DEP_1)
	v_dual_mul_f32 v44, v125, v55 :: v_dual_add_f32 v27, v27, v14
	scratch_load_b32 v14, off, off offset:132 ; 4-byte Folded Reload
	v_fma_f32 v44, v106, v54, -v44
	s_wait_loadcnt 0x3
	v_add_f32_e32 v12, v12, v42
	scratch_store_b32 off, v12, off         ; 4-byte Folded Spill
	s_clause 0x2
	scratch_load_b32 v12, off, off offset:120
	scratch_load_b32 v86, off, off offset:64 th:TH_LOAD_LU
	scratch_load_b64 v[134:135], off, off offset:32 th:TH_LOAD_LU
	v_add_f32_e32 v88, v88, v26
	v_add_f32_e32 v174, v174, v28
	v_dual_add_f32 v138, v138, v20 :: v_dual_add_f32 v73, v73, v41
	s_wait_loadcnt 0x5
	v_mul_f32_e32 v1, v1, v16
	s_wait_loadcnt 0x4
	s_delay_alu instid0(VALU_DEP_1) | instskip(SKIP_4) | instid1(VALU_DEP_2)
	v_fma_f32 v0, v0, v15, -v1
	s_wait_loadcnt 0x3
	v_mul_f32_e32 v1, v3, v14
	v_mul_f32_e32 v3, v7, v14
	s_wait_loadcnt 0x2
	v_fma_f32 v1, v2, v12, -v1
	v_mul_f32_e32 v2, v5, v16
	s_wait_loadcnt 0x1
	v_dual_add_f32 v86, v86, v40 :: v_dual_mul_f32 v5, v11, v14
	v_fma_f32 v3, v6, v12, -v3
	v_mul_f32_e32 v6, v51, v16
	v_fma_f32 v2, v4, v15, -v2
	v_mul_f32_e32 v4, v9, v16
	s_wait_loadcnt 0x0
	v_dual_add_f32 v135, v135, v0 :: v_dual_mul_f32 v0, v17, v14
	v_fma_f32 v5, v10, v12, -v5
	v_fma_f32 v6, v49, v15, -v6
	;; [unrolled: 1-line block ×3, first 2 shown]
	v_dual_add_f32 v166, v166, v24 :: v_dual_add_f32 v137, v137, v2
	v_fma_f32 v0, v13, v12, -v0
	s_delay_alu instid0(VALU_DEP_4)
	v_dual_add_f32 v176, v176, v44 :: v_dual_add_f32 v171, v171, v6
	v_add_f32_e32 v136, v136, v1
	v_dual_add_f32 v148, v148, v4 :: v_dual_add_f32 v147, v147, v3
	v_add_f32_e32 v170, v170, v5
	v_add_f32_e32 v134, v134, v0
	s_cbranch_scc1 .LBB153_8
; %bb.9:                                ;   in Loop: Header=BB153_5 Depth=1
	v_mov_b32_e32 v87, v27
	s_add_co_i32 s10, s10, 1
	s_wait_storecnt 0x0
	s_wait_alu 0xfffe
	s_cmp_eq_u32 s10, s15
	s_barrier_signal -1
	s_barrier_wait -1
	global_inv scope:SCOPE_SE
	s_cbranch_scc1 .LBB153_13
; %bb.10:                               ;   in Loop: Header=BB153_5 Depth=1
	s_clause 0x1a
	scratch_load_b32 v89, off, off offset:340
	scratch_load_b32 v102, off, off offset:160
	;; [unrolled: 1-line block ×18, first 2 shown]
	scratch_load_b64 v[33:34], off, off offset:368
	scratch_load_b32 v37, off, off offset:376
	scratch_load_b32 v35, off, off offset:380
	;; [unrolled: 1-line block ×8, first 2 shown]
	s_branch .LBB153_5
.LBB153_11:
	v_dual_mov_b32 v0, 0 :: v_dual_mov_b32 v3, 0
	v_dual_mov_b32 v2, 0 :: v_dual_mov_b32 v21, 0
	;; [unrolled: 1-line block ×12, first 2 shown]
	v_mov_b32_e32 v25, 0
	v_mov_b32_e32 v37, 0
	;; [unrolled: 1-line block ×3, first 2 shown]
	s_mov_b32 s0, exec_lo
	v_cmpx_gt_u32_e64 s4, v10
	s_cbranch_execnz .LBB153_14
.LBB153_12:
	s_nop 0
	s_sendmsg sendmsg(MSG_DEALLOC_VGPRS)
	s_endpgm
.LBB153_13:
	v_cvt_f16_f32_e64 v0, v135
	v_cvt_f16_f32_e64 v1, v134
	;; [unrolled: 1-line block ×6, first 2 shown]
	v_pack_b32_f16 v28, v1, v0
	v_cvt_f16_f32_e64 v0, v137
	v_cvt_f16_f32_e64 v1, v136
	v_pack_b32_f16 v2, v4, v2
	v_cvt_f16_f32_e64 v37, v138
	v_cvt_f16_f32_e64 v27, v146
	;; [unrolled: 1-line block ×3, first 2 shown]
	v_pack_b32_f16 v21, v1, v0
	v_cvt_f16_f32_e64 v0, v148
	v_cvt_f16_f32_e64 v1, v147
	scratch_load_b32 v3, off, off offset:4 th:TH_LOAD_LU ; 4-byte Folded Reload
	v_cvt_f16_f32_e64 v25, v132
	v_cvt_f16_f32_e32 v24, v88
	v_cvt_f16_f32_e32 v23, v90
	v_pack_b32_f16 v14, v1, v0
	s_clause 0x3
	scratch_load_b32 v0, off, off th:TH_LOAD_LU
	scratch_load_b32 v4, off, off offset:204 th:TH_LOAD_LU
	scratch_load_b32 v9, off, off offset:408 th:TH_LOAD_LU
	scratch_load_b32 v10, off, off offset:412
	v_cvt_f16_f32_e64 v1, v170
	v_cvt_f16_f32_e64 v22, v174
	v_cvt_f16_f32_e32 v20, v86
	v_cvt_f16_f32_e32 v19, v87
	;; [unrolled: 1-line block ×3, first 2 shown]
	v_cvt_f16_f32_e64 v17, v169
	v_cvt_f16_f32_e32 v16, v73
	v_cvt_f16_f32_e64 v15, v166
	v_cvt_f16_f32_e64 v8, v176
	;; [unrolled: 1-line block ×3, first 2 shown]
	v_cvt_f16_f32_e32 v6, v31
	s_wait_loadcnt 0x4
	v_cvt_f16_f32_e32 v5, v3
	s_wait_loadcnt 0x3
	v_cvt_f16_f32_e32 v13, v0
	v_cvt_f16_f32_e64 v0, v171
	s_delay_alu instid0(VALU_DEP_1)
	v_pack_b32_f16 v3, v1, v0
	v_cvt_f16_f32_e32 v1, v30
	v_cvt_f16_f32_e32 v0, v32
	s_mov_b32 s0, exec_lo
	s_wait_loadcnt 0x0
	v_cmpx_gt_u32_e64 s4, v10
	s_cbranch_execz .LBB153_12
.LBB153_14:
	v_add_nc_u32_e32 v9, s14, v9
	v_mul_lo_u32 v29, v10, s6
	s_delay_alu instid0(VALU_DEP_2)
	v_cmp_gt_u32_e32 vcc_lo, s6, v9
	s_and_saveexec_b32 s1, vcc_lo
	s_cbranch_execz .LBB153_16
; %bb.15:
	s_delay_alu instid0(VALU_DEP_2) | instskip(NEXT) | instid1(VALU_DEP_1)
	v_dual_mov_b32 v31, 0 :: v_dual_add_nc_u32 v30, v9, v29
	v_lshlrev_b64_e32 v[30:31], 1, v[30:31]
	s_wait_kmcnt 0x0
	s_delay_alu instid0(VALU_DEP_1) | instskip(NEXT) | instid1(VALU_DEP_1)
	v_add_co_u32 v30, s0, s8, v30
	v_add_co_ci_u32_e64 v31, null, s9, v31, s0
	global_store_b16 v[30:31], v28, off
.LBB153_16:
	s_or_b32 exec_lo, exec_lo, s1
	v_add_nc_u32_e32 v10, 32, v9
	s_delay_alu instid0(VALU_DEP_1)
	v_cmp_gt_u32_e64 s0, s6, v10
	s_and_saveexec_b32 s2, s0
	s_cbranch_execz .LBB153_18
; %bb.17:
	v_dual_mov_b32 v31, 0 :: v_dual_add_nc_u32 v30, v10, v29
	s_delay_alu instid0(VALU_DEP_1) | instskip(SKIP_1) | instid1(VALU_DEP_1)
	v_lshlrev_b64_e32 v[30:31], 1, v[30:31]
	s_wait_kmcnt 0x0
	v_add_co_u32 v30, s1, s8, v30
	s_wait_alu 0xf1ff
	s_delay_alu instid0(VALU_DEP_2)
	v_add_co_ci_u32_e64 v31, null, s9, v31, s1
	global_store_b16 v[30:31], v11, off
.LBB153_18:
	s_wait_alu 0xfffe
	s_or_b32 exec_lo, exec_lo, s2
	v_add_nc_u32_e32 v11, 64, v9
	s_delay_alu instid0(VALU_DEP_1)
	v_cmp_gt_u32_e64 s1, s6, v11
	s_and_saveexec_b32 s3, s1
	s_cbranch_execz .LBB153_20
; %bb.19:
	v_dual_mov_b32 v31, 0 :: v_dual_add_nc_u32 v30, v11, v29
	s_delay_alu instid0(VALU_DEP_1) | instskip(SKIP_1) | instid1(VALU_DEP_1)
	v_lshlrev_b64_e32 v[30:31], 1, v[30:31]
	s_wait_kmcnt 0x0
	v_add_co_u32 v30, s2, s8, v30
	s_wait_alu 0xf1ff
	s_delay_alu instid0(VALU_DEP_2)
	v_add_co_ci_u32_e64 v31, null, s9, v31, s2
	global_store_b16 v[30:31], v2, off
.LBB153_20:
	s_wait_alu 0xfffe
	s_or_b32 exec_lo, exec_lo, s3
	v_add_nc_u32_e32 v12, 0x60, v9
	s_delay_alu instid0(VALU_DEP_1)
	v_cmp_gt_u32_e64 s2, s6, v12
	s_and_saveexec_b32 s5, s2
	s_cbranch_execz .LBB153_22
; %bb.21:
	v_dual_mov_b32 v30, 0 :: v_dual_add_nc_u32 v29, v12, v29
	s_delay_alu instid0(VALU_DEP_1) | instskip(SKIP_1) | instid1(VALU_DEP_1)
	v_lshlrev_b64_e32 v[29:30], 1, v[29:30]
	s_wait_kmcnt 0x0
	v_add_co_u32 v29, s3, s8, v29
	s_wait_alu 0xf1ff
	s_delay_alu instid0(VALU_DEP_2)
	v_add_co_ci_u32_e64 v30, null, s9, v30, s3
	global_store_b16 v[29:30], v33, off
.LBB153_22:
	s_wait_alu 0xfffe
	s_or_b32 exec_lo, exec_lo, s5
	v_add3_u32 v29, v4, s7, 8
	s_delay_alu instid0(VALU_DEP_1)
	v_cmp_gt_u32_e64 s3, s4, v29
	s_and_b32 exec_lo, exec_lo, s3
	s_cbranch_execz .LBB153_12
; %bb.23:
	v_mul_lo_u32 v29, v29, s6
	s_and_saveexec_b32 s5, vcc_lo
	s_cbranch_execnz .LBB153_63
; %bb.24:
	s_wait_alu 0xfffe
	s_or_b32 exec_lo, exec_lo, s5
	s_and_saveexec_b32 s5, s0
	s_cbranch_execnz .LBB153_64
.LBB153_25:
	s_wait_alu 0xfffe
	s_or_b32 exec_lo, exec_lo, s5
	s_and_saveexec_b32 s5, s1
	s_cbranch_execnz .LBB153_65
.LBB153_26:
	s_wait_alu 0xfffe
	s_or_b32 exec_lo, exec_lo, s5
	s_and_saveexec_b32 s5, s2
	s_cbranch_execz .LBB153_28
.LBB153_27:
	v_dual_mov_b32 v28, 0 :: v_dual_add_nc_u32 v27, v29, v12
	s_delay_alu instid0(VALU_DEP_1) | instskip(SKIP_1) | instid1(VALU_DEP_1)
	v_lshlrev_b64_e32 v[27:28], 1, v[27:28]
	s_wait_kmcnt 0x0
	v_add_co_u32 v27, s3, s8, v27
	s_wait_alu 0xf1ff
	s_delay_alu instid0(VALU_DEP_2)
	v_add_co_ci_u32_e64 v28, null, s9, v28, s3
	global_store_b16 v[27:28], v26, off
.LBB153_28:
	s_wait_alu 0xfffe
	s_or_b32 exec_lo, exec_lo, s5
	v_add3_u32 v26, v4, s7, 16
	s_delay_alu instid0(VALU_DEP_1)
	v_cmp_gt_u32_e64 s3, s4, v26
	s_and_b32 exec_lo, exec_lo, s3
	s_cbranch_execz .LBB153_12
; %bb.29:
	v_mul_lo_u32 v26, v26, s6
	s_and_saveexec_b32 s5, vcc_lo
	s_cbranch_execnz .LBB153_66
; %bb.30:
	s_wait_alu 0xfffe
	s_or_b32 exec_lo, exec_lo, s5
	s_and_saveexec_b32 s5, s0
	s_cbranch_execnz .LBB153_67
.LBB153_31:
	s_wait_alu 0xfffe
	s_or_b32 exec_lo, exec_lo, s5
	s_and_saveexec_b32 s5, s1
	s_cbranch_execnz .LBB153_68
.LBB153_32:
	s_wait_alu 0xfffe
	s_or_b32 exec_lo, exec_lo, s5
	s_and_saveexec_b32 s5, s2
	s_cbranch_execz .LBB153_34
.LBB153_33:
	v_dual_mov_b32 v25, 0 :: v_dual_add_nc_u32 v24, v26, v12
	s_delay_alu instid0(VALU_DEP_1) | instskip(SKIP_1) | instid1(VALU_DEP_1)
	v_lshlrev_b64_e32 v[24:25], 1, v[24:25]
	s_wait_kmcnt 0x0
	v_add_co_u32 v24, s3, s8, v24
	s_wait_alu 0xf1ff
	s_delay_alu instid0(VALU_DEP_2)
	v_add_co_ci_u32_e64 v25, null, s9, v25, s3
	global_store_b16 v[24:25], v23, off
.LBB153_34:
	s_wait_alu 0xfffe
	s_or_b32 exec_lo, exec_lo, s5
	v_add3_u32 v23, v4, s7, 24
	s_delay_alu instid0(VALU_DEP_1)
	v_cmp_gt_u32_e64 s3, s4, v23
	s_and_b32 exec_lo, exec_lo, s3
	s_cbranch_execz .LBB153_12
; %bb.35:
	v_mul_lo_u32 v23, v23, s6
	s_and_saveexec_b32 s5, vcc_lo
	s_cbranch_execnz .LBB153_69
; %bb.36:
	s_wait_alu 0xfffe
	s_or_b32 exec_lo, exec_lo, s5
	s_and_saveexec_b32 s5, s0
	s_cbranch_execnz .LBB153_70
.LBB153_37:
	s_wait_alu 0xfffe
	s_or_b32 exec_lo, exec_lo, s5
	s_and_saveexec_b32 s5, s1
	s_cbranch_execnz .LBB153_71
.LBB153_38:
	s_wait_alu 0xfffe
	s_or_b32 exec_lo, exec_lo, s5
	s_and_saveexec_b32 s5, s2
	s_cbranch_execz .LBB153_40
.LBB153_39:
	v_dual_mov_b32 v21, 0 :: v_dual_add_nc_u32 v20, v23, v12
	s_delay_alu instid0(VALU_DEP_1) | instskip(SKIP_1) | instid1(VALU_DEP_1)
	v_lshlrev_b64_e32 v[20:21], 1, v[20:21]
	s_wait_kmcnt 0x0
	v_add_co_u32 v20, s3, s8, v20
	s_wait_alu 0xf1ff
	s_delay_alu instid0(VALU_DEP_2)
	v_add_co_ci_u32_e64 v21, null, s9, v21, s3
	global_store_b16 v[20:21], v19, off
.LBB153_40:
	s_wait_alu 0xfffe
	s_or_b32 exec_lo, exec_lo, s5
	v_add3_u32 v19, v4, s7, 32
	s_delay_alu instid0(VALU_DEP_1)
	v_cmp_gt_u32_e64 s3, s4, v19
	s_and_b32 exec_lo, exec_lo, s3
	s_cbranch_execz .LBB153_12
; %bb.41:
	v_mul_lo_u32 v19, v19, s6
	s_and_saveexec_b32 s5, vcc_lo
	s_cbranch_execnz .LBB153_72
; %bb.42:
	s_wait_alu 0xfffe
	s_or_b32 exec_lo, exec_lo, s5
	s_and_saveexec_b32 s5, s0
	s_cbranch_execnz .LBB153_73
.LBB153_43:
	s_wait_alu 0xfffe
	s_or_b32 exec_lo, exec_lo, s5
	s_and_saveexec_b32 s5, s1
	s_cbranch_execnz .LBB153_74
.LBB153_44:
	s_wait_alu 0xfffe
	s_or_b32 exec_lo, exec_lo, s5
	s_and_saveexec_b32 s5, s2
	s_cbranch_execz .LBB153_46
.LBB153_45:
	v_dual_mov_b32 v18, 0 :: v_dual_add_nc_u32 v17, v19, v12
	s_delay_alu instid0(VALU_DEP_1) | instskip(SKIP_1) | instid1(VALU_DEP_1)
	v_lshlrev_b64_e32 v[17:18], 1, v[17:18]
	s_wait_kmcnt 0x0
	v_add_co_u32 v17, s3, s8, v17
	s_wait_alu 0xf1ff
	s_delay_alu instid0(VALU_DEP_2)
	v_add_co_ci_u32_e64 v18, null, s9, v18, s3
	global_store_b16 v[17:18], v16, off
.LBB153_46:
	s_wait_alu 0xfffe
	s_or_b32 exec_lo, exec_lo, s5
	v_add3_u32 v16, v4, s7, 40
	s_delay_alu instid0(VALU_DEP_1)
	v_cmp_gt_u32_e64 s3, s4, v16
	s_and_b32 exec_lo, exec_lo, s3
	s_cbranch_execz .LBB153_12
; %bb.47:
	v_mul_lo_u32 v16, v16, s6
	s_and_saveexec_b32 s5, vcc_lo
	s_cbranch_execnz .LBB153_75
; %bb.48:
	s_wait_alu 0xfffe
	s_or_b32 exec_lo, exec_lo, s5
	s_and_saveexec_b32 s5, s0
	s_cbranch_execnz .LBB153_76
.LBB153_49:
	s_wait_alu 0xfffe
	s_or_b32 exec_lo, exec_lo, s5
	s_and_saveexec_b32 s5, s1
	s_cbranch_execnz .LBB153_77
.LBB153_50:
	s_wait_alu 0xfffe
	s_or_b32 exec_lo, exec_lo, s5
	s_and_saveexec_b32 s5, s2
	s_cbranch_execz .LBB153_52
.LBB153_51:
	v_dual_mov_b32 v14, 0 :: v_dual_add_nc_u32 v13, v16, v12
	s_delay_alu instid0(VALU_DEP_1) | instskip(SKIP_1) | instid1(VALU_DEP_1)
	v_lshlrev_b64_e32 v[13:14], 1, v[13:14]
	s_wait_kmcnt 0x0
	v_add_co_u32 v13, s3, s8, v13
	s_wait_alu 0xf1ff
	s_delay_alu instid0(VALU_DEP_2)
	v_add_co_ci_u32_e64 v14, null, s9, v14, s3
	global_store_b16 v[13:14], v8, off
.LBB153_52:
	s_wait_alu 0xfffe
	s_or_b32 exec_lo, exec_lo, s5
	v_add3_u32 v8, v4, s7, 48
	s_delay_alu instid0(VALU_DEP_1)
	v_cmp_gt_u32_e64 s3, s4, v8
	s_and_b32 exec_lo, exec_lo, s3
	s_cbranch_execz .LBB153_12
; %bb.53:
	v_mul_lo_u32 v8, v8, s6
	s_and_saveexec_b32 s5, vcc_lo
	s_cbranch_execnz .LBB153_78
; %bb.54:
	s_wait_alu 0xfffe
	s_or_b32 exec_lo, exec_lo, s5
	s_and_saveexec_b32 s5, s0
	s_cbranch_execnz .LBB153_79
.LBB153_55:
	s_wait_alu 0xfffe
	s_or_b32 exec_lo, exec_lo, s5
	s_and_saveexec_b32 s5, s1
	s_cbranch_execnz .LBB153_80
.LBB153_56:
	s_wait_alu 0xfffe
	s_or_b32 exec_lo, exec_lo, s5
	s_and_saveexec_b32 s5, s2
	s_cbranch_execz .LBB153_58
.LBB153_57:
	v_dual_mov_b32 v7, 0 :: v_dual_add_nc_u32 v6, v8, v12
	s_delay_alu instid0(VALU_DEP_1) | instskip(SKIP_1) | instid1(VALU_DEP_1)
	v_lshlrev_b64_e32 v[6:7], 1, v[6:7]
	s_wait_kmcnt 0x0
	v_add_co_u32 v6, s3, s8, v6
	s_wait_alu 0xf1ff
	s_delay_alu instid0(VALU_DEP_2)
	v_add_co_ci_u32_e64 v7, null, s9, v7, s3
	global_store_b16 v[6:7], v5, off
.LBB153_58:
	s_wait_alu 0xfffe
	s_or_b32 exec_lo, exec_lo, s5
	v_add3_u32 v4, v4, s7, 56
	s_delay_alu instid0(VALU_DEP_1)
	v_cmp_gt_u32_e64 s3, s4, v4
	s_and_b32 exec_lo, exec_lo, s3
	s_cbranch_execz .LBB153_12
; %bb.59:
	v_mul_lo_u32 v4, v4, s6
	s_and_saveexec_b32 s3, vcc_lo
	s_cbranch_execnz .LBB153_81
; %bb.60:
	s_wait_alu 0xfffe
	s_or_b32 exec_lo, exec_lo, s3
	s_and_saveexec_b32 s3, s0
	s_cbranch_execnz .LBB153_82
.LBB153_61:
	s_wait_alu 0xfffe
	s_or_b32 exec_lo, exec_lo, s3
	s_and_saveexec_b32 s0, s1
	s_cbranch_execnz .LBB153_83
.LBB153_62:
	s_wait_alu 0xfffe
	s_or_b32 exec_lo, exec_lo, s0
	s_delay_alu instid0(SALU_CYCLE_1)
	s_and_b32 exec_lo, exec_lo, s2
	s_cbranch_execz .LBB153_12
	s_branch .LBB153_84
.LBB153_63:
	s_delay_alu instid0(VALU_DEP_1) | instskip(NEXT) | instid1(VALU_DEP_1)
	v_dual_mov_b32 v31, 0 :: v_dual_add_nc_u32 v30, v29, v9
	v_lshlrev_b64_e32 v[30:31], 1, v[30:31]
	s_wait_kmcnt 0x0
	s_delay_alu instid0(VALU_DEP_1) | instskip(SKIP_1) | instid1(VALU_DEP_2)
	v_add_co_u32 v30, s3, s8, v30
	s_wait_alu 0xf1ff
	v_add_co_ci_u32_e64 v31, null, s9, v31, s3
	global_store_d16_hi_b16 v[30:31], v28, off
	s_wait_alu 0xfffe
	s_or_b32 exec_lo, exec_lo, s5
	s_and_saveexec_b32 s5, s0
	s_cbranch_execz .LBB153_25
.LBB153_64:
	s_delay_alu instid0(VALU_DEP_1) | instskip(NEXT) | instid1(VALU_DEP_1)
	v_dual_mov_b32 v31, 0 :: v_dual_add_nc_u32 v30, v29, v10
	v_lshlrev_b64_e32 v[30:31], 1, v[30:31]
	s_wait_kmcnt 0x0
	s_delay_alu instid0(VALU_DEP_1) | instskip(SKIP_1) | instid1(VALU_DEP_2)
	v_add_co_u32 v30, s3, s8, v30
	s_wait_alu 0xf1ff
	v_add_co_ci_u32_e64 v31, null, s9, v31, s3
	global_store_b16 v[30:31], v37, off
	s_wait_alu 0xfffe
	s_or_b32 exec_lo, exec_lo, s5
	s_and_saveexec_b32 s5, s1
	s_cbranch_execz .LBB153_26
.LBB153_65:
	v_dual_mov_b32 v31, 0 :: v_dual_add_nc_u32 v30, v29, v11
	s_delay_alu instid0(VALU_DEP_1) | instskip(SKIP_1) | instid1(VALU_DEP_1)
	v_lshlrev_b64_e32 v[30:31], 1, v[30:31]
	s_wait_kmcnt 0x0
	v_add_co_u32 v30, s3, s8, v30
	s_wait_alu 0xf1ff
	s_delay_alu instid0(VALU_DEP_2)
	v_add_co_ci_u32_e64 v31, null, s9, v31, s3
	global_store_b16 v[30:31], v27, off
	s_wait_alu 0xfffe
	s_or_b32 exec_lo, exec_lo, s5
	s_and_saveexec_b32 s5, s2
	s_cbranch_execnz .LBB153_27
	s_branch .LBB153_28
.LBB153_66:
	s_delay_alu instid0(VALU_DEP_1) | instskip(NEXT) | instid1(VALU_DEP_1)
	v_dual_mov_b32 v28, 0 :: v_dual_add_nc_u32 v27, v26, v9
	v_lshlrev_b64_e32 v[27:28], 1, v[27:28]
	s_wait_kmcnt 0x0
	s_delay_alu instid0(VALU_DEP_1) | instskip(SKIP_1) | instid1(VALU_DEP_2)
	v_add_co_u32 v27, s3, s8, v27
	s_wait_alu 0xf1ff
	v_add_co_ci_u32_e64 v28, null, s9, v28, s3
	global_store_b16 v[27:28], v21, off
	s_wait_alu 0xfffe
	s_or_b32 exec_lo, exec_lo, s5
	s_and_saveexec_b32 s5, s0
	s_cbranch_execz .LBB153_31
.LBB153_67:
	s_delay_alu instid0(VALU_DEP_1) | instskip(NEXT) | instid1(VALU_DEP_1)
	v_dual_mov_b32 v28, 0 :: v_dual_add_nc_u32 v27, v26, v10
	v_lshlrev_b64_e32 v[27:28], 1, v[27:28]
	s_wait_kmcnt 0x0
	s_delay_alu instid0(VALU_DEP_1) | instskip(SKIP_1) | instid1(VALU_DEP_2)
	v_add_co_u32 v27, s3, s8, v27
	s_wait_alu 0xf1ff
	v_add_co_ci_u32_e64 v28, null, s9, v28, s3
	global_store_b16 v[27:28], v25, off
	s_wait_alu 0xfffe
	s_or_b32 exec_lo, exec_lo, s5
	s_and_saveexec_b32 s5, s1
	s_cbranch_execz .LBB153_32
.LBB153_68:
	v_dual_mov_b32 v28, 0 :: v_dual_add_nc_u32 v27, v26, v11
	s_delay_alu instid0(VALU_DEP_1) | instskip(SKIP_1) | instid1(VALU_DEP_1)
	v_lshlrev_b64_e32 v[27:28], 1, v[27:28]
	s_wait_kmcnt 0x0
	v_add_co_u32 v27, s3, s8, v27
	s_wait_alu 0xf1ff
	s_delay_alu instid0(VALU_DEP_2)
	v_add_co_ci_u32_e64 v28, null, s9, v28, s3
	global_store_b16 v[27:28], v24, off
	s_wait_alu 0xfffe
	s_or_b32 exec_lo, exec_lo, s5
	s_and_saveexec_b32 s5, s2
	s_cbranch_execnz .LBB153_33
	s_branch .LBB153_34
.LBB153_69:
	s_delay_alu instid0(VALU_DEP_1) | instskip(NEXT) | instid1(VALU_DEP_1)
	v_dual_mov_b32 v25, 0 :: v_dual_add_nc_u32 v24, v23, v9
	v_lshlrev_b64_e32 v[24:25], 1, v[24:25]
	s_wait_kmcnt 0x0
	s_delay_alu instid0(VALU_DEP_1) | instskip(SKIP_1) | instid1(VALU_DEP_2)
	v_add_co_u32 v24, s3, s8, v24
	s_wait_alu 0xf1ff
	v_add_co_ci_u32_e64 v25, null, s9, v25, s3
	global_store_d16_hi_b16 v[24:25], v21, off
	s_wait_alu 0xfffe
	s_or_b32 exec_lo, exec_lo, s5
	s_and_saveexec_b32 s5, s0
	s_cbranch_execz .LBB153_37
.LBB153_70:
	s_delay_alu instid0(VALU_DEP_1) | instskip(NEXT) | instid1(VALU_DEP_1)
	v_dual_mov_b32 v25, 0 :: v_dual_add_nc_u32 v24, v23, v10
	v_lshlrev_b64_e32 v[24:25], 1, v[24:25]
	s_wait_kmcnt 0x0
	s_delay_alu instid0(VALU_DEP_1) | instskip(SKIP_1) | instid1(VALU_DEP_2)
	v_add_co_u32 v24, s3, s8, v24
	s_wait_alu 0xf1ff
	v_add_co_ci_u32_e64 v25, null, s9, v25, s3
	global_store_b16 v[24:25], v22, off
	s_wait_alu 0xfffe
	s_or_b32 exec_lo, exec_lo, s5
	s_and_saveexec_b32 s5, s1
	s_cbranch_execz .LBB153_38
.LBB153_71:
	v_dual_mov_b32 v22, 0 :: v_dual_add_nc_u32 v21, v23, v11
	s_delay_alu instid0(VALU_DEP_1) | instskip(SKIP_1) | instid1(VALU_DEP_1)
	v_lshlrev_b64_e32 v[21:22], 1, v[21:22]
	s_wait_kmcnt 0x0
	v_add_co_u32 v21, s3, s8, v21
	s_wait_alu 0xf1ff
	s_delay_alu instid0(VALU_DEP_2)
	v_add_co_ci_u32_e64 v22, null, s9, v22, s3
	global_store_b16 v[21:22], v20, off
	s_wait_alu 0xfffe
	s_or_b32 exec_lo, exec_lo, s5
	s_and_saveexec_b32 s5, s2
	s_cbranch_execnz .LBB153_39
	s_branch .LBB153_40
.LBB153_72:
	s_delay_alu instid0(VALU_DEP_1) | instskip(NEXT) | instid1(VALU_DEP_1)
	v_dual_mov_b32 v21, 0 :: v_dual_add_nc_u32 v20, v19, v9
	v_lshlrev_b64_e32 v[20:21], 1, v[20:21]
	s_wait_kmcnt 0x0
	s_delay_alu instid0(VALU_DEP_1) | instskip(SKIP_1) | instid1(VALU_DEP_2)
	v_add_co_u32 v20, s3, s8, v20
	s_wait_alu 0xf1ff
	v_add_co_ci_u32_e64 v21, null, s9, v21, s3
	global_store_b16 v[20:21], v14, off
	s_wait_alu 0xfffe
	s_or_b32 exec_lo, exec_lo, s5
	s_and_saveexec_b32 s5, s0
	s_cbranch_execz .LBB153_43
.LBB153_73:
	s_delay_alu instid0(VALU_DEP_1) | instskip(NEXT) | instid1(VALU_DEP_1)
	v_dual_mov_b32 v21, 0 :: v_dual_add_nc_u32 v20, v19, v10
	v_lshlrev_b64_e32 v[20:21], 1, v[20:21]
	s_wait_kmcnt 0x0
	s_delay_alu instid0(VALU_DEP_1) | instskip(SKIP_1) | instid1(VALU_DEP_2)
	v_add_co_u32 v20, s3, s8, v20
	s_wait_alu 0xf1ff
	v_add_co_ci_u32_e64 v21, null, s9, v21, s3
	global_store_b16 v[20:21], v18, off
	s_wait_alu 0xfffe
	s_or_b32 exec_lo, exec_lo, s5
	s_and_saveexec_b32 s5, s1
	s_cbranch_execz .LBB153_44
.LBB153_74:
	v_dual_mov_b32 v21, 0 :: v_dual_add_nc_u32 v20, v19, v11
	s_delay_alu instid0(VALU_DEP_1) | instskip(SKIP_1) | instid1(VALU_DEP_1)
	v_lshlrev_b64_e32 v[20:21], 1, v[20:21]
	s_wait_kmcnt 0x0
	v_add_co_u32 v20, s3, s8, v20
	s_wait_alu 0xf1ff
	s_delay_alu instid0(VALU_DEP_2)
	v_add_co_ci_u32_e64 v21, null, s9, v21, s3
	global_store_b16 v[20:21], v17, off
	s_wait_alu 0xfffe
	s_or_b32 exec_lo, exec_lo, s5
	s_and_saveexec_b32 s5, s2
	s_cbranch_execnz .LBB153_45
	s_branch .LBB153_46
.LBB153_75:
	s_delay_alu instid0(VALU_DEP_1) | instskip(NEXT) | instid1(VALU_DEP_1)
	v_dual_mov_b32 v18, 0 :: v_dual_add_nc_u32 v17, v16, v9
	v_lshlrev_b64_e32 v[17:18], 1, v[17:18]
	s_wait_kmcnt 0x0
	s_delay_alu instid0(VALU_DEP_1) | instskip(SKIP_1) | instid1(VALU_DEP_2)
	v_add_co_u32 v17, s3, s8, v17
	s_wait_alu 0xf1ff
	v_add_co_ci_u32_e64 v18, null, s9, v18, s3
	global_store_d16_hi_b16 v[17:18], v14, off
	s_wait_alu 0xfffe
	s_or_b32 exec_lo, exec_lo, s5
	s_and_saveexec_b32 s5, s0
	s_cbranch_execz .LBB153_49
.LBB153_76:
	s_delay_alu instid0(VALU_DEP_1) | instskip(NEXT) | instid1(VALU_DEP_1)
	v_dual_mov_b32 v18, 0 :: v_dual_add_nc_u32 v17, v16, v10
	v_lshlrev_b64_e32 v[17:18], 1, v[17:18]
	s_wait_kmcnt 0x0
	s_delay_alu instid0(VALU_DEP_1) | instskip(SKIP_1) | instid1(VALU_DEP_2)
	v_add_co_u32 v17, s3, s8, v17
	s_wait_alu 0xf1ff
	v_add_co_ci_u32_e64 v18, null, s9, v18, s3
	global_store_b16 v[17:18], v15, off
	s_wait_alu 0xfffe
	s_or_b32 exec_lo, exec_lo, s5
	s_and_saveexec_b32 s5, s1
	s_cbranch_execz .LBB153_50
.LBB153_77:
	v_dual_mov_b32 v15, 0 :: v_dual_add_nc_u32 v14, v16, v11
	s_delay_alu instid0(VALU_DEP_1) | instskip(SKIP_1) | instid1(VALU_DEP_1)
	v_lshlrev_b64_e32 v[14:15], 1, v[14:15]
	s_wait_kmcnt 0x0
	v_add_co_u32 v14, s3, s8, v14
	s_wait_alu 0xf1ff
	s_delay_alu instid0(VALU_DEP_2)
	v_add_co_ci_u32_e64 v15, null, s9, v15, s3
	global_store_b16 v[14:15], v13, off
	s_wait_alu 0xfffe
	s_or_b32 exec_lo, exec_lo, s5
	s_and_saveexec_b32 s5, s2
	s_cbranch_execnz .LBB153_51
	s_branch .LBB153_52
.LBB153_78:
	s_delay_alu instid0(VALU_DEP_1) | instskip(NEXT) | instid1(VALU_DEP_1)
	v_dual_mov_b32 v14, 0 :: v_dual_add_nc_u32 v13, v8, v9
	v_lshlrev_b64_e32 v[13:14], 1, v[13:14]
	s_wait_kmcnt 0x0
	s_delay_alu instid0(VALU_DEP_1) | instskip(SKIP_1) | instid1(VALU_DEP_2)
	v_add_co_u32 v13, s3, s8, v13
	s_wait_alu 0xf1ff
	v_add_co_ci_u32_e64 v14, null, s9, v14, s3
	global_store_b16 v[13:14], v3, off
	s_wait_alu 0xfffe
	s_or_b32 exec_lo, exec_lo, s5
	s_and_saveexec_b32 s5, s0
	s_cbranch_execz .LBB153_55
.LBB153_79:
	s_delay_alu instid0(VALU_DEP_1) | instskip(NEXT) | instid1(VALU_DEP_1)
	v_dual_mov_b32 v14, 0 :: v_dual_add_nc_u32 v13, v8, v10
	v_lshlrev_b64_e32 v[13:14], 1, v[13:14]
	s_wait_kmcnt 0x0
	s_delay_alu instid0(VALU_DEP_1) | instskip(SKIP_1) | instid1(VALU_DEP_2)
	v_add_co_u32 v13, s3, s8, v13
	s_wait_alu 0xf1ff
	v_add_co_ci_u32_e64 v14, null, s9, v14, s3
	global_store_b16 v[13:14], v7, off
	s_wait_alu 0xfffe
	s_or_b32 exec_lo, exec_lo, s5
	s_and_saveexec_b32 s5, s1
	s_cbranch_execz .LBB153_56
.LBB153_80:
	v_dual_mov_b32 v14, 0 :: v_dual_add_nc_u32 v13, v8, v11
	s_delay_alu instid0(VALU_DEP_1) | instskip(SKIP_1) | instid1(VALU_DEP_1)
	v_lshlrev_b64_e32 v[13:14], 1, v[13:14]
	s_wait_kmcnt 0x0
	v_add_co_u32 v13, s3, s8, v13
	s_wait_alu 0xf1ff
	s_delay_alu instid0(VALU_DEP_2)
	v_add_co_ci_u32_e64 v14, null, s9, v14, s3
	global_store_b16 v[13:14], v6, off
	s_wait_alu 0xfffe
	s_or_b32 exec_lo, exec_lo, s5
	s_and_saveexec_b32 s5, s2
	s_cbranch_execnz .LBB153_57
	s_branch .LBB153_58
.LBB153_81:
	s_delay_alu instid0(VALU_DEP_1) | instskip(NEXT) | instid1(VALU_DEP_1)
	v_dual_mov_b32 v6, 0 :: v_dual_add_nc_u32 v5, v4, v9
	v_lshlrev_b64_e32 v[5:6], 1, v[5:6]
	s_wait_kmcnt 0x0
	s_delay_alu instid0(VALU_DEP_1) | instskip(SKIP_1) | instid1(VALU_DEP_2)
	v_add_co_u32 v5, vcc_lo, s8, v5
	s_wait_alu 0xfffd
	v_add_co_ci_u32_e64 v6, null, s9, v6, vcc_lo
	global_store_d16_hi_b16 v[5:6], v3, off
	s_wait_alu 0xfffe
	s_or_b32 exec_lo, exec_lo, s3
	s_and_saveexec_b32 s3, s0
	s_cbranch_execz .LBB153_61
.LBB153_82:
	s_delay_alu instid0(VALU_DEP_1) | instskip(NEXT) | instid1(VALU_DEP_1)
	v_dual_mov_b32 v6, 0 :: v_dual_add_nc_u32 v5, v4, v10
	v_lshlrev_b64_e32 v[5:6], 1, v[5:6]
	s_wait_kmcnt 0x0
	s_delay_alu instid0(VALU_DEP_1) | instskip(SKIP_1) | instid1(VALU_DEP_2)
	v_add_co_u32 v5, vcc_lo, s8, v5
	s_wait_alu 0xfffd
	v_add_co_ci_u32_e64 v6, null, s9, v6, vcc_lo
	global_store_d16_hi_b16 v[5:6], v2, off
	s_wait_alu 0xfffe
	s_or_b32 exec_lo, exec_lo, s3
	s_and_saveexec_b32 s0, s1
	s_cbranch_execz .LBB153_62
.LBB153_83:
	v_dual_mov_b32 v3, 0 :: v_dual_add_nc_u32 v2, v4, v11
	s_delay_alu instid0(VALU_DEP_1) | instskip(SKIP_1) | instid1(VALU_DEP_1)
	v_lshlrev_b64_e32 v[2:3], 1, v[2:3]
	s_wait_kmcnt 0x0
	v_add_co_u32 v2, vcc_lo, s8, v2
	s_wait_alu 0xfffd
	s_delay_alu instid0(VALU_DEP_2) | instskip(SKIP_3) | instid1(SALU_CYCLE_1)
	v_add_co_ci_u32_e64 v3, null, s9, v3, vcc_lo
	global_store_b16 v[2:3], v1, off
	s_wait_alu 0xfffe
	s_or_b32 exec_lo, exec_lo, s0
	s_and_b32 exec_lo, exec_lo, s2
	s_cbranch_execz .LBB153_12
.LBB153_84:
	v_dual_mov_b32 v2, 0 :: v_dual_add_nc_u32 v1, v4, v12
	s_delay_alu instid0(VALU_DEP_1) | instskip(SKIP_1) | instid1(VALU_DEP_1)
	v_lshlrev_b64_e32 v[1:2], 1, v[1:2]
	s_wait_kmcnt 0x0
	v_add_co_u32 v1, vcc_lo, s8, v1
	s_wait_alu 0xfffd
	s_delay_alu instid0(VALU_DEP_2)
	v_add_co_ci_u32_e64 v2, null, s9, v2, vcc_lo
	global_store_b16 v[1:2], v0, off
	s_nop 0
	s_sendmsg sendmsg(MSG_DEALLOC_VGPRS)
	s_endpgm
	.section	.rodata,"a",@progbits
	.p2align	6, 0x0
	.amdhsa_kernel _ZL12mul_mat_q5_KIN3c104HalfELb0EEvPKvS3_PT_iiiii
		.amdhsa_group_segment_fixed_size 45136
		.amdhsa_private_segment_fixed_size 420
		.amdhsa_kernarg_size 44
		.amdhsa_user_sgpr_count 2
		.amdhsa_user_sgpr_dispatch_ptr 0
		.amdhsa_user_sgpr_queue_ptr 0
		.amdhsa_user_sgpr_kernarg_segment_ptr 1
		.amdhsa_user_sgpr_dispatch_id 0
		.amdhsa_user_sgpr_private_segment_size 0
		.amdhsa_wavefront_size32 1
		.amdhsa_uses_dynamic_stack 0
		.amdhsa_enable_private_segment 1
		.amdhsa_system_sgpr_workgroup_id_x 1
		.amdhsa_system_sgpr_workgroup_id_y 1
		.amdhsa_system_sgpr_workgroup_id_z 0
		.amdhsa_system_sgpr_workgroup_info 0
		.amdhsa_system_vgpr_workitem_id 1
		.amdhsa_next_free_vgpr 256
		.amdhsa_next_free_sgpr 19
		.amdhsa_reserve_vcc 1
		.amdhsa_float_round_mode_32 0
		.amdhsa_float_round_mode_16_64 0
		.amdhsa_float_denorm_mode_32 3
		.amdhsa_float_denorm_mode_16_64 3
		.amdhsa_fp16_overflow 0
		.amdhsa_workgroup_processor_mode 1
		.amdhsa_memory_ordered 1
		.amdhsa_forward_progress 1
		.amdhsa_inst_pref_size 249
		.amdhsa_round_robin_scheduling 0
		.amdhsa_exception_fp_ieee_invalid_op 0
		.amdhsa_exception_fp_denorm_src 0
		.amdhsa_exception_fp_ieee_div_zero 0
		.amdhsa_exception_fp_ieee_overflow 0
		.amdhsa_exception_fp_ieee_underflow 0
		.amdhsa_exception_fp_ieee_inexact 0
		.amdhsa_exception_int_div_zero 0
	.end_amdhsa_kernel
	.section	.text._ZL12mul_mat_q5_KIN3c104HalfELb0EEvPKvS3_PT_iiiii,"axG",@progbits,_ZL12mul_mat_q5_KIN3c104HalfELb0EEvPKvS3_PT_iiiii,comdat
.Lfunc_end153:
	.size	_ZL12mul_mat_q5_KIN3c104HalfELb0EEvPKvS3_PT_iiiii, .Lfunc_end153-_ZL12mul_mat_q5_KIN3c104HalfELb0EEvPKvS3_PT_iiiii
                                        ; -- End function
	.set _ZL12mul_mat_q5_KIN3c104HalfELb0EEvPKvS3_PT_iiiii.num_vgpr, 256
	.set _ZL12mul_mat_q5_KIN3c104HalfELb0EEvPKvS3_PT_iiiii.num_agpr, 0
	.set _ZL12mul_mat_q5_KIN3c104HalfELb0EEvPKvS3_PT_iiiii.numbered_sgpr, 19
	.set _ZL12mul_mat_q5_KIN3c104HalfELb0EEvPKvS3_PT_iiiii.num_named_barrier, 0
	.set _ZL12mul_mat_q5_KIN3c104HalfELb0EEvPKvS3_PT_iiiii.private_seg_size, 420
	.set _ZL12mul_mat_q5_KIN3c104HalfELb0EEvPKvS3_PT_iiiii.uses_vcc, 1
	.set _ZL12mul_mat_q5_KIN3c104HalfELb0EEvPKvS3_PT_iiiii.uses_flat_scratch, 1
	.set _ZL12mul_mat_q5_KIN3c104HalfELb0EEvPKvS3_PT_iiiii.has_dyn_sized_stack, 0
	.set _ZL12mul_mat_q5_KIN3c104HalfELb0EEvPKvS3_PT_iiiii.has_recursion, 0
	.set _ZL12mul_mat_q5_KIN3c104HalfELb0EEvPKvS3_PT_iiiii.has_indirect_call, 0
	.section	.AMDGPU.csdata,"",@progbits
; Kernel info:
; codeLenInByte = 31772
; TotalNumSgprs: 21
; NumVgprs: 256
; ScratchSize: 420
; MemoryBound: 0
; FloatMode: 240
; IeeeMode: 1
; LDSByteSize: 45136 bytes/workgroup (compile time only)
; SGPRBlocks: 0
; VGPRBlocks: 31
; NumSGPRsForWavesPerEU: 21
; NumVGPRsForWavesPerEU: 256
; Occupancy: 4
; WaveLimiterHint : 0
; COMPUTE_PGM_RSRC2:SCRATCH_EN: 1
; COMPUTE_PGM_RSRC2:USER_SGPR: 2
; COMPUTE_PGM_RSRC2:TRAP_HANDLER: 0
; COMPUTE_PGM_RSRC2:TGID_X_EN: 1
; COMPUTE_PGM_RSRC2:TGID_Y_EN: 1
; COMPUTE_PGM_RSRC2:TGID_Z_EN: 0
; COMPUTE_PGM_RSRC2:TIDIG_COMP_CNT: 1
	.section	.text._ZL12mul_mat_q5_KIN3c104HalfELb1EEvPKvS3_PT_iiiii,"axG",@progbits,_ZL12mul_mat_q5_KIN3c104HalfELb1EEvPKvS3_PT_iiiii,comdat
	.globl	_ZL12mul_mat_q5_KIN3c104HalfELb1EEvPKvS3_PT_iiiii ; -- Begin function _ZL12mul_mat_q5_KIN3c104HalfELb1EEvPKvS3_PT_iiiii
	.p2align	8
	.type	_ZL12mul_mat_q5_KIN3c104HalfELb1EEvPKvS3_PT_iiiii,@function
_ZL12mul_mat_q5_KIN3c104HalfELb1EEvPKvS3_PT_iiiii: ; @_ZL12mul_mat_q5_KIN3c104HalfELb1EEvPKvS3_PT_iiiii
; %bb.0:
	s_clause 0x1
	s_load_b128 s[4:7], s[0:1], 0x18
	s_load_b32 s14, s[0:1], 0x28
	v_bfe_u32 v8, v0, 10, 10
	v_and_b32_e32 v36, 0x3ff, v0
	s_lshl_b32 s15, ttmp7, 6
	s_wait_kmcnt 0x0
	s_cmp_gt_i32 s4, 0xff
	s_cbranch_scc1 .LBB154_2
; %bb.1:
	v_bfe_u32 v4, v0, 10, 10
	v_and_b32_e32 v9, 0x3ff, v0
	s_mov_b32 s2, 0
	s_delay_alu instid0(VALU_DEP_2)
	v_add_nc_u32_e32 v10, s15, v4
	s_branch .LBB154_3
.LBB154_2:
	s_mov_b32 s2, -1
                                        ; implicit-def: $vgpr4
                                        ; implicit-def: $vgpr9
                                        ; implicit-def: $vgpr10
.LBB154_3:
	s_load_b64 s[8:9], s[0:1], 0x10
	s_lshl_b32 s16, ttmp9, 7
	s_and_not1_b32 vcc_lo, exec_lo, s2
	s_mov_b32 s11, 0
	s_cbranch_vccnz .LBB154_11
; %bb.4:
	v_bfe_u32 v22, v0, 2, 8
	v_lshlrev_b32_e32 v100, 2, v36
	s_ashr_i32 s10, s4, 31
	v_dual_mov_b32 v98, 0 :: v_dual_lshlrev_b32 v1, 1, v0
	s_lshr_b32 s10, s10, 24
	v_and_b32_e32 v2, 7, v0
	v_and_b32_e32 v4, 6, v22
	;; [unrolled: 1-line block ×3, first 2 shown]
	v_dual_mov_b32 v164, v98 :: v_dual_add_nc_u32 v13, 0x50, v8
	s_add_co_i32 s4, s4, s10
	s_not_b32 s10, s16
	v_and_or_b32 v1, v1, 48, v2
	s_add_co_i32 s5, s5, s10
	v_mov_b32_e32 v99, v98
	v_or_b32_e32 v2, 1, v4
	s_clause 0x1
	scratch_store_b32 off, v3, off offset:148
	scratch_store_b32 off, v4, off offset:144
	v_min_i32_e32 v3, s5, v8
	v_min_i32_e32 v21, s5, v13
	s_ashr_i32 s17, s4, 8
	v_dual_mov_b32 v144, v98 :: v_dual_add_nc_u32 v23, 8, v8
	v_dual_mov_b32 v142, v98 :: v_dual_lshlrev_b32 v1, 2, v1
	s_delay_alu instid0(VALU_DEP_3)
	v_mul_lo_u32 v24, v21, s17
	scratch_store_b32 off, v2, off offset:156 ; 4-byte Folded Spill
	v_mul_lo_u32 v2, v3, s17
	v_dual_mov_b32 v149, v98 :: v_dual_add_nc_u32 v28, 16, v8
	v_dual_mov_b32 v137, v98 :: v_dual_add_nc_u32 v20, s15, v8
	;; [unrolled: 1-line block ×4, first 2 shown]
	s_clause 0x1
	scratch_store_b32 off, v2, off offset:160
	scratch_store_b32 off, v8, off offset:512
	v_min_i32_e32 v2, s5, v23
	v_dual_mov_b32 v168, v98 :: v_dual_add_nc_u32 v31, 40, v8
	v_dual_mov_b32 v173, v98 :: v_dual_add_nc_u32 v32, 48, v8
	s_delay_alu instid0(VALU_DEP_3)
	v_mad_co_u64_u32 v[3:4], null, 0x104, v3, v[1:2]
	v_dual_mov_b32 v146, v98 :: v_dual_add_nc_u32 v33, 56, v8
	s_ashr_i32 s12, s7, 31
	v_dual_mov_b32 v150, v98 :: v_dual_add_nc_u32 v11, 24, v20
	s_lshr_b32 s4, s12, 27
	s_clause 0x1
	scratch_store_b64 off, v[3:4], off offset:164
	scratch_store_b32 off, v36, off offset:516
	v_mul_lo_u32 v4, v2, s17
	v_min_i32_e32 v3, s5, v28
	s_wait_alu 0xfffe
	s_add_co_i32 s4, s7, s4
	s_add_co_i32 s7, s6, -1
	v_dual_mov_b32 v151, v98 :: v_dual_add_nc_u32 v14, 32, v20
	v_dual_mov_b32 v170, v99 :: v_dual_add_nc_u32 v17, 48, v20
	s_clause 0x1
	scratch_store_b32 off, v4, off offset:172
	scratch_store_b32 off, v20, off offset:520
	v_mad_co_u64_u32 v[4:5], null, 0x104, v2, v[1:2]
	v_min_i32_e32 v2, s5, v29
	v_cvt_f64_u32_e32 v[11:12], v11
	v_cvt_f64_u32_e32 v[13:14], v14
	;; [unrolled: 1-line block ×3, first 2 shown]
	v_lshlrev_b32_e32 v101, 5, v8
	s_wait_alu 0xfffe
	s_ashr_i32 s4, s4, 5
	scratch_store_b64 off, v[4:5], off offset:176 ; 8-byte Folded Spill
	v_mul_lo_u32 v4, v3, s17
	v_add_nc_u32_e32 v19, 0x58, v8
	v_dual_mov_b32 v158, v98 :: v_dual_add_nc_u32 v9, 16, v20
	v_add_nc_u32_e32 v15, 40, v20
	v_add_nc_u32_e32 v25, 0x60, v8
	v_lshl_add_u32 v22, v8, 3, v22
	s_delay_alu instid0(VALU_DEP_4)
	v_cvt_f64_u32_e32 v[9:10], v9
	scratch_store_b32 off, v4, off offset:184 ; 4-byte Folded Spill
	v_mad_co_u64_u32 v[3:4], null, 0x104, v3, v[1:2]
	v_cvt_f64_u32_e32 v[15:16], v15
	v_bfe_u32 v37, v0, 5, 5
	v_bfe_u32 v128, v0, 3, 7
	s_load_b128 s[0:3], s[0:1], 0x0
	s_mul_i32 s12, s17, s16
	v_lshlrev_b32_e32 v135, 5, v23
	scratch_store_b64 off, v[3:4], off offset:188 ; 8-byte Folded Spill
	v_mul_lo_u32 v3, v2, s17
	v_mad_co_u64_u32 v[4:5], null, 0x104, v2, v[1:2]
	v_min_i32_e32 v2, s5, v31
	s_ashr_i32 s13, s12, 31
	v_lshlrev_b32_e32 v136, 5, v28
	v_lshlrev_b32_e32 v138, 5, v31
	;; [unrolled: 1-line block ×3, first 2 shown]
	s_clause 0x1
	scratch_store_b32 off, v3, off offset:196
	scratch_store_b64 off, v[4:5], off offset:200
	v_min_i32_e32 v3, s5, v30
	v_lshlrev_b32_e32 v140, 5, v33
	v_mul_u32_u24_e32 v141, 0x104, v36
	s_mul_u64 s[12:13], s[12:13], 0xb0
	s_mov_b32 s10, s11
	v_mul_lo_u32 v4, v3, s17
	s_wait_kmcnt 0x0
	s_add_nc_u64 s[0:1], s[0:1], s[12:13]
	v_dual_mov_b32 v153, v98 :: v_dual_mov_b32 v134, v98
	v_mov_b32_e32 v161, v98
	v_mov_b32_e32 v143, v98
	v_mov_b32_e32 v155, v99
	v_mov_b32_e32 v181, v99
	scratch_store_b32 off, v4, off offset:208 ; 4-byte Folded Spill
	v_mad_co_u64_u32 v[3:4], null, 0x104, v3, v[1:2]
	v_mov_b32_e32 v154, v98
	v_dual_mov_b32 v165, v98 :: v_dual_add_nc_u32 v26, v101, v36
	v_dual_mov_b32 v180, v98 :: v_dual_mov_b32 v169, v98
	v_mov_b32_e32 v167, v99
	scratch_store_b64 off, v[3:4], off offset:212 ; 8-byte Folded Spill
	v_mul_lo_u32 v4, v2, s17
	v_min_i32_e32 v3, s5, v32
	v_and_b32_e32 v26, 0x7f, v26
	v_mov_b32_e32 v166, v98
	v_dual_mov_b32 v148, v99 :: v_dual_mov_b32 v147, v98
	v_mov_b32_e32 v157, v98
	s_delay_alu instid0(VALU_DEP_4)
	v_min_i32_e32 v27, s5, v26
	scratch_store_b32 off, v4, off offset:220 ; 4-byte Folded Spill
	v_mad_co_u64_u32 v[4:5], null, 0x104, v2, v[1:2]
	v_mul_lo_u32 v2, v3, s17
	v_add_nc_u32_e32 v26, 0x78, v8
	scratch_store_b64 off, v[4:5], off offset:224 ; 8-byte Folded Spill
	v_min_i32_e32 v4, s5, v33
	scratch_store_b32 off, v2, off offset:232 ; 4-byte Folded Spill
	v_add_nc_u32_e32 v2, 64, v8
	v_add_nc_u32_e32 v5, 0x48, v8
	s_delay_alu instid0(VALU_DEP_2)
	v_mad_co_u64_u32 v[6:7], null, 0x104, v3, v[1:2]
	v_mul_lo_u32 v3, v4, s17
	v_min_i32_e32 v2, s5, v2
	scratch_store_b64 off, v[6:7], off offset:236 ; 8-byte Folded Spill
	v_add_nc_u32_e32 v6, 8, v20
	scratch_store_b32 off, v3, off offset:244 ; 4-byte Folded Spill
	v_min_i32_e32 v3, s5, v5
	v_mad_co_u64_u32 v[4:5], null, 0x104, v4, v[1:2]
	v_cvt_f64_u32_e32 v[6:7], v6
	scratch_store_b64 off, v[4:5], off offset:248 ; 8-byte Folded Spill
	v_mul_lo_u32 v4, v2, s17
	scratch_store_b32 off, v4, off offset:256 ; 4-byte Folded Spill
	v_mad_co_u64_u32 v[4:5], null, 0x104, v2, v[1:2]
	v_mul_lo_u32 v2, v3, s17
	scratch_store_b64 off, v[4:5], off offset:260 ; 8-byte Folded Spill
	v_cvt_f64_u32_e32 v[4:5], v20
	scratch_store_b32 off, v2, off offset:268 ; 4-byte Folded Spill
	v_mad_co_u64_u32 v[2:3], null, 0x104, v3, v[1:2]
	v_add_nc_u32_e32 v20, 56, v20
	scratch_store_b64 off, v[2:3], off offset:272 ; 8-byte Folded Spill
	v_cvt_f64_i32_e32 v[2:3], s7
	s_delay_alu instid0(VALU_DEP_1)
	v_min_num_f64_e32 v[4:5], v[4:5], v[2:3]
	v_min_num_f64_e32 v[6:7], v[6:7], v[2:3]
	v_mad_co_u64_u32 v[34:35], null, 0x104, v21, v[1:2]
	scratch_store_b32 off, v24, off offset:280 ; 4-byte Folded Spill
	v_min_i32_e32 v24, s5, v19
	v_cvt_f64_u32_e32 v[19:20], v20
	v_min_num_f64_e32 v[11:12], v[11:12], v[2:3]
	v_min_num_f64_e32 v[13:14], v[13:14], v[2:3]
	;; [unrolled: 1-line block ×3, first 2 shown]
	v_mul_lo_u32 v21, v24, s17
	scratch_store_b64 off, v[34:35], off offset:284 ; 8-byte Folded Spill
	v_mad_co_u64_u32 v[34:35], null, 0x104, v24, v[1:2]
	v_min_num_f64_e32 v[9:10], v[9:10], v[2:3]
	v_min_num_f64_e32 v[15:16], v[15:16], v[2:3]
	scratch_store_b32 off, v21, off offset:292 ; 4-byte Folded Spill
	v_min_i32_e32 v21, s5, v25
	v_add_nc_u32_e32 v25, 0x68, v8
	s_delay_alu instid0(VALU_DEP_2)
	v_mul_lo_u32 v24, v21, s17
	scratch_store_b64 off, v[34:35], off offset:296 ; 8-byte Folded Spill
	v_mad_co_u64_u32 v[34:35], null, 0x104, v21, v[1:2]
	scratch_store_b32 off, v24, off offset:304 ; 4-byte Folded Spill
	v_min_i32_e32 v24, s5, v25
	v_add_nc_u32_e32 v25, 0x70, v8
	v_cvt_i32_f64_e32 v4, v[4:5]
	v_cvt_i32_f64_e32 v6, v[6:7]
	s_delay_alu instid0(VALU_DEP_3)
	v_min_i32_e32 v25, s5, v25
	v_mul_lo_u32 v21, v24, s17
	scratch_store_b64 off, v[34:35], off offset:308 ; 8-byte Folded Spill
	v_mad_co_u64_u32 v[34:35], null, 0x104, v24, v[1:2]
	v_mul_lo_u32 v24, v25, s17
	v_cvt_i32_f64_e32 v11, v[11:12]
	v_cvt_i32_f64_e32 v12, v[13:14]
	;; [unrolled: 1-line block ×3, first 2 shown]
	scratch_store_b32 off, v21, off offset:316 ; 4-byte Folded Spill
	v_ashrrev_i32_e32 v21, 31, v27
	scratch_store_b64 off, v[34:35], off offset:320 ; 8-byte Folded Spill
	v_lshlrev_b32_e32 v34, 2, v27
	scratch_store_b32 off, v24, off offset:328 ; 4-byte Folded Spill
	v_mad_co_u64_u32 v[24:25], null, 0x104, v25, v[1:2]
	v_min_num_f64_e32 v[2:3], v[19:20], v[2:3]
	v_lshrrev_b32_e32 v21, 27, v21
	v_and_b32_e32 v35, 0x7f, v22
	v_cvt_i32_f64_e32 v9, v[9:10]
	v_cvt_i32_f64_e32 v13, v[15:16]
	scratch_store_b64 off, v[24:25], off offset:332 ; 8-byte Folded Spill
	v_min_i32_e32 v25, s5, v26
	v_add_nc_u32_e32 v21, v27, v21
	s_delay_alu instid0(VALU_DEP_2) | instskip(NEXT) | instid1(VALU_DEP_2)
	v_mul_lo_u32 v19, v25, s17
	v_ashrrev_i32_e32 v26, 5, v21
	v_and_b32_e32 v21, 3, v0
	s_delay_alu instid0(VALU_DEP_1)
	v_add_nc_u32_e32 v20, 0xfe, v21
	v_mul_lo_u32 v103, s4, v4
	v_lshlrev_b32_e32 v4, 7, v23
	v_mul_lo_u32 v114, s4, v6
	v_lshlrev_b32_e32 v6, 7, v28
	scratch_store_b32 off, v19, off offset:340 ; 4-byte Folded Spill
	v_lshlrev_b32_e32 v19, 2, v26
	v_cmp_gt_u32_e32 vcc_lo, 2, v21
	v_mul_lo_u32 v120, s4, v11
	v_mul_lo_u32 v121, s4, v12
	s_delay_alu instid0(VALU_DEP_4)
	v_add3_u32 v19, v19, v34, 0xae40
	v_mul_lo_u32 v123, s4, v14
	v_add_nc_u32_e32 v14, 64, v36
	v_lshlrev_b32_e32 v11, 7, v29
	v_lshlrev_b32_e32 v12, 7, v30
	scratch_store_b32 off, v19, off offset:356 ; 4-byte Folded Spill
	v_xor_b32_e32 v19, 64, v35
	v_lshrrev_b32_e32 v126, 3, v14
	v_mad_co_u64_u32 v[24:25], null, 0x104, v25, v[1:2]
	v_and_b32_e32 v1, 0xff, v20
	s_delay_alu instid0(VALU_DEP_4)
	v_min_i32_e32 v19, s5, v19
	v_mul_lo_u32 v20, v27, s17
	v_cvt_i32_f64_e32 v2, v[2:3]
	v_lshlrev_b32_e32 v3, 2, v21
	v_cndmask_b32_e32 v1, v1, v21, vcc_lo
	v_mul_lo_u32 v17, v19, s17
	v_cmp_ne_u32_e32 vcc_lo, 0, v21
	v_and_b32_e32 v5, 4, v100
	v_and_b32_e32 v38, 28, v100
	v_ashrrev_i32_e32 v7, 31, v19
	v_lshlrev_b32_e32 v18, 4, v19
	v_mul_lo_u32 v119, s4, v9
	v_add_nc_u32_e32 v9, 32, v36
	v_mul_lo_u32 v122, s4, v13
	v_lshlrev_b32_e32 v13, 7, v31
	v_lshlrev_b32_e32 v29, 5, v29
	;; [unrolled: 1-line block ×3, first 2 shown]
	v_lshrrev_b32_e32 v125, 3, v9
	v_lshlrev_b32_e32 v177, 4, v9
	v_lshrrev_b32_e32 v7, 29, v7
	s_wait_alu 0xfffd
	v_add_co_ci_u32_e64 v34, null, 0, v1, vcc_lo
	v_cmp_lt_u32_e32 vcc_lo, 1, v21
	v_lshlrev_b32_e32 v1, 1, v1
	scratch_store_b32 off, v17, off offset:372 ; 4-byte Folded Spill
	v_and_b32_e32 v17, 31, v0
	s_wait_alu 0xfffd
	v_dual_cndmask_b32 v5, 0, v5 :: v_dual_lshlrev_b32 v0, 4, v14
	s_clause 0x1
	scratch_store_b32 off, v38, off offset:152
	scratch_store_b32 off, v1, off offset:364
	v_and_b32_e32 v1, 63, v22
	s_clause 0x1
	scratch_store_b32 off, v0, off offset:4
	scratch_store_b32 off, v20, off offset:352
	v_min_i32_e32 v20, s5, v35
	v_lshlrev_b32_e32 v0, 2, v34
	v_or_b32_e32 v16, s15, v1
	v_lshl_or_b32 v1, v1, 4, v3
	s_delay_alu instid0(VALU_DEP_4)
	v_ashrrev_i32_e32 v26, 31, v20
	v_mul_lo_u32 v15, v20, s17
	s_clause 0x1
	scratch_store_b32 off, v5, off offset:360
	scratch_store_b32 off, v0, off offset:384
	v_add_nc_u32_e32 v5, v19, v7
	v_lshrrev_b32_e32 v26, 29, v26
	v_cndmask_b32_e64 v7, 0, 1, vcc_lo
	v_mul_lo_u32 v124, s4, v2
	v_lshlrev_b32_e32 v2, 7, v33
	v_ashrrev_i32_e32 v5, 3, v5
	v_add_nc_u32_e32 v10, v20, v26
	scratch_store_b32 off, v15, off offset:368 ; 4-byte Folded Spill
	v_lshlrev_b32_e32 v15, 4, v20
	v_lshlrev_b32_e32 v0, 2, v7
	;; [unrolled: 1-line block ×3, first 2 shown]
	v_ashrrev_i32_e32 v10, 3, v10
	v_lshlrev_b32_e32 v19, 2, v37
	v_and_b32_e32 v20, 60, v125
	scratch_store_b32 off, v0, off offset:388 ; 4-byte Folded Spill
	v_add3_u32 v5, v5, v3, 0xa200
	v_lshlrev_b32_e32 v10, 2, v10
	v_add3_u32 v129, v19, v100, 0xae40
	v_add3_u32 v130, v100, v20, 0xae40
	v_min_i32_e32 v16, s7, v16
	v_add_nc_u32_e32 v102, 0xaa40, v1
	v_add3_u32 v10, v10, v3, 0xa200
	v_lshl_or_b32 v3, v17, 2, 0x8200
	v_lshlrev_b32_e32 v1, 7, v8
	v_mad_co_u64_u32 v[16:17], null, v16, s4, v[21:22]
	s_delay_alu instid0(VALU_DEP_4)
	v_add_nc_u32_e32 v0, v10, v15
	s_movk_i32 s4, 0x2080
	v_and_b32_e32 v21, 60, v126
	v_add_nc_u32_e32 v156, v3, v1
	v_add_nc_u32_e32 v33, v3, v6
	scratch_store_b32 off, v0, off offset:392 ; 4-byte Folded Spill
	v_add_nc_u32_e32 v0, v5, v18
	v_add_nc_u32_e32 v35, v3, v11
	;; [unrolled: 1-line block ×5, first 2 shown]
	scratch_store_b32 off, v0, off offset:396 ; 4-byte Folded Spill
	v_mov_b32_e32 v0, v98
	s_clause 0x1
	scratch_store_b64 off, v[24:25], off offset:344
	scratch_store_b32 off, v37, off offset:140
	s_wait_alu 0xfffe
	v_mad_u32_u24 v145, 0x104, v36, s4
	s_movk_i32 s4, 0x4100
	scratch_store_b32 off, v0, off          ; 4-byte Folded Spill
	s_wait_alu 0xfffe
	v_mad_u32_u24 v162, 0x104, v36, s4
	s_movk_i32 s4, 0x6180
	v_add3_u32 v132, v100, v21, 0xae40
	s_wait_alu 0xfffe
	v_mad_u32_u24 v152, 0x104, v36, s4
	v_add_co_u32 v37, s4, s2, v38
	scratch_store_b64 off, v[16:17], off offset:376 ; 8-byte Folded Spill
	v_add_nc_u32_e32 v16, 0x60, v36
	v_lshlrev_b32_e32 v17, 7, v32
	s_wait_alu 0xf1ff
	v_add_co_ci_u32_e64 v38, null, s3, 0, s4
	v_add_nc_u32_e32 v32, v3, v4
	v_mov_b32_e32 v36, v98
	v_lshrrev_b32_e32 v127, 3, v16
	v_lshlrev_b32_e32 v192, 4, v16
	v_add_nc_u32_e32 v28, v3, v17
	s_delay_alu instid0(VALU_DEP_3) | instskip(NEXT) | instid1(VALU_DEP_1)
	v_and_b32_e32 v22, 60, v127
	v_add3_u32 v133, v100, v22, 0xae40
	s_clause 0x1a
	scratch_store_b32 off, v100, off offset:400
	scratch_store_b32 off, v102, off offset:404
	;; [unrolled: 1-line block ×18, first 2 shown]
	scratch_store_b64 off, v[37:38], off offset:472
	scratch_store_b32 off, v156, off offset:480
	scratch_store_b32 off, v32, off offset:484
	;; [unrolled: 1-line block ×8, first 2 shown]
.LBB154_5:                              ; =>This Loop Header: Depth=1
                                        ;     Child Loop BB154_6 Depth 2
                                        ;     Child Loop BB154_8 Depth 2
	s_clause 0x7
	scratch_load_b32 v0, off, off offset:140
	scratch_load_b32 v2, off, off offset:160
	;; [unrolled: 1-line block ×8, first 2 shown]
	s_mul_u64 s[4:5], s[10:11], 0xb0
	s_mov_b32 s7, 0
	s_wait_alu 0xfffe
	s_add_nc_u64 s[4:5], s[0:1], s[4:5]
	s_wait_loadcnt 0x7
	s_wait_alu 0xfffe
	v_mad_co_u64_u32 v[0:1], null, 0xb0, v0, s[4:5]
	s_wait_loadcnt 0x6
	s_delay_alu instid0(VALU_DEP_1)
	v_mad_co_i64_i32 v[2:3], null, 0xb0, v2, v[0:1]
	s_wait_loadcnt 0x5
	v_mad_co_i64_i32 v[4:5], null, 0xb0, v4, v[0:1]
	s_wait_loadcnt 0x4
	;; [unrolled: 2-line block ×3, first 2 shown]
	v_mad_co_i64_i32 v[13:14], null, 0xb0, v13, v[0:1]
	s_delay_alu instid0(VALU_DEP_4)
	v_add_co_u32 v9, vcc_lo, v2, v8
	s_wait_alu 0xfffd
	v_add_co_ci_u32_e64 v10, null, 0, v3, vcc_lo
	s_wait_loadcnt 0x0
	v_add_co_u32 v2, vcc_lo, v2, v24
	s_wait_alu 0xfffd
	v_add_co_ci_u32_e64 v3, null, 0, v3, vcc_lo
	v_add_co_u32 v11, vcc_lo, v4, v8
	s_wait_alu 0xfffd
	v_add_co_ci_u32_e64 v12, null, 0, v5, vcc_lo
	;; [unrolled: 3-line block ×7, first 2 shown]
	s_clause 0x7
	global_load_b32 v21, v[9:10], off offset:48
	global_load_b32 v22, v[2:3], off offset:16
	;; [unrolled: 1-line block ×8, first 2 shown]
	s_clause 0x2
	scratch_load_b32 v2, off, off offset:220
	scratch_load_b32 v11, off, off offset:232
	scratch_load_b32 v13, off, off offset:244
	v_mad_co_i64_i32 v[19:20], null, 0xb0, v19, v[0:1]
	s_delay_alu instid0(VALU_DEP_1) | instskip(SKIP_1) | instid1(VALU_DEP_2)
	v_add_co_u32 v4, vcc_lo, v19, v8
	s_wait_alu 0xfffd
	v_add_co_ci_u32_e64 v5, null, 0, v20, vcc_lo
	v_add_co_u32 v6, vcc_lo, v19, v24
	scratch_load_b32 v19, off, off offset:256 ; 4-byte Folded Reload
	s_wait_alu 0xfffd
	v_add_co_ci_u32_e64 v7, null, 0, v20, vcc_lo
	s_wait_loadcnt 0x3
	v_mad_co_i64_i32 v[2:3], null, 0xb0, v2, v[0:1]
	s_wait_loadcnt 0x2
	v_mad_co_i64_i32 v[11:12], null, 0xb0, v11, v[0:1]
	;; [unrolled: 2-line block ×3, first 2 shown]
	s_delay_alu instid0(VALU_DEP_3) | instskip(SKIP_1) | instid1(VALU_DEP_4)
	v_add_co_u32 v9, vcc_lo, v2, v8
	s_wait_alu 0xfffd
	v_add_co_ci_u32_e64 v10, null, 0, v3, vcc_lo
	v_add_co_u32 v2, vcc_lo, v2, v24
	s_wait_alu 0xfffd
	v_add_co_ci_u32_e64 v3, null, 0, v3, vcc_lo
	;; [unrolled: 3-line block ×6, first 2 shown]
	s_clause 0x7
	global_load_b32 v44, v[4:5], off offset:48
	global_load_b32 v45, v[6:7], off offset:16
	;; [unrolled: 1-line block ×8, first 2 shown]
	s_clause 0x1
	scratch_load_b32 v2, off, off offset:268
	scratch_load_b32 v11, off, off offset:280
	s_wait_loadcnt 0xa
	v_mad_co_i64_i32 v[19:20], null, 0xb0, v19, v[0:1]
	s_delay_alu instid0(VALU_DEP_1) | instskip(SKIP_1) | instid1(VALU_DEP_2)
	v_add_co_u32 v4, vcc_lo, v19, v8
	s_wait_alu 0xfffd
	v_add_co_ci_u32_e64 v5, null, 0, v20, vcc_lo
	v_add_co_u32 v6, vcc_lo, v19, v24
	s_wait_alu 0xfffd
	v_add_co_ci_u32_e64 v7, null, 0, v20, vcc_lo
	s_wait_loadcnt 0x7
	v_and_b32_e32 v72, 0xf0f0f0f, v46
	v_lshrrev_b32_e32 v46, 4, v46
	s_wait_loadcnt 0x5
	v_and_b32_e32 v74, 0xf0f0f0f, v48
	v_lshrrev_b32_e32 v48, 4, v48
	;; [unrolled: 3-line block ×3, first 2 shown]
	s_wait_loadcnt 0x1
	v_mad_co_i64_i32 v[2:3], null, 0xb0, v2, v[0:1]
	s_wait_loadcnt 0x0
	v_mad_co_i64_i32 v[11:12], null, 0xb0, v11, v[0:1]
	v_and_b32_e32 v46, 0xf0f0f0f, v46
	v_and_b32_e32 v48, 0xf0f0f0f, v48
	;; [unrolled: 1-line block ×3, first 2 shown]
	v_add_co_u32 v9, vcc_lo, v2, v8
	s_wait_alu 0xfffd
	v_add_co_ci_u32_e64 v10, null, 0, v3, vcc_lo
	v_add_co_u32 v2, vcc_lo, v2, v24
	s_clause 0x2
	global_load_b32 v19, v[4:5], off offset:48
	global_load_b32 v20, v[6:7], off offset:16
	;; [unrolled: 1-line block ×3, first 2 shown]
	s_wait_alu 0xfffd
	v_add_co_ci_u32_e64 v3, null, 0, v3, vcc_lo
	v_add_co_u32 v4, vcc_lo, v11, v8
	s_wait_alu 0xfffd
	v_add_co_ci_u32_e64 v5, null, 0, v12, vcc_lo
	v_add_co_u32 v6, vcc_lo, v11, v24
	s_wait_alu 0xfffd
	v_add_co_ci_u32_e64 v7, null, 0, v12, vcc_lo
	s_clause 0x2
	global_load_b32 v53, v[2:3], off offset:16
	global_load_b32 v54, v[4:5], off offset:48
	;; [unrolled: 1-line block ×3, first 2 shown]
	s_clause 0x1
	scratch_load_b32 v2, off, off offset:292
	scratch_load_b32 v6, off, off offset:304
	s_wait_loadcnt 0x7
	v_and_b32_e32 v78, 0xf0f0f0f, v19
	v_lshrrev_b32_e32 v19, 4, v19
	s_wait_loadcnt 0x5
	v_and_b32_e32 v80, 0xf0f0f0f, v52
	v_lshrrev_b32_e32 v52, 4, v52
	s_delay_alu instid0(VALU_DEP_3) | instskip(NEXT) | instid1(VALU_DEP_2)
	v_and_b32_e32 v19, 0xf0f0f0f, v19
	v_and_b32_e32 v52, 0xf0f0f0f, v52
	s_wait_loadcnt 0x3
	v_and_b32_e32 v82, 0xf0f0f0f, v54
	v_lshrrev_b32_e32 v54, 4, v54
	s_wait_loadcnt 0x1
	v_mad_co_i64_i32 v[2:3], null, 0xb0, v2, v[0:1]
	s_wait_loadcnt 0x0
	v_mad_co_i64_i32 v[6:7], null, 0xb0, v6, v[0:1]
	v_and_b32_e32 v54, 0xf0f0f0f, v54
	s_delay_alu instid0(VALU_DEP_3) | instskip(SKIP_1) | instid1(VALU_DEP_4)
	v_add_co_u32 v4, vcc_lo, v2, v8
	s_wait_alu 0xfffd
	v_add_co_ci_u32_e64 v5, null, 0, v3, vcc_lo
	v_add_co_u32 v2, vcc_lo, v2, v24
	s_wait_alu 0xfffd
	v_add_co_ci_u32_e64 v3, null, 0, v3, vcc_lo
	s_clause 0x1
	global_load_b32 v56, v[4:5], off offset:48
	global_load_b32 v57, v[2:3], off offset:16
	s_clause 0x2
	scratch_load_b32 v2, off, off offset:316
	scratch_load_b32 v11, off, off offset:328
	;; [unrolled: 1-line block ×3, first 2 shown]
	v_add_co_u32 v4, vcc_lo, v6, v8
	s_wait_alu 0xfffd
	v_add_co_ci_u32_e64 v5, null, 0, v7, vcc_lo
	v_add_co_u32 v6, vcc_lo, v6, v24
	s_wait_alu 0xfffd
	v_add_co_ci_u32_e64 v7, null, 0, v7, vcc_lo
	s_wait_loadcnt 0x2
	v_mad_co_i64_i32 v[2:3], null, 0xb0, v2, v[0:1]
	s_wait_loadcnt 0x1
	v_mad_co_i64_i32 v[11:12], null, 0xb0, v11, v[0:1]
	;; [unrolled: 2-line block ×3, first 2 shown]
	s_delay_alu instid0(VALU_DEP_3) | instskip(SKIP_1) | instid1(VALU_DEP_4)
	v_add_co_u32 v9, vcc_lo, v2, v8
	s_wait_alu 0xfffd
	v_add_co_ci_u32_e64 v10, null, 0, v3, vcc_lo
	v_add_co_u32 v2, vcc_lo, v2, v24
	s_wait_alu 0xfffd
	v_add_co_ci_u32_e64 v3, null, 0, v3, vcc_lo
	;; [unrolled: 3-line block ×4, first 2 shown]
	v_add_co_u32 v15, vcc_lo, v0, v8
	scratch_load_b32 v8, off, off offset:368 ; 4-byte Folded Reload
	s_wait_alu 0xfffd
	v_add_co_ci_u32_e64 v16, null, 0, v1, vcc_lo
	v_add_co_u32 v0, vcc_lo, v0, v24
	s_wait_alu 0xfffd
	v_add_co_ci_u32_e64 v1, null, 0, v1, vcc_lo
	s_clause 0x7
	global_load_b32 v58, v[4:5], off offset:48
	global_load_b32 v59, v[6:7], off offset:16
	;; [unrolled: 1-line block ×8, first 2 shown]
	s_clause 0x2
	scratch_load_b32 v0, off, off offset:352
	scratch_load_b32 v2, off, off offset:372
	;; [unrolled: 1-line block ×3, first 2 shown]
	s_wait_loadcnt 0xb
	v_mad_co_i64_i32 v[17:18], null, 0xb0, v8, s[4:5]
	scratch_load_b32 v8, off, off offset:384 ; 4-byte Folded Reload
	s_wait_loadcnt 0x3
	v_mad_co_i64_i32 v[0:1], null, 0xb0, v0, s[4:5]
	s_wait_loadcnt 0x2
	v_mad_co_i64_i32 v[2:3], null, 0xb0, v2, s[4:5]
	s_lshl_b32 s4, s10, 3
	s_mov_b32 s5, -1
	s_wait_alu 0xfffe
	v_add_nc_u32_e32 v11, s4, v128
	s_delay_alu instid0(VALU_DEP_1) | instskip(SKIP_1) | instid1(VALU_DEP_2)
	v_add_nc_u32_e32 v13, v11, v124
	v_add_nc_u32_e32 v15, v11, v123
	v_mad_co_i64_i32 v[13:14], null, v13, 36, v[37:38]
	s_delay_alu instid0(VALU_DEP_2)
	v_mad_co_i64_i32 v[15:16], null, v15, 36, v[37:38]
	s_wait_loadcnt 0x0
	v_add_co_u32 v4, vcc_lo, v17, v8
	s_wait_alu 0xfffd
	v_add_co_ci_u32_e64 v5, null, 0, v18, vcc_lo
	v_add_co_u32 v6, vcc_lo, v17, v12
	s_wait_alu 0xfffd
	v_add_co_ci_u32_e64 v7, null, 0, v18, vcc_lo
	;; [unrolled: 3-line block ×4, first 2 shown]
	s_clause 0x4
	global_load_b32 v66, v[0:1], off
	global_load_b32 v67, v[4:5], off offset:4
	global_load_b32 v68, v[6:7], off offset:4
	;; [unrolled: 1-line block ×4, first 2 shown]
	scratch_load_b64 v[0:1], off, off offset:376 ; 8-byte Folded Reload
	v_add_nc_u32_e32 v12, v11, v103
	v_add_nc_u32_e32 v2, v11, v114
	;; [unrolled: 1-line block ×5, first 2 shown]
	s_delay_alu instid0(VALU_DEP_4) | instskip(NEXT) | instid1(VALU_DEP_4)
	v_mad_co_i64_i32 v[2:3], null, v2, 36, v[37:38]
	v_mad_co_i64_i32 v[6:7], null, v6, 36, v[37:38]
	s_delay_alu instid0(VALU_DEP_4) | instskip(NEXT) | instid1(VALU_DEP_4)
	v_mad_co_i64_i32 v[4:5], null, v4, 36, v[37:38]
	v_mad_co_i64_i32 v[9:10], null, v9, 36, v[37:38]
	s_wait_loadcnt 0x0
	v_add_nc_u32_e32 v27, s4, v0
	v_mad_co_i64_i32 v[0:1], null, v12, 36, v[37:38]
	v_add_nc_u32_e32 v12, v11, v122
	s_delay_alu instid0(VALU_DEP_3) | instskip(NEXT) | instid1(VALU_DEP_2)
	v_mad_co_u64_u32 v[17:18], null, v27, 36, s[2:3]
	v_mad_co_i64_i32 v[11:12], null, v12, 36, v[37:38]
	s_clause 0x8
	global_load_b32 v2, v[2:3], off offset:4
	global_load_b32 v3, v[6:7], off offset:4
	;; [unrolled: 1-line block ×8, first 2 shown]
	global_load_b32 v9, v[17:18], off
	s_clause 0x2
	scratch_load_b32 v8, off, off offset:144
	scratch_load_b32 v24, off, off offset:156
	scratch_load_b64 v[25:26], off, off offset:164
	v_lshrrev_b32_e32 v11, 4, v21
	v_and_b32_e32 v10, 0xf0f0f0f, v21
	v_lshrrev_b32_e32 v15, 4, v23
	v_and_b32_e32 v14, 0xf0f0f0f, v23
	;; [unrolled: 2-line block ×3, first 2 shown]
	v_and_b32_e32 v18, 0xf0f0f0f, v40
	v_and_b32_e32 v15, 0xf0f0f0f, v15
	v_lshrrev_b32_e32 v40, 4, v42
	v_and_b32_e32 v21, 0xf0f0f0f, v21
	s_delay_alu instid0(VALU_DEP_2)
	v_and_b32_e32 v40, 0xf0f0f0f, v40
	s_wait_loadcnt 0x2
	v_ashrrev_i32_e32 v12, v8, v22
	s_wait_loadcnt 0x1
	v_ashrrev_i32_e32 v13, v24, v22
	v_ashrrev_i32_e32 v16, v8, v39
	;; [unrolled: 1-line block ×4, first 2 shown]
	v_lshlrev_b32_e32 v12, 4, v12
	v_lshlrev_b32_e32 v13, 4, v13
	;; [unrolled: 1-line block ×4, first 2 shown]
	v_ashrrev_i32_e32 v23, v24, v41
	v_and_or_b32 v10, 0x10101010, v12, v10
	v_and_or_b32 v11, 0x10101010, v13, v11
	;; [unrolled: 1-line block ×4, first 2 shown]
	v_lshlrev_b32_e32 v22, 4, v22
	v_lshlrev_b32_e32 v23, 4, v23
	s_wait_loadcnt 0x0
	ds_store_2addr_b32 v25, v10, v11 offset1:8
	scratch_load_b64 v[10:11], off, off offset:176 ; 8-byte Folded Reload
	v_and_b32_e32 v39, 0xf0f0f0f, v42
	v_and_or_b32 v14, 0x10101010, v22, v18
	v_and_or_b32 v15, 0x10101010, v23, v21
	v_ashrrev_i32_e32 v41, v8, v43
	v_ashrrev_i32_e32 v42, v24, v43
	v_and_b32_e32 v43, 0xf0f0f0f, v44
	v_lshrrev_b32_e32 v44, 4, v44
	v_ashrrev_i32_e32 v71, v8, v45
	v_lshlrev_b32_e32 v41, 4, v41
	v_lshlrev_b32_e32 v42, 4, v42
	v_ashrrev_i32_e32 v45, v24, v45
	v_and_b32_e32 v44, 0xf0f0f0f, v44
	v_lshlrev_b32_e32 v71, 4, v71
	v_and_or_b32 v16, 0x10101010, v41, v39
	v_and_or_b32 v17, 0x10101010, v42, v40
	v_lshlrev_b32_e32 v45, 4, v45
	v_ashrrev_i32_e32 v73, v8, v47
	v_and_or_b32 v18, 0x10101010, v71, v43
	v_ashrrev_i32_e32 v47, v24, v47
	v_ashrrev_i32_e32 v79, v8, v20
	v_and_or_b32 v21, 0x10101010, v45, v44
	v_ashrrev_i32_e32 v20, v24, v20
	v_lshlrev_b32_e32 v73, 4, v73
	v_lshlrev_b32_e32 v47, 4, v47
	v_ashrrev_i32_e32 v75, v8, v49
	v_ashrrev_i32_e32 v49, v24, v49
	v_lshlrev_b32_e32 v20, 4, v20
	v_and_or_b32 v22, 0x10101010, v73, v72
	v_and_or_b32 v23, 0x10101010, v47, v46
	v_lshlrev_b32_e32 v75, 4, v75
	v_lshlrev_b32_e32 v49, 4, v49
	v_and_or_b32 v19, 0x10101010, v20, v19
	v_ashrrev_i32_e32 v77, v8, v51
	v_ashrrev_i32_e32 v51, v24, v51
	v_and_or_b32 v39, 0x10101010, v75, v74
	v_and_or_b32 v40, 0x10101010, v49, v48
	v_lshlrev_b32_e32 v79, 4, v79
	v_lshlrev_b32_e32 v77, 4, v77
	;; [unrolled: 1-line block ×3, first 2 shown]
	v_ashrrev_i32_e32 v81, v8, v53
	v_ashrrev_i32_e32 v53, v24, v53
	v_and_or_b32 v43, 0x10101010, v79, v78
	v_and_or_b32 v41, 0x10101010, v77, v76
	;; [unrolled: 1-line block ×3, first 2 shown]
	v_lshlrev_b32_e32 v81, 4, v81
	v_lshlrev_b32_e32 v53, 4, v53
	v_ashrrev_i32_e32 v83, v8, v55
	v_ashrrev_i32_e32 v55, v24, v55
	s_delay_alu instid0(VALU_DEP_2)
	v_lshlrev_b32_e32 v83, 4, v83
	s_wait_loadcnt 0x0
	ds_store_2addr_b32 v10, v12, v13 offset1:8
	scratch_load_b64 v[10:11], off, off offset:188 ; 8-byte Folded Reload
	v_and_or_b32 v12, 0x10101010, v53, v52
	v_and_or_b32 v13, 0x10101010, v83, v82
	s_wait_loadcnt 0x0
	ds_store_2addr_b32 v10, v14, v15 offset1:8
	scratch_load_b64 v[10:11], off, off offset:200 ; 8-byte Folded Reload
	v_ashrrev_i32_e32 v14, v8, v57
	v_and_b32_e32 v15, 0xf0f0f0f, v56
	s_delay_alu instid0(VALU_DEP_2)
	v_lshlrev_b32_e32 v14, 4, v14
	s_wait_loadcnt 0x0
	ds_store_2addr_b32 v10, v16, v17 offset1:8
	scratch_load_b64 v[10:11], off, off offset:212 ; 8-byte Folded Reload
	v_lshrrev_b32_e32 v16, 4, v56
	v_ashrrev_i32_e32 v17, v24, v57
	s_wait_loadcnt 0x0
	ds_store_2addr_b32 v10, v18, v21 offset1:8
	s_clause 0x1
	scratch_load_b64 v[10:11], off, off offset:224
	scratch_load_b64 v[20:21], off, off offset:308
	s_wait_loadcnt 0x1
	ds_store_2addr_b32 v10, v22, v23 offset1:8
	scratch_load_b64 v[10:11], off, off offset:236 ; 8-byte Folded Reload
	s_wait_loadcnt 0x0
	ds_store_2addr_b32 v10, v39, v40 offset1:8
	scratch_load_b64 v[10:11], off, off offset:248 ; 8-byte Folded Reload
	;; [unrolled: 3-line block ×3, first 2 shown]
	s_wait_loadcnt 0x0
	v_and_or_b32 v11, 0x10101010, v81, v80
	ds_store_2addr_b32 v10, v43, v19 offset1:8
	scratch_load_b64 v[18:19], off, off offset:272 ; 8-byte Folded Reload
	v_lshlrev_b32_e32 v10, 4, v55
	s_wait_loadcnt 0x0
	v_and_b32_e32 v19, 0xf0f0f0f, v62
	s_delay_alu instid0(VALU_DEP_2)
	v_and_or_b32 v10, 0x10101010, v10, v54
	ds_store_2addr_b32 v18, v11, v12 offset1:8
	scratch_load_b64 v[11:12], off, off offset:284 ; 8-byte Folded Reload
	s_wait_loadcnt 0x0
	v_and_or_b32 v12, 0x10101010, v14, v15
	v_lshrrev_b32_e32 v14, 4, v58
	v_ashrrev_i32_e32 v15, v24, v59
	v_ashrrev_i32_e32 v18, v24, v63
	s_delay_alu instid0(VALU_DEP_3) | instskip(NEXT) | instid1(VALU_DEP_3)
	v_and_b32_e32 v14, 0xf0f0f0f, v14
	v_lshlrev_b32_e32 v15, 4, v15
	s_delay_alu instid0(VALU_DEP_3)
	v_lshlrev_b32_e32 v18, 4, v18
	ds_store_2addr_b32 v11, v13, v10 offset1:8
	v_and_b32_e32 v10, 0xf0f0f0f, v16
	v_lshlrev_b32_e32 v11, 4, v17
	scratch_load_b64 v[16:17], off, off offset:296 ; 8-byte Folded Reload
	v_ashrrev_i32_e32 v13, v8, v59
	s_wait_loadcnt 0x0
	v_ashrrev_i32_e32 v17, v8, v63
	v_and_or_b32 v10, 0x10101010, v11, v10
	v_and_b32_e32 v11, 0xf0f0f0f, v58
	v_lshlrev_b32_e32 v13, 4, v13
	s_delay_alu instid0(VALU_DEP_4) | instskip(NEXT) | instid1(VALU_DEP_2)
	v_lshlrev_b32_e32 v17, 4, v17
	v_and_or_b32 v11, 0x10101010, v13, v11
	v_and_or_b32 v13, 0x10101010, v15, v14
	v_and_b32_e32 v14, 0xf0f0f0f, v60
	v_ashrrev_i32_e32 v15, v24, v61
	s_delay_alu instid0(VALU_DEP_1)
	v_lshlrev_b32_e32 v15, 4, v15
	ds_store_2addr_b32 v16, v12, v10 offset1:8
	v_lshrrev_b32_e32 v16, 4, v62
	v_ashrrev_i32_e32 v12, v8, v61
	ds_store_2addr_b32 v20, v11, v13 offset1:8
	v_lshrrev_b32_e32 v10, 4, v60
	v_and_b32_e32 v16, 0xf0f0f0f, v16
	v_lshlrev_b32_e32 v12, 4, v12
	s_delay_alu instid0(VALU_DEP_3) | instskip(NEXT) | instid1(VALU_DEP_3)
	v_and_b32_e32 v10, 0xf0f0f0f, v10
	v_and_or_b32 v13, 0x10101010, v18, v16
	v_ashrrev_i32_e32 v16, v8, v65
	scratch_load_b32 v8, off, off offset:360 ; 4-byte Folded Reload
	v_and_or_b32 v11, 0x10101010, v12, v14
	v_and_or_b32 v12, 0x10101010, v17, v19
	v_lshrrev_b32_e32 v14, 4, v64
	v_ashrrev_i32_e32 v17, v24, v65
	v_and_or_b32 v10, 0x10101010, v15, v10
	v_and_b32_e32 v15, 0xf0f0f0f, v64
	v_lshlrev_b32_e32 v16, 4, v16
	v_and_b32_e32 v14, 0xf0f0f0f, v14
	v_lshlrev_b32_e32 v17, 4, v17
	s_delay_alu instid0(VALU_DEP_3) | instskip(NEXT) | instid1(VALU_DEP_2)
	v_and_or_b32 v15, 0x10101010, v16, v15
	v_and_or_b32 v14, 0x10101010, v17, v14
	scratch_load_b64 v[16:17], off, off offset:320 ; 8-byte Folded Reload
	s_wait_loadcnt 0x1
	v_ashrrev_i32_e32 v18, v8, v67
	v_ashrrev_i32_e32 v19, v8, v69
	scratch_load_b32 v8, off, off offset:364 ; 4-byte Folded Reload
	v_and_b32_e32 v18, 0xf0f0f0f, v18
	v_and_b32_e32 v19, 0xf0f0f0f, v19
	s_wait_loadcnt 0x0
	v_ashrrev_i32_e32 v20, v8, v68
	v_ashrrev_i32_e32 v21, v8, v70
	scratch_load_b32 v8, off, off offset:356 ; 4-byte Folded Reload
	ds_store_2addr_b32 v16, v11, v10 offset1:8
	scratch_load_b64 v[16:17], off, off offset:332 ; 8-byte Folded Reload
	v_and_or_b32 v10, 0x30303030, v20, v18
	v_and_or_b32 v11, 0x30303030, v21, v19
	s_wait_loadcnt 0x0
	ds_store_2addr_b32 v16, v12, v13 offset1:8
	scratch_load_b64 v[12:13], off, off offset:344 ; 8-byte Folded Reload
	s_wait_loadcnt 0x0
	ds_store_2addr_b32 v12, v15, v14 offset1:8
	ds_store_b32 v8, v66
	scratch_load_b32 v8, off, off offset:392 ; 4-byte Folded Reload
	s_wait_loadcnt 0x0
	ds_store_b32 v8, v10
	scratch_load_b32 v8, off, off offset:396 ; 4-byte Folded Reload
	s_wait_loadcnt 0x0
	ds_store_b32 v8, v11
	ds_store_b32 v32, v2
	;; [unrolled: 1-line block ×10, first 2 shown]
	s_wait_storecnt_dscnt 0x0
	s_barrier_signal -1
	s_barrier_wait -1
	global_inv scope:SCOPE_SE
	ds_load_b32 v0, v129
	ds_load_b32 v1, v130 offset:128
	ds_load_b32 v2, v132 offset:256
	;; [unrolled: 1-line block ×3, first 2 shown]
	s_wait_dscnt 0x3
	v_lshrrev_b32_e32 v4, 16, v0
	v_cvt_f32_f16_e32 v8, v0
	s_wait_dscnt 0x2
	v_lshrrev_b32_e32 v0, 16, v1
	v_cvt_f32_f16_e32 v25, v1
	;; [unrolled: 3-line block ×3, first 2 shown]
	v_lshrrev_b32_e32 v4, 16, v2
	v_cvt_f32_f16_e32 v26, v2
	v_cvt_f32_f16_e64 v196, v0
	v_cvt_f32_f16_e64 v198, v3
	;; [unrolled: 1-line block ×4, first 2 shown]
	v_dual_mov_b32 v200, v8 :: v_dual_mov_b32 v201, v24
.LBB154_6:                              ;   Parent Loop BB154_5 Depth=1
                                        ; =>  This Inner Loop Header: Depth=2
	s_wait_alu 0xfffe
	s_lshl_b32 s12, s7, 1
	s_lshl_b32 s13, s7, 3
	s_wait_alu 0xfffe
	v_or_b32_e32 v202, s12, v135
	v_add_nc_u32_e32 v20, s13, v141
	v_add_nc_u32_e32 v23, s13, v145
	;; [unrolled: 1-line block ×4, first 2 shown]
	v_lshlrev_b32_e32 v65, 2, v202
	v_or_b32_e32 v203, s12, v136
	v_or_b32_e32 v205, s12, v29
	;; [unrolled: 1-line block ×3, first 2 shown]
	ds_load_2addr_b32 v[39:40], v20 offset1:1
	ds_load_b128 v[9:12], v65 offset:33280
	ds_load_2addr_b32 v[2:3], v23 offset1:1
	ds_load_2addr_b32 v[53:54], v79 offset1:1
	ds_load_2addr_b32 v[6:7], v23 offset0:2 offset1:3
	ds_load_2addr_b32 v[57:58], v20 offset0:2 offset1:3
	ds_load_2addr_b32 v[55:56], v83 offset1:1
	ds_load_2addr_b32 v[61:62], v83 offset0:2 offset1:3
	ds_load_2addr_b32 v[59:60], v79 offset0:2 offset1:3
	v_lshlrev_b32_e32 v217, 2, v203
	v_lshlrev_b32_e32 v218, 2, v205
	;; [unrolled: 1-line block ×3, first 2 shown]
	v_or_b32_e32 v207, s12, v138
	v_or_b32_e32 v204, s12, v140
	;; [unrolled: 1-line block ×3, first 2 shown]
	v_lshlrev_b32_e32 v34, 2, v125
	s_lshr_b32 s7, s7, 2
	v_lshlrev_b32_e32 v220, 2, v207
	s_wait_alu 0xfffe
	s_add_co_i32 s7, s7, 0xa200
	s_and_b32 vcc_lo, exec_lo, s5
	s_mov_b32 s5, 0
	s_wait_dscnt 0x7
	v_dot4_i32_iu8 v0, v9, v39, 0 neg_lo:[1,1,0]
	s_wait_dscnt 0x6
	v_dot4_i32_iu8 v1, v2, v9, 0 neg_lo:[1,1,0]
	;; [unrolled: 2-line block ×4, first 2 shown]
	v_dot4_i32_iu8 v0, v10, v40, v0 neg_lo:[1,1,0]
	v_dot4_i32_iu8 v1, v3, v10, v1 neg_lo:[1,1,0]
	;; [unrolled: 1-line block ×3, first 2 shown]
	s_delay_alu instid0(VALU_DEP_4) | instskip(NEXT) | instid1(VALU_DEP_4)
	v_dot4_i32_iu8 v5, v10, v56, v5 neg_lo:[1,1,0]
	v_dot4_i32_iu8 v0, v11, v57, v0 neg_lo:[1,1,0]
	s_delay_alu instid0(VALU_DEP_4)
	v_dot4_i32_iu8 v1, v6, v11, v1 neg_lo:[1,1,0]
	s_wait_dscnt 0x0
	v_dot4_i32_iu8 v4, v11, v59, v4 neg_lo:[1,1,0]
	v_dot4_i32_iu8 v5, v11, v61, v5 neg_lo:[1,1,0]
	;; [unrolled: 1-line block ×4, first 2 shown]
	s_delay_alu instid0(VALU_DEP_4) | instskip(NEXT) | instid1(VALU_DEP_4)
	v_dot4_i32_iu8 v68, v12, v60, v4 neg_lo:[1,1,0]
	v_dot4_i32_iu8 v75, v12, v62, v5 neg_lo:[1,1,0]
	ds_load_2addr_b32 v[41:42], v20 offset0:8 offset1:9
	ds_load_b128 v[9:12], v65 offset:33312
	ds_load_2addr_b32 v[43:44], v79 offset0:8 offset1:9
	ds_load_2addr_b32 v[45:46], v83 offset0:8 offset1:9
	ds_load_2addr_b32 v[47:48], v20 offset0:10 offset1:11
	ds_load_2addr_b32 v[49:50], v79 offset0:10 offset1:11
	ds_load_2addr_b32 v[51:52], v83 offset0:10 offset1:11
	s_wait_dscnt 0x5
	v_dot4_i32_iu8 v0, v9, v41, 0 neg_lo:[1,1,0]
	s_delay_alu instid0(VALU_DEP_1) | instskip(SKIP_3) | instid1(VALU_DEP_1)
	v_dot4_i32_iu8 v4, v10, v42, v0 neg_lo:[1,1,0]
	ds_load_2addr_b32 v[0:1], v23 offset0:8 offset1:9
	s_wait_dscnt 0x0
	v_dot4_i32_iu8 v5, v0, v9, 0 neg_lo:[1,1,0]
	v_dot4_i32_iu8 v13, v1, v10, v5 neg_lo:[1,1,0]
	;; [unrolled: 1-line block ×3, first 2 shown]
	s_delay_alu instid0(VALU_DEP_1) | instskip(SKIP_1) | instid1(VALU_DEP_2)
	v_dot4_i32_iu8 v14, v10, v44, v5 neg_lo:[1,1,0]
	v_dot4_i32_iu8 v5, v9, v45, 0 neg_lo:[1,1,0]
	;; [unrolled: 1-line block ×3, first 2 shown]
	s_delay_alu instid0(VALU_DEP_2)
	v_dot4_i32_iu8 v9, v10, v46, v5 neg_lo:[1,1,0]
	v_dot4_i32_iu8 v10, v11, v47, v4 neg_lo:[1,1,0]
	ds_load_2addr_b32 v[4:5], v23 offset0:10 offset1:11
	v_dot4_i32_iu8 v78, v12, v50, v14 neg_lo:[1,1,0]
	v_dot4_i32_iu8 v9, v11, v51, v9 neg_lo:[1,1,0]
	;; [unrolled: 1-line block ×3, first 2 shown]
	s_delay_alu instid0(VALU_DEP_2) | instskip(SKIP_2) | instid1(VALU_DEP_1)
	v_dot4_i32_iu8 v80, v12, v52, v9 neg_lo:[1,1,0]
	s_wait_dscnt 0x0
	v_dot4_i32_iu8 v13, v4, v11, v13 neg_lo:[1,1,0]
	v_dot4_i32_iu8 v77, v5, v12, v13 neg_lo:[1,1,0]
	ds_load_b128 v[9:12], v217 offset:33280
	s_wait_dscnt 0x0
	v_dot4_i32_iu8 v13, v9, v39, 0 neg_lo:[1,1,0]
	v_dot4_i32_iu8 v14, v2, v9, 0 neg_lo:[1,1,0]
	v_dot4_i32_iu8 v15, v9, v53, 0 neg_lo:[1,1,0]
	v_dot4_i32_iu8 v9, v9, v55, 0 neg_lo:[1,1,0]
	s_delay_alu instid0(VALU_DEP_4) | instskip(NEXT) | instid1(VALU_DEP_4)
	v_dot4_i32_iu8 v13, v10, v40, v13 neg_lo:[1,1,0]
	v_dot4_i32_iu8 v14, v3, v10, v14 neg_lo:[1,1,0]
	s_delay_alu instid0(VALU_DEP_4) | instskip(NEXT) | instid1(VALU_DEP_4)
	v_dot4_i32_iu8 v15, v10, v54, v15 neg_lo:[1,1,0]
	v_dot4_i32_iu8 v9, v10, v56, v9 neg_lo:[1,1,0]
	s_delay_alu instid0(VALU_DEP_4) | instskip(NEXT) | instid1(VALU_DEP_4)
	v_dot4_i32_iu8 v10, v11, v57, v13 neg_lo:[1,1,0]
	v_dot4_i32_iu8 v13, v6, v11, v14 neg_lo:[1,1,0]
	s_delay_alu instid0(VALU_DEP_4) | instskip(NEXT) | instid1(VALU_DEP_4)
	v_dot4_i32_iu8 v14, v11, v59, v15 neg_lo:[1,1,0]
	v_dot4_i32_iu8 v9, v11, v61, v9 neg_lo:[1,1,0]
	s_delay_alu instid0(VALU_DEP_4) | instskip(NEXT) | instid1(VALU_DEP_4)
	v_dot4_i32_iu8 v113, v12, v58, v10 neg_lo:[1,1,0]
	v_dot4_i32_iu8 v116, v7, v12, v13 neg_lo:[1,1,0]
	s_delay_alu instid0(VALU_DEP_4) | instskip(NEXT) | instid1(VALU_DEP_4)
	v_dot4_i32_iu8 v22, v12, v60, v14 neg_lo:[1,1,0]
	v_dot4_i32_iu8 v21, v12, v62, v9 neg_lo:[1,1,0]
	ds_load_b128 v[9:12], v217 offset:33312
	s_wait_dscnt 0x0
	v_dot4_i32_iu8 v13, v9, v41, 0 neg_lo:[1,1,0]
	v_dot4_i32_iu8 v14, v0, v9, 0 neg_lo:[1,1,0]
	v_dot4_i32_iu8 v15, v9, v43, 0 neg_lo:[1,1,0]
	v_dot4_i32_iu8 v9, v9, v45, 0 neg_lo:[1,1,0]
	s_delay_alu instid0(VALU_DEP_4) | instskip(NEXT) | instid1(VALU_DEP_4)
	v_dot4_i32_iu8 v13, v10, v42, v13 neg_lo:[1,1,0]
	v_dot4_i32_iu8 v14, v1, v10, v14 neg_lo:[1,1,0]
	s_delay_alu instid0(VALU_DEP_4) | instskip(NEXT) | instid1(VALU_DEP_4)
	v_dot4_i32_iu8 v15, v10, v44, v15 neg_lo:[1,1,0]
	v_dot4_i32_iu8 v9, v10, v46, v9 neg_lo:[1,1,0]
	s_delay_alu instid0(VALU_DEP_4) | instskip(NEXT) | instid1(VALU_DEP_4)
	v_dot4_i32_iu8 v10, v11, v47, v13 neg_lo:[1,1,0]
	v_dot4_i32_iu8 v13, v4, v11, v14 neg_lo:[1,1,0]
	s_delay_alu instid0(VALU_DEP_4) | instskip(NEXT) | instid1(VALU_DEP_4)
	v_dot4_i32_iu8 v14, v11, v49, v15 neg_lo:[1,1,0]
	v_dot4_i32_iu8 v9, v11, v51, v9 neg_lo:[1,1,0]
	s_delay_alu instid0(VALU_DEP_4) | instskip(NEXT) | instid1(VALU_DEP_4)
	v_dot4_i32_iu8 v95, v12, v48, v10 neg_lo:[1,1,0]
	v_dot4_i32_iu8 v96, v5, v12, v13 neg_lo:[1,1,0]
	s_delay_alu instid0(VALU_DEP_4) | instskip(NEXT) | instid1(VALU_DEP_4)
	;; [unrolled: 24-line block ×7, first 2 shown]
	v_dot4_i32_iu8 v108, v15, v60, v17 neg_lo:[1,1,0]
	v_dot4_i32_iu8 v236, v15, v62, v12 neg_lo:[1,1,0]
	ds_load_b128 v[14:17], v220 offset:33312
	s_wait_dscnt 0x0
	v_dot4_i32_iu8 v9, v14, v41, 0 neg_lo:[1,1,0]
	v_dot4_i32_iu8 v12, v0, v14, 0 neg_lo:[1,1,0]
	;; [unrolled: 1-line block ×4, first 2 shown]
	s_delay_alu instid0(VALU_DEP_4) | instskip(NEXT) | instid1(VALU_DEP_4)
	v_dot4_i32_iu8 v9, v15, v42, v9 neg_lo:[1,1,0]
	v_dot4_i32_iu8 v12, v1, v15, v12 neg_lo:[1,1,0]
	s_delay_alu instid0(VALU_DEP_4) | instskip(NEXT) | instid1(VALU_DEP_4)
	v_dot4_i32_iu8 v18, v15, v44, v18 neg_lo:[1,1,0]
	v_dot4_i32_iu8 v14, v15, v46, v14 neg_lo:[1,1,0]
	;; [unrolled: 3-line block ×4, first 2 shown]
	s_delay_alu instid0(VALU_DEP_4)
	v_dot4_i32_iu8 v237, v17, v48, v9 neg_lo:[1,1,0]
	v_lshlrev_b32_e32 v9, 2, v204
	v_dot4_i32_iu8 v238, v5, v17, v12 neg_lo:[1,1,0]
	v_dot4_i32_iu8 v239, v17, v50, v15 neg_lo:[1,1,0]
	;; [unrolled: 1-line block ×3, first 2 shown]
	ds_load_b128 v[14:17], v9 offset:33280
	s_wait_dscnt 0x0
	v_dot4_i32_iu8 v12, v14, v39, 0 neg_lo:[1,1,0]
	v_dot4_i32_iu8 v18, v14, v53, 0 neg_lo:[1,1,0]
	;; [unrolled: 1-line block ×4, first 2 shown]
	s_delay_alu instid0(VALU_DEP_4) | instskip(NEXT) | instid1(VALU_DEP_4)
	v_dot4_i32_iu8 v12, v15, v40, v12 neg_lo:[1,1,0]
	v_dot4_i32_iu8 v18, v15, v54, v18 neg_lo:[1,1,0]
	s_delay_alu instid0(VALU_DEP_4) | instskip(NEXT) | instid1(VALU_DEP_4)
	v_dot4_i32_iu8 v19, v3, v15, v19 neg_lo:[1,1,0]
	v_dot4_i32_iu8 v14, v15, v56, v14 neg_lo:[1,1,0]
	;; [unrolled: 3-line block ×6, first 2 shown]
	v_lshlrev_b32_e32 v14, 2, v208
	ds_load_b128 v[15:18], v14 offset:33280
	s_wait_dscnt 0x0
	v_dot4_i32_iu8 v19, v15, v39, 0 neg_lo:[1,1,0]
	v_dot4_i32_iu8 v63, v15, v53, 0 neg_lo:[1,1,0]
	v_dot4_i32_iu8 v64, v15, v55, 0 neg_lo:[1,1,0]
	v_dot4_i32_iu8 v15, v2, v15, 0 neg_lo:[1,1,0]
	s_delay_alu instid0(VALU_DEP_4) | instskip(NEXT) | instid1(VALU_DEP_4)
	v_dot4_i32_iu8 v19, v16, v40, v19 neg_lo:[1,1,0]
	v_dot4_i32_iu8 v63, v16, v54, v63 neg_lo:[1,1,0]
	s_delay_alu instid0(VALU_DEP_4) | instskip(NEXT) | instid1(VALU_DEP_4)
	v_dot4_i32_iu8 v64, v16, v56, v64 neg_lo:[1,1,0]
	v_dot4_i32_iu8 v15, v3, v16, v15 neg_lo:[1,1,0]
	s_delay_alu instid0(VALU_DEP_4) | instskip(NEXT) | instid1(VALU_DEP_4)
	v_dot4_i32_iu8 v16, v17, v57, v19 neg_lo:[1,1,0]
	v_dot4_i32_iu8 v19, v17, v59, v63 neg_lo:[1,1,0]
	s_delay_alu instid0(VALU_DEP_4) | instskip(NEXT) | instid1(VALU_DEP_4)
	v_dot4_i32_iu8 v63, v17, v61, v64 neg_lo:[1,1,0]
	v_dot4_i32_iu8 v15, v6, v17, v15 neg_lo:[1,1,0]
	s_delay_alu instid0(VALU_DEP_4) | instskip(NEXT) | instid1(VALU_DEP_4)
	v_dot4_i32_iu8 v111, v18, v58, v16 neg_lo:[1,1,0]
	v_dot4_i32_iu8 v109, v18, v60, v19 neg_lo:[1,1,0]
	s_delay_alu instid0(VALU_DEP_4) | instskip(NEXT) | instid1(VALU_DEP_4)
	v_dot4_i32_iu8 v110, v18, v62, v63 neg_lo:[1,1,0]
	v_dot4_i32_iu8 v112, v7, v18, v15 neg_lo:[1,1,0]
	ds_load_b128 v[15:18], v14 offset:33312
	s_wait_dscnt 0x0
	v_dot4_i32_iu8 v19, v15, v41, 0 neg_lo:[1,1,0]
	v_dot4_i32_iu8 v63, v0, v15, 0 neg_lo:[1,1,0]
	v_dot4_i32_iu8 v64, v15, v43, 0 neg_lo:[1,1,0]
	v_dot4_i32_iu8 v15, v15, v45, 0 neg_lo:[1,1,0]
	s_delay_alu instid0(VALU_DEP_4) | instskip(NEXT) | instid1(VALU_DEP_4)
	v_dot4_i32_iu8 v19, v16, v42, v19 neg_lo:[1,1,0]
	v_dot4_i32_iu8 v63, v1, v16, v63 neg_lo:[1,1,0]
	s_delay_alu instid0(VALU_DEP_4) | instskip(NEXT) | instid1(VALU_DEP_4)
	v_dot4_i32_iu8 v64, v16, v44, v64 neg_lo:[1,1,0]
	v_dot4_i32_iu8 v15, v16, v46, v15 neg_lo:[1,1,0]
	s_delay_alu instid0(VALU_DEP_4) | instskip(NEXT) | instid1(VALU_DEP_4)
	v_dot4_i32_iu8 v16, v17, v47, v19 neg_lo:[1,1,0]
	v_dot4_i32_iu8 v63, v4, v17, v63 neg_lo:[1,1,0]
	s_delay_alu instid0(VALU_DEP_4) | instskip(NEXT) | instid1(VALU_DEP_4)
	v_dot4_i32_iu8 v64, v17, v49, v64 neg_lo:[1,1,0]
	v_dot4_i32_iu8 v15, v17, v51, v15 neg_lo:[1,1,0]
	s_delay_alu instid0(VALU_DEP_4) | instskip(NEXT) | instid1(VALU_DEP_4)
	v_dot4_i32_iu8 v19, v18, v48, v16 neg_lo:[1,1,0]
	v_dot4_i32_iu8 v115, v5, v18, v63 neg_lo:[1,1,0]
	s_delay_alu instid0(VALU_DEP_4) | instskip(NEXT) | instid1(VALU_DEP_4)
	v_dot4_i32_iu8 v241, v18, v50, v64 neg_lo:[1,1,0]
	v_dot4_i32_iu8 v242, v18, v52, v15 neg_lo:[1,1,0]
	;; [unrolled: 24-line block ×3, first 2 shown]
	ds_load_2addr_b32 v[63:64], v20 offset0:4 offset1:5
	ds_load_b128 v[71:74], v65 offset:33296
	ds_load_2addr_b32 v[69:70], v23 offset0:4 offset1:5
	ds_load_2addr_b32 v[85:86], v79 offset0:4 offset1:5
	;; [unrolled: 1-line block ×6, first 2 shown]
	s_wait_dscnt 0x6
	v_dot4_i32_iu8 v66, v71, v63, v66 neg_lo:[1,1,0]
	s_wait_dscnt 0x5
	v_dot4_i32_iu8 v67, v69, v71, v67 neg_lo:[1,1,0]
	;; [unrolled: 2-line block ×4, first 2 shown]
	v_dot4_i32_iu8 v66, v72, v64, v66 neg_lo:[1,1,0]
	v_dot4_i32_iu8 v67, v70, v72, v67 neg_lo:[1,1,0]
	;; [unrolled: 1-line block ×3, first 2 shown]
	s_delay_alu instid0(VALU_DEP_4)
	v_dot4_i32_iu8 v75, v72, v88, v71 neg_lo:[1,1,0]
	ds_load_2addr_b32 v[71:72], v23 offset0:6 offset1:7
	s_wait_dscnt 0x3
	v_dot4_i32_iu8 v66, v73, v89, v66 neg_lo:[1,1,0]
	s_wait_dscnt 0x2
	v_dot4_i32_iu8 v68, v73, v91, v68 neg_lo:[1,1,0]
	s_delay_alu instid0(VALU_DEP_2) | instskip(NEXT) | instid1(VALU_DEP_2)
	v_dot4_i32_iu8 v212, v74, v90, v66 neg_lo:[1,1,0]
	v_dot4_i32_iu8 v210, v74, v92, v68 neg_lo:[1,1,0]
	s_wait_dscnt 0x0
	v_dot4_i32_iu8 v67, v71, v73, v67 neg_lo:[1,1,0]
	v_dot4_i32_iu8 v73, v73, v93, v75 neg_lo:[1,1,0]
	s_delay_alu instid0(VALU_DEP_2) | instskip(NEXT) | instid1(VALU_DEP_2)
	v_dot4_i32_iu8 v211, v72, v74, v67 neg_lo:[1,1,0]
	v_dot4_i32_iu8 v209, v74, v94, v73 neg_lo:[1,1,0]
	ds_load_2addr_b32 v[73:74], v20 offset0:12 offset1:13
	ds_load_b128 v[243:246], v65 offset:33328
	ds_load_2addr_b32 v[65:66], v23 offset0:12 offset1:13
	ds_load_2addr_b32 v[81:82], v83 offset0:12 offset1:13
	s_wait_dscnt 0x2
	v_dot4_i32_iu8 v67, v243, v73, v76 neg_lo:[1,1,0]
	ds_load_2addr_b32 v[75:76], v79 offset0:12 offset1:13
	s_wait_dscnt 0x2
	v_dot4_i32_iu8 v68, v65, v243, v77 neg_lo:[1,1,0]
	v_dot4_i32_iu8 v67, v244, v74, v67 neg_lo:[1,1,0]
	s_wait_dscnt 0x0
	v_dot4_i32_iu8 v77, v243, v75, v78 neg_lo:[1,1,0]
	v_dot4_i32_iu8 v78, v243, v81, v80 neg_lo:[1,1,0]
	;; [unrolled: 1-line block ×3, first 2 shown]
	s_delay_alu instid0(VALU_DEP_3) | instskip(NEXT) | instid1(VALU_DEP_3)
	v_dot4_i32_iu8 v84, v244, v76, v77 neg_lo:[1,1,0]
	v_dot4_i32_iu8 v117, v244, v82, v78 neg_lo:[1,1,0]
	ds_load_2addr_b32 v[77:78], v20 offset0:14 offset1:15
	s_wait_dscnt 0x0
	v_dot4_i32_iu8 v20, v245, v77, v67 neg_lo:[1,1,0]
	ds_load_2addr_b32 v[67:68], v23 offset0:14 offset1:15
	v_dot4_i32_iu8 v216, v246, v78, v20 neg_lo:[1,1,0]
	s_wait_dscnt 0x0
	v_dot4_i32_iu8 v23, v67, v245, v80 neg_lo:[1,1,0]
	ds_load_2addr_b32 v[79:80], v79 offset0:14 offset1:15
	v_dot4_i32_iu8 v215, v68, v246, v23 neg_lo:[1,1,0]
	;; [unrolled: 4-line block ×3, first 2 shown]
	s_wait_dscnt 0x0
	v_dot4_i32_iu8 v117, v245, v83, v117 neg_lo:[1,1,0]
	s_delay_alu instid0(VALU_DEP_1)
	v_dot4_i32_iu8 v213, v246, v84, v117 neg_lo:[1,1,0]
	ds_load_b128 v[243:246], v217 offset:33296
	s_wait_dscnt 0x0
	v_dot4_i32_iu8 v20, v243, v63, v113 neg_lo:[1,1,0]
	v_dot4_i32_iu8 v23, v69, v243, v116 neg_lo:[1,1,0]
	v_dot4_i32_iu8 v22, v243, v85, v22 neg_lo:[1,1,0]
	v_dot4_i32_iu8 v21, v243, v87, v21 neg_lo:[1,1,0]
	s_delay_alu instid0(VALU_DEP_4) | instskip(NEXT) | instid1(VALU_DEP_4)
	v_dot4_i32_iu8 v20, v244, v64, v20 neg_lo:[1,1,0]
	v_dot4_i32_iu8 v23, v70, v244, v23 neg_lo:[1,1,0]
	s_delay_alu instid0(VALU_DEP_4) | instskip(NEXT) | instid1(VALU_DEP_4)
	v_dot4_i32_iu8 v22, v244, v86, v22 neg_lo:[1,1,0]
	v_dot4_i32_iu8 v21, v244, v88, v21 neg_lo:[1,1,0]
	s_delay_alu instid0(VALU_DEP_4) | instskip(NEXT) | instid1(VALU_DEP_4)
	v_dot4_i32_iu8 v20, v245, v89, v20 neg_lo:[1,1,0]
	v_dot4_i32_iu8 v23, v71, v245, v23 neg_lo:[1,1,0]
	s_delay_alu instid0(VALU_DEP_4) | instskip(NEXT) | instid1(VALU_DEP_4)
	v_dot4_i32_iu8 v22, v245, v91, v22 neg_lo:[1,1,0]
	v_dot4_i32_iu8 v21, v245, v93, v21 neg_lo:[1,1,0]
	s_delay_alu instid0(VALU_DEP_4) | instskip(NEXT) | instid1(VALU_DEP_4)
	v_dot4_i32_iu8 v20, v246, v90, v20 neg_lo:[1,1,0]
	v_dot4_i32_iu8 v244, v72, v246, v23 neg_lo:[1,1,0]
	s_delay_alu instid0(VALU_DEP_4) | instskip(NEXT) | instid1(VALU_DEP_4)
	v_dot4_i32_iu8 v243, v246, v92, v22 neg_lo:[1,1,0]
	v_dot4_i32_iu8 v113, v246, v94, v21 neg_lo:[1,1,0]
	ds_load_b128 v[245:248], v217 offset:33328
	s_wait_dscnt 0x0
	v_dot4_i32_iu8 v21, v65, v245, v96 neg_lo:[1,1,0]
	v_dot4_i32_iu8 v22, v245, v75, v97 neg_lo:[1,1,0]
	v_dot4_i32_iu8 v23, v245, v81, v104 neg_lo:[1,1,0]
	v_dot4_i32_iu8 v95, v245, v73, v95 neg_lo:[1,1,0]
	s_delay_alu instid0(VALU_DEP_4) | instskip(NEXT) | instid1(VALU_DEP_4)
	v_dot4_i32_iu8 v21, v66, v246, v21 neg_lo:[1,1,0]
	v_dot4_i32_iu8 v22, v246, v76, v22 neg_lo:[1,1,0]
	s_delay_alu instid0(VALU_DEP_4) | instskip(NEXT) | instid1(VALU_DEP_4)
	v_dot4_i32_iu8 v23, v246, v82, v23 neg_lo:[1,1,0]
	v_dot4_i32_iu8 v95, v246, v74, v95 neg_lo:[1,1,0]
	s_delay_alu instid0(VALU_DEP_4) | instskip(NEXT) | instid1(VALU_DEP_4)
	v_dot4_i32_iu8 v21, v67, v247, v21 neg_lo:[1,1,0]
	v_dot4_i32_iu8 v22, v247, v79, v22 neg_lo:[1,1,0]
	s_delay_alu instid0(VALU_DEP_4) | instskip(NEXT) | instid1(VALU_DEP_4)
	v_dot4_i32_iu8 v23, v247, v83, v23 neg_lo:[1,1,0]
	v_dot4_i32_iu8 v95, v247, v77, v95 neg_lo:[1,1,0]
	s_delay_alu instid0(VALU_DEP_4) | instskip(NEXT) | instid1(VALU_DEP_4)
	v_dot4_i32_iu8 v245, v68, v248, v21 neg_lo:[1,1,0]
	v_dot4_i32_iu8 v217, v248, v80, v22 neg_lo:[1,1,0]
	s_delay_alu instid0(VALU_DEP_4) | instskip(NEXT) | instid1(VALU_DEP_4)
	v_dot4_i32_iu8 v21, v248, v84, v23 neg_lo:[1,1,0]
	;; [unrolled: 24-line block ×4, first 2 shown]
	v_dot4_i32_iu8 v218, v251, v84, v97 neg_lo:[1,1,0]
	ds_load_b128 v[248:251], v219 offset:33296
	s_wait_dscnt 0x0
	v_dot4_i32_iu8 v22, v248, v63, v228 neg_lo:[1,1,0]
	v_dot4_i32_iu8 v23, v69, v248, v229 neg_lo:[1,1,0]
	;; [unrolled: 1-line block ×4, first 2 shown]
	ds_load_b128 v[228:231], v219 offset:33328
	v_dot4_i32_iu8 v22, v249, v64, v22 neg_lo:[1,1,0]
	v_dot4_i32_iu8 v23, v70, v249, v23 neg_lo:[1,1,0]
	;; [unrolled: 1-line block ×4, first 2 shown]
	s_delay_alu instid0(VALU_DEP_4) | instskip(NEXT) | instid1(VALU_DEP_4)
	v_dot4_i32_iu8 v22, v250, v89, v22 neg_lo:[1,1,0]
	v_dot4_i32_iu8 v23, v71, v250, v23 neg_lo:[1,1,0]
	s_delay_alu instid0(VALU_DEP_4) | instskip(NEXT) | instid1(VALU_DEP_4)
	v_dot4_i32_iu8 v95, v250, v91, v95 neg_lo:[1,1,0]
	v_dot4_i32_iu8 v117, v250, v93, v97 neg_lo:[1,1,0]
	;; [unrolled: 3-line block ×4, first 2 shown]
	ds_load_b128 v[248:251], v220 offset:33328
	s_wait_dscnt 0x1
	v_dot4_i32_iu8 v22, v65, v228, v106 neg_lo:[1,1,0]
	v_dot4_i32_iu8 v23, v228, v75, v234 neg_lo:[1,1,0]
	;; [unrolled: 1-line block ×4, first 2 shown]
	s_delay_alu instid0(VALU_DEP_4) | instskip(NEXT) | instid1(VALU_DEP_4)
	v_dot4_i32_iu8 v22, v66, v229, v22 neg_lo:[1,1,0]
	v_dot4_i32_iu8 v23, v229, v76, v23 neg_lo:[1,1,0]
	s_delay_alu instid0(VALU_DEP_4) | instskip(NEXT) | instid1(VALU_DEP_4)
	v_dot4_i32_iu8 v106, v229, v82, v106 neg_lo:[1,1,0]
	v_dot4_i32_iu8 v11, v229, v74, v11 neg_lo:[1,1,0]
	;; [unrolled: 3-line block ×6, first 2 shown]
	ds_load_b128 v[228:231], v220 offset:33296
	s_wait_dscnt 0x0
	v_dot4_i32_iu8 v11, v228, v63, v13 neg_lo:[1,1,0]
	v_dot4_i32_iu8 v13, v69, v228, v107 neg_lo:[1,1,0]
	v_dot4_i32_iu8 v22, v228, v85, v108 neg_lo:[1,1,0]
	v_dot4_i32_iu8 v23, v228, v87, v236 neg_lo:[1,1,0]
	v_dot4_i32_iu8 v107, v248, v81, v240 neg_lo:[1,1,0]
	v_dot4_i32_iu8 v11, v229, v64, v11 neg_lo:[1,1,0]
	v_dot4_i32_iu8 v13, v70, v229, v13 neg_lo:[1,1,0]
	v_dot4_i32_iu8 v22, v229, v86, v22 neg_lo:[1,1,0]
	v_dot4_i32_iu8 v23, v229, v88, v23 neg_lo:[1,1,0]
	v_dot4_i32_iu8 v107, v249, v82, v107 neg_lo:[1,1,0]
	v_dot4_i32_iu8 v11, v230, v89, v11 neg_lo:[1,1,0]
	v_dot4_i32_iu8 v13, v71, v230, v13 neg_lo:[1,1,0]
	v_dot4_i32_iu8 v22, v230, v91, v22 neg_lo:[1,1,0]
	v_dot4_i32_iu8 v23, v230, v93, v23 neg_lo:[1,1,0]
	v_dot4_i32_iu8 v107, v250, v83, v107 neg_lo:[1,1,0]
	v_dot4_i32_iu8 v222, v231, v90, v11 neg_lo:[1,1,0]
	v_dot4_i32_iu8 v108, v72, v231, v13 neg_lo:[1,1,0]
	v_dot4_i32_iu8 v106, v231, v92, v22 neg_lo:[1,1,0]
	v_dot4_i32_iu8 v13, v248, v73, v237 neg_lo:[1,1,0]
	v_dot4_i32_iu8 v22, v65, v248, v238 neg_lo:[1,1,0]
	ds_load_b128 v[235:238], v14 offset:33296
	v_dot4_i32_iu8 v11, v231, v94, v23 neg_lo:[1,1,0]
	v_dot4_i32_iu8 v23, v248, v75, v239 neg_lo:[1,1,0]
	;; [unrolled: 1-line block ×5, first 2 shown]
	s_delay_alu instid0(VALU_DEP_4) | instskip(NEXT) | instid1(VALU_DEP_4)
	v_dot4_i32_iu8 v23, v249, v76, v23 neg_lo:[1,1,0]
	v_dot4_i32_iu8 v13, v250, v77, v13 neg_lo:[1,1,0]
	s_delay_alu instid0(VALU_DEP_4) | instskip(NEXT) | instid1(VALU_DEP_3)
	v_dot4_i32_iu8 v22, v67, v250, v22 neg_lo:[1,1,0]
	v_dot4_i32_iu8 v23, v250, v79, v23 neg_lo:[1,1,0]
	s_delay_alu instid0(VALU_DEP_3) | instskip(NEXT) | instid1(VALU_DEP_3)
	v_dot4_i32_iu8 v231, v251, v78, v13 neg_lo:[1,1,0]
	v_dot4_i32_iu8 v229, v68, v251, v22 neg_lo:[1,1,0]
	s_delay_alu instid0(VALU_DEP_3)
	v_dot4_i32_iu8 v228, v251, v80, v23 neg_lo:[1,1,0]
	s_wait_dscnt 0x0
	v_dot4_i32_iu8 v13, v235, v63, v111 neg_lo:[1,1,0]
	v_dot4_i32_iu8 v22, v69, v235, v112 neg_lo:[1,1,0]
	v_dot4_i32_iu8 v23, v235, v85, v109 neg_lo:[1,1,0]
	v_dot4_i32_iu8 v107, v235, v87, v110 neg_lo:[1,1,0]
	s_delay_alu instid0(VALU_DEP_4) | instskip(NEXT) | instid1(VALU_DEP_4)
	v_dot4_i32_iu8 v13, v236, v64, v13 neg_lo:[1,1,0]
	v_dot4_i32_iu8 v22, v70, v236, v22 neg_lo:[1,1,0]
	s_delay_alu instid0(VALU_DEP_4) | instskip(NEXT) | instid1(VALU_DEP_4)
	v_dot4_i32_iu8 v23, v236, v86, v23 neg_lo:[1,1,0]
	v_dot4_i32_iu8 v107, v236, v88, v107 neg_lo:[1,1,0]
	s_delay_alu instid0(VALU_DEP_4) | instskip(NEXT) | instid1(VALU_DEP_4)
	v_dot4_i32_iu8 v13, v237, v89, v13 neg_lo:[1,1,0]
	v_dot4_i32_iu8 v22, v71, v237, v22 neg_lo:[1,1,0]
	s_delay_alu instid0(VALU_DEP_4) | instskip(NEXT) | instid1(VALU_DEP_4)
	v_dot4_i32_iu8 v23, v237, v91, v23 neg_lo:[1,1,0]
	v_dot4_i32_iu8 v109, v237, v93, v107 neg_lo:[1,1,0]
	s_delay_alu instid0(VALU_DEP_4) | instskip(NEXT) | instid1(VALU_DEP_4)
	v_dot4_i32_iu8 v111, v238, v90, v13 neg_lo:[1,1,0]
	v_dot4_i32_iu8 v110, v72, v238, v22 neg_lo:[1,1,0]
	s_delay_alu instid0(VALU_DEP_4) | instskip(NEXT) | instid1(VALU_DEP_4)
	v_dot4_i32_iu8 v107, v238, v92, v23 neg_lo:[1,1,0]
	v_dot4_i32_iu8 v13, v238, v94, v109 neg_lo:[1,1,0]
	ds_load_b128 v[235:238], v14 offset:33328
	s_wait_dscnt 0x0
	v_dot4_i32_iu8 v14, v65, v235, v115 neg_lo:[1,1,0]
	v_dot4_i32_iu8 v22, v235, v75, v241 neg_lo:[1,1,0]
	v_dot4_i32_iu8 v23, v235, v81, v242 neg_lo:[1,1,0]
	v_dot4_i32_iu8 v19, v235, v73, v19 neg_lo:[1,1,0]
	s_delay_alu instid0(VALU_DEP_4) | instskip(NEXT) | instid1(VALU_DEP_4)
	v_dot4_i32_iu8 v14, v66, v236, v14 neg_lo:[1,1,0]
	v_dot4_i32_iu8 v22, v236, v76, v22 neg_lo:[1,1,0]
	s_delay_alu instid0(VALU_DEP_4) | instskip(NEXT) | instid1(VALU_DEP_4)
	v_dot4_i32_iu8 v23, v236, v82, v23 neg_lo:[1,1,0]
	v_dot4_i32_iu8 v19, v236, v74, v19 neg_lo:[1,1,0]
	s_delay_alu instid0(VALU_DEP_4) | instskip(NEXT) | instid1(VALU_DEP_4)
	v_dot4_i32_iu8 v14, v67, v237, v14 neg_lo:[1,1,0]
	v_dot4_i32_iu8 v22, v237, v79, v22 neg_lo:[1,1,0]
	s_delay_alu instid0(VALU_DEP_4) | instskip(NEXT) | instid1(VALU_DEP_4)
	v_dot4_i32_iu8 v23, v237, v83, v23 neg_lo:[1,1,0]
	v_dot4_i32_iu8 v19, v237, v77, v19 neg_lo:[1,1,0]
	s_delay_alu instid0(VALU_DEP_4) | instskip(NEXT) | instid1(VALU_DEP_4)
	v_dot4_i32_iu8 v230, v68, v238, v14 neg_lo:[1,1,0]
	v_dot4_i32_iu8 v115, v238, v80, v22 neg_lo:[1,1,0]
	s_delay_alu instid0(VALU_DEP_4) | instskip(NEXT) | instid1(VALU_DEP_4)
	v_dot4_i32_iu8 v112, v238, v84, v23 neg_lo:[1,1,0]
	v_dot4_i32_iu8 v235, v238, v78, v19 neg_lo:[1,1,0]
	ds_load_b128 v[236:239], v9 offset:33296
	;; [unrolled: 24-line block ×3, first 2 shown]
	s_wait_dscnt 0x0
	v_dot4_i32_iu8 v9, v65, v236, v15 neg_lo:[1,1,0]
	v_dot4_i32_iu8 v15, v236, v73, v16 neg_lo:[1,1,0]
	;; [unrolled: 1-line block ×4, first 2 shown]
	s_delay_alu instid0(VALU_DEP_4) | instskip(NEXT) | instid1(VALU_DEP_4)
	v_dot4_i32_iu8 v9, v66, v237, v9 neg_lo:[1,1,0]
	v_dot4_i32_iu8 v15, v237, v74, v15 neg_lo:[1,1,0]
	s_delay_alu instid0(VALU_DEP_4) | instskip(NEXT) | instid1(VALU_DEP_4)
	v_dot4_i32_iu8 v16, v237, v76, v16 neg_lo:[1,1,0]
	v_dot4_i32_iu8 v17, v237, v82, v17 neg_lo:[1,1,0]
	;; [unrolled: 3-line block ×6, first 2 shown]
	v_or_b32_e32 v22, s12, v101
	s_delay_alu instid0(VALU_DEP_1)
	v_lshlrev_b32_e32 v9, 2, v22
	ds_load_b128 v[236:239], v9 offset:33280
	s_wait_dscnt 0x0
	v_dot4_i32_iu8 v23, v236, v39, 0 neg_lo:[1,1,0]
	v_dot4_i32_iu8 v39, v236, v53, 0 neg_lo:[1,1,0]
	v_perm_b32 v117, v236, v237, 0xc0c0602
	v_perm_b32 v118, v239, v238, 0x6020c0c
	s_delay_alu instid0(VALU_DEP_4) | instskip(SKIP_2) | instid1(VALU_DEP_3)
	v_dot4_i32_iu8 v23, v237, v40, v23 neg_lo:[1,1,0]
	v_dot4_i32_iu8 v40, v236, v55, 0 neg_lo:[1,1,0]
	;; [unrolled: 1-line block ×4, first 2 shown]
	s_delay_alu instid0(VALU_DEP_3)
	v_dot4_i32_iu8 v40, v237, v56, v40 neg_lo:[1,1,0]
	ds_load_b128 v[53:56], v9 offset:33296
	v_dot4_i32_iu8 v39, v238, v59, v39 neg_lo:[1,1,0]
	v_perm_b32 v57, v236, v237, 0xc0c0501
	v_dot4_i32_iu8 v23, v239, v58, v23 neg_lo:[1,1,0]
	v_dot4_i32_iu8 v40, v238, v61, v40 neg_lo:[1,1,0]
	v_perm_b32 v61, v236, v237, 0xc0c0400
	v_dot4_i32_iu8 v39, v239, v60, v39 neg_lo:[1,1,0]
	v_perm_b32 v58, v239, v238, 0x5010c0c
	v_perm_b32 v59, v236, v237, 0xc0c0703
	v_dot4_i32_iu8 v40, v239, v62, v40 neg_lo:[1,1,0]
	v_perm_b32 v62, v239, v238, 0x4000c0c
	v_perm_b32 v60, v239, v238, 0x7030c0c
	s_delay_alu instid0(VALU_DEP_2) | instskip(NEXT) | instid1(VALU_DEP_2)
	v_or_b32_e32 v61, v62, v61
	v_or_b32_e32 v59, v60, v59
	s_wait_dscnt 0x0
	v_dot4_i32_iu8 v39, v53, v85, v39 neg_lo:[1,1,0]
	v_dot4_i32_iu8 v23, v53, v63, v23 neg_lo:[1,1,0]
	;; [unrolled: 1-line block ×3, first 2 shown]
	v_perm_b32 v63, v54, v53, 0xc0c0602
	v_perm_b32 v87, v54, v53, 0xc0c0400
	v_dot4_i32_iu8 v39, v54, v86, v39 neg_lo:[1,1,0]
	v_dot4_i32_iu8 v23, v54, v64, v23 neg_lo:[1,1,0]
	;; [unrolled: 1-line block ×3, first 2 shown]
	v_perm_b32 v64, v56, v55, 0x6020c0c
	v_perm_b32 v88, v56, v55, 0x4000c0c
	v_dot4_i32_iu8 v39, v55, v91, v39 neg_lo:[1,1,0]
	v_dot4_i32_iu8 v23, v55, v89, v23 neg_lo:[1,1,0]
	v_perm_b32 v89, v54, v53, 0xc0c0703
	v_perm_b32 v91, v54, v53, 0xc0c0501
	v_or_b32_e32 v63, v64, v63
	v_dot4_i32_iu8 v85, v56, v92, v39 neg_lo:[1,1,0]
	v_dot4_i32_iu8 v39, v55, v93, v40 neg_lo:[1,1,0]
	v_dot4_i32_iu8 v23, v56, v90, v23 neg_lo:[1,1,0]
	v_perm_b32 v90, v56, v55, 0x7030c0c
	v_perm_b32 v92, v56, v55, 0x5010c0c
	;; [unrolled: 1-line block ×3, first 2 shown]
	v_dot4_i32_iu8 v86, v56, v94, v39 neg_lo:[1,1,0]
	ds_load_b128 v[53:56], v9 offset:33312
	v_or_b32_e32 v62, v88, v87
	v_or_b32_e32 v60, v90, v89
	s_wait_dscnt 0x0
	v_dot4_i32_iu8 v39, v53, v41, 0 neg_lo:[1,1,0]
	v_dot4_i32_iu8 v40, v53, v43, 0 neg_lo:[1,1,0]
	;; [unrolled: 1-line block ×3, first 2 shown]
	s_delay_alu instid0(VALU_DEP_3) | instskip(NEXT) | instid1(VALU_DEP_3)
	v_dot4_i32_iu8 v39, v54, v42, v39 neg_lo:[1,1,0]
	v_dot4_i32_iu8 v40, v54, v44, v40 neg_lo:[1,1,0]
	s_delay_alu instid0(VALU_DEP_3) | instskip(SKIP_1) | instid1(VALU_DEP_4)
	v_dot4_i32_iu8 v41, v54, v46, v41 neg_lo:[1,1,0]
	v_perm_b32 v46, v53, v54, 0xc0c0501
	v_dot4_i32_iu8 v39, v55, v47, v39 neg_lo:[1,1,0]
	v_perm_b32 v47, v56, v55, 0x5010c0c
	s_delay_alu instid0(VALU_DEP_2) | instskip(SKIP_3) | instid1(VALU_DEP_3)
	v_dot4_i32_iu8 v43, v56, v48, v39 neg_lo:[1,1,0]
	v_dot4_i32_iu8 v39, v55, v49, v40 neg_lo:[1,1,0]
	v_perm_b32 v48, v53, v54, 0xc0c0703
	v_perm_b32 v49, v56, v55, 0x7030c0c
	v_dot4_i32_iu8 v44, v56, v50, v39 neg_lo:[1,1,0]
	v_dot4_i32_iu8 v39, v55, v51, v41 neg_lo:[1,1,0]
	v_perm_b32 v50, v53, v54, 0xc0c0400
	v_perm_b32 v51, v56, v55, 0x4000c0c
	v_or_b32_e32 v48, v49, v48
	s_delay_alu instid0(VALU_DEP_4)
	v_dot4_i32_iu8 v45, v56, v52, v39 neg_lo:[1,1,0]
	ds_load_b128 v[39:42], v9 offset:33328
	v_perm_b32 v52, v53, v54, 0xc0c0602
	v_perm_b32 v53, v56, v55, 0x6020c0c
	s_wait_dscnt 0x0
	v_dot4_i32_iu8 v9, v39, v81, v45 neg_lo:[1,1,0]
	v_dot4_i32_iu8 v43, v39, v73, v43 neg_lo:[1,1,0]
	v_dot4_i32_iu8 v44, v39, v75, v44 neg_lo:[1,1,0]
	v_perm_b32 v54, v42, v41, 0x6020c0c
	v_perm_b32 v55, v40, v39, 0xc0c0400
	v_dot4_i32_iu8 v9, v40, v82, v9 neg_lo:[1,1,0]
	v_dot4_i32_iu8 v43, v40, v74, v43 neg_lo:[1,1,0]
	;; [unrolled: 1-line block ×3, first 2 shown]
	v_perm_b32 v56, v42, v41, 0x4000c0c
	v_perm_b32 v73, v40, v39, 0xc0c0703
	v_dot4_i32_iu8 v9, v41, v83, v9 neg_lo:[1,1,0]
	v_perm_b32 v74, v42, v41, 0x7030c0c
	v_perm_b32 v75, v72, v71, 0x6020c0c
	s_delay_alu instid0(VALU_DEP_3) | instskip(SKIP_1) | instid1(VALU_DEP_4)
	v_dot4_i32_iu8 v45, v42, v84, v9 neg_lo:[1,1,0]
	v_dot4_i32_iu8 v9, v41, v77, v43 neg_lo:[1,1,0]
	v_or_b32_e32 v49, v74, v73
	s_delay_alu instid0(VALU_DEP_2) | instskip(SKIP_1) | instid1(VALU_DEP_1)
	v_dot4_i32_iu8 v43, v42, v78, v9 neg_lo:[1,1,0]
	v_dot4_i32_iu8 v9, v41, v79, v44 neg_lo:[1,1,0]
	;; [unrolled: 1-line block ×3, first 2 shown]
	v_perm_b32 v9, v40, v39, 0xc0c0602
	v_perm_b32 v39, v40, v39, 0xc0c0501
	;; [unrolled: 1-line block ×5, first 2 shown]
	v_or_b32_e32 v9, v54, v9
	s_delay_alu instid0(VALU_DEP_2) | instskip(SKIP_1) | instid1(VALU_DEP_1)
	v_or_b32_e32 v41, v42, v41
	v_perm_b32 v42, v70, v69, 0xc0c0602
	v_or_b32_e32 v42, v75, v42
	v_or_b32_e32 v75, v118, v117
	s_delay_alu instid0(VALU_DEP_1) | instskip(NEXT) | instid1(VALU_DEP_1)
	v_dot4_i32_iu8 v41, v41, v75, 0 neg_lo:[1,1,0]
	v_dot4_i32_iu8 v41, v42, v63, v41 neg_lo:[1,1,0]
	v_perm_b32 v42, v2, v3, 0xc0c0400
	v_perm_b32 v63, v7, v6, 0x4000c0c
	s_delay_alu instid0(VALU_DEP_1) | instskip(SKIP_1) | instid1(VALU_DEP_2)
	v_or_b32_e32 v42, v63, v42
	v_perm_b32 v63, v70, v69, 0xc0c0400
	v_dot4_i32_iu8 v42, v42, v61, 0 neg_lo:[1,1,0]
	s_delay_alu instid0(VALU_DEP_2)
	v_or_b32_e32 v63, v64, v63
	v_perm_b32 v61, v2, v3, 0xc0c0703
	v_perm_b32 v2, v2, v3, 0xc0c0501
	;; [unrolled: 1-line block ×3, first 2 shown]
	v_lshlrev_b32_e32 v64, 2, v100
	v_dot4_i32_iu8 v42, v63, v62, v42 neg_lo:[1,1,0]
	v_perm_b32 v62, v7, v6, 0x7030c0c
	v_perm_b32 v6, v70, v69, 0xc0c0501
	;; [unrolled: 1-line block ×3, first 2 shown]
	v_or_b32_e32 v2, v3, v2
	v_perm_b32 v63, v72, v71, 0x7030c0c
	v_or_b32_e32 v61, v62, v61
	v_perm_b32 v62, v70, v69, 0xc0c0703
	v_or_b32_e32 v3, v7, v6
	v_or_b32_e32 v6, v58, v57
	;; [unrolled: 1-line block ×3, first 2 shown]
	v_dot4_i32_iu8 v59, v61, v59, 0 neg_lo:[1,1,0]
	v_or_b32_e32 v62, v63, v62
	v_lshlrev_b32_e32 v63, 2, v128
	v_dot4_i32_iu8 v2, v2, v6, 0 neg_lo:[1,1,0]
	v_perm_b32 v6, v5, v4, 0x6020c0c
	s_delay_alu instid0(VALU_DEP_4) | instskip(NEXT) | instid1(VALU_DEP_3)
	v_dot4_i32_iu8 v59, v62, v60, v59 neg_lo:[1,1,0]
	v_dot4_i32_iu8 v2, v3, v7, v2 neg_lo:[1,1,0]
	v_perm_b32 v3, v0, v1, 0xc0c0602
	v_perm_b32 v7, v68, v67, 0x6020c0c
	s_delay_alu instid0(VALU_DEP_2) | instskip(SKIP_1) | instid1(VALU_DEP_1)
	v_or_b32_e32 v3, v6, v3
	v_perm_b32 v6, v66, v65, 0xc0c0602
	v_or_b32_e32 v6, v7, v6
	v_or_b32_e32 v7, v53, v52
	s_delay_alu instid0(VALU_DEP_1) | instskip(SKIP_1) | instid1(VALU_DEP_2)
	v_dot4_i32_iu8 v3, v3, v7, 0 neg_lo:[1,1,0]
	v_perm_b32 v7, v5, v4, 0x4000c0c
	v_dot4_i32_iu8 v3, v6, v9, v3 neg_lo:[1,1,0]
	v_perm_b32 v6, v0, v1, 0xc0c0400
	v_perm_b32 v9, v68, v67, 0x4000c0c
	s_delay_alu instid0(VALU_DEP_2) | instskip(SKIP_1) | instid1(VALU_DEP_1)
	v_or_b32_e32 v6, v7, v6
	v_perm_b32 v7, v66, v65, 0xc0c0400
	v_or_b32_e32 v7, v9, v7
	v_or_b32_e32 v9, v51, v50
	;; [unrolled: 1-line block ×3, first 2 shown]
	s_delay_alu instid0(VALU_DEP_2) | instskip(SKIP_1) | instid1(VALU_DEP_2)
	v_dot4_i32_iu8 v6, v6, v9, 0 neg_lo:[1,1,0]
	v_perm_b32 v9, v5, v4, 0x7030c0c
	v_dot4_i32_iu8 v6, v7, v50, v6 neg_lo:[1,1,0]
	v_perm_b32 v7, v0, v1, 0xc0c0703
	v_perm_b32 v50, v68, v67, 0x7030c0c
	;; [unrolled: 1-line block ×5, first 2 shown]
	v_or_b32_e32 v7, v9, v7
	v_perm_b32 v9, v66, v65, 0xc0c0703
	v_perm_b32 v5, v68, v67, 0x5010c0c
	v_or_b32_e32 v0, v1, v0
	v_lshlrev_b32_e32 v65, 2, v126
	v_dot4_i32_iu8 v7, v7, v48, 0 neg_lo:[1,1,0]
	v_or_b32_e32 v9, v50, v9
	v_or_b32_e32 v1, v5, v4
	;; [unrolled: 1-line block ×4, first 2 shown]
	s_delay_alu instid0(VALU_DEP_4) | instskip(SKIP_2) | instid1(VALU_DEP_1)
	v_dot4_i32_iu8 v7, v9, v49, v7 neg_lo:[1,1,0]
	scratch_load_b32 v9, off, off offset:4  ; 4-byte Folded Reload
	v_dot4_i32_iu8 v0, v0, v4, 0 neg_lo:[1,1,0]
	v_dot4_i32_iu8 v0, v1, v5, v0 neg_lo:[1,1,0]
	v_add_nc_u32_e32 v1, v2, v59
	s_wait_alu 0xfffe
	v_add3_u32 v2, s7, v34, v177
	s_delay_alu instid0(VALU_DEP_3) | instskip(NEXT) | instid1(VALU_DEP_3)
	v_add_nc_u32_e32 v0, v0, v7
	v_add3_u32 v1, v42, v41, v1
	s_delay_alu instid0(VALU_DEP_2) | instskip(SKIP_4) | instid1(VALU_DEP_2)
	v_add3_u32 v0, v6, v3, v0
	ds_load_u16 v3, v2
	s_wait_dscnt 0x0
	v_lshrrev_b16 v4, 8, v3
	v_and_b32_e32 v3, 0xff, v3
	v_and_b32_e32 v4, 0xffff, v4
	s_delay_alu instid0(VALU_DEP_2) | instskip(NEXT) | instid1(VALU_DEP_2)
	v_mul_lo_u32 v1, v1, v3
	v_mul_lo_u32 v0, v0, v4
	v_lshrrev_b32_e32 v4, 1, v22
	s_delay_alu instid0(VALU_DEP_3) | instskip(NEXT) | instid1(VALU_DEP_3)
	v_cvt_f32_i32_e32 v6, v1
	v_cvt_f32_i32_e32 v5, v0
	ds_load_b64 v[0:1], v4 offset:43584
	s_wait_dscnt 0x0
	v_fma_mix_f32 v4, v0, v6, 0 op_sel_hi:[1,0,0]
	s_delay_alu instid0(VALU_DEP_1)
	v_fma_mix_f32 v4, v1, v5, v4 op_sel_hi:[1,0,0]
	v_add3_u32 v5, s7, v63, v64
	ds_load_u16 v6, v5
	s_wait_dscnt 0x0
	v_lshrrev_b16 v7, 8, v6
	v_and_b32_e32 v6, 0xff, v6
	s_delay_alu instid0(VALU_DEP_2) | instskip(NEXT) | instid1(VALU_DEP_2)
	v_and_b32_e32 v7, 0xffff, v7
	v_mul_lo_u32 v22, v23, v6
	s_delay_alu instid0(VALU_DEP_2)
	v_mul_lo_u32 v23, v43, v7
	v_mul_lo_u32 v55, v216, v7
	;; [unrolled: 1-line block ×4, first 2 shown]
	v_cvt_f32_i32_e32 v22, v22
	v_mul_lo_u32 v88, v231, v7
	v_cvt_f32_i32_e32 v23, v23
	s_delay_alu instid0(VALU_DEP_3)
	v_fma_mix_f32 v22, v0, v22, 0 op_sel_hi:[1,0,0]
	v_cvt_f32_i32_e32 v55, v55
	v_cvt_f32_i32_e32 v73, v73
	;; [unrolled: 1-line block ×4, first 2 shown]
	v_fma_mix_f32 v22, v1, v23, v22 op_sel_hi:[1,0,0]
	s_wait_loadcnt 0x0
	v_add3_u32 v23, s7, v65, v9
	v_lshlrev_b32_e32 v9, 2, v127
	ds_load_u16 v39, v23
	s_wait_dscnt 0x0
	v_lshrrev_b16 v40, 8, v39
	v_and_b32_e32 v39, 0xff, v39
	s_delay_alu instid0(VALU_DEP_2) | instskip(NEXT) | instid1(VALU_DEP_2)
	v_and_b32_e32 v40, 0xffff, v40
	v_mul_lo_u32 v41, v85, v39
	s_delay_alu instid0(VALU_DEP_2)
	v_mul_lo_u32 v42, v44, v40
	v_mul_lo_u32 v58, v214, v40
	;; [unrolled: 1-line block ×4, first 2 shown]
	v_cvt_f32_i32_e32 v41, v41
	v_mul_lo_u32 v83, v224, v40
	v_mul_lo_u32 v91, v228, v40
	v_cvt_f32_i32_e32 v42, v42
	s_delay_alu instid0(VALU_DEP_4)
	v_fma_mix_f32 v41, v0, v41, 0 op_sel_hi:[1,0,0]
	v_cvt_f32_i32_e32 v58, v58
	v_cvt_f32_i32_e32 v69, v69
	v_cvt_f32_i32_e32 v76, v76
	v_cvt_f32_i32_e32 v83, v83
	v_fma_mix_f32 v41, v1, v42, v41 op_sel_hi:[1,0,0]
	v_add3_u32 v42, s7, v9, v192
	v_cvt_f32_i32_e32 v91, v91
	s_mov_b32 s7, 8
	ds_load_u16 v43, v42
	ds_load_u16 v23, v23 offset:8
	ds_load_u16 v42, v42 offset:8
	;; [unrolled: 1-line block ×4, first 2 shown]
	ds_load_u8 v2, v2 offset:1
	s_wait_dscnt 0x5
	v_lshrrev_b16 v44, 8, v43
	v_and_b32_e32 v43, 0xff, v43
	s_wait_dscnt 0x1
	v_cvt_f32_ubyte0_e32 v48, v47
	v_cvt_f32_ubyte0_e32 v49, v42
	;; [unrolled: 1-line block ×3, first 2 shown]
	v_and_b32_e32 v44, 0xffff, v44
	v_mul_lo_u32 v46, v86, v43
	v_cvt_f32_ubyte1_e32 v47, v47
	v_cvt_f32_ubyte1_e32 v42, v42
	;; [unrolled: 1-line block ×3, first 2 shown]
	v_mul_lo_u32 v45, v45, v44
	v_fma_mix_f32 v51, v0, v48, 0 op_sel:[1,0,0] op_sel_hi:[1,0,0]
	v_fma_mix_f32 v53, v0, v49, 0 op_sel:[1,0,0] op_sel_hi:[1,0,0]
	s_wait_dscnt 0x0
	v_mul_lo_u32 v57, v215, v2
	v_cvt_f32_i32_e32 v46, v46
	v_mul_lo_u32 v59, v213, v44
	v_fma_mix_f32 v51, v1, v47, v51 op_sel:[1,0,0] op_sel_hi:[1,0,0]
	v_fma_mix_f32 v53, v1, v42, v53 op_sel:[1,0,0] op_sel_hi:[1,0,0]
	v_cvt_f32_i32_e32 v45, v45
	v_fma_mix_f32 v46, v0, v46, 0 op_sel_hi:[1,0,0]
	v_mul_lo_u32 v68, v245, v2
	v_cvt_f32_i32_e32 v57, v57
	v_mul_lo_u32 v21, v21, v44
	v_cvt_f32_i32_e32 v59, v59
	v_fma_mix_f32 v45, v1, v45, v46 op_sel_hi:[1,0,0]
	v_cvt_f32_ubyte0_e32 v46, v23
	v_cvt_f32_ubyte1_e32 v23, v23
	v_mul_lo_u32 v75, v225, v2
	v_cvt_f32_i32_e32 v68, v68
	v_mul_lo_u32 v10, v10, v43
	v_fma_mix_f32 v52, v0, v46, 0 op_sel:[1,0,0] op_sel_hi:[1,0,0]
	v_fma_mix_f32 v0, v50, v0, 0 op_sel:[0,1,0] op_sel_hi:[0,1,0]
	v_cvt_f32_i32_e32 v21, v21
	v_mul_lo_u32 v82, v226, v2
	v_mul_lo_u32 v84, v219, v44
	v_fma_mix_f32 v52, v1, v23, v52 op_sel:[1,0,0] op_sel_hi:[1,0,0]
	v_fma_mix_f32 v54, v5, v1, v0 op_sel:[0,1,0] op_sel_hi:[0,1,0]
	v_mul_lo_u32 v1, v212, v6
	v_lshrrev_b32_e32 v0, 1, v202
	v_cvt_f32_i32_e32 v75, v75
	v_cvt_f32_i32_e32 v10, v10
	;; [unrolled: 1-line block ×4, first 2 shown]
	v_mul_lo_u32 v90, v229, v2
	v_mul_lo_u32 v11, v11, v43
	v_cvt_f32_i32_e32 v56, v1
	ds_load_b64 v[0:1], v0 offset:43584
	v_mul_lo_u32 v13, v13, v43
	v_mul_lo_u32 v15, v15, v44
	v_cvt_f32_i32_e32 v90, v90
	v_cvt_f32_i32_e32 v11, v11
	s_delay_alu instid0(VALU_DEP_4) | instskip(SKIP_4) | instid1(VALU_DEP_3)
	v_cvt_f32_i32_e32 v13, v13
	s_wait_dscnt 0x0
	v_fma_mix_f32 v56, v0, v56, 0 op_sel_hi:[1,0,0]
	v_fma_mix_f32 v60, v46, v0, 0 op_sel:[0,1,0] op_sel_hi:[0,1,0]
	v_fma_mix_f32 v61, v0, v49, 0 op_sel:[1,0,0] op_sel_hi:[1,0,0]
	v_fma_mix_f32 v55, v1, v55, v56 op_sel_hi:[1,0,0]
	v_mul_lo_u32 v56, v211, v3
	s_delay_alu instid0(VALU_DEP_4) | instskip(NEXT) | instid1(VALU_DEP_4)
	v_fma_mix_f32 v60, v23, v1, v60 op_sel:[0,1,0] op_sel_hi:[0,1,0]
	v_fma_mix_f32 v61, v1, v42, v61 op_sel:[1,0,0] op_sel_hi:[1,0,0]
	s_delay_alu instid0(VALU_DEP_3) | instskip(NEXT) | instid1(VALU_DEP_1)
	v_cvt_f32_i32_e32 v56, v56
	v_fma_mix_f32 v56, v0, v56, 0 op_sel_hi:[1,0,0]
	s_delay_alu instid0(VALU_DEP_1) | instskip(SKIP_1) | instid1(VALU_DEP_1)
	v_fma_mix_f32 v56, v1, v57, v56 op_sel_hi:[1,0,0]
	v_mul_lo_u32 v57, v210, v39
	v_cvt_f32_i32_e32 v57, v57
	s_delay_alu instid0(VALU_DEP_1) | instskip(NEXT) | instid1(VALU_DEP_1)
	v_fma_mix_f32 v57, v0, v57, 0 op_sel_hi:[1,0,0]
	v_fma_mix_f32 v57, v1, v58, v57 op_sel_hi:[1,0,0]
	v_mul_lo_u32 v58, v209, v43
	s_delay_alu instid0(VALU_DEP_1) | instskip(NEXT) | instid1(VALU_DEP_1)
	v_cvt_f32_i32_e32 v58, v58
	v_fma_mix_f32 v58, v0, v58, 0 op_sel_hi:[1,0,0]
	s_delay_alu instid0(VALU_DEP_1) | instskip(SKIP_2) | instid1(VALU_DEP_2)
	v_fma_mix_f32 v58, v1, v59, v58 op_sel_hi:[1,0,0]
	v_fma_mix_f32 v59, v48, v0, 0 op_sel:[0,1,0] op_sel_hi:[0,1,0]
	v_fma_mix_f32 v0, v50, v0, 0 op_sel:[0,1,0] op_sel_hi:[0,1,0]
	;; [unrolled: 1-line block ×3, first 2 shown]
	s_delay_alu instid0(VALU_DEP_2) | instskip(SKIP_3) | instid1(VALU_DEP_3)
	v_fma_mix_f32 v62, v5, v1, v0 op_sel:[0,1,0] op_sel_hi:[0,1,0]
	v_mul_lo_u32 v1, v20, v6
	v_lshrrev_b32_e32 v0, 1, v203
	v_mul_lo_u32 v20, v247, v7
	v_cvt_f32_i32_e32 v67, v1
	ds_load_b64 v[0:1], v0 offset:43584
	v_cvt_f32_i32_e32 v20, v20
	s_wait_dscnt 0x0
	v_fma_mix_f32 v67, v0, v67, 0 op_sel_hi:[1,0,0]
	v_fma_mix_f32 v70, v46, v0, 0 op_sel:[0,1,0] op_sel_hi:[0,1,0]
	v_fma_mix_f32 v71, v0, v49, 0 op_sel:[1,0,0] op_sel_hi:[1,0,0]
	s_delay_alu instid0(VALU_DEP_3) | instskip(SKIP_1) | instid1(VALU_DEP_4)
	v_fma_mix_f32 v20, v1, v20, v67 op_sel_hi:[1,0,0]
	v_mul_lo_u32 v67, v244, v3
	v_fma_mix_f32 v70, v23, v1, v70 op_sel:[0,1,0] op_sel_hi:[0,1,0]
	s_delay_alu instid0(VALU_DEP_4) | instskip(NEXT) | instid1(VALU_DEP_3)
	v_fma_mix_f32 v71, v1, v42, v71 op_sel:[1,0,0] op_sel_hi:[1,0,0]
	v_cvt_f32_i32_e32 v67, v67
	s_delay_alu instid0(VALU_DEP_1) | instskip(NEXT) | instid1(VALU_DEP_1)
	v_fma_mix_f32 v67, v0, v67, 0 op_sel_hi:[1,0,0]
	v_fma_mix_f32 v67, v1, v68, v67 op_sel_hi:[1,0,0]
	v_mul_lo_u32 v68, v243, v39
	s_delay_alu instid0(VALU_DEP_1) | instskip(NEXT) | instid1(VALU_DEP_1)
	v_cvt_f32_i32_e32 v68, v68
	v_fma_mix_f32 v68, v0, v68, 0 op_sel_hi:[1,0,0]
	s_delay_alu instid0(VALU_DEP_1) | instskip(SKIP_1) | instid1(VALU_DEP_1)
	v_fma_mix_f32 v68, v1, v69, v68 op_sel_hi:[1,0,0]
	v_mul_lo_u32 v69, v113, v43
	v_cvt_f32_i32_e32 v69, v69
	s_delay_alu instid0(VALU_DEP_1) | instskip(NEXT) | instid1(VALU_DEP_1)
	v_fma_mix_f32 v69, v0, v69, 0 op_sel_hi:[1,0,0]
	v_fma_mix_f32 v21, v1, v21, v69 op_sel_hi:[1,0,0]
	v_fma_mix_f32 v69, v48, v0, 0 op_sel:[0,1,0] op_sel_hi:[0,1,0]
	v_fma_mix_f32 v0, v50, v0, 0 op_sel:[0,1,0] op_sel_hi:[0,1,0]
	s_delay_alu instid0(VALU_DEP_2) | instskip(NEXT) | instid1(VALU_DEP_2)
	v_fma_mix_f32 v69, v47, v1, v69 op_sel:[0,1,0] op_sel_hi:[0,1,0]
	v_fma_mix_f32 v72, v5, v1, v0 op_sel:[0,1,0] op_sel_hi:[0,1,0]
	v_mul_lo_u32 v1, v116, v6
	v_lshrrev_b32_e32 v0, 1, v205
	s_delay_alu instid0(VALU_DEP_2)
	v_cvt_f32_i32_e32 v74, v1
	ds_load_b64 v[0:1], v0 offset:43584
	s_wait_dscnt 0x0
	v_fma_mix_f32 v74, v0, v74, 0 op_sel_hi:[1,0,0]
	v_fma_mix_f32 v10, v0, v10, 0 op_sel_hi:[1,0,0]
	v_fma_mix_f32 v77, v46, v0, 0 op_sel:[0,1,0] op_sel_hi:[0,1,0]
	v_fma_mix_f32 v78, v0, v49, 0 op_sel:[1,0,0] op_sel_hi:[1,0,0]
	s_delay_alu instid0(VALU_DEP_4) | instskip(SKIP_1) | instid1(VALU_DEP_4)
	v_fma_mix_f32 v73, v1, v73, v74 op_sel_hi:[1,0,0]
	v_mul_lo_u32 v74, v104, v3
	v_fma_mix_f32 v77, v23, v1, v77 op_sel:[0,1,0] op_sel_hi:[0,1,0]
	s_delay_alu instid0(VALU_DEP_4) | instskip(SKIP_1) | instid1(VALU_DEP_4)
	v_fma_mix_f32 v78, v1, v42, v78 op_sel:[1,0,0] op_sel_hi:[1,0,0]
	v_mul_lo_u32 v104, v115, v40
	v_cvt_f32_i32_e32 v74, v74
	s_delay_alu instid0(VALU_DEP_2) | instskip(NEXT) | instid1(VALU_DEP_2)
	v_cvt_f32_i32_e32 v104, v104
	v_fma_mix_f32 v74, v0, v74, 0 op_sel_hi:[1,0,0]
	s_delay_alu instid0(VALU_DEP_1) | instskip(SKIP_1) | instid1(VALU_DEP_1)
	v_fma_mix_f32 v74, v1, v75, v74 op_sel_hi:[1,0,0]
	v_mul_lo_u32 v75, v96, v39
	v_cvt_f32_i32_e32 v75, v75
	s_delay_alu instid0(VALU_DEP_1) | instskip(NEXT) | instid1(VALU_DEP_1)
	v_fma_mix_f32 v75, v0, v75, 0 op_sel_hi:[1,0,0]
	v_fma_mix_f32 v75, v1, v76, v75 op_sel_hi:[1,0,0]
	v_mul_lo_u32 v76, v218, v44
	s_delay_alu instid0(VALU_DEP_1) | instskip(NEXT) | instid1(VALU_DEP_1)
	v_cvt_f32_i32_e32 v76, v76
	v_fma_mix_f32 v10, v1, v76, v10 op_sel_hi:[1,0,0]
	v_fma_mix_f32 v76, v48, v0, 0 op_sel:[0,1,0] op_sel_hi:[0,1,0]
	v_fma_mix_f32 v0, v50, v0, 0 op_sel:[0,1,0] op_sel_hi:[0,1,0]
	s_delay_alu instid0(VALU_DEP_2) | instskip(NEXT) | instid1(VALU_DEP_2)
	v_fma_mix_f32 v76, v47, v1, v76 op_sel:[0,1,0] op_sel_hi:[0,1,0]
	v_fma_mix_f32 v79, v5, v1, v0 op_sel:[0,1,0] op_sel_hi:[0,1,0]
	v_mul_lo_u32 v1, v221, v6
	v_lshrrev_b32_e32 v0, 1, v206
	s_delay_alu instid0(VALU_DEP_2)
	v_cvt_f32_i32_e32 v81, v1
	ds_load_b64 v[0:1], v0 offset:43584
	s_wait_dscnt 0x0
	v_fma_mix_f32 v81, v0, v81, 0 op_sel_hi:[1,0,0]
	v_fma_mix_f32 v85, v46, v0, 0 op_sel:[0,1,0] op_sel_hi:[0,1,0]
	v_fma_mix_f32 v86, v0, v49, 0 op_sel:[1,0,0] op_sel_hi:[1,0,0]
	s_delay_alu instid0(VALU_DEP_3) | instskip(SKIP_1) | instid1(VALU_DEP_4)
	v_fma_mix_f32 v80, v1, v80, v81 op_sel_hi:[1,0,0]
	v_mul_lo_u32 v81, v105, v3
	v_fma_mix_f32 v85, v23, v1, v85 op_sel:[0,1,0] op_sel_hi:[0,1,0]
	s_delay_alu instid0(VALU_DEP_4) | instskip(NEXT) | instid1(VALU_DEP_3)
	v_fma_mix_f32 v86, v1, v42, v86 op_sel:[1,0,0] op_sel_hi:[1,0,0]
	v_cvt_f32_i32_e32 v81, v81
	s_delay_alu instid0(VALU_DEP_1) | instskip(NEXT) | instid1(VALU_DEP_1)
	v_fma_mix_f32 v81, v0, v81, 0 op_sel_hi:[1,0,0]
	v_fma_mix_f32 v81, v1, v82, v81 op_sel_hi:[1,0,0]
	v_mul_lo_u32 v82, v97, v39
	v_mul_lo_u32 v97, v230, v2
	;; [unrolled: 1-line block ×3, first 2 shown]
	v_mul_f32_e32 v18, v79, v201
	s_delay_alu instid0(VALU_DEP_4) | instskip(NEXT) | instid1(VALU_DEP_4)
	v_cvt_f32_i32_e32 v82, v82
	v_cvt_f32_i32_e32 v97, v97
	s_delay_alu instid0(VALU_DEP_4) | instskip(NEXT) | instid1(VALU_DEP_4)
	v_cvt_f32_i32_e32 v2, v2
	v_fma_f32 v18, v73, v200, -v18
	s_delay_alu instid0(VALU_DEP_4) | instskip(NEXT) | instid1(VALU_DEP_1)
	v_fma_mix_f32 v82, v0, v82, 0 op_sel_hi:[1,0,0]
	v_fma_mix_f32 v82, v1, v83, v82 op_sel_hi:[1,0,0]
	v_mul_lo_u32 v83, v95, v43
	v_mul_lo_u32 v95, v235, v7
	s_delay_alu instid0(VALU_DEP_2) | instskip(NEXT) | instid1(VALU_DEP_2)
	v_cvt_f32_i32_e32 v83, v83
	v_cvt_f32_i32_e32 v95, v95
	s_delay_alu instid0(VALU_DEP_2) | instskip(NEXT) | instid1(VALU_DEP_1)
	v_fma_mix_f32 v83, v0, v83, 0 op_sel_hi:[1,0,0]
	v_fma_mix_f32 v83, v1, v84, v83 op_sel_hi:[1,0,0]
	v_fma_mix_f32 v84, v48, v0, 0 op_sel:[0,1,0] op_sel_hi:[0,1,0]
	v_fma_mix_f32 v0, v50, v0, 0 op_sel:[0,1,0] op_sel_hi:[0,1,0]
	s_delay_alu instid0(VALU_DEP_2) | instskip(NEXT) | instid1(VALU_DEP_2)
	v_fma_mix_f32 v84, v47, v1, v84 op_sel:[0,1,0] op_sel_hi:[0,1,0]
	v_fma_mix_f32 v87, v5, v1, v0 op_sel:[0,1,0] op_sel_hi:[0,1,0]
	v_mul_lo_u32 v1, v222, v6
	v_lshrrev_b32_e32 v0, 1, v207
	s_delay_alu instid0(VALU_DEP_2)
	v_cvt_f32_i32_e32 v89, v1
	ds_load_b64 v[0:1], v0 offset:43584
	s_wait_dscnt 0x0
	v_fma_mix_f32 v89, v0, v89, 0 op_sel_hi:[1,0,0]
	v_fma_mix_f32 v11, v0, v11, 0 op_sel_hi:[1,0,0]
	v_fma_mix_f32 v92, v46, v0, 0 op_sel:[0,1,0] op_sel_hi:[0,1,0]
	v_fma_mix_f32 v93, v0, v49, 0 op_sel:[1,0,0] op_sel_hi:[1,0,0]
	s_delay_alu instid0(VALU_DEP_4) | instskip(SKIP_1) | instid1(VALU_DEP_4)
	v_fma_mix_f32 v88, v1, v88, v89 op_sel_hi:[1,0,0]
	v_mul_lo_u32 v89, v108, v3
	v_fma_mix_f32 v92, v23, v1, v92 op_sel:[0,1,0] op_sel_hi:[0,1,0]
	s_delay_alu instid0(VALU_DEP_4) | instskip(NEXT) | instid1(VALU_DEP_3)
	v_fma_mix_f32 v93, v1, v42, v93 op_sel:[1,0,0] op_sel_hi:[1,0,0]
	v_cvt_f32_i32_e32 v89, v89
	s_delay_alu instid0(VALU_DEP_1) | instskip(NEXT) | instid1(VALU_DEP_1)
	v_fma_mix_f32 v89, v0, v89, 0 op_sel_hi:[1,0,0]
	v_fma_mix_f32 v89, v1, v90, v89 op_sel_hi:[1,0,0]
	v_mul_lo_u32 v90, v106, v39
	s_delay_alu instid0(VALU_DEP_1) | instskip(NEXT) | instid1(VALU_DEP_1)
	v_cvt_f32_i32_e32 v90, v90
	v_fma_mix_f32 v90, v0, v90, 0 op_sel_hi:[1,0,0]
	s_delay_alu instid0(VALU_DEP_1) | instskip(SKIP_1) | instid1(VALU_DEP_1)
	v_fma_mix_f32 v90, v1, v91, v90 op_sel_hi:[1,0,0]
	v_mul_lo_u32 v91, v220, v44
	v_cvt_f32_i32_e32 v91, v91
	s_delay_alu instid0(VALU_DEP_1) | instskip(SKIP_2) | instid1(VALU_DEP_2)
	v_fma_mix_f32 v11, v1, v91, v11 op_sel_hi:[1,0,0]
	v_fma_mix_f32 v91, v48, v0, 0 op_sel:[0,1,0] op_sel_hi:[0,1,0]
	v_fma_mix_f32 v0, v50, v0, 0 op_sel:[0,1,0] op_sel_hi:[0,1,0]
	;; [unrolled: 1-line block ×3, first 2 shown]
	s_delay_alu instid0(VALU_DEP_2)
	v_fma_mix_f32 v94, v5, v1, v0 op_sel:[0,1,0] op_sel_hi:[0,1,0]
	v_mul_lo_u32 v1, v111, v6
	v_lshrrev_b32_e32 v0, 1, v208
	v_mul_lo_u32 v6, v12, v6
	v_mul_lo_u32 v12, v14, v39
	v_mul_lo_u32 v14, v16, v40
	v_mul_f32_e32 v40, v78, v199
	v_mul_lo_u32 v16, v19, v43
	v_mul_f32_e32 v19, v69, v196
	v_cvt_f32_i32_e32 v96, v1
	ds_load_b64 v[0:1], v0 offset:43584
	v_fma_f32 v10, v10, v198, -v40
	v_mul_f32_e32 v40, v87, v24
	v_mul_f32_e32 v43, v84, v196
	v_fma_f32 v19, v67, v25, -v19
	s_delay_alu instid0(VALU_DEP_3) | instskip(NEXT) | instid1(VALU_DEP_3)
	v_fma_f32 v40, v80, v8, -v40
	v_fma_f32 v43, v81, v25, -v43
	s_delay_alu instid0(VALU_DEP_2) | instskip(NEXT) | instid1(VALU_DEP_2)
	v_dual_add_f32 v167, v167, v18 :: v_dual_add_f32 v154, v154, v40
	v_add_f32_e32 v144, v144, v43
	s_wait_dscnt 0x0
	v_fma_mix_f32 v96, v0, v96, 0 op_sel_hi:[1,0,0]
	v_fma_mix_f32 v13, v0, v13, 0 op_sel_hi:[1,0,0]
	v_fma_mix_f32 v105, v46, v0, 0 op_sel:[0,1,0] op_sel_hi:[0,1,0]
	v_fma_mix_f32 v106, v0, v49, 0 op_sel:[1,0,0] op_sel_hi:[1,0,0]
	s_delay_alu instid0(VALU_DEP_4) | instskip(SKIP_1) | instid1(VALU_DEP_4)
	v_fma_mix_f32 v95, v1, v95, v96 op_sel_hi:[1,0,0]
	v_mul_lo_u32 v96, v110, v3
	v_fma_mix_f32 v105, v23, v1, v105 op_sel:[0,1,0] op_sel_hi:[0,1,0]
	s_delay_alu instid0(VALU_DEP_4) | instskip(SKIP_1) | instid1(VALU_DEP_4)
	v_fma_mix_f32 v106, v1, v42, v106 op_sel:[1,0,0] op_sel_hi:[1,0,0]
	v_mul_lo_u32 v3, v109, v3
	v_cvt_f32_i32_e32 v96, v96
	s_delay_alu instid0(VALU_DEP_2) | instskip(NEXT) | instid1(VALU_DEP_2)
	v_cvt_f32_i32_e32 v3, v3
	v_fma_mix_f32 v96, v0, v96, 0 op_sel_hi:[1,0,0]
	s_delay_alu instid0(VALU_DEP_1) | instskip(SKIP_2) | instid1(VALU_DEP_1)
	v_fma_mix_f32 v96, v1, v97, v96 op_sel_hi:[1,0,0]
	v_mul_lo_u32 v97, v107, v39
	v_mul_f32_e32 v39, v77, v197
	v_fma_f32 v39, v75, v26, -v39
	s_delay_alu instid0(VALU_DEP_3) | instskip(NEXT) | instid1(VALU_DEP_2)
	v_cvt_f32_i32_e32 v97, v97
	v_add_f32_e32 v168, v168, v39
	s_delay_alu instid0(VALU_DEP_2) | instskip(NEXT) | instid1(VALU_DEP_1)
	v_fma_mix_f32 v97, v0, v97, 0 op_sel_hi:[1,0,0]
	v_fma_mix_f32 v97, v1, v104, v97 op_sel_hi:[1,0,0]
	v_mul_lo_u32 v104, v112, v44
	v_mul_f32_e32 v44, v85, v197
	v_mul_lo_u32 v7, v17, v7
	v_mul_f32_e32 v17, v72, v24
	s_delay_alu instid0(VALU_DEP_3) | instskip(SKIP_1) | instid1(VALU_DEP_3)
	v_fma_f32 v44, v82, v26, -v44
	v_cvt_f32_i32_e32 v104, v104
	v_fma_f32 v17, v20, v8, -v17
	v_mul_f32_e32 v20, v70, v197
	s_delay_alu instid0(VALU_DEP_3) | instskip(SKIP_2) | instid1(VALU_DEP_4)
	v_fma_mix_f32 v13, v1, v104, v13 op_sel_hi:[1,0,0]
	v_fma_mix_f32 v104, v48, v0, 0 op_sel:[0,1,0] op_sel_hi:[0,1,0]
	v_fma_mix_f32 v0, v50, v0, 0 op_sel:[0,1,0] op_sel_hi:[0,1,0]
	v_fma_f32 v20, v68, v26, -v20
	v_add_f32_e32 v166, v166, v17
	s_delay_alu instid0(VALU_DEP_4) | instskip(NEXT) | instid1(VALU_DEP_4)
	v_fma_mix_f32 v104, v47, v1, v104 op_sel:[0,1,0] op_sel_hi:[0,1,0]
	v_fma_mix_f32 v107, v5, v1, v0 op_sel:[0,1,0] op_sel_hi:[0,1,0]
	v_lshrrev_b32_e32 v0, 1, v204
	v_add_f32_e32 v173, v173, v20
	ds_load_b64 v[0:1], v0 offset:43584
	s_wait_dscnt 0x0
	v_fma_mix_f32 v3, v0, v3, 0 op_sel_hi:[1,0,0]
	v_fma_mix_f32 v46, v46, v0, 0 op_sel:[0,1,0] op_sel_hi:[0,1,0]
	v_fma_mix_f32 v48, v0, v48, 0 op_sel:[1,0,0] op_sel_hi:[1,0,0]
	s_delay_alu instid0(VALU_DEP_3)
	v_fma_mix_f32 v2, v1, v2, v3 op_sel_hi:[1,0,0]
	v_cvt_f32_i32_e32 v3, v6
	v_cvt_f32_i32_e32 v6, v7
	;; [unrolled: 1-line block ×3, first 2 shown]
	v_fma_mix_f32 v23, v23, v1, v46 op_sel:[0,1,0] op_sel_hi:[0,1,0]
	v_fma_mix_f32 v46, v0, v49, 0 op_sel:[1,0,0] op_sel_hi:[1,0,0]
	v_fma_mix_f32 v3, v0, v3, 0 op_sel_hi:[1,0,0]
	v_fma_mix_f32 v47, v1, v47, v48 op_sel:[1,0,0] op_sel_hi:[1,0,0]
	v_mul_f32_e32 v48, v93, v199
	v_mul_f32_e32 v14, v59, v196
	v_fma_mix_f32 v42, v1, v42, v46 op_sel:[1,0,0] op_sel_hi:[1,0,0]
	v_fma_mix_f32 v3, v1, v6, v3 op_sel_hi:[1,0,0]
	v_cvt_f32_i32_e32 v6, v12
	v_fma_mix_f32 v46, v50, v0, 0 op_sel:[0,1,0] op_sel_hi:[0,1,0]
	v_cvt_f32_i32_e32 v12, v15
	v_dual_mul_f32 v15, v60, v197 :: v_dual_mul_f32 v50, v106, v199
	s_delay_alu instid0(VALU_DEP_4) | instskip(NEXT) | instid1(VALU_DEP_4)
	v_fma_mix_f32 v6, v0, v6, 0 op_sel_hi:[1,0,0]
	v_fma_mix_f32 v5, v5, v1, v46 op_sel:[0,1,0] op_sel_hi:[0,1,0]
	v_mul_f32_e32 v46, v91, v196
	s_delay_alu instid0(VALU_DEP_4)
	v_fma_f32 v15, v57, v26, -v15
	v_mul_f32_e32 v23, v23, v197
	v_fma_mix_f32 v6, v1, v7, v6 op_sel_hi:[1,0,0]
	v_cvt_f32_i32_e32 v7, v16
	v_mul_f32_e32 v5, v5, v201
	v_mul_f32_e32 v16, v61, v199
	v_add_f32_e32 v160, v160, v15
	v_fma_f32 v6, v6, v26, -v23
	v_fma_mix_f32 v0, v0, v7, 0 op_sel_hi:[1,0,0]
	v_mul_f32_e32 v7, v52, v197
	v_fma_f32 v3, v3, v200, -v5
	v_mul_f32_e32 v5, v104, v196
	v_fma_f32 v11, v11, v198, -v48
	v_fma_mix_f32 v0, v1, v12, v0 op_sel_hi:[1,0,0]
	v_mul_f32_e32 v1, v51, v196
	v_mul_f32_e32 v12, v47, v196
	;; [unrolled: 1-line block ×3, first 2 shown]
	v_fma_f32 v7, v41, v26, -v7
	v_mul_f32_e32 v41, v94, v201
	v_fma_f32 v1, v4, v25, -v1
	v_mul_f32_e32 v4, v62, v201
	v_fma_f32 v2, v2, v25, -v12
	v_dual_mul_f32 v12, v53, v199 :: v_dual_mul_f32 v47, v92, v197
	s_delay_alu instid0(VALU_DEP_4) | instskip(SKIP_2) | instid1(VALU_DEP_4)
	v_add_f32_e32 v98, v98, v1
	v_mul_f32_e32 v1, v54, v24
	v_fma_f32 v4, v55, v200, -v4
	v_fma_f32 v12, v45, v198, -v12
	v_mul_f32_e32 v45, v86, v199
	v_fma_f32 v48, v95, v8, -v48
	v_fma_f32 v1, v22, v8, -v1
	v_dual_mul_f32 v22, v71, v199 :: v_dual_mul_f32 v49, v105, v197
	v_add_f32_e32 v170, v170, v4
	s_delay_alu instid0(VALU_DEP_4) | instskip(NEXT) | instid1(VALU_DEP_4)
	v_dual_mul_f32 v23, v42, v199 :: v_dual_add_f32 v180, v180, v48
	v_add_f32_e32 v169, v169, v1
	scratch_load_b32 v1, off, off           ; 4-byte Folded Reload
	v_fma_f32 v21, v21, v198, -v22
	v_mul_f32_e32 v22, v76, v196
	v_fma_f32 v14, v56, v25, -v14
	v_fma_f32 v16, v58, v198, -v16
	;; [unrolled: 1-line block ×11, first 2 shown]
	v_dual_add_f32 v164, v164, v12 :: v_dual_add_f32 v157, v157, v14
	v_dual_add_f32 v158, v158, v21 :: v_dual_add_f32 v161, v161, v16
	;; [unrolled: 1-line block ×7, first 2 shown]
	v_add_f32_e32 v137, v137, v49
	v_add_f32_e32 v143, v143, v13
	;; [unrolled: 1-line block ×4, first 2 shown]
	v_dual_add_f32 v165, v165, v0 :: v_dual_add_f32 v146, v146, v47
	s_wait_loadcnt 0x0
	v_add_f32_e32 v1, v1, v22
	scratch_store_b32 off, v1, off          ; 4-byte Folded Spill
	s_cbranch_vccnz .LBB154_6
; %bb.7:                                ;   in Loop: Header=BB154_5 Depth=1
	v_add_nc_u32_e32 v12, s4, v125
	v_add_nc_u32_e32 v18, 4, v27
	s_wait_storecnt 0x0
	s_barrier_signal -1
	s_barrier_wait -1
	v_add_nc_u32_e32 v13, v12, v124
	v_add_nc_u32_e32 v0, v12, v103
	v_add_nc_u32_e32 v2, v12, v114
	v_add_nc_u32_e32 v4, v12, v119
	v_add_nc_u32_e32 v6, v12, v120
	v_add_nc_u32_e32 v10, v12, v121
	v_add_nc_u32_e32 v14, v12, v122
	v_add_nc_u32_e32 v16, v12, v123
	v_mad_co_i64_i32 v[12:13], null, v13, 36, v[37:38]
	v_mad_co_i64_i32 v[0:1], null, v0, 36, v[37:38]
	;; [unrolled: 1-line block ×8, first 2 shown]
	global_inv scope:SCOPE_SE
	v_mad_co_u64_u32 v[18:19], null, v18, 36, s[2:3]
	s_clause 0x8
	global_load_b32 v12, v[12:13], off offset:4
	global_load_b32 v0, v[0:1], off offset:4
	global_load_b32 v1, v[2:3], off offset:4
	global_load_b32 v2, v[4:5], off offset:4
	global_load_b32 v3, v[6:7], off offset:4
	global_load_b32 v4, v[10:11], off offset:4
	global_load_b32 v5, v[14:15], off offset:4
	global_load_b32 v6, v[16:17], off offset:4
	global_load_b32 v7, v[18:19], off
	s_mov_b32 s4, 16
	s_wait_loadcnt 0x8
	ds_store_b32 v163, v12
	s_wait_loadcnt 0x7
	ds_store_b32 v156, v0
	;; [unrolled: 2-line block ×9, first 2 shown]
	s_wait_dscnt 0x0
	s_barrier_signal -1
	s_barrier_wait -1
	global_inv scope:SCOPE_SE
	ds_load_b32 v0, v129
	ds_load_b32 v1, v130 offset:128
	ds_load_b32 v2, v132 offset:256
	;; [unrolled: 1-line block ×3, first 2 shown]
	s_wait_dscnt 0x3
	v_cvt_f32_f16_e32 v6, v0
	s_wait_dscnt 0x2
	v_lshrrev_b32_e32 v4, 16, v1
	v_cvt_f32_f16_e32 v1, v1
	s_wait_dscnt 0x1
	v_lshrrev_b32_e32 v5, 16, v2
	v_lshrrev_b32_e32 v0, 16, v0
	scratch_store_b32 off, v1, off offset:84 ; 4-byte Folded Spill
	v_cvt_f32_f16_e32 v1, v2
	v_cvt_f32_f16_e32 v2, v4
	;; [unrolled: 1-line block ×3, first 2 shown]
	s_clause 0x1
	scratch_store_b32 off, v1, off offset:88
	scratch_store_b32 off, v2, off offset:96
	s_wait_dscnt 0x0
	v_lshrrev_b32_e32 v1, 16, v3
	v_cvt_f32_f16_e32 v2, v5
	s_delay_alu instid0(VALU_DEP_2)
	v_cvt_f32_f16_e32 v1, v1
	scratch_store_b32 off, v2, off offset:100 ; 4-byte Folded Spill
	v_cvt_f32_f16_e32 v2, v3
	s_clause 0xa
	scratch_store_b32 off, v2, off offset:104
	scratch_store_b32 off, v1, off offset:108
	;; [unrolled: 1-line block ×11, first 2 shown]
.LBB154_8:                              ;   Parent Loop BB154_5 Depth=1
                                        ; =>  This Inner Loop Header: Depth=2
	s_wait_alu 0xfffe
	s_lshl_b32 s5, s4, 1
	s_lshl_b32 s7, s4, 3
	s_wait_alu 0xfffe
	s_and_b32 s5, s5, 16
	v_add_nc_u32_e32 v84, s7, v145
	s_wait_alu 0xfffe
	v_or_b32_e32 v77, s5, v135
	v_dual_mov_b32 v221, v181 :: v_dual_add_nc_u32 v86, s7, v162
	v_dual_mov_b32 v68, v98 :: v_dual_add_nc_u32 v87, s7, v152
	s_delay_alu instid0(VALU_DEP_3)
	v_dual_mov_b32 v92, v165 :: v_dual_lshlrev_b32 v85, 2, v77
	v_or_b32_e32 v88, s5, v29
	v_or_b32_e32 v200, s5, v136
	ds_load_2addr_b32 v[39:40], v84 offset1:1
	ds_load_b128 v[0:3], v85 offset:33280
	ds_load_2addr_b32 v[41:42], v86 offset1:1
	ds_load_2addr_b32 v[45:46], v84 offset0:2 offset1:3
	ds_load_2addr_b32 v[51:52], v84 offset0:4 offset1:5
	;; [unrolled: 1-line block ×3, first 2 shown]
	ds_load_2addr_b32 v[43:44], v87 offset1:1
	ds_load_2addr_b32 v[47:48], v86 offset0:2 offset1:3
	ds_load_2addr_b32 v[49:50], v87 offset0:2 offset1:3
	;; [unrolled: 1-line block ×3, first 2 shown]
	v_add_nc_u32_e32 v94, s7, v141
	ds_load_2addr_b32 v[55:56], v87 offset0:4 offset1:5
	v_lshlrev_b32_e32 v93, 2, v88
	v_lshlrev_b32_e32 v206, 2, v200
	v_or_b32_e32 v91, s5, v138
	v_mov_b32_e32 v220, v180
	v_or_b32_e32 v212, s5, v30
	v_mov_b32_e32 v34, v140
	v_or_b32_e32 v211, s5, v139
	v_lshlrev_b32_e32 v63, 2, v91
	v_or_b32_e32 v234, s5, v140
	s_wait_dscnt 0x9
	v_dot4_i32_iu8 v4, v0, v39, 0 neg_lo:[1,1,0]
	s_wait_dscnt 0x8
	v_dot4_i32_iu8 v5, v0, v41, 0 neg_lo:[1,1,0]
	v_bfe_i32 v13, v0, 0, 8
	v_perm_b32 v14, v0, v0, 0xc0c0201
	v_perm_b32 v15, v1, v0, 0x6050403
	s_wait_dscnt 0x4
	v_dot4_i32_iu8 v6, v0, v43, 0 neg_lo:[1,1,0]
	v_dot4_i32_iu8 v4, v1, v40, v4 neg_lo:[1,1,0]
	;; [unrolled: 1-line block ×3, first 2 shown]
	v_perm_b32 v16, v2, v1, 0x6050403
	v_perm_b32 v17, v3, v2, 0x6050403
	v_dot4_i32_iu8 v6, v1, v44, v6 neg_lo:[1,1,0]
	v_dot4_i32_iu8 v4, v2, v45, v4 neg_lo:[1,1,0]
	s_wait_dscnt 0x3
	v_dot4_i32_iu8 v5, v2, v47, v5 neg_lo:[1,1,0]
	ds_load_2addr_b32 v[0:1], v94 offset1:1
	v_lshlrev_b32_e32 v249, 2, v212
	s_wait_dscnt 0x3
	v_dot4_i32_iu8 v6, v2, v49, v6 neg_lo:[1,1,0]
	v_dot4_i32_iu8 v10, v3, v46, v4 neg_lo:[1,1,0]
	;; [unrolled: 1-line block ×3, first 2 shown]
	ds_load_2addr_b32 v[53:54], v86 offset0:4 offset1:5
	v_lshlrev_b32_e32 v67, 2, v211
	v_dot4_i32_iu8 v12, v3, v50, v6 neg_lo:[1,1,0]
	ds_load_b128 v[4:7], v85 offset:33296
	v_or_b32_e32 v72, s5, v101
	v_mov_b32_e32 v248, v139
	v_dual_mov_b32 v74, v30 :: v_dual_mov_b32 v35, v162
	s_lshr_b32 s5, s4, 2
	ds_load_b96 v[105:107], v94 offset:51
	s_wait_alu 0xfffe
	s_and_b32 s5, s5, 0x3ffffffe
	s_wait_alu 0xfffe
	s_add_co_i32 s5, s5, 0xa200
	s_wait_dscnt 0x1
	v_perm_b32 v18, v4, v3, 0x6050403
	ds_load_2addr_b32 v[2:3], v94 offset0:2 offset1:3
	ds_load_2addr_b32 v[61:62], v87 offset0:6 offset1:7
	v_bfe_i32 v82, v0, 0, 8
	v_perm_b32 v83, v0, v0, 0xc0c0201
	v_perm_b32 v81, v1, v0, 0x6050403
	ds_load_b32 v0, v94 offset:16
	v_dot4_i32_iu8 v10, v4, v51, v10 neg_lo:[1,1,0]
	v_dot4_i32_iu8 v11, v4, v53, v11 neg_lo:[1,1,0]
	s_delay_alu instid0(VALU_DEP_2) | instskip(NEXT) | instid1(VALU_DEP_2)
	v_dot4_i32_iu8 v10, v5, v52, v10 neg_lo:[1,1,0]
	v_dot4_i32_iu8 v11, v5, v54, v11 neg_lo:[1,1,0]
	s_delay_alu instid0(VALU_DEP_2) | instskip(NEXT) | instid1(VALU_DEP_2)
	v_dot4_i32_iu8 v10, v6, v57, v10 neg_lo:[1,1,0]
	v_dot4_i32_iu8 v11, v6, v59, v11 neg_lo:[1,1,0]
	s_wait_dscnt 0x2
	v_perm_b32 v79, v2, v1, 0x6050403
	v_perm_b32 v80, v3, v2, 0x6050403
	v_dot4_i32_iu8 v89, v7, v58, v10 neg_lo:[1,1,0]
	v_dot4_i32_iu8 v90, v7, v60, v11 neg_lo:[1,1,0]
	s_wait_dscnt 0x0
	v_perm_b32 v78, v0, v3, 0x6050403
	v_mul_i32_i24_e32 v0, v13, v82
	s_delay_alu instid0(VALU_DEP_1) | instskip(SKIP_2) | instid1(VALU_DEP_3)
	v_dot4_i32_iu8 v0, v14, v83, v0 neg_lo:[1,1,0]
	v_ashrrev_i32_e32 v14, 24, v4
	v_dot4_i32_iu8 v4, v4, v55, v12 neg_lo:[1,1,0]
	v_dot4_i32_iu8 v0, v15, v81, v0 neg_lo:[1,1,0]
	s_delay_alu instid0(VALU_DEP_2) | instskip(NEXT) | instid1(VALU_DEP_2)
	v_dot4_i32_iu8 v4, v5, v56, v4 neg_lo:[1,1,0]
	v_dot4_i32_iu8 v0, v16, v79, v0 neg_lo:[1,1,0]
	s_delay_alu instid0(VALU_DEP_2) | instskip(NEXT) | instid1(VALU_DEP_2)
	;; [unrolled: 3-line block ×3, first 2 shown]
	v_dot4_i32_iu8 v4, v7, v62, v4 neg_lo:[1,1,0]
	v_dot4_i32_iu8 v13, v18, v78, v0 neg_lo:[1,1,0]
	ds_load_b128 v[0:3], v94 offset:19
	scratch_store_b32 off, v4, off offset:12 ; 4-byte Folded Spill
	s_wait_dscnt 0x0
	v_bfe_i32 v9, v0, 0, 8
	v_perm_b32 v20, v1, v0, 0x4030201
	v_perm_b32 v21, v2, v1, 0x4030201
	;; [unrolled: 1-line block ×3, first 2 shown]
	v_bfe_i32 v226, v3, 8, 8
	v_mad_i32_i24 v13, v9, v14, v13
	v_bfe_i32 v225, v3, 16, 8
	s_delay_alu instid0(VALU_DEP_2) | instskip(NEXT) | instid1(VALU_DEP_1)
	v_dot4_i32_iu8 v4, v20, v5, v13 neg_lo:[1,1,0]
	v_dot4_i32_iu8 v4, v21, v6, v4 neg_lo:[1,1,0]
	s_delay_alu instid0(VALU_DEP_1)
	v_dot4_i32_iu8 v4, v7, v22, v4 neg_lo:[1,1,0]
	scratch_store_b32 off, v4, off offset:8 ; 4-byte Folded Spill
	ds_load_b128 v[4:7], v93 offset:33280
	s_wait_dscnt 0x0
	v_dot4_i32_iu8 v10, v4, v39, 0 neg_lo:[1,1,0]
	v_dot4_i32_iu8 v11, v4, v41, 0 neg_lo:[1,1,0]
	v_dot4_i32_iu8 v12, v4, v43, 0 neg_lo:[1,1,0]
	v_bfe_i32 v17, v4, 0, 8
	v_perm_b32 v18, v4, v4, 0xc0c0201
	v_dot4_i32_iu8 v10, v5, v40, v10 neg_lo:[1,1,0]
	v_dot4_i32_iu8 v11, v5, v42, v11 neg_lo:[1,1,0]
	v_dot4_i32_iu8 v12, v5, v44, v12 neg_lo:[1,1,0]
	v_mul_i32_i24_e32 v17, v17, v82
	v_perm_b32 v4, v5, v4, 0x6050403
	v_dot4_i32_iu8 v10, v6, v45, v10 neg_lo:[1,1,0]
	v_dot4_i32_iu8 v11, v6, v47, v11 neg_lo:[1,1,0]
	v_dot4_i32_iu8 v12, v6, v49, v12 neg_lo:[1,1,0]
	v_dot4_i32_iu8 v17, v18, v83, v17 neg_lo:[1,1,0]
	v_perm_b32 v5, v6, v5, 0x6050403
	v_dot4_i32_iu8 v14, v7, v46, v10 neg_lo:[1,1,0]
	v_dot4_i32_iu8 v15, v7, v48, v11 neg_lo:[1,1,0]
	v_dot4_i32_iu8 v16, v7, v50, v12 neg_lo:[1,1,0]
	ds_load_b128 v[10:13], v93 offset:33296
	v_dot4_i32_iu8 v4, v4, v81, v17 neg_lo:[1,1,0]
	v_perm_b32 v6, v7, v6, 0x6050403
	s_delay_alu instid0(VALU_DEP_2) | instskip(NEXT) | instid1(VALU_DEP_1)
	v_dot4_i32_iu8 v4, v5, v79, v4 neg_lo:[1,1,0]
	v_dot4_i32_iu8 v4, v6, v80, v4 neg_lo:[1,1,0]
	s_wait_dscnt 0x0
	v_perm_b32 v7, v10, v7, 0x6050403
	v_ashrrev_i32_e32 v5, 24, v10
	v_dot4_i32_iu8 v6, v10, v53, v15 neg_lo:[1,1,0]
	s_delay_alu instid0(VALU_DEP_3) | instskip(SKIP_1) | instid1(VALU_DEP_3)
	v_dot4_i32_iu8 v4, v7, v78, v4 neg_lo:[1,1,0]
	v_dot4_i32_iu8 v7, v10, v55, v16 neg_lo:[1,1,0]
	v_dot4_i32_iu8 v6, v11, v54, v6 neg_lo:[1,1,0]
	s_delay_alu instid0(VALU_DEP_3) | instskip(SKIP_1) | instid1(VALU_DEP_4)
	v_mad_i32_i24 v4, v9, v5, v4
	v_dot4_i32_iu8 v5, v10, v51, v14 neg_lo:[1,1,0]
	v_dot4_i32_iu8 v7, v11, v56, v7 neg_lo:[1,1,0]
	s_delay_alu instid0(VALU_DEP_4) | instskip(NEXT) | instid1(VALU_DEP_4)
	v_dot4_i32_iu8 v6, v12, v59, v6 neg_lo:[1,1,0]
	v_dot4_i32_iu8 v4, v20, v11, v4 neg_lo:[1,1,0]
	s_delay_alu instid0(VALU_DEP_4) | instskip(NEXT) | instid1(VALU_DEP_4)
	v_dot4_i32_iu8 v5, v11, v52, v5 neg_lo:[1,1,0]
	v_dot4_i32_iu8 v7, v12, v61, v7 neg_lo:[1,1,0]
	s_delay_alu instid0(VALU_DEP_4) | instskip(NEXT) | instid1(VALU_DEP_4)
	v_dot4_i32_iu8 v198, v13, v60, v6 neg_lo:[1,1,0]
	v_dot4_i32_iu8 v4, v21, v12, v4 neg_lo:[1,1,0]
	s_delay_alu instid0(VALU_DEP_4) | instskip(NEXT) | instid1(VALU_DEP_4)
	v_dot4_i32_iu8 v5, v12, v57, v5 neg_lo:[1,1,0]
	v_dot4_i32_iu8 v197, v13, v62, v7 neg_lo:[1,1,0]
	s_delay_alu instid0(VALU_DEP_3) | instskip(NEXT) | instid1(VALU_DEP_3)
	v_dot4_i32_iu8 v196, v13, v22, v4 neg_lo:[1,1,0]
	v_dot4_i32_iu8 v199, v13, v58, v5 neg_lo:[1,1,0]
	ds_load_b128 v[4:7], v206 offset:33280
	s_wait_dscnt 0x0
	v_dot4_i32_iu8 v10, v4, v39, 0 neg_lo:[1,1,0]
	v_dot4_i32_iu8 v11, v4, v41, 0 neg_lo:[1,1,0]
	v_dot4_i32_iu8 v12, v4, v43, 0 neg_lo:[1,1,0]
	v_bfe_i32 v17, v4, 0, 8
	v_perm_b32 v18, v4, v4, 0xc0c0201
	v_dot4_i32_iu8 v10, v5, v40, v10 neg_lo:[1,1,0]
	v_dot4_i32_iu8 v11, v5, v42, v11 neg_lo:[1,1,0]
	v_dot4_i32_iu8 v12, v5, v44, v12 neg_lo:[1,1,0]
	v_mul_i32_i24_e32 v17, v17, v82
	v_perm_b32 v4, v5, v4, 0x6050403
	v_dot4_i32_iu8 v10, v6, v45, v10 neg_lo:[1,1,0]
	v_dot4_i32_iu8 v11, v6, v47, v11 neg_lo:[1,1,0]
	v_dot4_i32_iu8 v12, v6, v49, v12 neg_lo:[1,1,0]
	v_dot4_i32_iu8 v17, v18, v83, v17 neg_lo:[1,1,0]
	v_perm_b32 v5, v6, v5, 0x6050403
	v_dot4_i32_iu8 v14, v7, v46, v10 neg_lo:[1,1,0]
	v_dot4_i32_iu8 v15, v7, v48, v11 neg_lo:[1,1,0]
	v_dot4_i32_iu8 v16, v7, v50, v12 neg_lo:[1,1,0]
	ds_load_b128 v[10:13], v206 offset:33296
	v_dot4_i32_iu8 v4, v4, v81, v17 neg_lo:[1,1,0]
	v_perm_b32 v6, v7, v6, 0x6050403
	s_delay_alu instid0(VALU_DEP_2) | instskip(NEXT) | instid1(VALU_DEP_1)
	v_dot4_i32_iu8 v4, v5, v79, v4 neg_lo:[1,1,0]
	v_dot4_i32_iu8 v4, v6, v80, v4 neg_lo:[1,1,0]
	s_wait_dscnt 0x0
	v_perm_b32 v7, v10, v7, 0x6050403
	v_ashrrev_i32_e32 v5, 24, v10
	v_dot4_i32_iu8 v6, v10, v53, v15 neg_lo:[1,1,0]
	s_delay_alu instid0(VALU_DEP_3) | instskip(SKIP_1) | instid1(VALU_DEP_3)
	v_dot4_i32_iu8 v4, v7, v78, v4 neg_lo:[1,1,0]
	v_dot4_i32_iu8 v7, v10, v55, v16 neg_lo:[1,1,0]
	v_dot4_i32_iu8 v6, v11, v54, v6 neg_lo:[1,1,0]
	s_delay_alu instid0(VALU_DEP_3) | instskip(SKIP_1) | instid1(VALU_DEP_4)
	v_mad_i32_i24 v4, v9, v5, v4
	v_dot4_i32_iu8 v5, v10, v51, v14 neg_lo:[1,1,0]
	v_dot4_i32_iu8 v7, v11, v56, v7 neg_lo:[1,1,0]
	s_delay_alu instid0(VALU_DEP_4) | instskip(NEXT) | instid1(VALU_DEP_4)
	v_dot4_i32_iu8 v6, v12, v59, v6 neg_lo:[1,1,0]
	v_dot4_i32_iu8 v4, v20, v11, v4 neg_lo:[1,1,0]
	s_delay_alu instid0(VALU_DEP_4) | instskip(NEXT) | instid1(VALU_DEP_4)
	v_dot4_i32_iu8 v5, v11, v52, v5 neg_lo:[1,1,0]
	v_dot4_i32_iu8 v7, v12, v61, v7 neg_lo:[1,1,0]
	s_delay_alu instid0(VALU_DEP_4) | instskip(NEXT) | instid1(VALU_DEP_4)
	v_dot4_i32_iu8 v203, v13, v60, v6 neg_lo:[1,1,0]
	v_dot4_i32_iu8 v4, v21, v12, v4 neg_lo:[1,1,0]
	s_delay_alu instid0(VALU_DEP_4) | instskip(NEXT) | instid1(VALU_DEP_4)
	v_dot4_i32_iu8 v5, v12, v57, v5 neg_lo:[1,1,0]
	v_dot4_i32_iu8 v202, v13, v62, v7 neg_lo:[1,1,0]
	s_delay_alu instid0(VALU_DEP_3) | instskip(NEXT) | instid1(VALU_DEP_3)
	v_dot4_i32_iu8 v201, v13, v22, v4 neg_lo:[1,1,0]
	v_dot4_i32_iu8 v204, v13, v58, v5 neg_lo:[1,1,0]
	ds_load_b128 v[4:7], v63 offset:33280
	s_wait_dscnt 0x0
	v_dot4_i32_iu8 v10, v4, v39, 0 neg_lo:[1,1,0]
	v_dot4_i32_iu8 v11, v4, v41, 0 neg_lo:[1,1,0]
	v_dot4_i32_iu8 v12, v4, v43, 0 neg_lo:[1,1,0]
	v_bfe_i32 v17, v4, 0, 8
	v_perm_b32 v18, v4, v4, 0xc0c0201
	v_dot4_i32_iu8 v10, v5, v40, v10 neg_lo:[1,1,0]
	v_dot4_i32_iu8 v11, v5, v42, v11 neg_lo:[1,1,0]
	v_dot4_i32_iu8 v12, v5, v44, v12 neg_lo:[1,1,0]
	v_mul_i32_i24_e32 v17, v17, v82
	v_perm_b32 v4, v5, v4, 0x6050403
	v_dot4_i32_iu8 v10, v6, v45, v10 neg_lo:[1,1,0]
	v_dot4_i32_iu8 v11, v6, v47, v11 neg_lo:[1,1,0]
	v_dot4_i32_iu8 v12, v6, v49, v12 neg_lo:[1,1,0]
	v_dot4_i32_iu8 v17, v18, v83, v17 neg_lo:[1,1,0]
	v_perm_b32 v5, v6, v5, 0x6050403
	v_dot4_i32_iu8 v14, v7, v46, v10 neg_lo:[1,1,0]
	v_dot4_i32_iu8 v15, v7, v48, v11 neg_lo:[1,1,0]
	v_dot4_i32_iu8 v16, v7, v50, v12 neg_lo:[1,1,0]
	ds_load_b128 v[10:13], v63 offset:33296
	v_dot4_i32_iu8 v4, v4, v81, v17 neg_lo:[1,1,0]
	v_perm_b32 v6, v7, v6, 0x6050403
	s_delay_alu instid0(VALU_DEP_2) | instskip(NEXT) | instid1(VALU_DEP_1)
	v_dot4_i32_iu8 v4, v5, v79, v4 neg_lo:[1,1,0]
	v_dot4_i32_iu8 v4, v6, v80, v4 neg_lo:[1,1,0]
	s_wait_dscnt 0x0
	v_perm_b32 v7, v10, v7, 0x6050403
	v_ashrrev_i32_e32 v5, 24, v10
	v_dot4_i32_iu8 v6, v10, v53, v15 neg_lo:[1,1,0]
	s_delay_alu instid0(VALU_DEP_3) | instskip(SKIP_1) | instid1(VALU_DEP_3)
	v_dot4_i32_iu8 v4, v7, v78, v4 neg_lo:[1,1,0]
	v_dot4_i32_iu8 v7, v10, v55, v16 neg_lo:[1,1,0]
	v_dot4_i32_iu8 v6, v11, v54, v6 neg_lo:[1,1,0]
	s_delay_alu instid0(VALU_DEP_3) | instskip(SKIP_1) | instid1(VALU_DEP_4)
	v_mad_i32_i24 v4, v9, v5, v4
	v_dot4_i32_iu8 v5, v10, v51, v14 neg_lo:[1,1,0]
	v_dot4_i32_iu8 v7, v11, v56, v7 neg_lo:[1,1,0]
	s_delay_alu instid0(VALU_DEP_4) | instskip(NEXT) | instid1(VALU_DEP_4)
	v_dot4_i32_iu8 v6, v12, v59, v6 neg_lo:[1,1,0]
	v_dot4_i32_iu8 v4, v20, v11, v4 neg_lo:[1,1,0]
	s_delay_alu instid0(VALU_DEP_4) | instskip(NEXT) | instid1(VALU_DEP_4)
	v_dot4_i32_iu8 v5, v11, v52, v5 neg_lo:[1,1,0]
	v_dot4_i32_iu8 v7, v12, v61, v7 neg_lo:[1,1,0]
	s_delay_alu instid0(VALU_DEP_4) | instskip(NEXT) | instid1(VALU_DEP_4)
	v_dot4_i32_iu8 v209, v13, v60, v6 neg_lo:[1,1,0]
	v_dot4_i32_iu8 v4, v21, v12, v4 neg_lo:[1,1,0]
	s_delay_alu instid0(VALU_DEP_4) | instskip(NEXT) | instid1(VALU_DEP_4)
	v_dot4_i32_iu8 v5, v12, v57, v5 neg_lo:[1,1,0]
	v_dot4_i32_iu8 v208, v13, v62, v7 neg_lo:[1,1,0]
	s_delay_alu instid0(VALU_DEP_3) | instskip(NEXT) | instid1(VALU_DEP_3)
	v_dot4_i32_iu8 v207, v13, v22, v4 neg_lo:[1,1,0]
	v_dot4_i32_iu8 v210, v13, v58, v5 neg_lo:[1,1,0]
	ds_load_b128 v[4:7], v249 offset:33280
	s_wait_dscnt 0x0
	v_dot4_i32_iu8 v10, v4, v39, 0 neg_lo:[1,1,0]
	v_dot4_i32_iu8 v11, v4, v41, 0 neg_lo:[1,1,0]
	v_dot4_i32_iu8 v12, v4, v43, 0 neg_lo:[1,1,0]
	v_bfe_i32 v17, v4, 0, 8
	v_perm_b32 v18, v4, v4, 0xc0c0201
	v_dot4_i32_iu8 v10, v5, v40, v10 neg_lo:[1,1,0]
	v_dot4_i32_iu8 v11, v5, v42, v11 neg_lo:[1,1,0]
	v_dot4_i32_iu8 v12, v5, v44, v12 neg_lo:[1,1,0]
	v_mul_i32_i24_e32 v17, v17, v82
	v_perm_b32 v4, v5, v4, 0x6050403
	v_dot4_i32_iu8 v10, v6, v45, v10 neg_lo:[1,1,0]
	v_dot4_i32_iu8 v11, v6, v47, v11 neg_lo:[1,1,0]
	v_dot4_i32_iu8 v12, v6, v49, v12 neg_lo:[1,1,0]
	v_dot4_i32_iu8 v17, v18, v83, v17 neg_lo:[1,1,0]
	v_perm_b32 v5, v6, v5, 0x6050403
	v_dot4_i32_iu8 v14, v7, v46, v10 neg_lo:[1,1,0]
	v_dot4_i32_iu8 v15, v7, v48, v11 neg_lo:[1,1,0]
	v_dot4_i32_iu8 v16, v7, v50, v12 neg_lo:[1,1,0]
	ds_load_b128 v[10:13], v249 offset:33296
	v_dot4_i32_iu8 v4, v4, v81, v17 neg_lo:[1,1,0]
	v_perm_b32 v6, v7, v6, 0x6050403
	s_delay_alu instid0(VALU_DEP_2) | instskip(NEXT) | instid1(VALU_DEP_1)
	v_dot4_i32_iu8 v4, v5, v79, v4 neg_lo:[1,1,0]
	v_dot4_i32_iu8 v4, v6, v80, v4 neg_lo:[1,1,0]
	s_wait_dscnt 0x0
	v_perm_b32 v7, v10, v7, 0x6050403
	v_ashrrev_i32_e32 v5, 24, v10
	v_dot4_i32_iu8 v6, v10, v53, v15 neg_lo:[1,1,0]
	s_delay_alu instid0(VALU_DEP_3) | instskip(SKIP_1) | instid1(VALU_DEP_3)
	v_dot4_i32_iu8 v4, v7, v78, v4 neg_lo:[1,1,0]
	v_dot4_i32_iu8 v7, v10, v55, v16 neg_lo:[1,1,0]
	v_dot4_i32_iu8 v6, v11, v54, v6 neg_lo:[1,1,0]
	s_delay_alu instid0(VALU_DEP_3) | instskip(SKIP_1) | instid1(VALU_DEP_4)
	v_mad_i32_i24 v4, v9, v5, v4
	v_dot4_i32_iu8 v5, v10, v51, v14 neg_lo:[1,1,0]
	v_dot4_i32_iu8 v7, v11, v56, v7 neg_lo:[1,1,0]
	s_delay_alu instid0(VALU_DEP_4) | instskip(NEXT) | instid1(VALU_DEP_4)
	v_dot4_i32_iu8 v6, v12, v59, v6 neg_lo:[1,1,0]
	v_dot4_i32_iu8 v4, v20, v11, v4 neg_lo:[1,1,0]
	s_delay_alu instid0(VALU_DEP_4) | instskip(NEXT) | instid1(VALU_DEP_4)
	v_dot4_i32_iu8 v5, v11, v52, v5 neg_lo:[1,1,0]
	v_dot4_i32_iu8 v7, v12, v61, v7 neg_lo:[1,1,0]
	s_delay_alu instid0(VALU_DEP_4) | instskip(NEXT) | instid1(VALU_DEP_4)
	v_dot4_i32_iu8 v215, v13, v60, v6 neg_lo:[1,1,0]
	v_dot4_i32_iu8 v4, v21, v12, v4 neg_lo:[1,1,0]
	s_delay_alu instid0(VALU_DEP_4) | instskip(NEXT) | instid1(VALU_DEP_4)
	v_dot4_i32_iu8 v5, v12, v57, v5 neg_lo:[1,1,0]
	v_dot4_i32_iu8 v214, v13, v62, v7 neg_lo:[1,1,0]
	s_delay_alu instid0(VALU_DEP_3) | instskip(NEXT) | instid1(VALU_DEP_3)
	v_dot4_i32_iu8 v213, v13, v22, v4 neg_lo:[1,1,0]
	v_dot4_i32_iu8 v216, v13, v58, v5 neg_lo:[1,1,0]
	ds_load_b128 v[4:7], v67 offset:33280
	s_wait_dscnt 0x0
	v_dot4_i32_iu8 v10, v4, v39, 0 neg_lo:[1,1,0]
	v_dot4_i32_iu8 v11, v4, v41, 0 neg_lo:[1,1,0]
	;; [unrolled: 1-line block ×3, first 2 shown]
	v_bfe_i32 v17, v4, 0, 8
	v_perm_b32 v18, v4, v4, 0xc0c0201
	v_dot4_i32_iu8 v10, v5, v40, v10 neg_lo:[1,1,0]
	v_dot4_i32_iu8 v11, v5, v42, v11 neg_lo:[1,1,0]
	;; [unrolled: 1-line block ×3, first 2 shown]
	v_mul_i32_i24_e32 v17, v17, v82
	v_perm_b32 v4, v5, v4, 0x6050403
	v_dot4_i32_iu8 v10, v6, v45, v10 neg_lo:[1,1,0]
	v_dot4_i32_iu8 v11, v6, v47, v11 neg_lo:[1,1,0]
	;; [unrolled: 1-line block ×4, first 2 shown]
	v_perm_b32 v5, v6, v5, 0x6050403
	v_dot4_i32_iu8 v14, v7, v46, v10 neg_lo:[1,1,0]
	v_dot4_i32_iu8 v15, v7, v48, v11 neg_lo:[1,1,0]
	;; [unrolled: 1-line block ×3, first 2 shown]
	ds_load_b128 v[10:13], v67 offset:33296
	v_dot4_i32_iu8 v4, v4, v81, v17 neg_lo:[1,1,0]
	v_perm_b32 v6, v7, v6, 0x6050403
	s_delay_alu instid0(VALU_DEP_2) | instskip(NEXT) | instid1(VALU_DEP_1)
	v_dot4_i32_iu8 v4, v5, v79, v4 neg_lo:[1,1,0]
	v_dot4_i32_iu8 v4, v6, v80, v4 neg_lo:[1,1,0]
	s_wait_dscnt 0x0
	v_perm_b32 v7, v10, v7, 0x6050403
	v_ashrrev_i32_e32 v5, 24, v10
	v_dot4_i32_iu8 v6, v10, v53, v15 neg_lo:[1,1,0]
	s_delay_alu instid0(VALU_DEP_3) | instskip(SKIP_1) | instid1(VALU_DEP_3)
	v_dot4_i32_iu8 v4, v7, v78, v4 neg_lo:[1,1,0]
	v_dot4_i32_iu8 v7, v10, v55, v16 neg_lo:[1,1,0]
	;; [unrolled: 1-line block ×3, first 2 shown]
	s_delay_alu instid0(VALU_DEP_3) | instskip(SKIP_1) | instid1(VALU_DEP_4)
	v_mad_i32_i24 v4, v9, v5, v4
	v_dot4_i32_iu8 v5, v10, v51, v14 neg_lo:[1,1,0]
	v_dot4_i32_iu8 v7, v11, v56, v7 neg_lo:[1,1,0]
	s_delay_alu instid0(VALU_DEP_4)
	v_dot4_i32_iu8 v6, v12, v59, v6 neg_lo:[1,1,0]
	v_lshlrev_b32_e32 v10, 2, v234
	v_dot4_i32_iu8 v4, v20, v11, v4 neg_lo:[1,1,0]
	v_dot4_i32_iu8 v5, v11, v52, v5 neg_lo:[1,1,0]
	v_dot4_i32_iu8 v7, v12, v61, v7 neg_lo:[1,1,0]
	v_dot4_i32_iu8 v231, v13, v60, v6 neg_lo:[1,1,0]
	s_delay_alu instid0(VALU_DEP_4) | instskip(NEXT) | instid1(VALU_DEP_4)
	v_dot4_i32_iu8 v4, v21, v12, v4 neg_lo:[1,1,0]
	v_dot4_i32_iu8 v5, v12, v57, v5 neg_lo:[1,1,0]
	s_delay_alu instid0(VALU_DEP_4) | instskip(NEXT) | instid1(VALU_DEP_3)
	v_dot4_i32_iu8 v230, v13, v62, v7 neg_lo:[1,1,0]
	v_dot4_i32_iu8 v246, v13, v22, v4 neg_lo:[1,1,0]
	s_delay_alu instid0(VALU_DEP_3)
	v_dot4_i32_iu8 v232, v13, v58, v5 neg_lo:[1,1,0]
	ds_load_b128 v[4:7], v10 offset:33280
	s_wait_dscnt 0x0
	v_dot4_i32_iu8 v11, v4, v39, 0 neg_lo:[1,1,0]
	v_dot4_i32_iu8 v12, v4, v41, 0 neg_lo:[1,1,0]
	;; [unrolled: 1-line block ×3, first 2 shown]
	v_bfe_i32 v18, v4, 0, 8
	v_perm_b32 v19, v4, v4, 0xc0c0201
	v_dot4_i32_iu8 v11, v5, v40, v11 neg_lo:[1,1,0]
	v_dot4_i32_iu8 v12, v5, v42, v12 neg_lo:[1,1,0]
	;; [unrolled: 1-line block ×3, first 2 shown]
	v_mul_i32_i24_e32 v18, v18, v82
	v_perm_b32 v4, v5, v4, 0x6050403
	v_dot4_i32_iu8 v11, v6, v45, v11 neg_lo:[1,1,0]
	v_dot4_i32_iu8 v12, v6, v47, v12 neg_lo:[1,1,0]
	;; [unrolled: 1-line block ×4, first 2 shown]
	v_perm_b32 v5, v6, v5, 0x6050403
	v_dot4_i32_iu8 v15, v7, v46, v11 neg_lo:[1,1,0]
	v_dot4_i32_iu8 v16, v7, v48, v12 neg_lo:[1,1,0]
	;; [unrolled: 1-line block ×3, first 2 shown]
	ds_load_b128 v[11:14], v10 offset:33296
	v_dot4_i32_iu8 v4, v4, v81, v18 neg_lo:[1,1,0]
	v_perm_b32 v6, v7, v6, 0x6050403
	v_lshlrev_b32_e32 v19, 2, v72
	s_delay_alu instid0(VALU_DEP_3) | instskip(NEXT) | instid1(VALU_DEP_1)
	v_dot4_i32_iu8 v4, v5, v79, v4 neg_lo:[1,1,0]
	v_dot4_i32_iu8 v4, v6, v80, v4 neg_lo:[1,1,0]
	s_wait_dscnt 0x0
	v_perm_b32 v7, v11, v7, 0x6050403
	v_ashrrev_i32_e32 v5, 24, v11
	v_dot4_i32_iu8 v6, v11, v55, v17 neg_lo:[1,1,0]
	s_delay_alu instid0(VALU_DEP_3) | instskip(NEXT) | instid1(VALU_DEP_2)
	v_dot4_i32_iu8 v4, v7, v78, v4 neg_lo:[1,1,0]
	v_dot4_i32_iu8 v6, v12, v56, v6 neg_lo:[1,1,0]
	s_delay_alu instid0(VALU_DEP_2) | instskip(SKIP_1) | instid1(VALU_DEP_3)
	v_mad_i32_i24 v4, v9, v5, v4
	v_dot4_i32_iu8 v5, v11, v53, v16 neg_lo:[1,1,0]
	v_dot4_i32_iu8 v6, v13, v61, v6 neg_lo:[1,1,0]
	s_delay_alu instid0(VALU_DEP_3) | instskip(NEXT) | instid1(VALU_DEP_3)
	v_dot4_i32_iu8 v4, v20, v12, v4 neg_lo:[1,1,0]
	v_dot4_i32_iu8 v5, v12, v54, v5 neg_lo:[1,1,0]
	s_delay_alu instid0(VALU_DEP_3) | instskip(NEXT) | instid1(VALU_DEP_3)
	v_dot4_i32_iu8 v251, v14, v62, v6 neg_lo:[1,1,0]
	v_dot4_i32_iu8 v4, v21, v13, v4 neg_lo:[1,1,0]
	s_delay_alu instid0(VALU_DEP_3) | instskip(NEXT) | instid1(VALU_DEP_2)
	v_dot4_i32_iu8 v5, v13, v59, v5 neg_lo:[1,1,0]
	v_dot4_i32_iu8 v250, v14, v22, v4 neg_lo:[1,1,0]
	;; [unrolled: 1-line block ×3, first 2 shown]
	s_delay_alu instid0(VALU_DEP_3) | instskip(NEXT) | instid1(VALU_DEP_2)
	v_dot4_i32_iu8 v254, v14, v60, v5 neg_lo:[1,1,0]
	v_dot4_i32_iu8 v4, v12, v52, v4 neg_lo:[1,1,0]
	s_delay_alu instid0(VALU_DEP_1) | instskip(NEXT) | instid1(VALU_DEP_1)
	v_dot4_i32_iu8 v4, v13, v57, v4 neg_lo:[1,1,0]
	v_dot4_i32_iu8 v104, v58, v14, v4 neg_lo:[1,1,0]
	ds_load_b128 v[4:7], v94 offset:35
	s_wait_dscnt 0x0
	v_perm_b32 v224, v4, v3, 0x6050403
	v_perm_b32 v223, v5, v4, 0x6050403
	;; [unrolled: 1-line block ×7, first 2 shown]
	scratch_store_b32 off, v0, off offset:32 ; 4-byte Folded Spill
	v_perm_b32 v0, v1, v1, 0xc0c0100
	scratch_store_b32 off, v0, off offset:24 ; 4-byte Folded Spill
	v_perm_b32 v0, v1, v1, 0xc0c0302
	;; [unrolled: 2-line block ×3, first 2 shown]
	s_clause 0x1
	scratch_store_b32 off, v4, off offset:36
	scratch_store_b32 off, v0, off offset:16
	v_perm_b32 v0, v3, v2, 0xc040302
	scratch_store_b32 off, v0, off offset:28 ; 4-byte Folded Spill
	ds_load_b128 v[0:3], v19 offset:33280
	s_wait_dscnt 0x0
	v_dot4_i32_iu8 v4, v39, v0, 0 neg_lo:[1,1,0]
	v_dot4_i32_iu8 v5, v41, v0, 0 neg_lo:[1,1,0]
	;; [unrolled: 1-line block ×3, first 2 shown]
	v_bfe_i32 v228, v0, 0, 8
	v_perm_b32 v229, v0, v0, 0xc0c0201
	v_dot4_i32_iu8 v4, v40, v1, v4 neg_lo:[1,1,0]
	v_dot4_i32_iu8 v5, v42, v1, v5 neg_lo:[1,1,0]
	;; [unrolled: 1-line block ×3, first 2 shown]
	v_perm_b32 v227, v1, v0, 0x6050403
	v_perm_b32 v0, v2, v1, 0x6050403
	v_dot4_i32_iu8 v4, v45, v2, v4 neg_lo:[1,1,0]
	v_mov_b32_e32 v43, v153
	v_dual_mov_b32 v41, v173 :: v_dual_mov_b32 v40, v141
	scratch_store_b32 off, v0, off offset:60 ; 4-byte Folded Spill
	v_dot4_i32_iu8 v11, v46, v3, v4 neg_lo:[1,1,0]
	v_dot4_i32_iu8 v4, v47, v2, v5 neg_lo:[1,1,0]
	v_mov_b32_e32 v46, v29
	v_perm_b32 v0, v3, v2, 0x6050403
	v_dual_mov_b32 v47, v168 :: v_dual_mov_b32 v44, v154
	s_delay_alu instid0(VALU_DEP_4)
	v_dot4_i32_iu8 v12, v48, v3, v4 neg_lo:[1,1,0]
	v_dot4_i32_iu8 v4, v49, v2, v6 neg_lo:[1,1,0]
	scratch_store_b32 off, v0, off offset:56 ; 4-byte Folded Spill
	v_dual_mov_b32 v48, v152 :: v_dual_mov_b32 v45, v155
	v_dot4_i32_iu8 v13, v50, v3, v4 neg_lo:[1,1,0]
	ds_load_b128 v[4:7], v19 offset:33296
	v_dual_mov_b32 v49, v166 :: v_dual_mov_b32 v50, v167
	s_wait_dscnt 0x0
	v_perm_b32 v0, v4, v3, 0x6050403
	v_dot4_i32_iu8 v1, v53, v4, v12 neg_lo:[1,1,0]
	v_dot4_i32_iu8 v2, v55, v4, v13 neg_lo:[1,1,0]
	v_perm_b32 v219, v5, v4, 0xc0c0403
	v_perm_b32 v42, v5, v5, 0xc0c0201
	scratch_store_b32 off, v0, off offset:52 ; 4-byte Folded Spill
	v_dot4_i32_iu8 v0, v51, v4, v11 neg_lo:[1,1,0]
	v_dot4_i32_iu8 v1, v54, v5, v1 neg_lo:[1,1,0]
	;; [unrolled: 1-line block ×3, first 2 shown]
	s_delay_alu instid0(VALU_DEP_3) | instskip(NEXT) | instid1(VALU_DEP_1)
	v_dot4_i32_iu8 v0, v52, v5, v0 neg_lo:[1,1,0]
	v_dot4_i32_iu8 v0, v57, v6, v0 neg_lo:[1,1,0]
	s_delay_alu instid0(VALU_DEP_1) | instskip(SKIP_2) | instid1(VALU_DEP_1)
	v_dot4_i32_iu8 v0, v58, v7, v0 neg_lo:[1,1,0]
	scratch_store_b32 off, v0, off offset:40 ; 4-byte Folded Spill
	v_dot4_i32_iu8 v0, v59, v6, v1 neg_lo:[1,1,0]
	v_dot4_i32_iu8 v0, v60, v7, v0 neg_lo:[1,1,0]
	scratch_store_b32 off, v0, off offset:44 ; 4-byte Folded Spill
	v_dot4_i32_iu8 v0, v61, v6, v2 neg_lo:[1,1,0]
	s_delay_alu instid0(VALU_DEP_1)
	v_dot4_i32_iu8 v0, v62, v7, v0 neg_lo:[1,1,0]
	scratch_store_b32 off, v0, off offset:48 ; 4-byte Folded Spill
	v_perm_b32 v0, v6, v5, 0xc0c0403
	scratch_store_b32 off, v0, off offset:76 ; 4-byte Folded Spill
	v_perm_b32 v0, v6, v6, 0xc0c0201
	;; [unrolled: 2-line block ×4, first 2 shown]
	scratch_store_b32 off, v0, off offset:68 ; 4-byte Folded Spill
	ds_load_2addr_b32 v[0:1], v84 offset0:8 offset1:9
	ds_load_b128 v[4:7], v85 offset:33312
	ds_load_2addr_b32 v[51:52], v86 offset0:8 offset1:9
	ds_load_2addr_b32 v[53:54], v87 offset0:8 offset1:9
	;; [unrolled: 1-line block ×4, first 2 shown]
	s_wait_dscnt 0x4
	v_dot4_i32_iu8 v2, v0, v4, 0 neg_lo:[1,1,0]
	v_bfe_i32 v23, v4, 0, 8
	v_bfe_i32 v97, v4, 8, 8
	v_perm_b32 v119, v5, v4, 0x5040302
	v_perm_b32 v120, v6, v5, 0x5040302
	v_dot4_i32_iu8 v11, v1, v5, v2 neg_lo:[1,1,0]
	s_wait_dscnt 0x3
	v_dot4_i32_iu8 v2, v4, v51, 0 neg_lo:[1,1,0]
	v_perm_b32 v253, v7, v6, 0x5040302
	s_delay_alu instid0(VALU_DEP_2) | instskip(SKIP_3) | instid1(VALU_DEP_2)
	v_dot4_i32_iu8 v12, v5, v52, v2 neg_lo:[1,1,0]
	s_wait_dscnt 0x2
	v_dot4_i32_iu8 v2, v4, v53, 0 neg_lo:[1,1,0]
	s_wait_dscnt 0x1
	v_dot4_i32_iu8 v12, v6, v95, v12 neg_lo:[1,1,0]
	s_delay_alu instid0(VALU_DEP_2) | instskip(SKIP_4) | instid1(VALU_DEP_1)
	v_dot4_i32_iu8 v13, v5, v54, v2 neg_lo:[1,1,0]
	ds_load_2addr_b32 v[2:3], v84 offset0:10 offset1:11
	v_dot4_i32_iu8 v16, v7, v96, v12 neg_lo:[1,1,0]
	s_wait_dscnt 0x1
	v_dot4_i32_iu8 v13, v6, v108, v13 neg_lo:[1,1,0]
	v_dot4_i32_iu8 v17, v7, v109, v13 neg_lo:[1,1,0]
	s_wait_dscnt 0x0
	v_dot4_i32_iu8 v11, v2, v6, v11 neg_lo:[1,1,0]
	s_delay_alu instid0(VALU_DEP_1)
	v_dot4_i32_iu8 v15, v3, v7, v11 neg_lo:[1,1,0]
	ds_load_b128 v[11:14], v85 offset:33328
	ds_load_i8 v6, v84 offset:63
	ds_load_2addr_b32 v[4:5], v84 offset0:14 offset1:15
	ds_load_2addr_b32 v[110:111], v86 offset0:12 offset1:13
	;; [unrolled: 1-line block ×5, first 2 shown]
	s_wait_dscnt 0x6
	v_perm_b32 v24, v11, v7, 0x5040302
	s_wait_dscnt 0x4
	v_perm_b32 v252, v6, v5, 0x4020100
	ds_load_2addr_b32 v[6:7], v84 offset0:12 offset1:13
	s_wait_dscnt 0x4
	v_dot4_i32_iu8 v16, v11, v110, v16 neg_lo:[1,1,0]
	s_wait_dscnt 0x3
	v_dot4_i32_iu8 v17, v11, v112, v17 neg_lo:[1,1,0]
	v_perm_b32 v122, v12, v11, 0x5040302
	v_perm_b32 v125, v13, v12, 0x5040302
	;; [unrolled: 1-line block ×3, first 2 shown]
	v_dot4_i32_iu8 v16, v12, v111, v16 neg_lo:[1,1,0]
	v_dot4_i32_iu8 v17, v12, v113, v17 neg_lo:[1,1,0]
	v_perm_b32 v26, v14, v14, 0xc0c0302
	s_wait_dscnt 0x2
	s_delay_alu instid0(VALU_DEP_3) | instskip(SKIP_2) | instid1(VALU_DEP_2)
	v_dot4_i32_iu8 v16, v13, v115, v16 neg_lo:[1,1,0]
	s_wait_dscnt 0x1
	v_dot4_i32_iu8 v17, v13, v117, v17 neg_lo:[1,1,0]
	v_dot4_i32_iu8 v32, v14, v116, v16 neg_lo:[1,1,0]
	s_delay_alu instid0(VALU_DEP_2) | instskip(SKIP_2) | instid1(VALU_DEP_1)
	v_dot4_i32_iu8 v121, v14, v118, v17 neg_lo:[1,1,0]
	s_wait_dscnt 0x0
	v_dot4_i32_iu8 v15, v6, v11, v15 neg_lo:[1,1,0]
	v_dot4_i32_iu8 v15, v7, v12, v15 neg_lo:[1,1,0]
	s_delay_alu instid0(VALU_DEP_1) | instskip(NEXT) | instid1(VALU_DEP_1)
	v_dot4_i32_iu8 v15, v4, v13, v15 neg_lo:[1,1,0]
	v_dot4_i32_iu8 v98, v14, v252, v15 neg_lo:[1,1,0]
	ds_load_b128 v[11:14], v19 offset:33312
	s_wait_dscnt 0x0
	v_dot4_i32_iu8 v15, v11, v51, 0 neg_lo:[1,1,0]
	v_dot4_i32_iu8 v16, v11, v53, 0 neg_lo:[1,1,0]
	v_lshrrev_b16 v237, 8, v11
	v_bfe_i32 v240, v11, 0, 8
	v_perm_b32 v236, v12, v11, 0x5040302
	v_dot4_i32_iu8 v15, v12, v52, v15 neg_lo:[1,1,0]
	v_dot4_i32_iu8 v16, v12, v54, v16 neg_lo:[1,1,0]
	v_perm_b32 v57, v13, v12, 0x5040302
	v_perm_b32 v59, v11, v12, 0xc0c0501
	v_perm_b32 v85, v11, v12, 0xc0c0703
	v_dot4_i32_iu8 v15, v13, v95, v15 neg_lo:[1,1,0]
	v_dot4_i32_iu8 v16, v13, v108, v16 neg_lo:[1,1,0]
	v_perm_b32 v87, v11, v12, 0xc0c0400
	v_perm_b32 v241, v11, v12, 0xc0c0602
	;; [unrolled: 1-line block ×3, first 2 shown]
	v_dot4_i32_iu8 v20, v14, v96, v15 neg_lo:[1,1,0]
	v_dot4_i32_iu8 v21, v14, v109, v16 neg_lo:[1,1,0]
	ds_load_b128 v[15:18], v19 offset:33328
	v_perm_b32 v61, v14, v13, 0x5010c0c
	v_perm_b32 v86, v14, v13, 0x7030c0c
	;; [unrolled: 1-line block ×4, first 2 shown]
	ds_load_i8 v255, v94 offset:63
	ds_load_i8 v176, v19 offset:33343
	scratch_load_b32 v8, off, off offset:120 ; 4-byte Folded Reload
	s_wait_dscnt 0x2
	v_dot4_i32_iu8 v11, v15, v110, v20 neg_lo:[1,1,0]
	v_dot4_i32_iu8 v12, v15, v112, v21 neg_lo:[1,1,0]
	v_perm_b32 v55, v15, v14, 0x5040302
	v_perm_b32 v84, v16, v15, 0x5040302
	;; [unrolled: 1-line block ×3, first 2 shown]
	v_dot4_i32_iu8 v11, v16, v111, v11 neg_lo:[1,1,0]
	v_dot4_i32_iu8 v12, v16, v113, v12 neg_lo:[1,1,0]
	v_perm_b32 v60, v18, v17, 0x5040302
	v_perm_b32 v245, v16, v15, 0xc0c0602
	;; [unrolled: 1-line block ×3, first 2 shown]
	v_dot4_i32_iu8 v33, v17, v115, v11 neg_lo:[1,1,0]
	v_dot4_i32_iu8 v123, v17, v117, v12 neg_lo:[1,1,0]
	ds_load_b128 v[11:14], v206 offset:33312
	v_perm_b32 v243, v16, v15, 0xc0c0400
	v_perm_b32 v244, v18, v17, 0x4000c0c
	;; [unrolled: 1-line block ×6, first 2 shown]
	s_wait_dscnt 0x2
	v_perm_b32 v58, v255, v18, 0xc0c0402
	s_wait_dscnt 0x1
	v_perm_b32 v124, v176, v18, 0x4020100
	s_delay_alu instid0(VALU_DEP_1)
	v_dot4_i32_iu8 v33, v116, v124, v33 neg_lo:[1,1,0]
	v_dot4_i32_iu8 v124, v118, v124, v123 neg_lo:[1,1,0]
	v_perm_b32 v123, v255, v107, 0xc0c0403
	v_perm_b32 v255, v107, v106, 0x6050403
	s_wait_dscnt 0x0
	v_dot4_i32_iu8 v15, v0, v11, 0 neg_lo:[1,1,0]
	v_dot4_i32_iu8 v16, v11, v51, 0 neg_lo:[1,1,0]
	;; [unrolled: 1-line block ×3, first 2 shown]
	v_bfe_i32 v130, v11, 0, 8
	v_bfe_i32 v190, v11, 8, 8
	v_dot4_i32_iu8 v15, v1, v12, v15 neg_lo:[1,1,0]
	v_dot4_i32_iu8 v16, v12, v52, v16 neg_lo:[1,1,0]
	;; [unrolled: 1-line block ×3, first 2 shown]
	v_perm_b32 v132, v12, v11, 0x5040302
	v_perm_b32 v133, v13, v12, 0x5040302
	v_dot4_i32_iu8 v15, v2, v13, v15 neg_lo:[1,1,0]
	v_dot4_i32_iu8 v16, v13, v95, v16 neg_lo:[1,1,0]
	;; [unrolled: 1-line block ×3, first 2 shown]
	v_perm_b32 v69, v14, v13, 0x5040302
	s_delay_alu instid0(VALU_DEP_4) | instskip(NEXT) | instid1(VALU_DEP_4)
	v_dot4_i32_iu8 v127, v3, v14, v15 neg_lo:[1,1,0]
	v_dot4_i32_iu8 v128, v14, v96, v16 neg_lo:[1,1,0]
	s_delay_alu instid0(VALU_DEP_4)
	v_dot4_i32_iu8 v129, v14, v109, v17 neg_lo:[1,1,0]
	ds_load_b128 v[15:18], v206 offset:33328
	s_wait_dscnt 0x0
	v_perm_b32 v185, v15, v14, 0x5040302
	ds_load_b128 v[11:14], v93 offset:33312
	v_perm_b32 v180, v16, v15, 0x5040302
	v_perm_b32 v181, v17, v16, 0x5040302
	;; [unrolled: 1-line block ×4, first 2 shown]
	s_wait_dscnt 0x0
	v_dot4_i32_iu8 v19, v0, v11, 0 neg_lo:[1,1,0]
	v_dot4_i32_iu8 v20, v11, v51, 0 neg_lo:[1,1,0]
	;; [unrolled: 1-line block ×3, first 2 shown]
	v_bfe_i32 v191, v11, 0, 8
	v_bfe_i32 v193, v11, 8, 8
	v_dot4_i32_iu8 v19, v1, v12, v19 neg_lo:[1,1,0]
	v_dot4_i32_iu8 v20, v12, v52, v20 neg_lo:[1,1,0]
	;; [unrolled: 1-line block ×3, first 2 shown]
	v_perm_b32 v173, v12, v11, 0x5040302
	v_perm_b32 v175, v13, v12, 0x5040302
	v_dot4_i32_iu8 v19, v2, v13, v19 neg_lo:[1,1,0]
	v_dot4_i32_iu8 v20, v13, v95, v20 neg_lo:[1,1,0]
	;; [unrolled: 1-line block ×3, first 2 shown]
	v_perm_b32 v178, v14, v13, 0x5040302
	v_dot4_i32_iu8 v11, v6, v15, v127 neg_lo:[1,1,0]
	v_dot4_i32_iu8 v206, v3, v14, v19 neg_lo:[1,1,0]
	;; [unrolled: 1-line block ×4, first 2 shown]
	ds_load_b128 v[19:22], v93 offset:33328
	v_dot4_i32_iu8 v12, v15, v110, v128 neg_lo:[1,1,0]
	v_dot4_i32_iu8 v13, v15, v112, v129 neg_lo:[1,1,0]
	;; [unrolled: 1-line block ×3, first 2 shown]
	s_delay_alu instid0(VALU_DEP_3) | instskip(NEXT) | instid1(VALU_DEP_3)
	v_dot4_i32_iu8 v12, v16, v111, v12 neg_lo:[1,1,0]
	v_dot4_i32_iu8 v13, v16, v113, v13 neg_lo:[1,1,0]
	s_delay_alu instid0(VALU_DEP_3) | instskip(NEXT) | instid1(VALU_DEP_3)
	v_dot4_i32_iu8 v11, v4, v17, v11 neg_lo:[1,1,0]
	v_dot4_i32_iu8 v12, v17, v115, v12 neg_lo:[1,1,0]
	;; [unrolled: 3-line block ×4, first 2 shown]
	s_wait_dscnt 0x0
	v_dot4_i32_iu8 v11, v6, v19, v206 neg_lo:[1,1,0]
	v_dot4_i32_iu8 v12, v19, v110, v140 neg_lo:[1,1,0]
	;; [unrolled: 1-line block ×3, first 2 shown]
	v_perm_b32 v93, v19, v14, 0x5040302
	v_perm_b32 v188, v20, v19, 0x5040302
	v_dot4_i32_iu8 v11, v7, v20, v11 neg_lo:[1,1,0]
	v_dot4_i32_iu8 v12, v20, v111, v12 neg_lo:[1,1,0]
	;; [unrolled: 1-line block ×3, first 2 shown]
	v_perm_b32 v189, v21, v20, 0x5040302
	v_perm_b32 v187, v22, v21, 0x5040302
	v_dot4_i32_iu8 v11, v4, v21, v11 neg_lo:[1,1,0]
	v_dot4_i32_iu8 v12, v21, v115, v12 neg_lo:[1,1,0]
	;; [unrolled: 1-line block ×3, first 2 shown]
	v_perm_b32 v103, v22, v22, 0xc0c0302
	s_delay_alu instid0(VALU_DEP_4) | instskip(NEXT) | instid1(VALU_DEP_4)
	v_dot4_i32_iu8 v140, v22, v252, v11 neg_lo:[1,1,0]
	v_dot4_i32_iu8 v141, v22, v116, v12 neg_lo:[1,1,0]
	s_delay_alu instid0(VALU_DEP_4)
	v_dot4_i32_iu8 v186, v22, v118, v13 neg_lo:[1,1,0]
	ds_load_b128 v[11:14], v249 offset:33312
	s_wait_dscnt 0x0
	v_dot4_i32_iu8 v15, v0, v11, 0 neg_lo:[1,1,0]
	v_dot4_i32_iu8 v16, v11, v51, 0 neg_lo:[1,1,0]
	;; [unrolled: 1-line block ×3, first 2 shown]
	v_bfe_i32 v99, v11, 0, 8
	v_bfe_i32 v25, v11, 8, 8
	v_dot4_i32_iu8 v15, v1, v12, v15 neg_lo:[1,1,0]
	v_dot4_i32_iu8 v16, v12, v52, v16 neg_lo:[1,1,0]
	;; [unrolled: 1-line block ×3, first 2 shown]
	v_perm_b32 v31, v12, v11, 0x5040302
	v_perm_b32 v114, v13, v12, 0x5040302
	v_dot4_i32_iu8 v15, v2, v13, v15 neg_lo:[1,1,0]
	v_dot4_i32_iu8 v16, v13, v95, v16 neg_lo:[1,1,0]
	;; [unrolled: 1-line block ×3, first 2 shown]
	v_perm_b32 v73, v14, v13, 0x5040302
	s_delay_alu instid0(VALU_DEP_4) | instskip(NEXT) | instid1(VALU_DEP_4)
	v_dot4_i32_iu8 v206, v3, v14, v15 neg_lo:[1,1,0]
	v_dot4_i32_iu8 v102, v14, v96, v16 neg_lo:[1,1,0]
	s_delay_alu instid0(VALU_DEP_4)
	v_dot4_i32_iu8 v100, v14, v109, v17 neg_lo:[1,1,0]
	ds_load_b128 v[15:18], v249 offset:33328
	s_wait_dscnt 0x0
	v_perm_b32 v205, v15, v14, 0x5040302
	ds_load_b128 v[11:14], v63 offset:33312
	v_perm_b32 v153, v16, v15, 0x5040302
	v_perm_b32 v9, v18, v17, 0x5040302
	;; [unrolled: 1-line block ×3, first 2 shown]
	s_wait_dscnt 0x0
	v_dot4_i32_iu8 v19, v0, v11, 0 neg_lo:[1,1,0]
	v_dot4_i32_iu8 v20, v11, v51, 0 neg_lo:[1,1,0]
	;; [unrolled: 1-line block ×3, first 2 shown]
	v_bfe_i32 v71, v11, 0, 8
	v_bfe_i32 v194, v11, 8, 8
	v_dot4_i32_iu8 v19, v1, v12, v19 neg_lo:[1,1,0]
	v_dot4_i32_iu8 v20, v12, v52, v20 neg_lo:[1,1,0]
	;; [unrolled: 1-line block ×3, first 2 shown]
	v_perm_b32 v195, v12, v11, 0x5040302
	v_perm_b32 v38, v13, v12, 0x5040302
	v_dot4_i32_iu8 v19, v2, v13, v19 neg_lo:[1,1,0]
	v_dot4_i32_iu8 v20, v13, v95, v20 neg_lo:[1,1,0]
	;; [unrolled: 1-line block ×3, first 2 shown]
	v_perm_b32 v39, v14, v13, 0x5040302
	v_dot4_i32_iu8 v11, v6, v15, v206 neg_lo:[1,1,0]
	v_dot4_i32_iu8 v249, v3, v14, v19 neg_lo:[1,1,0]
	;; [unrolled: 1-line block ×4, first 2 shown]
	ds_load_b128 v[19:22], v63 offset:33328
	v_dot4_i32_iu8 v12, v15, v110, v102 neg_lo:[1,1,0]
	v_dot4_i32_iu8 v13, v15, v112, v100 neg_lo:[1,1,0]
	;; [unrolled: 1-line block ×3, first 2 shown]
	v_perm_b32 v206, v17, v16, 0x5040302
	s_delay_alu instid0(VALU_DEP_4) | instskip(NEXT) | instid1(VALU_DEP_4)
	v_dot4_i32_iu8 v12, v16, v111, v12 neg_lo:[1,1,0]
	v_dot4_i32_iu8 v13, v16, v113, v13 neg_lo:[1,1,0]
	s_delay_alu instid0(VALU_DEP_4) | instskip(NEXT) | instid1(VALU_DEP_3)
	v_dot4_i32_iu8 v11, v4, v17, v11 neg_lo:[1,1,0]
	v_dot4_i32_iu8 v12, v17, v115, v12 neg_lo:[1,1,0]
	s_delay_alu instid0(VALU_DEP_3) | instskip(NEXT) | instid1(VALU_DEP_3)
	v_dot4_i32_iu8 v13, v17, v117, v13 neg_lo:[1,1,0]
	v_dot4_i32_iu8 v100, v18, v252, v11 neg_lo:[1,1,0]
	s_delay_alu instid0(VALU_DEP_3) | instskip(NEXT) | instid1(VALU_DEP_3)
	v_dot4_i32_iu8 v102, v18, v116, v12 neg_lo:[1,1,0]
	v_dot4_i32_iu8 v152, v18, v118, v13 neg_lo:[1,1,0]
	s_wait_dscnt 0x0
	v_dot4_i32_iu8 v11, v6, v19, v249 neg_lo:[1,1,0]
	v_dot4_i32_iu8 v12, v19, v110, v155 neg_lo:[1,1,0]
	;; [unrolled: 1-line block ×3, first 2 shown]
	v_perm_b32 v37, v19, v14, 0x5040302
	v_perm_b32 v165, v20, v19, 0x5040302
	v_dot4_i32_iu8 v11, v7, v20, v11 neg_lo:[1,1,0]
	v_dot4_i32_iu8 v12, v20, v111, v12 neg_lo:[1,1,0]
	;; [unrolled: 1-line block ×3, first 2 shown]
	v_perm_b32 v167, v21, v20, 0x5040302
	v_perm_b32 v30, v22, v21, 0x5040302
	v_dot4_i32_iu8 v11, v4, v21, v11 neg_lo:[1,1,0]
	v_dot4_i32_iu8 v12, v21, v115, v12 neg_lo:[1,1,0]
	;; [unrolled: 1-line block ×3, first 2 shown]
	v_perm_b32 v63, v22, v22, 0xc0c0302
	s_delay_alu instid0(VALU_DEP_4) | instskip(NEXT) | instid1(VALU_DEP_4)
	v_dot4_i32_iu8 v139, v22, v252, v11 neg_lo:[1,1,0]
	v_dot4_i32_iu8 v155, v22, v116, v12 neg_lo:[1,1,0]
	s_delay_alu instid0(VALU_DEP_4)
	v_dot4_i32_iu8 v163, v22, v118, v13 neg_lo:[1,1,0]
	ds_load_b128 v[11:14], v67 offset:33312
	s_wait_dscnt 0x0
	v_dot4_i32_iu8 v15, v0, v11, 0 neg_lo:[1,1,0]
	v_dot4_i32_iu8 v16, v11, v51, 0 neg_lo:[1,1,0]
	;; [unrolled: 1-line block ×3, first 2 shown]
	v_bfe_i32 v64, v11, 0, 8
	v_bfe_i32 v65, v11, 8, 8
	v_dot4_i32_iu8 v15, v1, v12, v15 neg_lo:[1,1,0]
	v_dot4_i32_iu8 v16, v12, v52, v16 neg_lo:[1,1,0]
	;; [unrolled: 1-line block ×3, first 2 shown]
	v_perm_b32 v66, v12, v11, 0x5040302
	v_perm_b32 v75, v13, v12, 0x5040302
	v_dot4_i32_iu8 v15, v2, v13, v15 neg_lo:[1,1,0]
	v_dot4_i32_iu8 v16, v13, v95, v16 neg_lo:[1,1,0]
	;; [unrolled: 1-line block ×3, first 2 shown]
	v_perm_b32 v76, v14, v13, 0x5040302
	s_delay_alu instid0(VALU_DEP_4) | instskip(NEXT) | instid1(VALU_DEP_4)
	v_dot4_i32_iu8 v19, v3, v14, v15 neg_lo:[1,1,0]
	v_dot4_i32_iu8 v20, v14, v96, v16 neg_lo:[1,1,0]
	s_delay_alu instid0(VALU_DEP_4)
	v_dot4_i32_iu8 v21, v14, v109, v17 neg_lo:[1,1,0]
	ds_load_b128 v[15:18], v67 offset:33328
	s_wait_dscnt 0x0
	v_perm_b32 v67, v15, v14, 0x5040302
	ds_load_b128 v[11:14], v10 offset:33312
	v_perm_b32 v27, v16, v15, 0x5040302
	v_perm_b32 v28, v17, v16, 0x5040302
	;; [unrolled: 1-line block ×4, first 2 shown]
	s_wait_dscnt 0x0
	v_dot4_i32_iu8 v22, v11, v51, 0 neg_lo:[1,1,0]
	v_dot4_i32_iu8 v51, v11, v53, 0 neg_lo:[1,1,0]
	v_bfe_i32 v70, v11, 0, 8
	v_bfe_i32 v249, v11, 8, 8
	v_perm_b32 v53, v12, v11, 0x5040302
	v_dot4_i32_iu8 v22, v12, v52, v22 neg_lo:[1,1,0]
	v_dot4_i32_iu8 v52, v0, v11, 0 neg_lo:[1,1,0]
	;; [unrolled: 1-line block ×3, first 2 shown]
	v_perm_b32 v54, v13, v12, 0x5040302
	s_delay_alu instid0(VALU_DEP_4) | instskip(NEXT) | instid1(VALU_DEP_4)
	v_dot4_i32_iu8 v22, v13, v95, v22 neg_lo:[1,1,0]
	v_dot4_i32_iu8 v52, v1, v12, v52 neg_lo:[1,1,0]
	s_delay_alu instid0(VALU_DEP_4) | instskip(SKIP_1) | instid1(VALU_DEP_4)
	v_dot4_i32_iu8 v51, v13, v108, v51 neg_lo:[1,1,0]
	v_perm_b32 v108, v14, v13, 0x5040302
	v_dot4_i32_iu8 v22, v14, v96, v22 neg_lo:[1,1,0]
	s_delay_alu instid0(VALU_DEP_4)
	v_dot4_i32_iu8 v52, v2, v13, v52 neg_lo:[1,1,0]
	ds_load_b128 v[10:13], v10 offset:33328
	v_dot4_i32_iu8 v51, v14, v109, v51 neg_lo:[1,1,0]
	v_perm_b32 v96, v106, v105, 0x6050403
	v_dot4_i32_iu8 v52, v3, v14, v52 neg_lo:[1,1,0]
	s_wait_dscnt 0x0
	v_perm_b32 v154, v10, v14, 0x5040302
	v_dot4_i32_iu8 v14, v6, v15, v19 neg_lo:[1,1,0]
	v_dot4_i32_iu8 v19, v15, v110, v20 neg_lo:[1,1,0]
	;; [unrolled: 1-line block ×4, first 2 shown]
	v_perm_b32 v172, v11, v10, 0x5040302
	v_dot4_i32_iu8 v14, v7, v16, v14 neg_lo:[1,1,0]
	v_dot4_i32_iu8 v19, v16, v111, v19 neg_lo:[1,1,0]
	;; [unrolled: 1-line block ×4, first 2 shown]
	v_mov_b32_e32 v51, v169
	v_dot4_i32_iu8 v14, v4, v17, v14 neg_lo:[1,1,0]
	v_mov_b32_e32 v52, v170
	v_dot4_i32_iu8 v15, v11, v113, v15 neg_lo:[1,1,0]
	v_dot4_i32_iu8 v16, v7, v11, v16 neg_lo:[1,1,0]
	v_dot4_i32_iu8 v19, v17, v115, v19 neg_lo:[1,1,0]
	v_dot4_i32_iu8 v156, v18, v252, v14 neg_lo:[1,1,0]
	v_dot4_i32_iu8 v14, v10, v110, v22 neg_lo:[1,1,0]
	v_dot4_i32_iu8 v15, v12, v117, v15 neg_lo:[1,1,0]
	v_dot4_i32_iu8 v16, v4, v12, v16 neg_lo:[1,1,0]
	v_dot4_i32_iu8 v20, v17, v117, v20 neg_lo:[1,1,0]
	v_mul_i32_i24_e32 v10, v23, v226
	v_dot4_i32_iu8 v14, v11, v111, v14 neg_lo:[1,1,0]
	v_dot4_i32_iu8 v171, v13, v118, v15 neg_lo:[1,1,0]
	;; [unrolled: 1-line block ×3, first 2 shown]
	v_perm_b32 v174, v12, v11, 0x5040302
	v_mad_i32_i24 v10, v97, v225, v10
	v_dot4_i32_iu8 v14, v12, v115, v14 neg_lo:[1,1,0]
	v_perm_b32 v179, v13, v12, 0x5040302
	v_perm_b32 v183, v13, v13, 0xc0c0302
	v_dot4_i32_iu8 v29, v18, v116, v19 neg_lo:[1,1,0]
	v_dot4_i32_iu8 v10, v119, v224, v10 neg_lo:[1,1,0]
	;; [unrolled: 1-line block ×3, first 2 shown]
	scratch_load_b32 v14, off, off offset:4 ; 4-byte Folded Reload
	v_dot4_i32_iu8 v159, v18, v118, v20 neg_lo:[1,1,0]
	v_perm_b32 v252, v176, v107, 0xc0c0403
	v_dot4_i32_iu8 v10, v120, v223, v10 neg_lo:[1,1,0]
	s_wait_loadcnt 0x1
	s_wait_alu 0xfffe
	v_add3_u32 v15, s5, v8, v177
	scratch_load_b32 v8, off, off offset:132 ; 4-byte Folded Reload
	v_dot4_i32_iu8 v10, v253, v222, v10 neg_lo:[1,1,0]
	ds_load_u16 v11, v15
	v_dot4_i32_iu8 v10, v24, v217, v10 neg_lo:[1,1,0]
	s_delay_alu instid0(VALU_DEP_1) | instskip(NEXT) | instid1(VALU_DEP_1)
	v_dot4_i32_iu8 v10, v122, v218, v10 neg_lo:[1,1,0]
	v_dot4_i32_iu8 v10, v125, v96, v10 neg_lo:[1,1,0]
	s_delay_alu instid0(VALU_DEP_1) | instskip(NEXT) | instid1(VALU_DEP_1)
	v_dot4_i32_iu8 v10, v126, v255, v10 neg_lo:[1,1,0]
	v_dot4_i32_iu8 v13, v123, v26, v10 neg_lo:[1,1,0]
	v_lshrrev_b32_e32 v10, 1, v77
	ds_load_b64 v[19:20], v10 offset:43584
	s_wait_dscnt 0x1
	v_lshrrev_b16 v12, 8, v11
	v_and_b32_e32 v97, 0xff, v11
	s_delay_alu instid0(VALU_DEP_2) | instskip(NEXT) | instid1(VALU_DEP_2)
	v_and_b32_e32 v95, 0xffff, v12
	v_mul_lo_u32 v11, v89, v97
	s_delay_alu instid0(VALU_DEP_2) | instskip(SKIP_2) | instid1(VALU_DEP_4)
	v_mul_lo_u32 v12, v98, v95
	v_mul_lo_u32 v22, v127, v95
	v_mov_b32_e32 v98, v68
	v_cvt_f32_i32_e32 v11, v11
	s_delay_alu instid0(VALU_DEP_4) | instskip(SKIP_1) | instid1(VALU_DEP_2)
	v_cvt_f32_i32_e32 v12, v12
	s_wait_dscnt 0x0
	v_fma_mix_f32 v10, v19, v11, 0 op_sel_hi:[1,0,0]
	v_cvt_f32_i32_e32 v22, v22
	s_delay_alu instid0(VALU_DEP_2)
	v_fma_mix_f32 v122, v20, v12, v10 op_sel_hi:[1,0,0]
	s_wait_loadcnt 0x0
	v_add3_u32 v16, s5, v8, v14
	scratch_load_b32 v8, off, off offset:136 ; 4-byte Folded Reload
	ds_load_u16 v10, v16
	s_wait_dscnt 0x0
	v_lshrrev_b16 v11, 8, v10
	v_and_b32_e32 v10, 0xff, v10
	s_delay_alu instid0(VALU_DEP_2) | instskip(NEXT) | instid1(VALU_DEP_2)
	v_and_b32_e32 v105, 0xffff, v11
	v_mul_lo_u32 v11, v90, v10
	s_delay_alu instid0(VALU_DEP_2) | instskip(NEXT) | instid1(VALU_DEP_2)
	v_mul_lo_u32 v12, v32, v105
	v_cvt_f32_i32_e32 v11, v11
	s_delay_alu instid0(VALU_DEP_2) | instskip(NEXT) | instid1(VALU_DEP_2)
	v_cvt_f32_i32_e32 v12, v12
	v_fma_mix_f32 v11, v19, v11, 0 op_sel_hi:[1,0,0]
	s_delay_alu instid0(VALU_DEP_1)
	v_fma_mix_f32 v125, v20, v12, v11 op_sel_hi:[1,0,0]
	s_wait_loadcnt 0x0
	v_add3_u32 v17, s5, v8, v192
	scratch_load_b32 v8, off, off offset:12 th:TH_LOAD_LU ; 4-byte Folded Reload
	ds_load_u16 v11, v17
	s_wait_dscnt 0x0
	v_lshrrev_b16 v12, 8, v11
	v_and_b32_e32 v106, 0xff, v11
	s_delay_alu instid0(VALU_DEP_2) | instskip(NEXT) | instid1(VALU_DEP_1)
	v_and_b32_e32 v12, 0xffff, v12
	v_mul_lo_u32 v14, v121, v12
	s_delay_alu instid0(VALU_DEP_1) | instskip(SKIP_2) | instid1(VALU_DEP_1)
	v_cvt_f32_i32_e32 v14, v14
	s_wait_loadcnt 0x0
	v_mul_lo_u32 v11, v8, v106
	v_cvt_f32_i32_e32 v11, v11
	s_delay_alu instid0(VALU_DEP_1) | instskip(NEXT) | instid1(VALU_DEP_1)
	v_fma_mix_f32 v11, v19, v11, 0 op_sel_hi:[1,0,0]
	v_fma_mix_f32 v253, v20, v14, v11 op_sel_hi:[1,0,0]
	s_clause 0x1
	scratch_load_b32 v8, off, off offset:124
	scratch_load_b32 v11, off, off offset:128
	s_wait_loadcnt 0x0
	v_add3_u32 v18, s5, v8, v11
	scratch_load_b32 v8, off, off offset:8 th:TH_LOAD_LU ; 4-byte Folded Reload
	s_add_co_i32 s5, s4, 8
	s_cmp_lt_u32 s4, 24
	s_wait_alu 0xfffe
	s_mov_b32 s4, s5
	ds_load_u16 v11, v18
	s_wait_dscnt 0x0
	v_lshrrev_b16 v14, 8, v11
	v_and_b32_e32 v11, 0xff, v11
	s_delay_alu instid0(VALU_DEP_2) | instskip(NEXT) | instid1(VALU_DEP_1)
	v_and_b32_e32 v14, 0xffff, v14
	v_mul_lo_u32 v13, v13, v14
	s_delay_alu instid0(VALU_DEP_1) | instskip(SKIP_2) | instid1(VALU_DEP_1)
	v_cvt_f32_i32_e32 v13, v13
	s_wait_loadcnt 0x0
	v_mul_lo_u32 v21, v8, v11
	v_cvt_f32_i32_e32 v21, v21
	s_delay_alu instid0(VALU_DEP_1) | instskip(NEXT) | instid1(VALU_DEP_1)
	v_fma_mix_f32 v21, v19, v21, 0 op_sel_hi:[1,0,0]
	v_fma_mix_f32 v32, v20, v13, v21 op_sel_hi:[1,0,0]
	ds_load_u16 v13, v18 offset:8
	ds_load_u16 v18, v16 offset:8
	;; [unrolled: 1-line block ×4, first 2 shown]
	s_wait_dscnt 0x3
	v_cvt_f32_ubyte0_e32 v110, v13
	v_cvt_f32_ubyte1_e32 v16, v13
	s_wait_dscnt 0x2
	v_cvt_f32_ubyte0_e32 v109, v18
	v_cvt_f32_ubyte1_e32 v15, v18
	;; [unrolled: 3-line block ×4, first 2 shown]
	v_fma_mix_f32 v13, v110, v19, 0 op_sel:[0,1,0] op_sel_hi:[0,1,0]
	s_delay_alu instid0(VALU_DEP_1) | instskip(SKIP_1) | instid1(VALU_DEP_1)
	v_fma_mix_f32 v176, v16, v20, v13 op_sel:[0,1,0] op_sel_hi:[0,1,0]
	v_fma_mix_f32 v13, v112, v19, 0 op_sel:[0,1,0] op_sel_hi:[0,1,0]
	;; [unrolled: 1-line block ×5, first 2 shown]
	s_delay_alu instid0(VALU_DEP_2) | instskip(NEXT) | instid1(VALU_DEP_2)
	v_fma_mix_f32 v13, v15, v20, v13 op_sel:[0,1,0] op_sel_hi:[0,1,0]
	v_fma_mix_f32 v126, v20, v17, v19 op_sel:[1,0,0] op_sel_hi:[1,0,0]
	v_mul_i32_i24_e32 v19, v130, v226
	v_mul_lo_u32 v20, v204, v97
	s_delay_alu instid0(VALU_DEP_2) | instskip(NEXT) | instid1(VALU_DEP_2)
	v_mad_i32_i24 v19, v190, v225, v19
	v_cvt_f32_i32_e32 v23, v20
	s_delay_alu instid0(VALU_DEP_2) | instskip(NEXT) | instid1(VALU_DEP_1)
	v_dot4_i32_iu8 v19, v132, v224, v19 neg_lo:[1,1,0]
	v_dot4_i32_iu8 v19, v133, v223, v19 neg_lo:[1,1,0]
	s_delay_alu instid0(VALU_DEP_1) | instskip(NEXT) | instid1(VALU_DEP_1)
	v_dot4_i32_iu8 v19, v69, v222, v19 neg_lo:[1,1,0]
	v_dot4_i32_iu8 v19, v185, v217, v19 neg_lo:[1,1,0]
	s_delay_alu instid0(VALU_DEP_1) | instskip(NEXT) | instid1(VALU_DEP_1)
	v_dot4_i32_iu8 v19, v180, v218, v19 neg_lo:[1,1,0]
	v_dot4_i32_iu8 v19, v181, v96, v19 neg_lo:[1,1,0]
	v_dual_mov_b32 v180, v220 :: v_dual_mov_b32 v181, v221
	s_delay_alu instid0(VALU_DEP_2) | instskip(NEXT) | instid1(VALU_DEP_1)
	v_dot4_i32_iu8 v19, v182, v255, v19 neg_lo:[1,1,0]
	v_dot4_i32_iu8 v21, v123, v184, v19 neg_lo:[1,1,0]
	v_lshrrev_b32_e32 v19, 1, v200
	s_delay_alu instid0(VALU_DEP_2) | instskip(SKIP_4) | instid1(VALU_DEP_1)
	v_mul_lo_u32 v21, v21, v14
	ds_load_b64 v[19:20], v19 offset:43584
	v_cvt_f32_i32_e32 v21, v21
	s_wait_dscnt 0x0
	v_fma_mix_f32 v23, v19, v23, 0 op_sel_hi:[1,0,0]
	v_fma_mix_f32 v200, v20, v22, v23 op_sel_hi:[1,0,0]
	v_mul_lo_u32 v22, v203, v10
	v_mul_lo_u32 v23, v128, v105
	s_delay_alu instid0(VALU_DEP_2) | instskip(NEXT) | instid1(VALU_DEP_2)
	v_cvt_f32_i32_e32 v22, v22
	v_cvt_f32_i32_e32 v23, v23
	s_delay_alu instid0(VALU_DEP_2) | instskip(NEXT) | instid1(VALU_DEP_1)
	v_fma_mix_f32 v22, v19, v22, 0 op_sel_hi:[1,0,0]
	v_fma_mix_f32 v203, v20, v23, v22 op_sel_hi:[1,0,0]
	v_mul_lo_u32 v22, v202, v106
	v_mul_lo_u32 v23, v129, v12
	s_delay_alu instid0(VALU_DEP_2) | instskip(NEXT) | instid1(VALU_DEP_2)
	v_cvt_f32_i32_e32 v22, v22
	v_cvt_f32_i32_e32 v23, v23
	s_delay_alu instid0(VALU_DEP_2) | instskip(NEXT) | instid1(VALU_DEP_1)
	v_fma_mix_f32 v22, v19, v22, 0 op_sel_hi:[1,0,0]
	v_fma_mix_f32 v202, v20, v23, v22 op_sel_hi:[1,0,0]
	v_mul_lo_u32 v22, v201, v11
	s_delay_alu instid0(VALU_DEP_1) | instskip(NEXT) | instid1(VALU_DEP_1)
	v_cvt_f32_i32_e32 v22, v22
	v_fma_mix_f32 v22, v19, v22, 0 op_sel_hi:[1,0,0]
	s_delay_alu instid0(VALU_DEP_1) | instskip(SKIP_3) | instid1(VALU_DEP_3)
	v_fma_mix_f32 v69, v20, v21, v22 op_sel_hi:[1,0,0]
	v_fma_mix_f32 v21, v110, v19, 0 op_sel:[0,1,0] op_sel_hi:[0,1,0]
	v_mul_lo_u32 v22, v140, v95
	v_mov_b32_e32 v140, v34
	v_fma_mix_f32 v121, v16, v20, v21 op_sel:[0,1,0] op_sel_hi:[0,1,0]
	v_fma_mix_f32 v21, v112, v19, 0 op_sel:[0,1,0] op_sel_hi:[0,1,0]
	s_delay_alu instid0(VALU_DEP_4) | instskip(NEXT) | instid1(VALU_DEP_2)
	v_cvt_f32_i32_e32 v24, v22
	v_fma_mix_f32 v201, v18, v20, v21 op_sel:[0,1,0] op_sel_hi:[0,1,0]
	v_fma_mix_f32 v21, v109, v19, 0 op_sel:[0,1,0] op_sel_hi:[0,1,0]
	;; [unrolled: 1-line block ×3, first 2 shown]
	s_delay_alu instid0(VALU_DEP_2) | instskip(NEXT) | instid1(VALU_DEP_2)
	v_fma_mix_f32 v204, v15, v20, v21 op_sel:[0,1,0] op_sel_hi:[0,1,0]
	v_fma_mix_f32 v113, v20, v17, v19 op_sel:[1,0,0] op_sel_hi:[1,0,0]
	v_mul_i32_i24_e32 v19, v191, v226
	v_mul_lo_u32 v21, v199, v97
	s_delay_alu instid0(VALU_DEP_2) | instskip(NEXT) | instid1(VALU_DEP_2)
	v_mad_i32_i24 v19, v193, v225, v19
	v_cvt_f32_i32_e32 v23, v21
	s_delay_alu instid0(VALU_DEP_2) | instskip(SKIP_1) | instid1(VALU_DEP_2)
	v_dot4_i32_iu8 v19, v173, v224, v19 neg_lo:[1,1,0]
	v_mov_b32_e32 v173, v41
	v_dot4_i32_iu8 v19, v175, v223, v19 neg_lo:[1,1,0]
	s_delay_alu instid0(VALU_DEP_1) | instskip(NEXT) | instid1(VALU_DEP_1)
	v_dot4_i32_iu8 v19, v178, v222, v19 neg_lo:[1,1,0]
	v_dot4_i32_iu8 v19, v93, v217, v19 neg_lo:[1,1,0]
	s_delay_alu instid0(VALU_DEP_1) | instskip(NEXT) | instid1(VALU_DEP_1)
	v_dot4_i32_iu8 v19, v188, v218, v19 neg_lo:[1,1,0]
	v_dot4_i32_iu8 v19, v189, v96, v19 neg_lo:[1,1,0]
	s_delay_alu instid0(VALU_DEP_1) | instskip(NEXT) | instid1(VALU_DEP_1)
	v_dot4_i32_iu8 v19, v187, v255, v19 neg_lo:[1,1,0]
	v_dot4_i32_iu8 v20, v123, v103, v19 neg_lo:[1,1,0]
	v_lshrrev_b32_e32 v19, 1, v88
	s_delay_alu instid0(VALU_DEP_2)
	v_mul_lo_u32 v20, v20, v14
	ds_load_b64 v[21:22], v19 offset:43584
	v_cvt_f32_i32_e32 v20, v20
	s_wait_dscnt 0x0
	v_fma_mix_f32 v19, v21, v23, 0 op_sel_hi:[1,0,0]
	v_mul_lo_u32 v23, v141, v105
	v_mov_b32_e32 v141, v40
	s_delay_alu instid0(VALU_DEP_3) | instskip(SKIP_3) | instid1(VALU_DEP_3)
	v_fma_mix_f32 v199, v22, v24, v19 op_sel_hi:[1,0,0]
	v_mul_lo_u32 v19, v198, v10
	v_mul_lo_u32 v24, v186, v12
	v_cvt_f32_i32_e32 v23, v23
	v_cvt_f32_i32_e32 v19, v19
	s_delay_alu instid0(VALU_DEP_3) | instskip(NEXT) | instid1(VALU_DEP_2)
	v_cvt_f32_i32_e32 v24, v24
	v_fma_mix_f32 v19, v21, v19, 0 op_sel_hi:[1,0,0]
	s_delay_alu instid0(VALU_DEP_1) | instskip(SKIP_1) | instid1(VALU_DEP_1)
	v_fma_mix_f32 v19, v22, v23, v19 op_sel_hi:[1,0,0]
	v_mul_lo_u32 v23, v197, v106
	v_cvt_f32_i32_e32 v23, v23
	s_delay_alu instid0(VALU_DEP_1) | instskip(NEXT) | instid1(VALU_DEP_1)
	v_fma_mix_f32 v23, v21, v23, 0 op_sel_hi:[1,0,0]
	v_fma_mix_f32 v115, v22, v24, v23 op_sel_hi:[1,0,0]
	v_mul_lo_u32 v23, v196, v11
	s_delay_alu instid0(VALU_DEP_1) | instskip(NEXT) | instid1(VALU_DEP_1)
	v_cvt_f32_i32_e32 v23, v23
	v_fma_mix_f32 v23, v21, v23, 0 op_sel_hi:[1,0,0]
	s_delay_alu instid0(VALU_DEP_1) | instskip(SKIP_2) | instid1(VALU_DEP_2)
	v_fma_mix_f32 v77, v22, v20, v23 op_sel_hi:[1,0,0]
	v_fma_mix_f32 v20, v110, v21, 0 op_sel:[0,1,0] op_sel_hi:[0,1,0]
	v_fma_mix_f32 v23, v109, v21, 0 op_sel:[0,1,0] op_sel_hi:[0,1,0]
	;; [unrolled: 1-line block ×5, first 2 shown]
	s_delay_alu instid0(VALU_DEP_4) | instskip(SKIP_1) | instid1(VALU_DEP_4)
	v_fma_mix_f32 v116, v15, v22, v23 op_sel:[0,1,0] op_sel_hi:[0,1,0]
	v_mul_lo_u32 v23, v216, v97
	v_fma_mix_f32 v20, v18, v22, v20 op_sel:[0,1,0] op_sel_hi:[0,1,0]
	s_delay_alu instid0(VALU_DEP_4) | instskip(SKIP_1) | instid1(VALU_DEP_4)
	v_fma_mix_f32 v21, v22, v17, v21 op_sel:[1,0,0] op_sel_hi:[1,0,0]
	v_mul_i32_i24_e32 v22, v99, v226
	v_cvt_f32_i32_e32 v26, v23
	s_delay_alu instid0(VALU_DEP_2) | instskip(SKIP_1) | instid1(VALU_DEP_2)
	v_mad_i32_i24 v22, v25, v225, v22
	v_mul_lo_u32 v25, v100, v95
	v_dot4_i32_iu8 v22, v31, v224, v22 neg_lo:[1,1,0]
	s_delay_alu instid0(VALU_DEP_2) | instskip(NEXT) | instid1(VALU_DEP_2)
	v_cvt_f32_i32_e32 v25, v25
	v_dot4_i32_iu8 v22, v114, v223, v22 neg_lo:[1,1,0]
	s_delay_alu instid0(VALU_DEP_1) | instskip(NEXT) | instid1(VALU_DEP_1)
	v_dot4_i32_iu8 v22, v73, v222, v22 neg_lo:[1,1,0]
	v_dot4_i32_iu8 v22, v205, v217, v22 neg_lo:[1,1,0]
	s_delay_alu instid0(VALU_DEP_1) | instskip(SKIP_1) | instid1(VALU_DEP_2)
	v_dot4_i32_iu8 v22, v153, v218, v22 neg_lo:[1,1,0]
	v_mov_b32_e32 v153, v43
	v_dot4_i32_iu8 v22, v206, v96, v22 neg_lo:[1,1,0]
	s_delay_alu instid0(VALU_DEP_1) | instskip(NEXT) | instid1(VALU_DEP_1)
	v_dot4_i32_iu8 v22, v9, v255, v22 neg_lo:[1,1,0]
	v_dot4_i32_iu8 v24, v123, v162, v22 neg_lo:[1,1,0]
	v_lshrrev_b32_e32 v22, 1, v212
	v_mov_b32_e32 v162, v35
	s_delay_alu instid0(VALU_DEP_3) | instskip(SKIP_4) | instid1(VALU_DEP_1)
	v_mul_lo_u32 v24, v24, v14
	ds_load_b64 v[22:23], v22 offset:43584
	v_cvt_f32_i32_e32 v24, v24
	s_wait_dscnt 0x0
	v_fma_mix_f32 v26, v22, v26, 0 op_sel_hi:[1,0,0]
	v_fma_mix_f32 v212, v23, v25, v26 op_sel_hi:[1,0,0]
	v_mul_lo_u32 v25, v215, v10
	v_mul_lo_u32 v26, v102, v105
	s_delay_alu instid0(VALU_DEP_2) | instskip(NEXT) | instid1(VALU_DEP_2)
	v_cvt_f32_i32_e32 v25, v25
	v_cvt_f32_i32_e32 v26, v26
	s_delay_alu instid0(VALU_DEP_2) | instskip(NEXT) | instid1(VALU_DEP_1)
	v_fma_mix_f32 v25, v22, v25, 0 op_sel_hi:[1,0,0]
	v_fma_mix_f32 v215, v23, v26, v25 op_sel_hi:[1,0,0]
	v_mul_lo_u32 v25, v214, v106
	v_mul_lo_u32 v26, v152, v12
	v_mov_b32_e32 v152, v48
	s_delay_alu instid0(VALU_DEP_3) | instskip(NEXT) | instid1(VALU_DEP_3)
	v_cvt_f32_i32_e32 v25, v25
	v_cvt_f32_i32_e32 v26, v26
	s_delay_alu instid0(VALU_DEP_2) | instskip(NEXT) | instid1(VALU_DEP_1)
	v_fma_mix_f32 v25, v22, v25, 0 op_sel_hi:[1,0,0]
	v_fma_mix_f32 v214, v23, v26, v25 op_sel_hi:[1,0,0]
	v_mul_lo_u32 v25, v213, v11
	v_mul_lo_u32 v26, v171, v12
	s_delay_alu instid0(VALU_DEP_2) | instskip(NEXT) | instid1(VALU_DEP_2)
	v_cvt_f32_i32_e32 v25, v25
	v_cvt_f32_i32_e32 v26, v26
	s_delay_alu instid0(VALU_DEP_2) | instskip(NEXT) | instid1(VALU_DEP_1)
	v_fma_mix_f32 v25, v22, v25, 0 op_sel_hi:[1,0,0]
	v_fma_mix_f32 v89, v23, v24, v25 op_sel_hi:[1,0,0]
	v_fma_mix_f32 v24, v110, v22, 0 op_sel:[0,1,0] op_sel_hi:[0,1,0]
	v_mul_lo_u32 v25, v156, v95
	s_delay_alu instid0(VALU_DEP_2) | instskip(SKIP_1) | instid1(VALU_DEP_3)
	v_fma_mix_f32 v90, v16, v23, v24 op_sel:[0,1,0] op_sel_hi:[0,1,0]
	v_fma_mix_f32 v24, v112, v22, 0 op_sel:[0,1,0] op_sel_hi:[0,1,0]
	v_cvt_f32_i32_e32 v25, v25
	s_delay_alu instid0(VALU_DEP_2) | instskip(SKIP_2) | instid1(VALU_DEP_2)
	v_fma_mix_f32 v213, v18, v23, v24 op_sel:[0,1,0] op_sel_hi:[0,1,0]
	v_fma_mix_f32 v24, v109, v22, 0 op_sel:[0,1,0] op_sel_hi:[0,1,0]
	;; [unrolled: 1-line block ×4, first 2 shown]
	s_delay_alu instid0(VALU_DEP_2) | instskip(SKIP_4) | instid1(VALU_DEP_4)
	v_fma_mix_f32 v117, v23, v17, v22 op_sel:[1,0,0] op_sel_hi:[1,0,0]
	v_mul_i32_i24_e32 v22, v71, v226
	v_mul_lo_u32 v23, v210, v97
	v_mul_lo_u32 v24, v139, v95
	v_mov_b32_e32 v139, v248
	v_mad_i32_i24 v22, v194, v225, v22
	s_delay_alu instid0(VALU_DEP_4) | instskip(NEXT) | instid1(VALU_DEP_4)
	v_cvt_f32_i32_e32 v23, v23
	v_cvt_f32_i32_e32 v24, v24
	s_delay_alu instid0(VALU_DEP_3) | instskip(NEXT) | instid1(VALU_DEP_1)
	v_dot4_i32_iu8 v22, v195, v224, v22 neg_lo:[1,1,0]
	v_dot4_i32_iu8 v22, v38, v223, v22 neg_lo:[1,1,0]
	s_delay_alu instid0(VALU_DEP_1) | instskip(NEXT) | instid1(VALU_DEP_1)
	v_dot4_i32_iu8 v22, v39, v222, v22 neg_lo:[1,1,0]
	v_dot4_i32_iu8 v22, v37, v217, v22 neg_lo:[1,1,0]
	s_delay_alu instid0(VALU_DEP_1) | instskip(SKIP_1) | instid1(VALU_DEP_2)
	v_dot4_i32_iu8 v22, v165, v218, v22 neg_lo:[1,1,0]
	v_mov_b32_e32 v165, v92
	v_dot4_i32_iu8 v22, v167, v96, v22 neg_lo:[1,1,0]
	s_delay_alu instid0(VALU_DEP_1) | instskip(SKIP_2) | instid1(VALU_DEP_3)
	v_dot4_i32_iu8 v9, v30, v255, v22 neg_lo:[1,1,0]
	v_lshrrev_b32_e32 v22, 1, v91
	v_mul_i32_i24_e32 v30, v240, v226
	v_dot4_i32_iu8 v9, v123, v63, v9 neg_lo:[1,1,0]
	ds_load_b64 v[196:197], v22 offset:43584
	v_bfe_i32 v63, v237, 0, 8
	v_mul_lo_u32 v9, v9, v14
	s_delay_alu instid0(VALU_DEP_2) | instskip(SKIP_1) | instid1(VALU_DEP_2)
	v_mad_i32_i24 v30, v63, v225, v30
	v_perm_b32 v63, v0, v1, 0xc0c0602
	v_dot4_i32_iu8 v30, v236, v224, v30 neg_lo:[1,1,0]
	s_delay_alu instid0(VALU_DEP_4) | instskip(SKIP_3) | instid1(VALU_DEP_2)
	v_cvt_f32_i32_e32 v9, v9
	s_wait_dscnt 0x0
	v_fma_mix_f32 v22, v196, v23, 0 op_sel_hi:[1,0,0]
	v_mul_lo_u32 v23, v155, v105
	v_fma_mix_f32 v210, v197, v24, v22 op_sel_hi:[1,0,0]
	v_mul_lo_u32 v22, v209, v10
	v_mul_lo_u32 v24, v232, v97
	s_delay_alu instid0(VALU_DEP_4) | instskip(NEXT) | instid1(VALU_DEP_3)
	v_cvt_f32_i32_e32 v23, v23
	v_cvt_f32_i32_e32 v22, v22
	s_delay_alu instid0(VALU_DEP_3) | instskip(NEXT) | instid1(VALU_DEP_2)
	v_cvt_f32_i32_e32 v24, v24
	v_fma_mix_f32 v22, v196, v22, 0 op_sel_hi:[1,0,0]
	s_delay_alu instid0(VALU_DEP_1) | instskip(SKIP_2) | instid1(VALU_DEP_2)
	v_fma_mix_f32 v209, v197, v23, v22 op_sel_hi:[1,0,0]
	v_mul_lo_u32 v22, v208, v106
	v_mul_lo_u32 v23, v163, v12
	v_cvt_f32_i32_e32 v22, v22
	s_delay_alu instid0(VALU_DEP_2) | instskip(NEXT) | instid1(VALU_DEP_2)
	v_cvt_f32_i32_e32 v23, v23
	v_fma_mix_f32 v22, v196, v22, 0 op_sel_hi:[1,0,0]
	s_delay_alu instid0(VALU_DEP_1) | instskip(SKIP_2) | instid1(VALU_DEP_2)
	v_fma_mix_f32 v208, v197, v23, v22 op_sel_hi:[1,0,0]
	v_mul_lo_u32 v22, v207, v11
	v_lshrrev_b32_e32 v23, 1, v211
	v_cvt_f32_i32_e32 v22, v22
	s_delay_alu instid0(VALU_DEP_1) | instskip(NEXT) | instid1(VALU_DEP_1)
	v_fma_mix_f32 v22, v196, v22, 0 op_sel_hi:[1,0,0]
	v_fma_mix_f32 v91, v197, v9, v22 op_sel_hi:[1,0,0]
	v_fma_mix_f32 v9, v110, v196, 0 op_sel:[0,1,0] op_sel_hi:[0,1,0]
	s_delay_alu instid0(VALU_DEP_1) | instskip(SKIP_1) | instid1(VALU_DEP_1)
	v_fma_mix_f32 v92, v16, v197, v9 op_sel:[0,1,0] op_sel_hi:[0,1,0]
	v_fma_mix_f32 v9, v112, v196, 0 op_sel:[0,1,0] op_sel_hi:[0,1,0]
	;; [unrolled: 1-line block ×4, first 2 shown]
	s_delay_alu instid0(VALU_DEP_1) | instskip(SKIP_1) | instid1(VALU_DEP_1)
	v_fma_mix_f32 v22, v15, v197, v9 op_sel:[0,1,0] op_sel_hi:[0,1,0]
	v_fma_mix_f32 v9, v196, v111, 0 op_sel:[1,0,0] op_sel_hi:[1,0,0]
	v_fma_mix_f32 v118, v197, v17, v9 op_sel:[1,0,0] op_sel_hi:[1,0,0]
	v_mul_i32_i24_e32 v9, v64, v226
	v_perm_b32 v64, v3, v2, 0x6020c0c
	ds_load_b64 v[196:197], v23 offset:43584
	v_mad_i32_i24 v9, v65, v225, v9
	v_or_b32_e32 v63, v64, v63
	v_perm_b32 v64, v7, v6, 0xc0c0602
	v_perm_b32 v65, v5, v4, 0x6020c0c
	s_delay_alu instid0(VALU_DEP_4) | instskip(SKIP_1) | instid1(VALU_DEP_3)
	v_dot4_i32_iu8 v9, v66, v224, v9 neg_lo:[1,1,0]
	v_or_b32_e32 v66, v247, v245
	v_or_b32_e32 v64, v65, v64
	;; [unrolled: 1-line block ×3, first 2 shown]
	s_delay_alu instid0(VALU_DEP_4) | instskip(NEXT) | instid1(VALU_DEP_2)
	v_dot4_i32_iu8 v9, v75, v223, v9 neg_lo:[1,1,0]
	v_dot4_i32_iu8 v63, v63, v65, 0 neg_lo:[1,1,0]
	v_perm_b32 v65, v3, v2, 0x4000c0c
	s_delay_alu instid0(VALU_DEP_3)
	v_dot4_i32_iu8 v9, v76, v222, v9 neg_lo:[1,1,0]
	s_wait_dscnt 0x0
	v_fma_mix_f32 v23, v196, v24, 0 op_sel_hi:[1,0,0]
	v_mul_lo_u32 v24, v29, v105
	v_dot4_i32_iu8 v63, v64, v66, v63 neg_lo:[1,1,0]
	v_perm_b32 v64, v0, v1, 0xc0c0400
	v_perm_b32 v66, v5, v4, 0x4000c0c
	v_mul_i32_i24_e32 v29, v82, v228
	v_dot4_i32_iu8 v9, v67, v217, v9 neg_lo:[1,1,0]
	v_or_b32_e32 v67, v244, v243
	v_or_b32_e32 v64, v65, v64
	v_perm_b32 v65, v7, v6, 0xc0c0400
	v_fma_mix_f32 v211, v197, v25, v23 op_sel_hi:[1,0,0]
	v_mul_lo_u32 v23, v231, v10
	v_dot4_i32_iu8 v29, v83, v229, v29 neg_lo:[1,1,0]
	v_mul_lo_u32 v25, v169, v95
	v_cvt_f32_i32_e32 v24, v24
	v_or_b32_e32 v65, v66, v65
	v_or_b32_e32 v66, v233, v87
	v_dot4_i32_iu8 v9, v27, v218, v9 neg_lo:[1,1,0]
	v_dot4_i32_iu8 v29, v81, v227, v29 neg_lo:[1,1,0]
	v_cvt_f32_i32_e32 v23, v23
	v_cvt_f32_i32_e32 v25, v25
	v_dot4_i32_iu8 v64, v64, v66, 0 neg_lo:[1,1,0]
	v_perm_b32 v66, v3, v2, 0x7030c0c
	v_dot4_i32_iu8 v9, v28, v96, v9 neg_lo:[1,1,0]
	v_fma_mix_f32 v23, v196, v23, 0 op_sel_hi:[1,0,0]
	s_delay_alu instid0(VALU_DEP_4)
	v_dot4_i32_iu8 v64, v65, v67, v64 neg_lo:[1,1,0]
	v_perm_b32 v65, v0, v1, 0xc0c0703
	v_perm_b32 v0, v0, v1, 0xc0c0501
	;; [unrolled: 1-line block ×5, first 2 shown]
	v_dot4_i32_iu8 v9, v166, v255, v9 neg_lo:[1,1,0]
	v_perm_b32 v67, v5, v4, 0x7030c0c
	v_dual_mov_b32 v167, v50 :: v_dual_mov_b32 v166, v49
	v_fma_mix_f32 v231, v197, v24, v23 op_sel_hi:[1,0,0]
	v_mul_lo_u32 v23, v230, v106
	v_mul_lo_u32 v24, v159, v12
	;; [unrolled: 1-line block ×3, first 2 shown]
	v_or_b32_e32 v0, v1, v0
	v_or_b32_e32 v1, v3, v2
	v_or_b32_e32 v2, v61, v59
	v_or_b32_e32 v3, v235, v94
	v_dot4_i32_iu8 v9, v123, v168, v9 neg_lo:[1,1,0]
	v_or_b32_e32 v65, v66, v65
	v_perm_b32 v66, v7, v6, 0xc0c0703
	v_dot4_i32_iu8 v0, v0, v2, 0 neg_lo:[1,1,0]
	v_dot4_i32_iu8 v2, v57, v223, v30 neg_lo:[1,1,0]
	v_mul_lo_u32 v9, v9, v14
	v_cvt_f32_i32_e32 v23, v23
	v_cvt_f32_i32_e32 v24, v24
	v_or_b32_e32 v66, v67, v66
	v_or_b32_e32 v67, v86, v85
	v_cvt_f32_i32_e32 v12, v12
	v_dot4_i32_iu8 v0, v1, v3, v0 neg_lo:[1,1,0]
	s_clause 0x1
	scratch_load_b32 v1, off, off offset:60 th:TH_LOAD_LU
	scratch_load_b32 v3, off, off offset:56 th:TH_LOAD_LU
	v_dot4_i32_iu8 v65, v65, v67, 0 neg_lo:[1,1,0]
	v_dot4_i32_iu8 v2, v56, v222, v2 neg_lo:[1,1,0]
	v_fma_mix_f32 v23, v196, v23, 0 op_sel_hi:[1,0,0]
	v_cvt_f32_i32_e32 v9, v9
	s_delay_alu instid0(VALU_DEP_2) | instskip(SKIP_2) | instid1(VALU_DEP_2)
	v_fma_mix_f32 v230, v197, v24, v23 op_sel_hi:[1,0,0]
	v_mul_lo_u32 v23, v246, v11
	v_mul_lo_u32 v24, v104, v97
	v_cvt_f32_i32_e32 v23, v23
	s_delay_alu instid0(VALU_DEP_2) | instskip(NEXT) | instid1(VALU_DEP_2)
	v_cvt_f32_i32_e32 v24, v24
	v_fma_mix_f32 v23, v196, v23, 0 op_sel_hi:[1,0,0]
	s_delay_alu instid0(VALU_DEP_1) | instskip(SKIP_1) | instid1(VALU_DEP_1)
	v_fma_mix_f32 v93, v197, v9, v23 op_sel_hi:[1,0,0]
	v_fma_mix_f32 v9, v110, v196, 0 op_sel:[0,1,0] op_sel_hi:[0,1,0]
	v_fma_mix_f32 v27, v16, v197, v9 op_sel:[0,1,0] op_sel_hi:[0,1,0]
	;; [unrolled: 1-line block ×3, first 2 shown]
	s_delay_alu instid0(VALU_DEP_1) | instskip(SKIP_1) | instid1(VALU_DEP_1)
	v_fma_mix_f32 v232, v18, v197, v9 op_sel:[0,1,0] op_sel_hi:[0,1,0]
	v_fma_mix_f32 v9, v109, v196, 0 op_sel:[0,1,0] op_sel_hi:[0,1,0]
	;; [unrolled: 1-line block ×4, first 2 shown]
	s_delay_alu instid0(VALU_DEP_1) | instskip(SKIP_2) | instid1(VALU_DEP_2)
	v_fma_mix_f32 v23, v197, v17, v9 op_sel:[1,0,0] op_sel_hi:[1,0,0]
	v_mul_i32_i24_e32 v9, v70, v226
	v_or_b32_e32 v70, v239, v238
	v_mad_i32_i24 v8, v249, v225, v9
	s_delay_alu instid0(VALU_DEP_2) | instskip(SKIP_1) | instid1(VALU_DEP_3)
	v_dot4_i32_iu8 v65, v66, v70, v65 neg_lo:[1,1,0]
	v_lshrrev_b32_e32 v9, 1, v234
	v_dot4_i32_iu8 v8, v53, v224, v8 neg_lo:[1,1,0]
	s_delay_alu instid0(VALU_DEP_3) | instskip(SKIP_2) | instid1(VALU_DEP_1)
	v_add_nc_u32_e32 v0, v0, v65
	ds_load_b64 v[119:120], v9 offset:43584
	v_dot4_i32_iu8 v8, v54, v223, v8 neg_lo:[1,1,0]
	v_dot4_i32_iu8 v8, v108, v222, v8 neg_lo:[1,1,0]
	s_delay_alu instid0(VALU_DEP_1) | instskip(SKIP_1) | instid1(VALU_DEP_2)
	v_dot4_i32_iu8 v8, v154, v217, v8 neg_lo:[1,1,0]
	v_dual_mov_b32 v155, v45 :: v_dual_mov_b32 v154, v44
	v_dot4_i32_iu8 v8, v172, v218, v8 neg_lo:[1,1,0]
	s_wait_dscnt 0x0
	v_fma_mix_f32 v9, v119, v24, 0 op_sel_hi:[1,0,0]
	v_mul_lo_u32 v24, v254, v10
	s_delay_alu instid0(VALU_DEP_3) | instskip(NEXT) | instid1(VALU_DEP_3)
	v_dot4_i32_iu8 v8, v174, v96, v8 neg_lo:[1,1,0]
	v_fma_mix_f32 v9, v120, v25, v9 op_sel_hi:[1,0,0]
	v_mul_lo_u32 v25, v170, v105
	v_dual_mov_b32 v170, v52 :: v_dual_mov_b32 v169, v51
	v_cvt_f32_i32_e32 v24, v24
	v_dot4_i32_iu8 v8, v179, v255, v8 neg_lo:[1,1,0]
	s_delay_alu instid0(VALU_DEP_4) | instskip(NEXT) | instid1(VALU_DEP_3)
	v_cvt_f32_i32_e32 v25, v25
	v_fma_mix_f32 v24, v119, v24, 0 op_sel_hi:[1,0,0]
	s_delay_alu instid0(VALU_DEP_3) | instskip(NEXT) | instid1(VALU_DEP_2)
	v_dot4_i32_iu8 v8, v123, v183, v8 neg_lo:[1,1,0]
	v_fma_mix_f32 v24, v120, v25, v24 op_sel_hi:[1,0,0]
	v_mul_lo_u32 v25, v251, v106
	s_delay_alu instid0(VALU_DEP_3) | instskip(NEXT) | instid1(VALU_DEP_2)
	v_mul_lo_u32 v8, v8, v14
	v_cvt_f32_i32_e32 v25, v25
	s_delay_alu instid0(VALU_DEP_2) | instskip(NEXT) | instid1(VALU_DEP_2)
	v_cvt_f32_i32_e32 v8, v8
	v_fma_mix_f32 v25, v119, v25, 0 op_sel_hi:[1,0,0]
	s_delay_alu instid0(VALU_DEP_1) | instskip(SKIP_2) | instid1(VALU_DEP_1)
	v_fma_mix_f32 v198, v120, v26, v25 op_sel_hi:[1,0,0]
	v_mul_lo_u32 v25, v250, v11
	v_fma_mix_f32 v26, v119, v111, 0 op_sel:[1,0,0] op_sel_hi:[1,0,0]
	v_fma_mix_f32 v26, v120, v17, v26 op_sel:[1,0,0] op_sel_hi:[1,0,0]
	s_delay_alu instid0(VALU_DEP_3) | instskip(NEXT) | instid1(VALU_DEP_1)
	v_cvt_f32_i32_e32 v25, v25
	v_fma_mix_f32 v25, v119, v25, 0 op_sel_hi:[1,0,0]
	s_delay_alu instid0(VALU_DEP_1) | instskip(SKIP_2) | instid1(VALU_DEP_2)
	v_fma_mix_f32 v196, v120, v8, v25 op_sel_hi:[1,0,0]
	v_fma_mix_f32 v25, v110, v119, 0 op_sel:[0,1,0] op_sel_hi:[0,1,0]
	v_fma_mix_f32 v8, v119, v112, 0 op_sel:[1,0,0] op_sel_hi:[1,0,0]
	;; [unrolled: 1-line block ×4, first 2 shown]
	s_delay_alu instid0(VALU_DEP_3) | instskip(NEXT) | instid1(VALU_DEP_2)
	v_fma_mix_f32 v8, v120, v18, v8 op_sel:[1,0,0] op_sel_hi:[1,0,0]
	v_fma_mix_f32 v25, v15, v120, v25 op_sel:[0,1,0] op_sel_hi:[0,1,0]
	s_wait_loadcnt 0x1
	v_dot4_i32_iu8 v1, v79, v1, v29 neg_lo:[1,1,0]
	v_mov_b32_e32 v29, v46
	s_wait_loadcnt 0x0
	s_delay_alu instid0(VALU_DEP_2) | instskip(SKIP_3) | instid1(VALU_DEP_1)
	v_dot4_i32_iu8 v1, v80, v3, v1 neg_lo:[1,1,0]
	v_add3_u32 v3, v64, v63, v0
	scratch_load_b32 v0, off, off offset:52 th:TH_LOAD_LU ; 4-byte Folded Reload
	v_mul_lo_u32 v3, v3, v95
	v_cvt_f32_i32_e32 v3, v3
	s_wait_loadcnt 0x0
	v_dot4_i32_iu8 v0, v78, v0, v1 neg_lo:[1,1,0]
	v_dot4_i32_iu8 v1, v55, v217, v2 neg_lo:[1,1,0]
	scratch_load_b32 v2, off, off offset:36 th:TH_LOAD_LU ; 4-byte Folded Reload
	v_dot4_i32_iu8 v1, v84, v218, v1 neg_lo:[1,1,0]
	s_delay_alu instid0(VALU_DEP_1) | instskip(NEXT) | instid1(VALU_DEP_1)
	v_dot4_i32_iu8 v1, v62, v96, v1 neg_lo:[1,1,0]
	v_dot4_i32_iu8 v1, v60, v255, v1 neg_lo:[1,1,0]
	s_wait_loadcnt 0x0
	v_dot4_i32_iu8 v0, v219, v2, v0 neg_lo:[1,1,0]
	scratch_load_b32 v2, off, off offset:32 th:TH_LOAD_LU ; 4-byte Folded Reload
	s_wait_loadcnt 0x0
	v_dot4_i32_iu8 v0, v42, v2, v0 neg_lo:[1,1,0]
	s_clause 0x1
	scratch_load_b32 v2, off, off offset:24 th:TH_LOAD_LU
	scratch_load_b32 v4, off, off offset:76 th:TH_LOAD_LU
	s_wait_loadcnt 0x0
	v_dot4_i32_iu8 v0, v4, v2, v0 neg_lo:[1,1,0]
	s_clause 0x1
	scratch_load_b32 v2, off, off offset:20 th:TH_LOAD_LU
	scratch_load_b32 v4, off, off offset:72 th:TH_LOAD_LU
	s_wait_loadcnt 0x0
	v_dot4_i32_iu8 v0, v4, v2, v0 neg_lo:[1,1,0]
	v_dot4_i32_iu8 v2, v58, v252, v1 neg_lo:[1,1,0]
	s_clause 0x1
	scratch_load_b32 v1, off, off offset:16 th:TH_LOAD_LU
	scratch_load_b32 v4, off, off offset:64 th:TH_LOAD_LU
	v_mul_lo_u32 v2, v2, v14
	s_delay_alu instid0(VALU_DEP_1)
	v_cvt_f32_i32_e32 v2, v2
	s_wait_loadcnt 0x0
	v_dot4_i32_iu8 v0, v4, v1, v0 neg_lo:[1,1,0]
	s_clause 0x6
	scratch_load_b32 v1, off, off offset:28 th:TH_LOAD_LU
	scratch_load_b32 v4, off, off offset:68 th:TH_LOAD_LU
	scratch_load_b32 v35, off, off offset:104
	scratch_load_b32 v28, off, off offset:84
	;; [unrolled: 1-line block ×5, first 2 shown]
	s_wait_loadcnt 0x5
	v_dot4_i32_iu8 v4, v4, v1, v0 neg_lo:[1,1,0]
	v_lshrrev_b32_e32 v0, 1, v72
	s_wait_loadcnt 0x2
	v_mul_f32_e32 v25, v25, v34
	s_delay_alu instid0(VALU_DEP_3)
	v_mul_lo_u32 v4, v4, v11
	ds_load_b64 v[0:1], v0 offset:43584
	s_wait_loadcnt 0x1
	v_mul_f32_e32 v11, v113, v37
	v_cvt_f32_i32_e32 v4, v4
	s_wait_dscnt 0x0
	v_fma_mix_f32 v7, v0, v109, 0 op_sel:[1,0,0] op_sel_hi:[1,0,0]
	v_fma_mix_f32 v5, v110, v0, 0 op_sel:[0,1,0] op_sel_hi:[0,1,0]
	;; [unrolled: 1-line block ×3, first 2 shown]
	s_delay_alu instid0(VALU_DEP_3) | instskip(SKIP_1) | instid1(VALU_DEP_4)
	v_fma_mix_f32 v7, v1, v15, v7 op_sel:[1,0,0] op_sel_hi:[1,0,0]
	v_fma_mix_f32 v15, v0, v111, 0 op_sel:[1,0,0] op_sel_hi:[1,0,0]
	;; [unrolled: 1-line block ×3, first 2 shown]
	scratch_load_b32 v16, off, off offset:40 th:TH_LOAD_LU ; 4-byte Folded Reload
	v_fma_mix_f32 v6, v1, v18, v6 op_sel:[1,0,0] op_sel_hi:[1,0,0]
	scratch_load_b32 v18, off, off offset:48 th:TH_LOAD_LU ; 4-byte Folded Reload
	v_fma_mix_f32 v15, v1, v17, v15 op_sel:[1,0,0] op_sel_hi:[1,0,0]
	scratch_load_b32 v17, off, off offset:44 th:TH_LOAD_LU ; 4-byte Folded Reload
	s_wait_loadcnt 0x2
	v_mul_lo_u32 v16, v16, v97
	s_wait_loadcnt 0x1
	v_mul_lo_u32 v18, v18, v106
	s_wait_loadcnt 0x0
	v_mul_lo_u32 v10, v17, v10
	v_mul_lo_u32 v17, v33, v105
	scratch_load_b32 v33, off, off offset:96 ; 4-byte Folded Reload
	v_mov_b32_e32 v168, v47
	v_cvt_f32_i32_e32 v14, v16
	v_mov_b32_e32 v30, v74
	v_mul_f32_e32 v16, v216, v34
	v_cvt_f32_i32_e32 v10, v10
	s_delay_alu instid0(VALU_DEP_4) | instskip(NEXT) | instid1(VALU_DEP_2)
	v_fma_mix_f32 v14, v0, v14, 0 op_sel_hi:[1,0,0]
	v_fma_mix_f32 v10, v0, v10, 0 op_sel_hi:[1,0,0]
	s_delay_alu instid0(VALU_DEP_2) | instskip(SKIP_2) | instid1(VALU_DEP_2)
	v_fma_mix_f32 v3, v1, v3, v14 op_sel_hi:[1,0,0]
	v_cvt_f32_i32_e32 v14, v17
	v_mul_f32_e32 v17, v117, v37
	v_fma_mix_f32 v10, v1, v14, v10 op_sel_hi:[1,0,0]
	v_cvt_f32_i32_e32 v14, v18
	s_delay_alu instid0(VALU_DEP_1) | instskip(SKIP_2) | instid1(VALU_DEP_3)
	v_fma_mix_f32 v14, v0, v14, 0 op_sel_hi:[1,0,0]
	v_fma_mix_f32 v0, v0, v4, 0 op_sel_hi:[1,0,0]
	v_mul_f32_e32 v4, v15, v37
	v_fma_mix_f32 v12, v1, v12, v14 op_sel_hi:[1,0,0]
	s_delay_alu instid0(VALU_DEP_3)
	v_fma_mix_f32 v0, v1, v2, v0 op_sel_hi:[1,0,0]
	v_mul_f32_e32 v2, v7, v34
	v_mul_f32_e32 v7, v13, v34
	;; [unrolled: 1-line block ×3, first 2 shown]
	s_wait_loadcnt 0x0
	v_mul_f32_e32 v1, v6, v33
	v_mul_f32_e32 v15, v213, v33
	;; [unrolled: 1-line block ×3, first 2 shown]
	s_delay_alu instid0(VALU_DEP_3) | instskip(SKIP_1) | instid1(VALU_DEP_4)
	v_fma_f32 v1, v3, v28, -v1
	v_mul_f32_e32 v3, v8, v33
	v_fma_f32 v15, v212, v28, -v15
	v_mul_f32_e32 v8, v126, v37
	s_delay_alu instid0(VALU_DEP_4) | instskip(NEXT) | instid1(VALU_DEP_4)
	v_add_f32_e32 v98, v98, v1
	v_fma_f32 v3, v9, v28, -v3
	v_mul_f32_e32 v9, v201, v33
	scratch_load_b32 v1, off, off           ; 4-byte Folded Reload
	v_add_f32_e32 v144, v144, v15
	v_fma_f32 v9, v200, v28, -v9
	s_delay_alu instid0(VALU_DEP_1)
	v_add_f32_e32 v149, v149, v9
	scratch_load_b32 v9, off, off offset:80 ; 4-byte Folded Reload
	v_fma_f32 v2, v10, v31, -v2
	v_mul_f32_e32 v10, v204, v34
	v_fma_f32 v13, v19, v31, -v13
	v_mul_f32_e32 v19, v22, v34
	v_fma_f32 v6, v122, v28, -v6
	v_fma_f32 v7, v125, v31, -v7
	;; [unrolled: 1-line block ×3, first 2 shown]
	v_mul_f32_e32 v25, v26, v37
	v_mul_f32_e32 v22, v246, v34
	v_fma_f32 v16, v215, v31, -v16
	v_fma_f32 v10, v203, v31, -v10
	v_add_f32_e32 v160, v160, v7
	v_fma_f32 v19, v209, v31, -v19
	v_fma_f32 v22, v231, v31, -v22
	v_add_f32_e32 v157, v157, v6
	v_add_f32_e32 v173, v173, v10
	scratch_load_b32 v10, off, off offset:92 ; 4-byte Folded Reload
	v_fma_f32 v8, v253, v35, -v8
	v_fma_f32 v4, v12, v35, -v4
	;; [unrolled: 1-line block ×3, first 2 shown]
	v_mul_f32_e32 v18, v207, v33
	v_mul_f32_e32 v23, v23, v37
	;; [unrolled: 1-line block ×3, first 2 shown]
	v_fma_f32 v25, v198, v35, -v25
	v_add_f32_e32 v148, v148, v3
	v_add_f32_e32 v134, v134, v24
	v_fma_f32 v17, v214, v35, -v17
	v_dual_add_f32 v153, v153, v16 :: v_dual_add_f32 v146, v146, v19
	v_add_f32_e32 v137, v137, v22
	v_add_f32_e32 v161, v161, v8
	scratch_load_b32 v8, off, off offset:116 ; 4-byte Folded Reload
	v_add_f32_e32 v164, v164, v4
	v_fma_f32 v23, v230, v35, -v23
	v_mul_f32_e32 v14, v21, v37
	v_dual_mul_f32 v21, v232, v33 :: v_dual_add_f32 v158, v158, v11
	scratch_load_b32 v11, off, off offset:112 ; 4-byte Folded Reload
	v_fma_f32 v12, v199, v28, -v12
	v_mul_f32_e32 v20, v118, v37
	v_fma_f32 v18, v210, v28, -v18
	v_add_f32_e32 v150, v150, v17
	v_add_f32_e32 v165, v165, v25
	v_fma_f32 v21, v211, v28, -v21
	v_add_f32_e32 v143, v143, v23
	v_fma_f32 v14, v115, v35, -v14
	v_add_f32_e32 v168, v168, v13
	s_delay_alu instid0(VALU_DEP_4) | instskip(SKIP_1) | instid1(VALU_DEP_4)
	v_dual_add_f32 v142, v142, v18 :: v_dual_add_f32 v131, v131, v21
	v_add_f32_e32 v147, v147, v2
	v_add_f32_e32 v151, v151, v14
	s_wait_loadcnt 0x4
	v_add_f32_e32 v1, v1, v12
	v_fma_f32 v20, v208, v35, -v20
	scratch_store_b32 off, v1, off          ; 4-byte Folded Spill
	s_wait_loadcnt 0x2
	v_dual_add_f32 v36, v36, v20 :: v_dual_mul_f32 v7, v27, v10
	v_mul_f32_e32 v2, v121, v10
	v_mul_f32_e32 v4, v90, v10
	s_delay_alu instid0(VALU_DEP_3) | instskip(NEXT) | instid1(VALU_DEP_3)
	v_fma_f32 v7, v93, v9, -v7
	v_fma_f32 v2, v69, v9, -v2
	s_delay_alu instid0(VALU_DEP_3) | instskip(NEXT) | instid1(VALU_DEP_1)
	v_fma_f32 v4, v89, v9, -v4
	v_add_f32_e32 v154, v154, v4
	s_wait_loadcnt 0x1
	v_mul_f32_e32 v1, v176, v8
	v_mul_f32_e32 v3, v88, v8
	s_wait_loadcnt 0x0
	s_delay_alu instid0(VALU_DEP_2) | instskip(NEXT) | instid1(VALU_DEP_2)
	v_fma_f32 v1, v32, v11, -v1
	v_fma_f32 v3, v77, v11, -v3
	v_mul_f32_e32 v6, v92, v8
	s_delay_alu instid0(VALU_DEP_3) | instskip(NEXT) | instid1(VALU_DEP_3)
	v_dual_add_f32 v170, v170, v1 :: v_dual_mul_f32 v1, v5, v10
	v_add_f32_e32 v167, v167, v3
	s_delay_alu instid0(VALU_DEP_3) | instskip(SKIP_1) | instid1(VALU_DEP_4)
	v_fma_f32 v6, v91, v11, -v6
	v_mul_f32_e32 v8, v197, v8
	v_fma_f32 v0, v0, v9, -v1
	s_delay_alu instid0(VALU_DEP_3) | instskip(NEXT) | instid1(VALU_DEP_3)
	v_dual_add_f32 v180, v180, v7 :: v_dual_add_f32 v155, v155, v6
	v_fma_f32 v8, v196, v11, -v8
	s_delay_alu instid0(VALU_DEP_3) | instskip(NEXT) | instid1(VALU_DEP_2)
	v_dual_add_f32 v166, v166, v2 :: v_dual_add_f32 v169, v169, v0
	v_add_f32_e32 v181, v181, v8
	s_cbranch_scc1 .LBB154_8
; %bb.9:                                ;   in Loop: Header=BB154_5 Depth=1
	s_add_co_i32 s10, s10, 1
	s_wait_storecnt 0x0
	s_cmp_eq_u32 s10, s17
	s_barrier_signal -1
	s_barrier_wait -1
	global_inv scope:SCOPE_SE
	s_cbranch_scc1 .LBB154_13
; %bb.10:                               ;   in Loop: Header=BB154_5 Depth=1
	s_clause 0x1a
	scratch_load_b32 v100, off, off offset:400
	scratch_load_b32 v102, off, off offset:404
	;; [unrolled: 1-line block ×18, first 2 shown]
	scratch_load_b64 v[37:38], off, off offset:472
	scratch_load_b32 v156, off, off offset:480
	scratch_load_b32 v32, off, off offset:484
	;; [unrolled: 1-line block ×8, first 2 shown]
	s_branch .LBB154_5
.LBB154_11:
	v_dual_mov_b32 v0, 0 :: v_dual_mov_b32 v3, 0
	v_dual_mov_b32 v2, 0 :: v_dual_mov_b32 v21, 0
	;; [unrolled: 1-line block ×13, first 2 shown]
	v_mov_b32_e32 v11, 0
	s_mov_b32 s0, exec_lo
	v_cmpx_gt_u32_e64 s6, v10
	s_cbranch_execnz .LBB154_14
.LBB154_12:
	s_nop 0
	s_sendmsg sendmsg(MSG_DEALLOC_VGPRS)
	s_endpgm
.LBB154_13:
	v_cvt_f16_f32_e64 v0, v170
	v_cvt_f16_f32_e64 v1, v169
	;; [unrolled: 1-line block ×4, first 2 shown]
	v_cvt_f16_f32_e32 v11, v98
	v_cvt_f16_f32_e64 v38, v164
	v_pack_b32_f16 v30, v1, v0
	v_cvt_f16_f32_e64 v0, v167
	v_cvt_f16_f32_e64 v1, v166
	v_pack_b32_f16 v2, v4, v2
	v_cvt_f16_f32_e64 v37, v157
	v_cvt_f16_f32_e64 v29, v160
	;; [unrolled: 1-line block ×3, first 2 shown]
	v_pack_b32_f16 v21, v1, v0
	s_clause 0x3
	scratch_load_b32 v0, off, off th:TH_LOAD_LU
	scratch_load_b32 v4, off, off offset:512 th:TH_LOAD_LU
	scratch_load_b32 v9, off, off offset:516 th:TH_LOAD_LU
	scratch_load_b32 v10, off, off offset:520
	v_cvt_f16_f32_e64 v1, v154
	v_cvt_f16_f32_e64 v25, v149
	;; [unrolled: 1-line block ×11, first 2 shown]
	v_cvt_f16_f32_e32 v8, v36
	v_cvt_f16_f32_e64 v7, v131
	v_cvt_f16_f32_e64 v6, v137
	;; [unrolled: 1-line block ×3, first 2 shown]
	s_wait_loadcnt 0x3
	v_cvt_f16_f32_e32 v22, v0
	v_cvt_f16_f32_e64 v0, v155
	s_delay_alu instid0(VALU_DEP_1) | instskip(SKIP_2) | instid1(VALU_DEP_1)
	v_pack_b32_f16 v14, v1, v0
	v_cvt_f16_f32_e64 v0, v181
	v_cvt_f16_f32_e64 v1, v180
	v_pack_b32_f16 v3, v1, v0
	v_cvt_f16_f32_e64 v1, v134
	v_cvt_f16_f32_e64 v0, v165
	s_mov_b32 s0, exec_lo
	s_wait_loadcnt 0x0
	v_cmpx_gt_u32_e64 s6, v10
	s_cbranch_execz .LBB154_12
.LBB154_14:
	v_add_nc_u32_e32 v9, s16, v9
	v_mul_lo_u32 v27, v10, s14
	s_delay_alu instid0(VALU_DEP_2)
	v_cmp_gt_u32_e32 vcc_lo, s14, v9
	s_and_saveexec_b32 s1, vcc_lo
	s_cbranch_execz .LBB154_16
; %bb.15:
	s_delay_alu instid0(VALU_DEP_2) | instskip(NEXT) | instid1(VALU_DEP_1)
	v_dual_mov_b32 v32, 0 :: v_dual_add_nc_u32 v31, v9, v27
	v_lshlrev_b64_e32 v[31:32], 1, v[31:32]
	s_wait_kmcnt 0x0
	s_delay_alu instid0(VALU_DEP_1) | instskip(NEXT) | instid1(VALU_DEP_1)
	v_add_co_u32 v31, s0, s8, v31
	v_add_co_ci_u32_e64 v32, null, s9, v32, s0
	global_store_b16 v[31:32], v30, off
.LBB154_16:
	s_or_b32 exec_lo, exec_lo, s1
	v_add_nc_u32_e32 v10, 32, v9
	s_delay_alu instid0(VALU_DEP_1)
	v_cmp_gt_u32_e64 s0, s14, v10
	s_and_saveexec_b32 s2, s0
	s_cbranch_execz .LBB154_18
; %bb.17:
	v_dual_mov_b32 v32, 0 :: v_dual_add_nc_u32 v31, v10, v27
	s_delay_alu instid0(VALU_DEP_1) | instskip(SKIP_1) | instid1(VALU_DEP_1)
	v_lshlrev_b64_e32 v[31:32], 1, v[31:32]
	s_wait_kmcnt 0x0
	v_add_co_u32 v31, s1, s8, v31
	s_wait_alu 0xf1ff
	s_delay_alu instid0(VALU_DEP_2)
	v_add_co_ci_u32_e64 v32, null, s9, v32, s1
	global_store_b16 v[31:32], v11, off
.LBB154_18:
	s_wait_alu 0xfffe
	s_or_b32 exec_lo, exec_lo, s2
	v_add_nc_u32_e32 v11, 64, v9
	s_delay_alu instid0(VALU_DEP_1)
	v_cmp_gt_u32_e64 s1, s14, v11
	s_and_saveexec_b32 s3, s1
	s_cbranch_execz .LBB154_20
; %bb.19:
	v_dual_mov_b32 v32, 0 :: v_dual_add_nc_u32 v31, v11, v27
	s_delay_alu instid0(VALU_DEP_1) | instskip(SKIP_1) | instid1(VALU_DEP_1)
	v_lshlrev_b64_e32 v[31:32], 1, v[31:32]
	s_wait_kmcnt 0x0
	v_add_co_u32 v31, s2, s8, v31
	s_wait_alu 0xf1ff
	s_delay_alu instid0(VALU_DEP_2)
	v_add_co_ci_u32_e64 v32, null, s9, v32, s2
	global_store_b16 v[31:32], v2, off
.LBB154_20:
	s_wait_alu 0xfffe
	;; [unrolled: 18-line block ×3, first 2 shown]
	s_or_b32 exec_lo, exec_lo, s4
	v_add3_u32 v27, v4, s15, 8
	s_delay_alu instid0(VALU_DEP_1)
	v_cmp_gt_u32_e64 s3, s6, v27
	s_and_b32 exec_lo, exec_lo, s3
	s_cbranch_execz .LBB154_12
; %bb.23:
	v_mul_lo_u32 v27, v27, s14
	s_and_saveexec_b32 s4, vcc_lo
	s_cbranch_execnz .LBB154_63
; %bb.24:
	s_wait_alu 0xfffe
	s_or_b32 exec_lo, exec_lo, s4
	s_and_saveexec_b32 s4, s0
	s_cbranch_execnz .LBB154_64
.LBB154_25:
	s_wait_alu 0xfffe
	s_or_b32 exec_lo, exec_lo, s4
	s_and_saveexec_b32 s4, s1
	s_cbranch_execnz .LBB154_65
.LBB154_26:
	s_wait_alu 0xfffe
	s_or_b32 exec_lo, exec_lo, s4
	s_and_saveexec_b32 s4, s2
	s_cbranch_execz .LBB154_28
.LBB154_27:
	v_dual_mov_b32 v28, 0 :: v_dual_add_nc_u32 v27, v27, v12
	s_delay_alu instid0(VALU_DEP_1) | instskip(SKIP_1) | instid1(VALU_DEP_1)
	v_lshlrev_b64_e32 v[27:28], 1, v[27:28]
	s_wait_kmcnt 0x0
	v_add_co_u32 v27, s3, s8, v27
	s_wait_alu 0xf1ff
	s_delay_alu instid0(VALU_DEP_2)
	v_add_co_ci_u32_e64 v28, null, s9, v28, s3
	global_store_b16 v[27:28], v26, off
.LBB154_28:
	s_wait_alu 0xfffe
	s_or_b32 exec_lo, exec_lo, s4
	v_add3_u32 v26, v4, s15, 16
	s_delay_alu instid0(VALU_DEP_1)
	v_cmp_gt_u32_e64 s3, s6, v26
	s_and_b32 exec_lo, exec_lo, s3
	s_cbranch_execz .LBB154_12
; %bb.29:
	v_mul_lo_u32 v26, v26, s14
	s_and_saveexec_b32 s4, vcc_lo
	s_cbranch_execnz .LBB154_66
; %bb.30:
	s_wait_alu 0xfffe
	s_or_b32 exec_lo, exec_lo, s4
	s_and_saveexec_b32 s4, s0
	s_cbranch_execnz .LBB154_67
.LBB154_31:
	s_wait_alu 0xfffe
	s_or_b32 exec_lo, exec_lo, s4
	s_and_saveexec_b32 s4, s1
	s_cbranch_execnz .LBB154_68
.LBB154_32:
	s_wait_alu 0xfffe
	s_or_b32 exec_lo, exec_lo, s4
	s_and_saveexec_b32 s4, s2
	s_cbranch_execz .LBB154_34
.LBB154_33:
	v_dual_mov_b32 v25, 0 :: v_dual_add_nc_u32 v24, v26, v12
	s_delay_alu instid0(VALU_DEP_1) | instskip(SKIP_1) | instid1(VALU_DEP_1)
	v_lshlrev_b64_e32 v[24:25], 1, v[24:25]
	s_wait_kmcnt 0x0
	v_add_co_u32 v24, s3, s8, v24
	s_wait_alu 0xf1ff
	s_delay_alu instid0(VALU_DEP_2)
	v_add_co_ci_u32_e64 v25, null, s9, v25, s3
	global_store_b16 v[24:25], v23, off
.LBB154_34:
	s_wait_alu 0xfffe
	s_or_b32 exec_lo, exec_lo, s4
	v_add3_u32 v23, v4, s15, 24
	s_delay_alu instid0(VALU_DEP_1)
	v_cmp_gt_u32_e64 s3, s6, v23
	s_and_b32 exec_lo, exec_lo, s3
	s_cbranch_execz .LBB154_12
; %bb.35:
	v_mul_lo_u32 v23, v23, s14
	s_and_saveexec_b32 s4, vcc_lo
	s_cbranch_execnz .LBB154_69
; %bb.36:
	s_wait_alu 0xfffe
	s_or_b32 exec_lo, exec_lo, s4
	s_and_saveexec_b32 s4, s0
	s_cbranch_execnz .LBB154_70
.LBB154_37:
	s_wait_alu 0xfffe
	s_or_b32 exec_lo, exec_lo, s4
	s_and_saveexec_b32 s4, s1
	s_cbranch_execnz .LBB154_71
.LBB154_38:
	s_wait_alu 0xfffe
	s_or_b32 exec_lo, exec_lo, s4
	s_and_saveexec_b32 s4, s2
	s_cbranch_execz .LBB154_40
.LBB154_39:
	v_dual_mov_b32 v21, 0 :: v_dual_add_nc_u32 v20, v23, v12
	s_delay_alu instid0(VALU_DEP_1) | instskip(SKIP_1) | instid1(VALU_DEP_1)
	v_lshlrev_b64_e32 v[20:21], 1, v[20:21]
	s_wait_kmcnt 0x0
	v_add_co_u32 v20, s3, s8, v20
	s_wait_alu 0xf1ff
	s_delay_alu instid0(VALU_DEP_2)
	v_add_co_ci_u32_e64 v21, null, s9, v21, s3
	global_store_b16 v[20:21], v19, off
.LBB154_40:
	s_wait_alu 0xfffe
	s_or_b32 exec_lo, exec_lo, s4
	v_add3_u32 v19, v4, s15, 32
	s_delay_alu instid0(VALU_DEP_1)
	v_cmp_gt_u32_e64 s3, s6, v19
	s_and_b32 exec_lo, exec_lo, s3
	s_cbranch_execz .LBB154_12
; %bb.41:
	v_mul_lo_u32 v19, v19, s14
	s_and_saveexec_b32 s4, vcc_lo
	s_cbranch_execnz .LBB154_72
; %bb.42:
	s_wait_alu 0xfffe
	s_or_b32 exec_lo, exec_lo, s4
	s_and_saveexec_b32 s4, s0
	s_cbranch_execnz .LBB154_73
.LBB154_43:
	s_wait_alu 0xfffe
	s_or_b32 exec_lo, exec_lo, s4
	s_and_saveexec_b32 s4, s1
	s_cbranch_execnz .LBB154_74
.LBB154_44:
	s_wait_alu 0xfffe
	s_or_b32 exec_lo, exec_lo, s4
	s_and_saveexec_b32 s4, s2
	s_cbranch_execz .LBB154_46
.LBB154_45:
	v_dual_mov_b32 v18, 0 :: v_dual_add_nc_u32 v17, v19, v12
	s_delay_alu instid0(VALU_DEP_1) | instskip(SKIP_1) | instid1(VALU_DEP_1)
	v_lshlrev_b64_e32 v[17:18], 1, v[17:18]
	s_wait_kmcnt 0x0
	v_add_co_u32 v17, s3, s8, v17
	s_wait_alu 0xf1ff
	s_delay_alu instid0(VALU_DEP_2)
	v_add_co_ci_u32_e64 v18, null, s9, v18, s3
	global_store_b16 v[17:18], v16, off
.LBB154_46:
	s_wait_alu 0xfffe
	s_or_b32 exec_lo, exec_lo, s4
	v_add3_u32 v16, v4, s15, 40
	s_delay_alu instid0(VALU_DEP_1)
	v_cmp_gt_u32_e64 s3, s6, v16
	s_and_b32 exec_lo, exec_lo, s3
	s_cbranch_execz .LBB154_12
; %bb.47:
	v_mul_lo_u32 v16, v16, s14
	s_and_saveexec_b32 s4, vcc_lo
	s_cbranch_execnz .LBB154_75
; %bb.48:
	s_wait_alu 0xfffe
	s_or_b32 exec_lo, exec_lo, s4
	s_and_saveexec_b32 s4, s0
	s_cbranch_execnz .LBB154_76
.LBB154_49:
	s_wait_alu 0xfffe
	s_or_b32 exec_lo, exec_lo, s4
	s_and_saveexec_b32 s4, s1
	s_cbranch_execnz .LBB154_77
.LBB154_50:
	s_wait_alu 0xfffe
	s_or_b32 exec_lo, exec_lo, s4
	s_and_saveexec_b32 s4, s2
	s_cbranch_execz .LBB154_52
.LBB154_51:
	v_dual_mov_b32 v14, 0 :: v_dual_add_nc_u32 v13, v16, v12
	s_delay_alu instid0(VALU_DEP_1) | instskip(SKIP_1) | instid1(VALU_DEP_1)
	v_lshlrev_b64_e32 v[13:14], 1, v[13:14]
	s_wait_kmcnt 0x0
	v_add_co_u32 v13, s3, s8, v13
	s_wait_alu 0xf1ff
	s_delay_alu instid0(VALU_DEP_2)
	v_add_co_ci_u32_e64 v14, null, s9, v14, s3
	global_store_b16 v[13:14], v8, off
.LBB154_52:
	s_wait_alu 0xfffe
	s_or_b32 exec_lo, exec_lo, s4
	v_add3_u32 v8, v4, s15, 48
	s_delay_alu instid0(VALU_DEP_1)
	v_cmp_gt_u32_e64 s3, s6, v8
	s_and_b32 exec_lo, exec_lo, s3
	s_cbranch_execz .LBB154_12
; %bb.53:
	v_mul_lo_u32 v8, v8, s14
	s_and_saveexec_b32 s4, vcc_lo
	s_cbranch_execnz .LBB154_78
; %bb.54:
	s_wait_alu 0xfffe
	s_or_b32 exec_lo, exec_lo, s4
	s_and_saveexec_b32 s4, s0
	s_cbranch_execnz .LBB154_79
.LBB154_55:
	s_wait_alu 0xfffe
	s_or_b32 exec_lo, exec_lo, s4
	s_and_saveexec_b32 s4, s1
	s_cbranch_execnz .LBB154_80
.LBB154_56:
	s_wait_alu 0xfffe
	s_or_b32 exec_lo, exec_lo, s4
	s_and_saveexec_b32 s4, s2
	s_cbranch_execz .LBB154_58
.LBB154_57:
	v_dual_mov_b32 v7, 0 :: v_dual_add_nc_u32 v6, v8, v12
	s_delay_alu instid0(VALU_DEP_1) | instskip(SKIP_1) | instid1(VALU_DEP_1)
	v_lshlrev_b64_e32 v[6:7], 1, v[6:7]
	s_wait_kmcnt 0x0
	v_add_co_u32 v6, s3, s8, v6
	s_wait_alu 0xf1ff
	s_delay_alu instid0(VALU_DEP_2)
	v_add_co_ci_u32_e64 v7, null, s9, v7, s3
	global_store_b16 v[6:7], v5, off
.LBB154_58:
	s_wait_alu 0xfffe
	s_or_b32 exec_lo, exec_lo, s4
	v_add3_u32 v4, v4, s15, 56
	s_delay_alu instid0(VALU_DEP_1)
	v_cmp_gt_u32_e64 s3, s6, v4
	s_and_b32 exec_lo, exec_lo, s3
	s_cbranch_execz .LBB154_12
; %bb.59:
	v_mul_lo_u32 v4, v4, s14
	s_and_saveexec_b32 s3, vcc_lo
	s_cbranch_execnz .LBB154_81
; %bb.60:
	s_wait_alu 0xfffe
	s_or_b32 exec_lo, exec_lo, s3
	s_and_saveexec_b32 s3, s0
	s_cbranch_execnz .LBB154_82
.LBB154_61:
	s_wait_alu 0xfffe
	s_or_b32 exec_lo, exec_lo, s3
	s_and_saveexec_b32 s0, s1
	s_cbranch_execnz .LBB154_83
.LBB154_62:
	s_wait_alu 0xfffe
	s_or_b32 exec_lo, exec_lo, s0
	s_delay_alu instid0(SALU_CYCLE_1)
	s_and_b32 exec_lo, exec_lo, s2
	s_cbranch_execz .LBB154_12
	s_branch .LBB154_84
.LBB154_63:
	s_delay_alu instid0(VALU_DEP_1) | instskip(NEXT) | instid1(VALU_DEP_1)
	v_dual_mov_b32 v32, 0 :: v_dual_add_nc_u32 v31, v27, v9
	v_lshlrev_b64_e32 v[31:32], 1, v[31:32]
	s_wait_kmcnt 0x0
	s_delay_alu instid0(VALU_DEP_1) | instskip(SKIP_1) | instid1(VALU_DEP_2)
	v_add_co_u32 v31, s3, s8, v31
	s_wait_alu 0xf1ff
	v_add_co_ci_u32_e64 v32, null, s9, v32, s3
	global_store_d16_hi_b16 v[31:32], v30, off
	s_wait_alu 0xfffe
	s_or_b32 exec_lo, exec_lo, s4
	s_and_saveexec_b32 s4, s0
	s_cbranch_execz .LBB154_25
.LBB154_64:
	s_delay_alu instid0(VALU_DEP_1) | instskip(NEXT) | instid1(VALU_DEP_1)
	v_dual_mov_b32 v31, 0 :: v_dual_add_nc_u32 v30, v27, v10
	v_lshlrev_b64_e32 v[30:31], 1, v[30:31]
	s_wait_kmcnt 0x0
	s_delay_alu instid0(VALU_DEP_1) | instskip(SKIP_1) | instid1(VALU_DEP_2)
	v_add_co_u32 v30, s3, s8, v30
	s_wait_alu 0xf1ff
	v_add_co_ci_u32_e64 v31, null, s9, v31, s3
	global_store_b16 v[30:31], v37, off
	s_wait_alu 0xfffe
	s_or_b32 exec_lo, exec_lo, s4
	s_and_saveexec_b32 s4, s1
	s_cbranch_execz .LBB154_26
.LBB154_65:
	v_dual_mov_b32 v31, 0 :: v_dual_add_nc_u32 v30, v27, v11
	s_delay_alu instid0(VALU_DEP_1) | instskip(SKIP_1) | instid1(VALU_DEP_1)
	v_lshlrev_b64_e32 v[30:31], 1, v[30:31]
	s_wait_kmcnt 0x0
	v_add_co_u32 v30, s3, s8, v30
	s_wait_alu 0xf1ff
	s_delay_alu instid0(VALU_DEP_2)
	v_add_co_ci_u32_e64 v31, null, s9, v31, s3
	global_store_b16 v[30:31], v29, off
	s_wait_alu 0xfffe
	s_or_b32 exec_lo, exec_lo, s4
	s_and_saveexec_b32 s4, s2
	s_cbranch_execnz .LBB154_27
	s_branch .LBB154_28
.LBB154_66:
	s_delay_alu instid0(VALU_DEP_1) | instskip(NEXT) | instid1(VALU_DEP_1)
	v_dual_mov_b32 v28, 0 :: v_dual_add_nc_u32 v27, v26, v9
	v_lshlrev_b64_e32 v[27:28], 1, v[27:28]
	s_wait_kmcnt 0x0
	s_delay_alu instid0(VALU_DEP_1) | instskip(SKIP_1) | instid1(VALU_DEP_2)
	v_add_co_u32 v27, s3, s8, v27
	s_wait_alu 0xf1ff
	v_add_co_ci_u32_e64 v28, null, s9, v28, s3
	global_store_b16 v[27:28], v21, off
	s_wait_alu 0xfffe
	s_or_b32 exec_lo, exec_lo, s4
	s_and_saveexec_b32 s4, s0
	s_cbranch_execz .LBB154_31
.LBB154_67:
	s_delay_alu instid0(VALU_DEP_1) | instskip(NEXT) | instid1(VALU_DEP_1)
	v_dual_mov_b32 v28, 0 :: v_dual_add_nc_u32 v27, v26, v10
	v_lshlrev_b64_e32 v[27:28], 1, v[27:28]
	s_wait_kmcnt 0x0
	s_delay_alu instid0(VALU_DEP_1) | instskip(SKIP_1) | instid1(VALU_DEP_2)
	v_add_co_u32 v27, s3, s8, v27
	s_wait_alu 0xf1ff
	v_add_co_ci_u32_e64 v28, null, s9, v28, s3
	global_store_b16 v[27:28], v25, off
	s_wait_alu 0xfffe
	s_or_b32 exec_lo, exec_lo, s4
	s_and_saveexec_b32 s4, s1
	s_cbranch_execz .LBB154_32
.LBB154_68:
	v_dual_mov_b32 v28, 0 :: v_dual_add_nc_u32 v27, v26, v11
	s_delay_alu instid0(VALU_DEP_1) | instskip(SKIP_1) | instid1(VALU_DEP_1)
	v_lshlrev_b64_e32 v[27:28], 1, v[27:28]
	s_wait_kmcnt 0x0
	v_add_co_u32 v27, s3, s8, v27
	s_wait_alu 0xf1ff
	s_delay_alu instid0(VALU_DEP_2)
	v_add_co_ci_u32_e64 v28, null, s9, v28, s3
	global_store_b16 v[27:28], v24, off
	s_wait_alu 0xfffe
	s_or_b32 exec_lo, exec_lo, s4
	s_and_saveexec_b32 s4, s2
	s_cbranch_execnz .LBB154_33
	s_branch .LBB154_34
.LBB154_69:
	s_delay_alu instid0(VALU_DEP_1) | instskip(NEXT) | instid1(VALU_DEP_1)
	v_dual_mov_b32 v25, 0 :: v_dual_add_nc_u32 v24, v23, v9
	v_lshlrev_b64_e32 v[24:25], 1, v[24:25]
	s_wait_kmcnt 0x0
	s_delay_alu instid0(VALU_DEP_1) | instskip(SKIP_1) | instid1(VALU_DEP_2)
	v_add_co_u32 v24, s3, s8, v24
	s_wait_alu 0xf1ff
	v_add_co_ci_u32_e64 v25, null, s9, v25, s3
	global_store_d16_hi_b16 v[24:25], v21, off
	s_wait_alu 0xfffe
	s_or_b32 exec_lo, exec_lo, s4
	s_and_saveexec_b32 s4, s0
	s_cbranch_execz .LBB154_37
.LBB154_70:
	s_delay_alu instid0(VALU_DEP_1) | instskip(NEXT) | instid1(VALU_DEP_1)
	v_dual_mov_b32 v25, 0 :: v_dual_add_nc_u32 v24, v23, v10
	v_lshlrev_b64_e32 v[24:25], 1, v[24:25]
	s_wait_kmcnt 0x0
	s_delay_alu instid0(VALU_DEP_1) | instskip(SKIP_1) | instid1(VALU_DEP_2)
	v_add_co_u32 v24, s3, s8, v24
	s_wait_alu 0xf1ff
	v_add_co_ci_u32_e64 v25, null, s9, v25, s3
	global_store_b16 v[24:25], v22, off
	s_wait_alu 0xfffe
	s_or_b32 exec_lo, exec_lo, s4
	s_and_saveexec_b32 s4, s1
	s_cbranch_execz .LBB154_38
.LBB154_71:
	v_dual_mov_b32 v22, 0 :: v_dual_add_nc_u32 v21, v23, v11
	s_delay_alu instid0(VALU_DEP_1) | instskip(SKIP_1) | instid1(VALU_DEP_1)
	v_lshlrev_b64_e32 v[21:22], 1, v[21:22]
	s_wait_kmcnt 0x0
	v_add_co_u32 v21, s3, s8, v21
	s_wait_alu 0xf1ff
	s_delay_alu instid0(VALU_DEP_2)
	v_add_co_ci_u32_e64 v22, null, s9, v22, s3
	global_store_b16 v[21:22], v20, off
	s_wait_alu 0xfffe
	s_or_b32 exec_lo, exec_lo, s4
	s_and_saveexec_b32 s4, s2
	s_cbranch_execnz .LBB154_39
	s_branch .LBB154_40
.LBB154_72:
	s_delay_alu instid0(VALU_DEP_1) | instskip(NEXT) | instid1(VALU_DEP_1)
	v_dual_mov_b32 v21, 0 :: v_dual_add_nc_u32 v20, v19, v9
	v_lshlrev_b64_e32 v[20:21], 1, v[20:21]
	s_wait_kmcnt 0x0
	s_delay_alu instid0(VALU_DEP_1) | instskip(SKIP_1) | instid1(VALU_DEP_2)
	v_add_co_u32 v20, s3, s8, v20
	s_wait_alu 0xf1ff
	v_add_co_ci_u32_e64 v21, null, s9, v21, s3
	global_store_b16 v[20:21], v14, off
	s_wait_alu 0xfffe
	s_or_b32 exec_lo, exec_lo, s4
	s_and_saveexec_b32 s4, s0
	s_cbranch_execz .LBB154_43
.LBB154_73:
	s_delay_alu instid0(VALU_DEP_1) | instskip(NEXT) | instid1(VALU_DEP_1)
	v_dual_mov_b32 v21, 0 :: v_dual_add_nc_u32 v20, v19, v10
	v_lshlrev_b64_e32 v[20:21], 1, v[20:21]
	s_wait_kmcnt 0x0
	s_delay_alu instid0(VALU_DEP_1) | instskip(SKIP_1) | instid1(VALU_DEP_2)
	v_add_co_u32 v20, s3, s8, v20
	s_wait_alu 0xf1ff
	v_add_co_ci_u32_e64 v21, null, s9, v21, s3
	global_store_b16 v[20:21], v18, off
	s_wait_alu 0xfffe
	s_or_b32 exec_lo, exec_lo, s4
	s_and_saveexec_b32 s4, s1
	s_cbranch_execz .LBB154_44
.LBB154_74:
	v_dual_mov_b32 v21, 0 :: v_dual_add_nc_u32 v20, v19, v11
	s_delay_alu instid0(VALU_DEP_1) | instskip(SKIP_1) | instid1(VALU_DEP_1)
	v_lshlrev_b64_e32 v[20:21], 1, v[20:21]
	s_wait_kmcnt 0x0
	v_add_co_u32 v20, s3, s8, v20
	s_wait_alu 0xf1ff
	s_delay_alu instid0(VALU_DEP_2)
	v_add_co_ci_u32_e64 v21, null, s9, v21, s3
	global_store_b16 v[20:21], v17, off
	s_wait_alu 0xfffe
	s_or_b32 exec_lo, exec_lo, s4
	s_and_saveexec_b32 s4, s2
	s_cbranch_execnz .LBB154_45
	s_branch .LBB154_46
.LBB154_75:
	s_delay_alu instid0(VALU_DEP_1) | instskip(NEXT) | instid1(VALU_DEP_1)
	v_dual_mov_b32 v18, 0 :: v_dual_add_nc_u32 v17, v16, v9
	v_lshlrev_b64_e32 v[17:18], 1, v[17:18]
	s_wait_kmcnt 0x0
	s_delay_alu instid0(VALU_DEP_1) | instskip(SKIP_1) | instid1(VALU_DEP_2)
	v_add_co_u32 v17, s3, s8, v17
	s_wait_alu 0xf1ff
	v_add_co_ci_u32_e64 v18, null, s9, v18, s3
	global_store_d16_hi_b16 v[17:18], v14, off
	s_wait_alu 0xfffe
	s_or_b32 exec_lo, exec_lo, s4
	s_and_saveexec_b32 s4, s0
	s_cbranch_execz .LBB154_49
.LBB154_76:
	s_delay_alu instid0(VALU_DEP_1) | instskip(NEXT) | instid1(VALU_DEP_1)
	v_dual_mov_b32 v18, 0 :: v_dual_add_nc_u32 v17, v16, v10
	v_lshlrev_b64_e32 v[17:18], 1, v[17:18]
	s_wait_kmcnt 0x0
	s_delay_alu instid0(VALU_DEP_1) | instskip(SKIP_1) | instid1(VALU_DEP_2)
	v_add_co_u32 v17, s3, s8, v17
	s_wait_alu 0xf1ff
	v_add_co_ci_u32_e64 v18, null, s9, v18, s3
	global_store_b16 v[17:18], v15, off
	s_wait_alu 0xfffe
	s_or_b32 exec_lo, exec_lo, s4
	s_and_saveexec_b32 s4, s1
	s_cbranch_execz .LBB154_50
.LBB154_77:
	v_dual_mov_b32 v15, 0 :: v_dual_add_nc_u32 v14, v16, v11
	s_delay_alu instid0(VALU_DEP_1) | instskip(SKIP_1) | instid1(VALU_DEP_1)
	v_lshlrev_b64_e32 v[14:15], 1, v[14:15]
	s_wait_kmcnt 0x0
	v_add_co_u32 v14, s3, s8, v14
	s_wait_alu 0xf1ff
	s_delay_alu instid0(VALU_DEP_2)
	v_add_co_ci_u32_e64 v15, null, s9, v15, s3
	global_store_b16 v[14:15], v13, off
	s_wait_alu 0xfffe
	s_or_b32 exec_lo, exec_lo, s4
	s_and_saveexec_b32 s4, s2
	s_cbranch_execnz .LBB154_51
	s_branch .LBB154_52
.LBB154_78:
	s_delay_alu instid0(VALU_DEP_1) | instskip(NEXT) | instid1(VALU_DEP_1)
	v_dual_mov_b32 v14, 0 :: v_dual_add_nc_u32 v13, v8, v9
	v_lshlrev_b64_e32 v[13:14], 1, v[13:14]
	s_wait_kmcnt 0x0
	s_delay_alu instid0(VALU_DEP_1) | instskip(SKIP_1) | instid1(VALU_DEP_2)
	v_add_co_u32 v13, s3, s8, v13
	s_wait_alu 0xf1ff
	v_add_co_ci_u32_e64 v14, null, s9, v14, s3
	global_store_b16 v[13:14], v3, off
	s_wait_alu 0xfffe
	s_or_b32 exec_lo, exec_lo, s4
	s_and_saveexec_b32 s4, s0
	s_cbranch_execz .LBB154_55
.LBB154_79:
	s_delay_alu instid0(VALU_DEP_1) | instskip(NEXT) | instid1(VALU_DEP_1)
	v_dual_mov_b32 v14, 0 :: v_dual_add_nc_u32 v13, v8, v10
	v_lshlrev_b64_e32 v[13:14], 1, v[13:14]
	s_wait_kmcnt 0x0
	s_delay_alu instid0(VALU_DEP_1) | instskip(SKIP_1) | instid1(VALU_DEP_2)
	v_add_co_u32 v13, s3, s8, v13
	s_wait_alu 0xf1ff
	v_add_co_ci_u32_e64 v14, null, s9, v14, s3
	global_store_b16 v[13:14], v7, off
	s_wait_alu 0xfffe
	s_or_b32 exec_lo, exec_lo, s4
	s_and_saveexec_b32 s4, s1
	s_cbranch_execz .LBB154_56
.LBB154_80:
	v_dual_mov_b32 v14, 0 :: v_dual_add_nc_u32 v13, v8, v11
	s_delay_alu instid0(VALU_DEP_1) | instskip(SKIP_1) | instid1(VALU_DEP_1)
	v_lshlrev_b64_e32 v[13:14], 1, v[13:14]
	s_wait_kmcnt 0x0
	v_add_co_u32 v13, s3, s8, v13
	s_wait_alu 0xf1ff
	s_delay_alu instid0(VALU_DEP_2)
	v_add_co_ci_u32_e64 v14, null, s9, v14, s3
	global_store_b16 v[13:14], v6, off
	s_wait_alu 0xfffe
	s_or_b32 exec_lo, exec_lo, s4
	s_and_saveexec_b32 s4, s2
	s_cbranch_execnz .LBB154_57
	s_branch .LBB154_58
.LBB154_81:
	s_delay_alu instid0(VALU_DEP_1) | instskip(NEXT) | instid1(VALU_DEP_1)
	v_dual_mov_b32 v6, 0 :: v_dual_add_nc_u32 v5, v4, v9
	v_lshlrev_b64_e32 v[5:6], 1, v[5:6]
	s_wait_kmcnt 0x0
	s_delay_alu instid0(VALU_DEP_1) | instskip(SKIP_1) | instid1(VALU_DEP_2)
	v_add_co_u32 v5, vcc_lo, s8, v5
	s_wait_alu 0xfffd
	v_add_co_ci_u32_e64 v6, null, s9, v6, vcc_lo
	global_store_d16_hi_b16 v[5:6], v3, off
	s_wait_alu 0xfffe
	s_or_b32 exec_lo, exec_lo, s3
	s_and_saveexec_b32 s3, s0
	s_cbranch_execz .LBB154_61
.LBB154_82:
	s_delay_alu instid0(VALU_DEP_1) | instskip(NEXT) | instid1(VALU_DEP_1)
	v_dual_mov_b32 v6, 0 :: v_dual_add_nc_u32 v5, v4, v10
	v_lshlrev_b64_e32 v[5:6], 1, v[5:6]
	s_wait_kmcnt 0x0
	s_delay_alu instid0(VALU_DEP_1) | instskip(SKIP_1) | instid1(VALU_DEP_2)
	v_add_co_u32 v5, vcc_lo, s8, v5
	s_wait_alu 0xfffd
	v_add_co_ci_u32_e64 v6, null, s9, v6, vcc_lo
	global_store_d16_hi_b16 v[5:6], v2, off
	s_wait_alu 0xfffe
	s_or_b32 exec_lo, exec_lo, s3
	s_and_saveexec_b32 s0, s1
	s_cbranch_execz .LBB154_62
.LBB154_83:
	v_dual_mov_b32 v3, 0 :: v_dual_add_nc_u32 v2, v4, v11
	s_delay_alu instid0(VALU_DEP_1) | instskip(SKIP_1) | instid1(VALU_DEP_1)
	v_lshlrev_b64_e32 v[2:3], 1, v[2:3]
	s_wait_kmcnt 0x0
	v_add_co_u32 v2, vcc_lo, s8, v2
	s_wait_alu 0xfffd
	s_delay_alu instid0(VALU_DEP_2) | instskip(SKIP_3) | instid1(SALU_CYCLE_1)
	v_add_co_ci_u32_e64 v3, null, s9, v3, vcc_lo
	global_store_b16 v[2:3], v1, off
	s_wait_alu 0xfffe
	s_or_b32 exec_lo, exec_lo, s0
	s_and_b32 exec_lo, exec_lo, s2
	s_cbranch_execz .LBB154_12
.LBB154_84:
	v_dual_mov_b32 v2, 0 :: v_dual_add_nc_u32 v1, v4, v12
	s_delay_alu instid0(VALU_DEP_1) | instskip(SKIP_1) | instid1(VALU_DEP_1)
	v_lshlrev_b64_e32 v[1:2], 1, v[1:2]
	s_wait_kmcnt 0x0
	v_add_co_u32 v1, vcc_lo, s8, v1
	s_wait_alu 0xfffd
	s_delay_alu instid0(VALU_DEP_2)
	v_add_co_ci_u32_e64 v2, null, s9, v2, vcc_lo
	global_store_b16 v[1:2], v0, off
	s_nop 0
	s_sendmsg sendmsg(MSG_DEALLOC_VGPRS)
	s_endpgm
	.section	.rodata,"a",@progbits
	.p2align	6, 0x0
	.amdhsa_kernel _ZL12mul_mat_q5_KIN3c104HalfELb1EEvPKvS3_PT_iiiii
		.amdhsa_group_segment_fixed_size 45136
		.amdhsa_private_segment_fixed_size 528
		.amdhsa_kernarg_size 44
		.amdhsa_user_sgpr_count 2
		.amdhsa_user_sgpr_dispatch_ptr 0
		.amdhsa_user_sgpr_queue_ptr 0
		.amdhsa_user_sgpr_kernarg_segment_ptr 1
		.amdhsa_user_sgpr_dispatch_id 0
		.amdhsa_user_sgpr_private_segment_size 0
		.amdhsa_wavefront_size32 1
		.amdhsa_uses_dynamic_stack 0
		.amdhsa_enable_private_segment 1
		.amdhsa_system_sgpr_workgroup_id_x 1
		.amdhsa_system_sgpr_workgroup_id_y 1
		.amdhsa_system_sgpr_workgroup_id_z 0
		.amdhsa_system_sgpr_workgroup_info 0
		.amdhsa_system_vgpr_workitem_id 1
		.amdhsa_next_free_vgpr 256
		.amdhsa_next_free_sgpr 18
		.amdhsa_reserve_vcc 1
		.amdhsa_float_round_mode_32 0
		.amdhsa_float_round_mode_16_64 0
		.amdhsa_float_denorm_mode_32 3
		.amdhsa_float_denorm_mode_16_64 3
		.amdhsa_fp16_overflow 0
		.amdhsa_workgroup_processor_mode 1
		.amdhsa_memory_ordered 1
		.amdhsa_forward_progress 1
		.amdhsa_inst_pref_size 255
		.amdhsa_round_robin_scheduling 0
		.amdhsa_exception_fp_ieee_invalid_op 0
		.amdhsa_exception_fp_denorm_src 0
		.amdhsa_exception_fp_ieee_div_zero 0
		.amdhsa_exception_fp_ieee_overflow 0
		.amdhsa_exception_fp_ieee_underflow 0
		.amdhsa_exception_fp_ieee_inexact 0
		.amdhsa_exception_int_div_zero 0
	.end_amdhsa_kernel
	.section	.text._ZL12mul_mat_q5_KIN3c104HalfELb1EEvPKvS3_PT_iiiii,"axG",@progbits,_ZL12mul_mat_q5_KIN3c104HalfELb1EEvPKvS3_PT_iiiii,comdat
.Lfunc_end154:
	.size	_ZL12mul_mat_q5_KIN3c104HalfELb1EEvPKvS3_PT_iiiii, .Lfunc_end154-_ZL12mul_mat_q5_KIN3c104HalfELb1EEvPKvS3_PT_iiiii
                                        ; -- End function
	.set _ZL12mul_mat_q5_KIN3c104HalfELb1EEvPKvS3_PT_iiiii.num_vgpr, 256
	.set _ZL12mul_mat_q5_KIN3c104HalfELb1EEvPKvS3_PT_iiiii.num_agpr, 0
	.set _ZL12mul_mat_q5_KIN3c104HalfELb1EEvPKvS3_PT_iiiii.numbered_sgpr, 18
	.set _ZL12mul_mat_q5_KIN3c104HalfELb1EEvPKvS3_PT_iiiii.num_named_barrier, 0
	.set _ZL12mul_mat_q5_KIN3c104HalfELb1EEvPKvS3_PT_iiiii.private_seg_size, 528
	.set _ZL12mul_mat_q5_KIN3c104HalfELb1EEvPKvS3_PT_iiiii.uses_vcc, 1
	.set _ZL12mul_mat_q5_KIN3c104HalfELb1EEvPKvS3_PT_iiiii.uses_flat_scratch, 1
	.set _ZL12mul_mat_q5_KIN3c104HalfELb1EEvPKvS3_PT_iiiii.has_dyn_sized_stack, 0
	.set _ZL12mul_mat_q5_KIN3c104HalfELb1EEvPKvS3_PT_iiiii.has_recursion, 0
	.set _ZL12mul_mat_q5_KIN3c104HalfELb1EEvPKvS3_PT_iiiii.has_indirect_call, 0
	.section	.AMDGPU.csdata,"",@progbits
; Kernel info:
; codeLenInByte = 32752
; TotalNumSgprs: 20
; NumVgprs: 256
; ScratchSize: 528
; MemoryBound: 0
; FloatMode: 240
; IeeeMode: 1
; LDSByteSize: 45136 bytes/workgroup (compile time only)
; SGPRBlocks: 0
; VGPRBlocks: 31
; NumSGPRsForWavesPerEU: 20
; NumVGPRsForWavesPerEU: 256
; Occupancy: 4
; WaveLimiterHint : 0
; COMPUTE_PGM_RSRC2:SCRATCH_EN: 1
; COMPUTE_PGM_RSRC2:USER_SGPR: 2
; COMPUTE_PGM_RSRC2:TRAP_HANDLER: 0
; COMPUTE_PGM_RSRC2:TGID_X_EN: 1
; COMPUTE_PGM_RSRC2:TGID_Y_EN: 1
; COMPUTE_PGM_RSRC2:TGID_Z_EN: 0
; COMPUTE_PGM_RSRC2:TIDIG_COMP_CNT: 1
	.section	.text._ZL12mul_mat_q6_KIN3c104HalfELb0EEvPKvS3_PT_iiiii,"axG",@progbits,_ZL12mul_mat_q6_KIN3c104HalfELb0EEvPKvS3_PT_iiiii,comdat
	.globl	_ZL12mul_mat_q6_KIN3c104HalfELb0EEvPKvS3_PT_iiiii ; -- Begin function _ZL12mul_mat_q6_KIN3c104HalfELb0EEvPKvS3_PT_iiiii
	.p2align	8
	.type	_ZL12mul_mat_q6_KIN3c104HalfELb0EEvPKvS3_PT_iiiii,@function
_ZL12mul_mat_q6_KIN3c104HalfELb0EEvPKvS3_PT_iiiii: ; @_ZL12mul_mat_q6_KIN3c104HalfELb0EEvPKvS3_PT_iiiii
; %bb.0:
	s_clause 0x1
	s_load_b32 s10, s[0:1], 0x18
	s_load_b96 s[4:6], s[0:1], 0x20
	v_bfe_u32 v70, v0, 10, 10
	v_and_b32_e32 v35, 0x3ff, v0
	s_lshl_b32 s7, ttmp7, 6
	s_wait_kmcnt 0x0
	s_cmp_gt_i32 s10, 0xff
	s_cbranch_scc1 .LBB155_2
; %bb.1:
	v_bfe_u32 v6, v0, 10, 10
	v_and_b32_e32 v34, 0x3ff, v0
	s_mov_b32 s2, 0
	s_delay_alu instid0(VALU_DEP_2)
	v_add_nc_u32_e32 v36, s7, v6
	s_branch .LBB155_3
.LBB155_2:
	s_mov_b32 s2, -1
                                        ; implicit-def: $vgpr6
                                        ; implicit-def: $vgpr34
                                        ; implicit-def: $vgpr36
.LBB155_3:
	s_load_b64 s[8:9], s[0:1], 0x10
	v_dual_mov_b32 v1, 0 :: v_dual_mov_b32 v10, 0
	v_dual_mov_b32 v5, 0 :: v_dual_mov_b32 v2, 0
	;; [unrolled: 1-line block ×15, first 2 shown]
	v_mov_b32_e32 v13, 0
	v_mov_b32_e32 v9, 0
	s_and_not1_b32 vcc_lo, exec_lo, s2
	s_lshl_b32 s14, ttmp9, 7
	s_cbranch_vccnz .LBB155_11
; %bb.4:
	v_dual_mov_b32 v148, 0 :: v_dual_and_b32 v19, 31, v0
	s_add_co_i32 s17, s4, -1
	s_ashr_i32 s11, s10, 31
	v_cvt_f64_i32_e32 v[1:2], s17
	s_delay_alu instid0(VALU_DEP_2) | instskip(SKIP_3) | instid1(VALU_DEP_3)
	v_dual_mov_b32 v81, 0 :: v_dual_lshlrev_b32 v20, 1, v19
	v_cmp_gt_u32_e32 vcc_lo, 16, v19
	s_lshr_b32 s11, s11, 24
	v_add_nc_u16 v21, v19, -16
	v_dual_mov_b32 v159, 0 :: v_dual_add_nc_u32 v22, 0xe0, v20
	v_add_nc_u32_e32 v17, s7, v70
	s_add_co_i32 s10, s10, s11
	s_delay_alu instid0(VALU_DEP_2) | instskip(NEXT) | instid1(VALU_DEP_2)
	v_dual_cndmask_b32 v22, v22, v20 :: v_dual_lshlrev_b32 v93, 5, v70
	v_dual_mov_b32 v150, 0 :: v_dual_add_nc_u32 v9, 24, v17
	v_dual_mov_b32 v182, 0 :: v_dual_add_nc_u32 v11, 32, v17
	;; [unrolled: 1-line block ×3, first 2 shown]
	s_delay_alu instid0(VALU_DEP_3) | instskip(NEXT) | instid1(VALU_DEP_3)
	v_cvt_f64_u32_e32 v[9:10], v9
	v_cvt_f64_u32_e32 v[11:12], v11
	v_dual_mov_b32 v142, 0 :: v_dual_add_nc_u32 v5, 8, v17
	s_delay_alu instid0(VALU_DEP_4)
	v_cvt_f64_u32_e32 v[13:14], v13
	v_dual_mov_b32 v176, 0 :: v_dual_add_nc_u32 v7, 16, v17
	v_cvt_f64_u32_e32 v[3:4], v17
	v_dual_mov_b32 v174, 0 :: v_dual_add_nc_u32 v15, 48, v17
	s_clause 0x1
	scratch_store_b32 off, v17, off offset:4
	scratch_store_b32 off, v35, off
	v_dual_mov_b32 v186, 0 :: v_dual_add_nc_u32 v17, 56, v17
	v_cvt_f64_u32_e32 v[5:6], v5
	v_cvt_f64_u32_e32 v[7:8], v7
	v_cvt_f64_u32_e32 v[15:16], v15
	s_delay_alu instid0(VALU_DEP_4)
	v_cvt_f64_u32_e32 v[17:18], v17
	s_ashr_i32 s15, s10, 8
	v_cndmask_b32_e32 v21, v21, v19, vcc_lo
	s_lshl_b32 s16, s15, 3
	v_mov_b32_e32 v184, 0
	s_wait_alu 0xfffe
	v_mad_i32_i24 v73, s15, v70, s16
	v_dual_mov_b32 v165, 0 :: v_dual_mov_b32 v178, 0
	v_dual_mov_b32 v153, 0 :: v_dual_lshlrev_b32 v26, 3, v70
	s_delay_alu instid0(VALU_DEP_3)
	v_add_nc_u32_e32 v74, s16, v73
	v_bfe_u32 v27, v0, 2, 8
	v_mov_b32_e32 v179, 0
	s_ashr_i32 s12, s5, 31
	v_dual_mov_b32 v139, 0 :: v_dual_and_b32 v22, 0xfe, v22
	v_add_nc_u32_e32 v75, s16, v74
	s_lshr_b32 s10, s12, 27
	s_load_b128 s[0:3], s[0:1], 0x0
	s_add_co_i32 s5, s5, s10
	v_lshrrev_b32_e32 v23, 1, v0
	v_min_num_f64_e32 v[9:10], v[9:10], v[1:2]
	v_min_num_f64_e32 v[11:12], v[11:12], v[1:2]
	v_add_nc_u32_e32 v76, s16, v75
	v_dual_mov_b32 v143, 0 :: v_dual_and_b32 v24, 7, v0
	v_min_num_f64_e32 v[13:14], v[13:14], v[1:2]
	v_dual_mov_b32 v173, 0 :: v_dual_lshlrev_b32 v82, 2, v19
	v_min_num_f64_e32 v[3:4], v[3:4], v[1:2]
	v_add_nc_u32_e32 v77, s16, v76
	v_sub_nc_u32_e32 v19, v20, v22
	v_dual_mov_b32 v161, 0 :: v_dual_and_b32 v20, 15, v0
	v_mul_u32_u24_e32 v22, 0x41, v70
	v_min_num_f64_e32 v[5:6], v[5:6], v[1:2]
	v_min_num_f64_e32 v[7:8], v[7:8], v[1:2]
	;; [unrolled: 1-line block ×4, first 2 shown]
	v_add_nc_u32_e32 v78, s16, v77
	v_add_nc_u32_e32 v17, v93, v35
	v_mov_b32_e32 v177, 0
	s_ashr_i32 s5, s5, 5
	v_and_or_b32 v23, v23, 8, v24
	v_add_nc_u32_e32 v80, s16, v78
	v_and_b32_e32 v25, 0x7f, v17
	v_lshrrev_b32_e32 v17, 3, v17
	v_lshlrev_b32_e32 v19, 2, v19
	v_dual_mov_b32 v155, 0 :: v_dual_lshlrev_b32 v20, 2, v20
	v_add_nc_u32_e32 v83, s16, v80
	v_dual_mov_b32 v145, 0 :: v_dual_lshlrev_b32 v22, 2, v22
	v_lshlrev_b32_e32 v107, 2, v35
	v_bfe_u32 v79, v0, 5, 5
	s_delay_alu instid0(VALU_DEP_4)
	v_add_nc_u32_e32 v85, s16, v83
	v_dual_mov_b32 v167, 0 :: v_dual_lshlrev_b32 v84, 2, v23
	v_cmp_lt_u16_e32 vcc_lo, 7, v21
	v_cvt_i32_f64_e32 v9, v[9:10]
	v_cvt_i32_f64_e32 v10, v[11:12]
	v_add_nc_u32_e32 v86, s16, v85
	v_add3_u32 v88, v19, v20, v22
	v_add_nc_u32_e32 v19, 8, v70
	v_cvt_i32_f64_e32 v12, v[13:14]
	v_add_nc_u16 v13, v27, v26
	v_add_nc_u32_e32 v89, s16, v86
	v_cvt_i32_f64_e32 v4, v[3:4]
	v_and_b32_e32 v3, 3, v0
	v_dual_mov_b32 v169, 0 :: v_dual_add_nc_u32 v20, 16, v70
	v_lshrrev_b16 v13, 1, v13
	v_dual_mov_b32 v163, 0 :: v_dual_add_nc_u32 v90, s16, v89
	v_cvt_i32_f64_e32 v5, v[5:6]
	v_cvt_i32_f64_e32 v7, v[7:8]
	;; [unrolled: 1-line block ×4, first 2 shown]
	v_add_nc_u32_e32 v6, v27, v26
	v_and_b32_e32 v8, 12, v17
	v_lshlrev_b32_e32 v15, 2, v25
	v_lshlrev_b32_e32 v103, 2, v3
	v_and_b32_e32 v13, 60, v13
	v_and_b32_e32 v11, 0x7f, v6
	;; [unrolled: 1-line block ×3, first 2 shown]
	v_add3_u32 v104, v15, v8, 0xae40
	v_add_nc_u32_e32 v21, 24, v70
	v_dual_mov_b32 v157, 0 :: v_dual_add_nc_u32 v18, 32, v70
	v_xor_b32_e32 v16, 64, v11
	v_lshl_or_b32 v2, v11, 4, v103
	v_or_b32_e32 v15, s7, v6
	v_mul_i32_i24_e32 v105, s15, v11
	v_dual_mov_b32 v187, 0 :: v_dual_add_nc_u32 v22, 40, v70
	v_lshrrev_b32_e32 v8, 1, v16
	v_add3_u32 v106, v2, v13, 0xa200
	v_mul_lo_u32 v114, s5, v9
	v_mul_lo_u32 v115, s5, v10
	v_add_nc_u32_e32 v10, 64, v35
	v_add_nc_u32_e32 v9, 32, v35
	v_min_i32_e32 v2, s17, v15
	v_mul_lo_u32 v116, s5, v12
	v_add_nc_u32_e32 v12, 0x60, v35
	v_lshl_or_b32 v11, v16, 4, v103
	v_and_b32_e32 v8, 60, v8
	v_lshrrev_b32_e32 v120, 3, v10
	v_add_nc_u32_e32 v23, 48, v70
	v_dual_mov_b32 v185, 0 :: v_dual_add_nc_u32 v92, s16, v90
	v_dual_mov_b32 v183, 0 :: v_dual_add_nc_u32 v24, 56, v70
	v_lshl_or_b32 v6, v6, 4, v103
	v_lshrrev_b32_e32 v119, 3, v9
	v_lshrrev_b32_e32 v121, 3, v12
	s_mul_i32 s10, s15, s14
	v_mul_i32_i24_e32 v108, s15, v16
	v_mad_co_u64_u32 v[16:17], null, v2, s5, v[3:4]
	v_add3_u32 v109, v11, v8, 0xa200
	v_and_b32_e32 v8, 28, v107
	v_and_b32_e32 v17, 60, v120
	s_ashr_i32 s11, s10, 31
	v_add_nc_u32_e32 v91, 0x30c0, v88
	v_dual_mov_b32 v181, 0 :: v_dual_add_nc_u32 v96, s16, v92
	v_mul_i32_i24_e32 v102, s15, v25
	v_or_b32_e32 v11, 0x8200, v82
	v_add_nc_u32_e32 v110, 0xaa40, v6
	v_mul_lo_u32 v111, s5, v4
	v_lshlrev_b32_e32 v2, 7, v70
	v_mul_lo_u32 v112, s5, v5
	v_lshlrev_b32_e32 v3, 7, v19
	;; [unrolled: 2-line block ×3, first 2 shown]
	v_lshlrev_b32_e32 v5, 7, v21
	v_lshlrev_b32_e32 v6, 7, v18
	;; [unrolled: 1-line block ×3, first 2 shown]
	v_mul_lo_u32 v117, s5, v14
	v_lshlrev_b32_e32 v13, 7, v23
	v_mul_lo_u32 v118, s5, v1
	v_lshlrev_b32_e32 v1, 7, v24
	v_lshlrev_b32_e32 v14, 2, v79
	v_and_b32_e32 v15, 60, v119
	v_and_b32_e32 v25, 60, v121
	s_mul_u64 s[12:13], s[10:11], 0xd2
	s_movk_i32 s5, 0x104
	s_movk_i32 s10, 0x2080
	v_add3_u32 v125, v107, v17, 0xae40
	v_mad_u32_u24 v136, 0x104, v35, s10
	s_movk_i32 s10, 0x4100
	s_wait_alu 0xfffe
	v_mad_u32_u24 v141, v35, s5, 0x6180
	s_wait_kmcnt 0x0
	v_add_co_u32 v17, s5, s2, v8
	s_wait_alu 0xfffd
	v_cndmask_b32_e64 v87, 0, 2, vcc_lo
	v_dual_mov_b32 v175, 0 :: v_dual_add_nc_u32 v254, 0x6180, v88
	v_add_nc_u32_e32 v255, 0x69a0, v88
	v_add_nc_u32_e32 v71, 0x71c0, v88
	v_dual_mov_b32 v171, 0 :: v_dual_add_nc_u32 v72, s16, v96
	v_add_nc_u32_e32 v101, 0x79e0, v88
	v_bfe_u32 v122, v0, 3, 7
	v_add3_u32 v123, v14, v107, 0xae40
	v_add3_u32 v124, v107, v15, 0xae40
	;; [unrolled: 1-line block ×3, first 2 shown]
	v_lshlrev_b32_e32 v127, 5, v19
	v_lshlrev_b32_e32 v128, 5, v20
	;; [unrolled: 1-line block ×7, first 2 shown]
	v_mul_u32_u24_e32 v134, 0x104, v35
	v_lshlrev_b32_e32 v135, 4, v9
	v_lshlrev_b32_e32 v137, 4, v10
	v_mad_u32_u24 v138, 0x104, v35, s10
	v_lshlrev_b32_e32 v140, 4, v12
	s_wait_alu 0xf1ff
	v_add_co_ci_u32_e64 v18, null, s3, 0, s5
	v_add_nc_u32_e32 v144, v11, v2
	v_add_nc_u32_e32 v146, v11, v3
	;; [unrolled: 1-line block ×16, first 2 shown]
	s_mov_b32 s11, 0
	s_add_nc_u64 s[0:1], s[0:1], s[12:13]
	s_wait_alu 0xfffe
	s_mov_b32 s10, s11
.LBB155_5:                              ; =>This Loop Header: Depth=1
                                        ;     Child Loop BB155_6 Depth 2
                                        ;     Child Loop BB155_8 Depth 2
	s_wait_alu 0xfffe
	s_mul_u64 s[12:13], s[10:11], 0xd2
	v_mul_i32_i24_e32 v2, s15, v70
	s_wait_alu 0xfffe
	s_add_nc_u64 s[12:13], s[0:1], s[12:13]
	s_lshl_b32 s5, s10, 3
	s_wait_alu 0xfffe
	v_mad_co_u64_u32 v[0:1], null, 0xd2, v79, s[12:13]
	v_add_nc_u32_e32 v193, s5, v16
	s_mov_b32 s16, 0
	s_delay_alu instid0(VALU_DEP_2) | instskip(SKIP_3) | instid1(VALU_DEP_4)
	v_mad_co_u64_u32 v[2:3], null, 0xd2, v2, v[0:1]
	v_mad_co_u64_u32 v[4:5], null, 0xd2, v73, v[0:1]
	;; [unrolled: 1-line block ×4, first 2 shown]
	v_add_co_u32 v8, vcc_lo, v2, v82
	s_wait_alu 0xfffd
	v_add_co_ci_u32_e64 v9, null, 0, v3, vcc_lo
	v_add_co_u32 v2, vcc_lo, v2, v84
	s_wait_alu 0xfffd
	v_add_co_ci_u32_e64 v3, null, 0, v3, vcc_lo
	;; [unrolled: 3-line block ×4, first 2 shown]
	v_add_co_u32 v12, vcc_lo, v6, v82
	v_mad_co_u64_u32 v[19:20], null, 0xd2, v76, v[0:1]
	s_wait_alu 0xfffd
	v_add_co_ci_u32_e64 v13, null, 0, v7, vcc_lo
	v_add_co_u32 v6, vcc_lo, v6, v84
	s_wait_alu 0xfffd
	v_add_co_ci_u32_e64 v7, null, 0, v7, vcc_lo
	v_add_co_u32 v21, vcc_lo, v14, v82
	;; [unrolled: 3-line block ×4, first 2 shown]
	s_wait_alu 0xfffd
	v_add_co_ci_u32_e64 v24, null, 0, v20, vcc_lo
	s_clause 0x8
	global_load_b32 v29, v[8:9], off
	global_load_b32 v30, v[2:3], off offset:128
	global_load_b32 v31, v[10:11], off
	global_load_b32 v32, v[4:5], off offset:128
	global_load_b32 v33, v[12:13], off
	global_load_b32 v34, v[6:7], off offset:128
	global_load_b32 v35, v[21:22], off
	global_load_b32 v15, v[14:15], off offset:128
	global_load_b32 v36, v[23:24], off
	v_mad_co_u64_u32 v[2:3], null, 0xd2, v77, v[0:1]
	v_mad_co_u64_u32 v[6:7], null, 0xd2, v78, v[0:1]
	v_add_co_u32 v4, vcc_lo, v19, v84
	s_wait_alu 0xfffd
	v_add_co_ci_u32_e64 v5, null, 0, v20, vcc_lo
	s_delay_alu instid0(VALU_DEP_4)
	v_add_co_u32 v8, vcc_lo, v2, v82
	s_wait_alu 0xfffd
	v_add_co_ci_u32_e64 v9, null, 0, v3, vcc_lo
	v_add_co_u32 v2, vcc_lo, v2, v84
	s_wait_alu 0xfffd
	v_add_co_ci_u32_e64 v3, null, 0, v3, vcc_lo
	;; [unrolled: 3-line block ×4, first 2 shown]
	s_clause 0x4
	global_load_b32 v37, v[4:5], off offset:128
	global_load_b32 v38, v[8:9], off
	global_load_b32 v39, v[2:3], off offset:128
	global_load_b32 v10, v[10:11], off
	global_load_b32 v40, v[6:7], off offset:128
	v_mad_co_u64_u32 v[2:3], null, 0xd2, v80, v[0:1]
	v_mad_co_u64_u32 v[4:5], null, 0xd2, v83, v[0:1]
	;; [unrolled: 1-line block ×4, first 2 shown]
	s_delay_alu instid0(VALU_DEP_4)
	v_add_co_u32 v19, vcc_lo, v2, v82
	s_wait_alu 0xfffd
	v_add_co_ci_u32_e64 v20, null, 0, v3, vcc_lo
	v_add_co_u32 v2, vcc_lo, v2, v84
	s_wait_alu 0xfffd
	v_add_co_ci_u32_e64 v3, null, 0, v3, vcc_lo
	s_clause 0x1
	global_load_b32 v41, v[19:20], off
	global_load_b32 v42, v[2:3], off offset:128
	v_add_co_u32 v21, vcc_lo, v4, v82
	s_wait_alu 0xfffd
	v_add_co_ci_u32_e64 v22, null, 0, v5, vcc_lo
	v_add_co_u32 v4, vcc_lo, v4, v84
	v_mad_co_u64_u32 v[11:12], null, 0xd2, v89, v[0:1]
	s_wait_alu 0xfffd
	v_add_co_ci_u32_e64 v5, null, 0, v5, vcc_lo
	v_add_co_u32 v2, vcc_lo, v6, v82
	s_wait_alu 0xfffd
	v_add_co_ci_u32_e64 v3, null, 0, v7, vcc_lo
	v_add_co_u32 v6, vcc_lo, v6, v84
	v_mad_co_u64_u32 v[13:14], null, 0xd2, v90, v[0:1]
	s_wait_alu 0xfffd
	v_add_co_ci_u32_e64 v7, null, 0, v7, vcc_lo
	v_add_co_u32 v19, vcc_lo, v8, v82
	s_wait_alu 0xfffd
	v_add_co_ci_u32_e64 v20, null, 0, v9, vcc_lo
	v_add_co_u32 v23, vcc_lo, v8, v84
	s_wait_alu 0xfffd
	v_add_co_ci_u32_e64 v24, null, 0, v9, vcc_lo
	v_add_co_u32 v25, vcc_lo, v11, v82
	s_wait_alu 0xfffd
	v_add_co_ci_u32_e64 v26, null, 0, v12, vcc_lo
	v_add_co_u32 v11, vcc_lo, v11, v84
	s_wait_alu 0xfffd
	v_add_co_ci_u32_e64 v12, null, 0, v12, vcc_lo
	v_add_co_u32 v27, vcc_lo, v13, v82
	s_wait_alu 0xfffd
	v_add_co_ci_u32_e64 v28, null, 0, v14, vcc_lo
	v_add_co_u32 v13, vcc_lo, v13, v84
	s_wait_alu 0xfffd
	v_add_co_ci_u32_e64 v14, null, 0, v14, vcc_lo
	s_clause 0x9
	global_load_b32 v21, v[21:22], off
	global_load_b32 v22, v[4:5], off offset:128
	global_load_b32 v8, v[2:3], off
	global_load_b32 v9, v[6:7], off offset:128
	;; [unrolled: 2-line block ×5, first 2 shown]
	s_wait_loadcnt 0x19
	v_lshrrev_b32_e32 v12, 4, v29
	s_wait_loadcnt 0x18
	v_ashrrev_i32_e32 v13, v87, v30
	s_wait_loadcnt 0x17
	v_lshrrev_b32_e32 v19, 4, v31
	s_wait_loadcnt 0x16
	v_ashrrev_i32_e32 v20, v87, v32
	;; [unrolled: 4-line block ×4, first 2 shown]
	v_and_b32_e32 v11, 0xf0f0f0f, v29
	s_wait_loadcnt 0x11
	v_lshrrev_b32_e32 v29, 4, v36
	v_and_b32_e32 v23, 0xf0f0f0f, v33
	v_and_b32_e32 v28, 0xf0f0f0f, v36
	;; [unrolled: 1-line block ×3, first 2 shown]
	v_lshlrev_b32_e32 v36, 4, v13
	v_and_b32_e32 v14, 0xf0f0f0f, v31
	v_and_b32_e32 v19, 0xf0f0f0f, v19
	v_and_b32_e32 v26, 0xf0f0f0f, v35
	v_and_b32_e32 v24, 0xf0f0f0f, v24
	v_and_b32_e32 v27, 0xf0f0f0f, v27
	v_and_b32_e32 v29, 0xf0f0f0f, v29
	v_and_or_b32 v11, 0x30303030, v36, v11
	v_and_or_b32 v12, 0x30303030, v13, v12
	s_wait_loadcnt 0x10
	v_ashrrev_i32_e32 v30, v87, v37
	s_wait_loadcnt 0xf
	v_lshrrev_b32_e32 v32, 4, v38
	s_wait_loadcnt 0xe
	v_ashrrev_i32_e32 v33, v87, v39
	v_lshlrev_b32_e32 v37, 4, v20
	v_and_b32_e32 v31, 0xf0f0f0f, v38
	s_wait_loadcnt 0xc
	v_ashrrev_i32_e32 v35, v87, v40
	v_lshlrev_b32_e32 v38, 4, v25
	v_lshlrev_b32_e32 v39, 4, v15
	v_lshlrev_b32_e32 v40, 4, v30
	v_lshlrev_b32_e32 v43, 4, v33
	v_and_b32_e32 v32, 0xf0f0f0f, v32
	v_and_or_b32 v13, 0x30303030, v37, v14
	v_and_or_b32 v14, 0x30303030, v20, v19
	v_and_b32_e32 v34, 0xf0f0f0f, v10
	v_lshlrev_b32_e32 v44, 4, v35
	v_and_or_b32 v19, 0x30303030, v38, v23
	v_and_or_b32 v20, 0x30303030, v25, v24
	;; [unrolled: 1-line block ×7, first 2 shown]
	v_lshrrev_b32_e32 v29, 16, v11
	v_and_b32_e32 v30, 0x3f00, v11
	v_lshlrev_b16 v11, 8, v11
	v_lshrrev_b32_e32 v31, 16, v12
	v_and_or_b32 v27, 0x30303030, v33, v32
	v_and_b32_e32 v32, 0x3f00, v12
	v_lshlrev_b16 v12, 8, v12
	v_lshrrev_b32_e32 v33, 16, v13
	v_lshrrev_b32_e32 v36, 16, v14
	v_and_or_b32 v28, 0x30303030, v44, v34
	v_and_b32_e32 v34, 0x3f00, v13
	v_lshlrev_b16 v13, 8, v13
	v_lshrrev_b32_e32 v38, 16, v19
	v_lshrrev_b32_e32 v40, 16, v20
	v_and_b32_e32 v37, 0x3f00, v14
	v_lshlrev_b16 v14, 8, v14
	v_lshrrev_b32_e32 v44, 16, v23
	v_lshrrev_b32_e32 v46, 16, v15
	;; [unrolled: 4-line block ×3, first 2 shown]
	v_add_nc_u16 v11, 0xe000, v11
	v_and_b32_e32 v58, 0x3f00, v29
	v_lshlrev_b16 v29, 8, v29
	v_and_b32_e32 v59, 0x3f00, v31
	v_lshlrev_b16 v31, 8, v31
	v_add_nc_u16 v12, 0xe000, v12
	v_and_b32_e32 v60, 0x3f00, v33
	v_lshlrev_b16 v33, 8, v33
	v_and_b32_e32 v61, 0x3f00, v36
	v_lshlrev_b16 v36, 8, v36
	v_and_b32_e32 v43, 0x3f00, v20
	v_lshlrev_b16 v20, 8, v20
	v_add_nc_u16 v13, 0xe000, v13
	v_and_b32_e32 v62, 0x3f00, v38
	v_lshlrev_b16 v38, 8, v38
	v_and_b32_e32 v63, 0x3f00, v40
	v_lshlrev_b16 v40, 8, v40
	v_and_b32_e32 v45, 0x3f00, v23
	v_lshlrev_b16 v23, 8, v23
	v_and_b32_e32 v47, 0x3f00, v15
	v_lshlrev_b16 v15, 8, v15
	v_add_nc_u16 v14, 0xe000, v14
	v_and_b32_e32 v64, 0x3f00, v44
	v_lshlrev_b16 v44, 8, v44
	;; [unrolled: 9-line block ×3, first 2 shown]
	v_and_b32_e32 v67, 0x3f00, v50
	v_lshlrev_b16 v50, 8, v50
	v_lshrrev_b16 v11, 8, v11
	v_add_nc_u16 v29, 0xe000, v29
	v_add_nc_u16 v31, 0xe000, v31
	v_lshrrev_b16 v12, 8, v12
	v_add_nc_u16 v33, 0xe000, v33
	v_add_nc_u16 v36, 0xe000, v36
	v_add_nc_u16 v20, 0xe000, v20
	v_lshrrev_b16 v13, 8, v13
	v_add_nc_u16 v38, 0xe000, v38
	v_add_nc_u16 v40, 0xe000, v40
	v_add_nc_u16 v23, 0xe000, v23
	v_add_nc_u16 v15, 0xe000, v15
	v_lshrrev_b16 v14, 8, v14
	v_add_nc_u16 v44, 0xe000, v44
	;; [unrolled: 5-line block ×3, first 2 shown]
	v_add_nc_u16 v50, 0xe000, v50
	v_or_b32_e32 v11, v30, v11
	v_lshrrev_b16 v29, 8, v29
	v_lshrrev_b16 v30, 8, v31
	v_or_b32_e32 v12, v32, v12
	v_lshrrev_b16 v31, 8, v33
	v_lshrrev_b16 v32, 8, v36
	v_lshrrev_b16 v20, 8, v20
	v_or_b32_e32 v13, v34, v13
	v_lshrrev_b16 v33, 8, v38
	v_lshrrev_b16 v34, 8, v40
	v_lshrrev_b16 v23, 8, v23
	v_lshrrev_b16 v15, 8, v15
	v_or_b32_e32 v14, v37, v14
	v_lshrrev_b16 v36, 8, v44
	;; [unrolled: 5-line block ×3, first 2 shown]
	v_lshrrev_b16 v39, 8, v50
	v_or_b32_e32 v29, v58, v29
	v_or_b32_e32 v30, v59, v30
	;; [unrolled: 1-line block ×15, first 2 shown]
	v_add_nc_u16 v11, 0xe000, v11
	v_add_nc_u16 v12, 0xe000, v12
	;; [unrolled: 1-line block ×20, first 2 shown]
	v_and_b32_e32 v11, 0xffff, v11
	v_and_b32_e32 v12, 0xffff, v12
	v_lshlrev_b32_e32 v29, 16, v29
	v_lshlrev_b32_e32 v30, 16, v30
	v_and_b32_e32 v13, 0xffff, v13
	v_and_b32_e32 v14, 0xffff, v14
	v_lshlrev_b32_e32 v31, 16, v31
	v_lshlrev_b32_e32 v32, 16, v32
	v_lshrrev_b32_e32 v52, 16, v26
	v_lshrrev_b32_e32 v54, 16, v27
	v_and_b32_e32 v19, 0xffff, v19
	v_and_b32_e32 v20, 0xffff, v20
	v_lshlrev_b32_e32 v33, 16, v33
	v_lshlrev_b32_e32 v34, 16, v34
	v_and_b32_e32 v23, 0xffff, v23
	v_and_b32_e32 v15, 0xffff, v15
	v_lshlrev_b32_e32 v36, 16, v36
	v_lshlrev_b32_e32 v37, 16, v37
	;; [unrolled: 4-line block ×3, first 2 shown]
	v_or_b32_e32 v11, v11, v29
	v_or_b32_e32 v12, v12, v30
	;; [unrolled: 1-line block ×4, first 2 shown]
	v_and_b32_e32 v53, 0x3f00, v26
	v_lshlrev_b16 v26, 8, v26
	v_and_b32_e32 v55, 0x3f00, v27
	v_lshlrev_b16 v27, 8, v27
	;; [unrolled: 2-line block ×4, first 2 shown]
	v_or_b32_e32 v19, v19, v33
	v_or_b32_e32 v20, v20, v34
	;; [unrolled: 1-line block ×6, first 2 shown]
	ds_store_2addr_b32 v88, v11, v12 offset1:16
	ds_store_2addr_b32 v158, v13, v14 offset0:8 offset1:24
	ds_store_2addr_b32 v160, v19, v20 offset0:16 offset1:32
	;; [unrolled: 1-line block ×4, first 2 shown]
	v_lshrrev_b32_e32 v12, 4, v10
	v_lshlrev_b16 v57, 8, v28
	v_add_nc_u16 v26, 0xe000, v26
	v_add_nc_u16 v27, 0xe000, v27
	;; [unrolled: 1-line block ×4, first 2 shown]
	v_mad_co_u64_u32 v[10:11], null, 0xd2, v92, v[0:1]
	v_and_b32_e32 v12, 0xf0f0f0f, v12
	v_lshrrev_b16 v26, 8, v26
	v_lshrrev_b16 v27, 8, v27
	;; [unrolled: 1-line block ×4, first 2 shown]
	v_add_nc_u16 v13, 0xe000, v57
	v_lshrrev_b32_e32 v56, 16, v28
	v_and_or_b32 v25, 0x30303030, v35, v12
	v_add_co_u32 v12, vcc_lo, v10, v82
	v_or_b32_e32 v26, v53, v26
	v_or_b32_e32 v27, v55, v27
	v_or_b32_e32 v40, v68, v40
	v_or_b32_e32 v43, v69, v43
	v_lshrrev_b16 v23, 8, v13
	s_wait_alu 0xfffd
	v_add_co_ci_u32_e64 v13, null, 0, v11, vcc_lo
	v_add_co_u32 v10, vcc_lo, v10, v84
	s_wait_alu 0xfffd
	v_add_co_ci_u32_e64 v11, null, 0, v11, vcc_lo
	v_lshlrev_b16 v97, 8, v56
	v_add_nc_u16 v26, 0xe000, v26
	v_add_nc_u16 v27, 0xe000, v27
	;; [unrolled: 1-line block ×4, first 2 shown]
	v_and_b32_e32 v20, 0x3f00, v28
	s_clause 0x1
	global_load_b32 v29, v[12:13], off
	global_load_b32 v30, v[10:11], off offset:128
	v_add_nc_u16 v19, 0xe000, v97
	v_and_b32_e32 v26, 0xffff, v26
	v_and_b32_e32 v27, 0xffff, v27
	v_lshlrev_b32_e32 v40, 16, v40
	v_lshlrev_b32_e32 v43, 16, v43
	v_or_b32_e32 v20, v20, v23
	v_lshlrev_b16 v23, 8, v25
	v_and_b32_e32 v24, 0x3f00, v56
	v_lshrrev_b16 v19, 8, v19
	v_or_b32_e32 v14, v26, v40
	v_or_b32_e32 v15, v27, v43
	v_add_nc_u16 v11, 0xe000, v23
	v_lshrrev_b32_e32 v10, 16, v25
	v_or_b32_e32 v19, v24, v19
	v_add_nc_u16 v12, 0xe000, v20
	ds_store_2addr_b32 v166, v14, v15 offset0:40 offset1:56
	v_and_b32_e32 v14, 0x3f00, v25
	v_lshrrev_b16 v11, 8, v11
	v_add_nc_u16 v13, 0xe000, v19
	s_wait_loadcnt 0xc
	v_ashrrev_i32_e32 v19, v87, v42
	v_lshlrev_b16 v15, 8, v10
	v_and_b32_e32 v24, 0x3f00, v10
	v_or_b32_e32 v14, v14, v11
	v_mad_co_u64_u32 v[10:11], null, 0xd2, v96, v[0:1]
	v_and_b32_e32 v12, 0xffff, v12
	v_lshlrev_b32_e32 v13, 16, v13
	v_and_b32_e32 v20, 0xf0f0f0f, v41
	v_lshlrev_b32_e32 v23, 4, v19
	v_add_nc_u16 v15, 0xe000, v15
	v_add_nc_u16 v14, 0xe000, v14
	v_mad_co_u64_u32 v[0:1], null, 0xd2, v72, v[0:1]
	s_delay_alu instid0(VALU_DEP_4)
	v_and_or_b32 v20, 0x30303030, v23, v20
	v_or_b32_e32 v23, v12, v13
	v_add_co_u32 v12, vcc_lo, v10, v82
	v_lshrrev_b16 v15, 8, v15
	s_wait_alu 0xfffd
	v_add_co_ci_u32_e64 v13, null, 0, v11, vcc_lo
	v_add_co_u32 v10, vcc_lo, v10, v84
	s_wait_alu 0xfffd
	v_add_co_ci_u32_e64 v11, null, 0, v11, vcc_lo
	v_or_b32_e32 v15, v24, v15
	v_lshrrev_b32_e32 v24, 4, v41
	s_clause 0x1
	global_load_b32 v31, v[12:13], off
	global_load_b32 v32, v[10:11], off offset:128
	v_lshlrev_b16 v25, 8, v20
	v_and_b32_e32 v11, 0x3f00, v20
	v_add_nc_u16 v10, 0xe000, v15
	v_and_b32_e32 v24, 0xf0f0f0f, v24
	v_and_b32_e32 v14, 0xffff, v14
	v_add_nc_u16 v25, 0xe000, v25
	v_lshrrev_b32_e32 v26, 16, v20
	v_lshlrev_b32_e32 v10, 16, v10
	v_and_or_b32 v12, 0x30303030, v19, v24
	s_wait_loadcnt 0xc
	v_ashrrev_i32_e32 v33, v87, v22
	v_lshrrev_b16 v15, 8, v25
	v_lshlrev_b16 v13, 8, v26
	v_or_b32_e32 v14, v14, v10
	v_lshrrev_b32_e32 v19, 16, v12
	v_and_b32_e32 v20, 0x3f00, v26
	v_or_b32_e32 v11, v11, v15
	v_lshlrev_b16 v15, 8, v12
	v_and_b32_e32 v12, 0x3f00, v12
	v_lshlrev_b16 v24, 8, v19
	v_and_b32_e32 v19, 0x3f00, v19
	v_add_nc_u16 v13, 0xe000, v13
	v_add_nc_u16 v10, 0xe000, v15
	;; [unrolled: 1-line block ×4, first 2 shown]
	v_lshlrev_b32_e32 v22, 4, v33
	v_lshrrev_b16 v13, 8, v13
	v_lshrrev_b16 v10, 8, v10
	s_wait_loadcnt 0xa
	v_ashrrev_i32_e32 v9, v87, v9
	v_lshrrev_b16 v11, 8, v11
	s_wait_loadcnt 0x8
	v_ashrrev_i32_e32 v7, v87, v7
	v_or_b32_e32 v13, v20, v13
	v_or_b32_e32 v12, v12, v10
	v_add_co_u32 v10, vcc_lo, v0, v82
	v_or_b32_e32 v19, v19, v11
	s_wait_alu 0xfffd
	v_add_co_ci_u32_e64 v11, null, 0, v1, vcc_lo
	v_add_co_u32 v0, vcc_lo, v0, v84
	s_wait_alu 0xfffd
	v_add_co_ci_u32_e64 v1, null, 0, v1, vcc_lo
	s_clause 0x1
	global_load_b32 v35, v[10:11], off
	global_load_b32 v36, v[0:1], off offset:128
	v_add_nc_u16 v13, 0xe000, v13
	v_and_b32_e32 v20, 0xf0f0f0f, v21
	v_add_nc_u16 v12, 0xe000, v12
	v_add_nc_u16 v19, 0xe000, v19
	v_and_b32_e32 v0, 0xffff, v15
	v_lshlrev_b32_e32 v1, 16, v13
	v_and_or_b32 v34, 0x30303030, v22, v20
	v_and_b32_e32 v10, 0xffff, v12
	v_lshlrev_b32_e32 v12, 16, v19
	v_lshrrev_b32_e32 v13, 4, v21
	v_or_b32_e32 v37, v0, v1
	v_mad_co_u64_u32 v[0:1], null, 0xd2, v105, s[12:13]
	v_lshlrev_b16 v11, 8, v34
	v_or_b32_e32 v39, v10, v12
	v_and_b32_e32 v40, 0xf0f0f0f, v13
	v_mad_co_u64_u32 v[12:13], null, 0xd2, v108, s[12:13]
	s_delay_alu instid0(VALU_DEP_4)
	v_add_nc_u16 v38, 0xe000, v11
	v_mad_co_u64_u32 v[10:11], null, 0xd2, v102, s[12:13]
	v_add_co_u32 v0, vcc_lo, v0, v103
	ds_store_2addr_b32 v91, v23, v14 offset1:16
	v_add_nc_u32_e32 v23, s5, v122
	s_wait_alu 0xfffd
	v_add_co_ci_u32_e64 v1, null, 0, v1, vcc_lo
	v_add_co_u32 v12, vcc_lo, v12, v103
	s_wait_alu 0xfffd
	v_add_co_ci_u32_e64 v13, null, 0, v13, vcc_lo
	v_add_nc_u32_e32 v14, v23, v111
	s_clause 0x2
	global_load_u16 v43, v[10:11], off offset:208
	global_load_b32 v44, v[0:1], off offset:192
	global_load_b32 v45, v[12:13], off offset:192
	v_add_nc_u32_e32 v12, v23, v113
	v_add_nc_u32_e32 v21, v23, v115
	;; [unrolled: 1-line block ×4, first 2 shown]
	v_mad_co_i64_i32 v[0:1], null, v14, 36, v[17:18]
	v_mad_co_u64_u32 v[19:20], null, v193, 36, s[2:3]
	v_add_nc_u32_e32 v27, v23, v116
	v_add_nc_u32_e32 v14, v23, v114
	v_mad_co_i64_i32 v[12:13], null, v12, 36, v[17:18]
	v_add_nc_u32_e32 v10, v23, v112
	v_mad_co_i64_i32 v[21:22], null, v21, 36, v[17:18]
	v_mad_co_i64_i32 v[23:24], null, v24, 36, v[17:18]
	;; [unrolled: 1-line block ×6, first 2 shown]
	s_clause 0x8
	global_load_b32 v19, v[19:20], off
	global_load_b32 v0, v[0:1], off offset:4
	global_load_b32 v1, v[12:13], off offset:4
	;; [unrolled: 1-line block ×8, first 2 shown]
	v_lshrrev_b32_e32 v41, 16, v34
	v_and_or_b32 v20, 0x30303030, v33, v40
	v_and_b32_e32 v11, 0x3f00, v34
	v_lshrrev_b16 v23, 8, v38
	v_lshlrev_b32_e32 v27, 4, v9
	v_lshlrev_b16 v42, 8, v41
	v_lshrrev_b32_e32 v25, 16, v20
	v_lshlrev_b16 v26, 8, v20
	v_and_b32_e32 v24, 0x3f00, v41
	v_or_b32_e32 v11, v11, v23
	v_add_nc_u16 v15, 0xe000, v42
	v_lshlrev_b16 v23, 8, v25
	v_add_nc_u16 v26, 0xe000, v26
	v_and_b32_e32 v20, 0x3f00, v20
	v_and_b32_e32 v25, 0x3f00, v25
	v_lshrrev_b16 v15, 8, v15
	v_add_nc_u16 v23, 0xe000, v23
	v_add_nc_u16 v11, 0xe000, v11
	s_wait_loadcnt 0x14
	v_ashrrev_i32_e32 v5, v87, v5
	s_wait_loadcnt 0x12
	v_ashrrev_i32_e32 v3, v87, v3
	v_or_b32_e32 v15, v24, v15
	v_lshrrev_b16 v24, 8, v26
	v_and_b32_e32 v26, 0xf0f0f0f, v8
	v_lshrrev_b16 v23, 8, v23
	v_lshrrev_b32_e32 v8, 4, v8
	v_add_nc_u16 v15, 0xe000, v15
	v_or_b32_e32 v20, v20, v24
	v_and_or_b32 v24, 0x30303030, v27, v26
	v_or_b32_e32 v23, v25, v23
	v_and_b32_e32 v8, 0xf0f0f0f, v8
	v_and_b32_e32 v11, 0xffff, v11
	v_add_nc_u16 v20, 0xe000, v20
	v_lshlrev_b16 v25, 8, v24
	v_add_nc_u16 v23, 0xe000, v23
	v_lshlrev_b32_e32 v15, 16, v15
	v_lshrrev_b32_e32 v26, 16, v24
	v_and_b32_e32 v20, 0xffff, v20
	v_add_nc_u16 v25, 0xe000, v25
	v_lshlrev_b32_e32 v23, 16, v23
	v_and_b32_e32 v24, 0x3f00, v24
	v_and_or_b32 v8, 0x30303030, v9, v8
	v_lshlrev_b16 v27, 8, v26
	v_lshrrev_b16 v25, 8, v25
	v_or_b32_e32 v11, v11, v15
	v_or_b32_e32 v9, v20, v23
	v_and_b32_e32 v23, 0x3f00, v26
	v_add_nc_u16 v15, 0xe000, v27
	v_or_b32_e32 v20, v24, v25
	v_lshrrev_b32_e32 v24, 16, v8
	v_lshlrev_b16 v25, 8, v8
	ds_store_2addr_b32 v170, v11, v9 offset0:16 offset1:32
	v_lshrrev_b16 v15, 8, v15
	v_add_nc_u16 v9, 0xe000, v20
	v_lshlrev_b16 v11, 8, v24
	v_add_nc_u16 v20, 0xe000, v25
	v_and_b32_e32 v8, 0x3f00, v8
	v_or_b32_e32 v15, v23, v15
	v_and_b32_e32 v23, 0x3f00, v24
	v_add_nc_u16 v11, 0xe000, v11
	v_lshrrev_b16 v20, 8, v20
	v_and_b32_e32 v24, 0xf0f0f0f, v6
	v_lshlrev_b32_e32 v25, 4, v7
	v_lshrrev_b32_e32 v6, 4, v6
	v_lshrrev_b16 v11, 8, v11
	v_or_b32_e32 v8, v8, v20
	v_add_nc_u16 v15, 0xe000, v15
	v_and_or_b32 v20, 0x30303030, v25, v24
	v_and_b32_e32 v6, 0xf0f0f0f, v6
	v_or_b32_e32 v11, v23, v11
	v_add_nc_u16 v8, 0xe000, v8
	v_and_b32_e32 v9, 0xffff, v9
	v_lshlrev_b16 v23, 8, v20
	v_and_or_b32 v6, 0x30303030, v7, v6
	v_add_nc_u16 v11, 0xe000, v11
	v_and_b32_e32 v8, 0xffff, v8
	v_lshlrev_b32_e32 v15, 16, v15
	v_add_nc_u16 v23, 0xe000, v23
	v_lshrrev_b32_e32 v24, 16, v20
	v_lshlrev_b32_e32 v11, 16, v11
	v_and_b32_e32 v20, 0x3f00, v20
	v_or_b32_e32 v9, v9, v15
	v_lshrrev_b16 v23, 8, v23
	v_lshlrev_b16 v7, 8, v24
	v_or_b32_e32 v8, v8, v11
	v_lshrrev_b32_e32 v11, 16, v6
	v_and_b32_e32 v25, 0xf0f0f0f, v4
	v_or_b32_e32 v15, v20, v23
	v_lshlrev_b16 v20, 8, v6
	v_and_b32_e32 v23, 0x3f00, v24
	v_lshlrev_b16 v24, 8, v11
	v_add_nc_u16 v7, 0xe000, v7
	v_and_b32_e32 v6, 0x3f00, v6
	v_add_nc_u16 v20, 0xe000, v20
	v_lshlrev_b32_e32 v26, 4, v5
	v_add_nc_u16 v24, 0xe000, v24
	v_lshrrev_b16 v7, 8, v7
	v_and_b32_e32 v11, 0x3f00, v11
	v_lshrrev_b16 v20, 8, v20
	v_add_nc_u16 v15, 0xe000, v15
	v_lshrrev_b16 v24, 8, v24
	v_or_b32_e32 v7, v23, v7
	v_and_or_b32 v23, 0x30303030, v26, v25
	v_or_b32_e32 v6, v6, v20
	v_lshrrev_b32_e32 v4, 4, v4
	v_or_b32_e32 v11, v11, v24
	v_add_nc_u16 v7, 0xe000, v7
	v_lshlrev_b16 v20, 8, v23
	v_add_nc_u16 v6, 0xe000, v6
	v_and_b32_e32 v15, 0xffff, v15
	v_add_nc_u16 v11, 0xe000, v11
	v_lshlrev_b32_e32 v7, 16, v7
	v_add_nc_u16 v20, 0xe000, v20
	v_and_b32_e32 v6, 0xffff, v6
	v_and_b32_e32 v24, 0x3f00, v23
	v_lshlrev_b32_e32 v11, 16, v11
	v_lshrrev_b32_e32 v23, 16, v23
	v_and_b32_e32 v4, 0xf0f0f0f, v4
	v_lshrrev_b16 v20, 8, v20
	v_or_b32_e32 v7, v15, v7
	v_or_b32_e32 v6, v6, v11
	v_lshlrev_b16 v15, 8, v23
	v_and_or_b32 v4, 0x30303030, v5, v4
	v_add_nc_u32_e32 v5, 0x5140, v88
	v_or_b32_e32 v11, v24, v20
	ds_store_2addr_b32 v172, v9, v8 offset0:24 offset1:40
	v_and_b32_e32 v8, 0x3f00, v23
	v_lshlrev_b16 v9, 8, v4
	ds_store_2addr_b32 v5, v7, v6 offset1:16
	v_add_nc_u16 v6, 0xe000, v15
	v_lshrrev_b32_e32 v7, 16, v4
	v_add_nc_u16 v5, 0xe000, v11
	v_and_b32_e32 v15, 0xf0f0f0f, v2
	v_lshlrev_b32_e32 v20, 4, v3
	v_lshrrev_b16 v6, 8, v6
	v_lshlrev_b16 v11, 8, v7
	v_add_nc_u16 v9, 0xe000, v9
	v_and_b32_e32 v4, 0x3f00, v4
	v_and_b32_e32 v7, 0x3f00, v7
	v_or_b32_e32 v6, v8, v6
	v_add_nc_u16 v8, 0xe000, v11
	v_and_or_b32 v11, 0x30303030, v20, v15
	v_lshrrev_b16 v9, 8, v9
	v_lshrrev_b32_e32 v2, 4, v2
	v_add_nc_u16 v6, 0xe000, v6
	v_lshrrev_b16 v8, 8, v8
	v_lshlrev_b16 v15, 8, v11
	v_or_b32_e32 v4, v4, v9
	v_and_b32_e32 v9, 0x3f00, v11
	v_lshrrev_b32_e32 v11, 16, v11
	v_or_b32_e32 v7, v7, v8
	v_add_nc_u16 v8, 0xe000, v15
	v_add_nc_u16 v4, 0xe000, v4
	v_and_b32_e32 v2, 0xf0f0f0f, v2
	v_and_b32_e32 v5, 0xffff, v5
	v_add_nc_u16 v7, 0xe000, v7
	v_lshrrev_b16 v8, 8, v8
	v_lshlrev_b32_e32 v6, 16, v6
	v_and_b32_e32 v4, 0xffff, v4
	v_and_or_b32 v2, 0x30303030, v3, v2
	v_lshlrev_b32_e32 v7, 16, v7
	v_or_b32_e32 v8, v9, v8
	v_lshlrev_b16 v9, 8, v11
	v_or_b32_e32 v3, v5, v6
	ds_store_2addr_b32 v168, v37, v39 offset0:8 offset1:24
	v_or_b32_e32 v4, v4, v7
	v_add_nc_u16 v5, 0xe000, v8
	v_add_nc_u16 v6, 0xe000, v9
	v_lshlrev_b16 v7, 8, v2
	v_lshrrev_b32_e32 v8, 16, v2
	v_and_b32_e32 v9, 0x3f00, v11
	s_wait_loadcnt 0x10
	v_ashrrev_i32_e32 v11, v87, v30
	v_and_b32_e32 v20, 0xf0f0f0f, v29
	v_add_nc_u16 v7, 0xe000, v7
	v_lshlrev_b16 v15, 8, v8
	v_lshrrev_b16 v6, 8, v6
	v_lshlrev_b32_e32 v23, 4, v11
	v_and_b32_e32 v2, 0x3f00, v2
	v_lshrrev_b16 v7, 8, v7
	v_add_nc_u16 v15, 0xe000, v15
	v_or_b32_e32 v6, v9, v6
	v_and_or_b32 v20, 0x30303030, v23, v20
	v_lshrrev_b32_e32 v23, 4, v29
	v_or_b32_e32 v2, v2, v7
	v_and_b32_e32 v7, 0x3f00, v8
	v_lshrrev_b16 v8, 8, v15
	v_lshrrev_b32_e32 v9, 16, v20
	v_lshlrev_b16 v15, 8, v20
	v_add_nc_u16 v6, 0xe000, v6
	v_add_nc_u16 v2, 0xe000, v2
	v_or_b32_e32 v7, v7, v8
	v_lshlrev_b16 v8, 8, v9
	v_add_nc_u16 v15, 0xe000, v15
	v_and_b32_e32 v5, 0xffff, v5
	v_lshlrev_b32_e32 v6, 16, v6
	v_add_nc_u16 v7, 0xe000, v7
	v_add_nc_u16 v8, 0xe000, v8
	v_and_b32_e32 v2, 0xffff, v2
	v_and_b32_e32 v20, 0x3f00, v20
	v_lshrrev_b16 v15, 8, v15
	v_and_b32_e32 v9, 0x3f00, v9
	v_lshrrev_b16 v8, 8, v8
	v_and_b32_e32 v23, 0xf0f0f0f, v23
	v_lshlrev_b32_e32 v7, 16, v7
	v_or_b32_e32 v5, v5, v6
	v_or_b32_e32 v6, v20, v15
	;; [unrolled: 1-line block ×3, first 2 shown]
	v_and_or_b32 v9, 0x30303030, v11, v23
	v_or_b32_e32 v2, v2, v7
	s_mov_b32 s12, -1
	v_add_nc_u16 v6, 0xe000, v6
	v_add_nc_u16 v8, 0xe000, v8
	v_lshlrev_b16 v11, 8, v9
	v_lshrrev_b32_e32 v23, 16, v9
	v_and_b32_e32 v9, 0x3f00, v9
	s_wait_loadcnt 0xf
	v_and_b32_e32 v15, 0xf0f0f0f, v31
	s_wait_loadcnt 0xe
	v_ashrrev_i32_e32 v7, v87, v32
	v_and_b32_e32 v6, 0xffff, v6
	v_add_nc_u16 v11, 0xe000, v11
	v_lshlrev_b32_e32 v8, 16, v8
	v_lshrrev_b32_e32 v24, 4, v31
	v_lshlrev_b32_e32 v20, 4, v7
	s_delay_alu instid0(VALU_DEP_4) | instskip(NEXT) | instid1(VALU_DEP_4)
	v_lshrrev_b16 v11, 8, v11
	v_or_b32_e32 v6, v6, v8
	s_delay_alu instid0(VALU_DEP_3) | instskip(SKIP_1) | instid1(VALU_DEP_4)
	v_and_or_b32 v15, 0x30303030, v20, v15
	v_lshlrev_b16 v20, 8, v23
	v_or_b32_e32 v9, v9, v11
	v_and_b32_e32 v11, 0x3f00, v23
	v_and_b32_e32 v23, 0xf0f0f0f, v24
	v_lshlrev_b16 v8, 8, v15
	v_add_nc_u16 v20, 0xe000, v20
	v_lshrrev_b32_e32 v24, 16, v15
	v_and_b32_e32 v15, 0x3f00, v15
	v_and_or_b32 v7, 0x30303030, v7, v23
	v_add_nc_u16 v8, 0xe000, v8
	v_lshrrev_b16 v20, 8, v20
	v_lshlrev_b16 v23, 8, v24
	v_add_nc_u16 v9, 0xe000, v9
	s_delay_alu instid0(VALU_DEP_4) | instskip(NEXT) | instid1(VALU_DEP_4)
	v_lshrrev_b16 v8, 8, v8
	v_or_b32_e32 v11, v11, v20
	s_delay_alu instid0(VALU_DEP_4)
	v_add_nc_u16 v20, 0xe000, v23
	v_and_b32_e32 v23, 0x3f00, v24
	v_and_b32_e32 v24, 0x3f00, v7
	v_or_b32_e32 v8, v15, v8
	v_lshlrev_b16 v15, 8, v7
	v_lshrrev_b16 v20, 8, v20
	v_lshrrev_b32_e32 v7, 16, v7
	v_add_nc_u16 v11, 0xe000, v11
	v_add_nc_u16 v8, 0xe000, v8
	;; [unrolled: 1-line block ×3, first 2 shown]
	v_or_b32_e32 v20, v23, v20
	v_lshlrev_b16 v27, 8, v7
	v_and_b32_e32 v7, 0x3f00, v7
	v_and_b32_e32 v8, 0xffff, v8
	v_lshrrev_b16 v15, 8, v15
	v_add_nc_u16 v20, 0xe000, v20
	s_wait_loadcnt 0xd
	v_lshrrev_b32_e32 v25, 4, v35
	s_wait_loadcnt 0xc
	v_ashrrev_i32_e32 v23, v87, v36
	v_and_b32_e32 v9, 0xffff, v9
	v_or_b32_e32 v15, v24, v15
	v_and_b32_e32 v24, 0xf0f0f0f, v35
	v_and_b32_e32 v25, 0xf0f0f0f, v25
	v_lshlrev_b32_e32 v26, 4, v23
	v_lshlrev_b32_e32 v20, 16, v20
	v_add_nc_u16 v15, 0xe000, v15
	v_lshlrev_b32_e32 v11, 16, v11
	v_and_or_b32 v23, 0x30303030, v23, v25
	v_and_or_b32 v24, 0x30303030, v26, v24
	v_add_nc_u16 v26, 0xe000, v27
	v_and_b32_e32 v15, 0xffff, v15
	v_or_b32_e32 v8, v8, v20
	v_lshrrev_b32_e32 v28, 16, v23
	v_lshrrev_b32_e32 v25, 16, v24
	v_lshlrev_b16 v27, 8, v24
	v_lshlrev_b16 v30, 8, v23
	v_lshrrev_b16 v26, 8, v26
	v_lshlrev_b16 v31, 8, v28
	v_lshlrev_b16 v29, 8, v25
	v_add_nc_u16 v27, 0xe000, v27
	v_add_nc_u16 v30, 0xe000, v30
	v_and_b32_e32 v24, 0x3f00, v24
	v_add_nc_u16 v31, 0xe000, v31
	v_add_nc_u16 v29, 0xe000, v29
	v_lshrrev_b16 v27, 8, v27
	v_and_b32_e32 v25, 0x3f00, v25
	v_and_b32_e32 v23, 0x3f00, v23
	v_lshrrev_b16 v30, 8, v30
	v_lshrrev_b16 v29, 8, v29
	v_and_b32_e32 v28, 0x3f00, v28
	v_lshrrev_b16 v31, 8, v31
	v_or_b32_e32 v7, v7, v26
	v_or_b32_e32 v24, v24, v27
	v_or_b32_e32 v25, v25, v29
	v_or_b32_e32 v23, v23, v30
	v_or_b32_e32 v26, v28, v31
	v_add_nc_u16 v7, 0xe000, v7
	v_add_nc_u16 v24, 0xe000, v24
	;; [unrolled: 1-line block ×5, first 2 shown]
	v_lshlrev_b32_e32 v7, 16, v7
	v_and_b32_e32 v24, 0xffff, v24
	v_lshlrev_b32_e32 v25, 16, v25
	v_and_b32_e32 v23, 0xffff, v23
	v_lshlrev_b32_e32 v26, 16, v26
	v_add_nc_u32_e32 v20, 0x5960, v88
	v_or_b32_e32 v9, v9, v11
	v_or_b32_e32 v7, v15, v7
	;; [unrolled: 1-line block ×4, first 2 shown]
	ds_store_2addr_b32 v20, v3, v4 offset1:16
	ds_store_2addr_b32 v254, v5, v2 offset1:16
	ds_store_2addr_b32 v255, v6, v9 offset1:16
	ds_store_2addr_b32 v71, v8, v7 offset1:16
	ds_store_2addr_b32 v101, v11, v15 offset1:16
	s_wait_loadcnt 0xb
	v_cvt_f32_f16_e32 v2, v43
	s_wait_loadcnt 0x8
	v_cvt_f32_f16_e32 v3, v19
	ds_store_b32 v106, v44
	ds_store_b32 v109, v45
	s_wait_loadcnt 0x7
	ds_store_b32 v144, v0
	s_wait_loadcnt 0x6
	;; [unrolled: 2-line block ×4, first 2 shown]
	ds_store_b32 v154, v13
	ds_store_b32 v104, v2
	s_wait_loadcnt 0x0
	ds_store_b32 v146, v10
	ds_store_b32 v149, v14
	;; [unrolled: 1-line block ×5, first 2 shown]
	s_wait_storecnt_dscnt 0x0
	s_barrier_signal -1
	s_barrier_wait -1
	global_inv scope:SCOPE_SE
	ds_load_b32 v194, v123
	ds_load_b32 v195, v124 offset:128
	ds_load_b32 v196, v125 offset:256
	;; [unrolled: 1-line block ×3, first 2 shown]
.LBB155_6:                              ;   Parent Loop BB155_5 Depth=1
                                        ; =>  This Inner Loop Header: Depth=2
	s_wait_alu 0xfffe
	s_lshl_b32 s13, s16, 1
	v_lshlrev_b32_e32 v188, 2, v122
	s_wait_alu 0xfffe
	v_or_b32_e32 v0, s13, v93
	s_lshr_b32 s17, s16, 1
	s_lshl_b32 s16, s16, 3
	s_wait_alu 0xfffe
	s_add_co_i32 s17, s17, 0xa200
	v_lshlrev_b32_e32 v190, 2, v119
	v_lshlrev_b32_e32 v1, 2, v0
	v_lshrrev_b32_e32 v0, 1, v0
	v_lshlrev_b32_e32 v191, 2, v120
	v_lshlrev_b32_e32 v192, 2, v121
	s_and_b32 vcc_lo, exec_lo, s12
	ds_load_b128 v[4:7], v1 offset:33280
	ds_load_b128 v[198:201], v1 offset:33296
	;; [unrolled: 1-line block ×4, first 2 shown]
	ds_load_b64 v[68:69], v0 offset:43584
	v_lshlrev_b32_e32 v189, 2, v107
	v_add_nc_u32_e32 v33, s16, v134
	s_mov_b32 s12, 0
	ds_load_2addr_b32 v[25:26], v33 offset0:6 offset1:7
	ds_load_2addr_b32 v[29:30], v33 offset0:4 offset1:5
	s_wait_alu 0xfffe
	v_add3_u32 v0, s17, v188, v189
	ds_load_2addr_b32 v[23:24], v33 offset0:2 offset1:3
	ds_load_2addr_b32 v[27:28], v33 offset1:1
	ds_load_b32 v36, v0
	ds_load_u16 v236, v33 offset:32
	ds_load_b128 v[0:3], v33 offset:34
	ds_load_b64 v[51:52], v33 offset:50
	ds_load_u16 v237, v33 offset:58
	ds_load_b32 v231, v33 offset:60
	s_wait_dscnt 0xe
	v_lshrrev_b16 v9, 8, v5
	s_wait_dscnt 0xd
	v_lshrrev_b16 v8, 8, v199
	s_wait_dscnt 0xc
	v_bfe_i32 v13, v239, 16, 8
	s_wait_dscnt 0xb
	v_bfe_i32 v11, v243, 16, 8
	v_bfe_i32 v38, v244, 16, 8
	v_ashrrev_i32_e32 v40, 24, v243
	v_bfe_i32 v39, v244, 0, 8
	v_bfe_i32 v10, v244, 8, 8
	;; [unrolled: 1-line block ×4, first 2 shown]
	s_wait_dscnt 0x9
	v_bfe_i32 v47, v26, 8, 8
	s_wait_dscnt 0x8
	v_lshrrev_b16 v34, 8, v30
	v_ashrrev_i32_e32 v45, 24, v200
	v_bfe_i32 v46, v200, 16, 8
	s_wait_dscnt 0x3
	v_bfe_i32 v234, v2, 0, 8
	s_wait_dscnt 0x2
	;; [unrolled: 2-line block ×3, first 2 shown]
	v_lshrrev_b16 v41, 8, v237
	v_bfe_i32 v42, v237, 0, 8
	v_bfe_i32 v44, v52, 8, 8
	v_bfe_i32 v43, v52, 16, 8
	v_mul_i32_i24_e32 v11, v37, v11
	v_ashrrev_i32_e32 v37, 24, v244
	v_bfe_i32 v41, v41, 0, 8
	v_mul_i32_i24_e32 v38, v42, v38
	v_perm_b32 v42, v245, v243, 0xc0c0600
	v_mul_i32_i24_e32 v40, v44, v40
	v_mul_i32_i24_e32 v39, v43, v39
	v_mul_i32_i24_e32 v37, v41, v37
	s_wait_dscnt 0x0
	v_perm_b32 v41, v231, v51, 0xc0c0602
	v_ashrrev_i32_e32 v33, 24, v52
	v_bfe_i32 v233, v2, 8, 8
	v_ashrrev_i32_e32 v232, 24, v1
	v_bfe_i32 v43, v201, 8, 8
	v_dot4_i32_iu8 v38, v41, v42, v38 neg_lo:[1,1,0]
	v_perm_b32 v41, v231, v51, 0xc0c0400
	v_perm_b32 v42, v245, v242, 0xc0c0402
	v_bfe_i32 v34, v34, 0, 8
	v_bfe_i32 v44, v201, 0, 8
	v_bfe_i32 v48, v26, 0, 8
	v_ashrrev_i32_e32 v49, 24, v25
	v_dot4_i32_iu8 v40, v41, v42, v40 neg_lo:[1,1,0]
	v_perm_b32 v41, v231, v51, 0xc0c0703
	v_perm_b32 v42, v245, v243, 0xc0c0701
	v_bfe_i32 v50, v25, 16, 8
	v_mul_i32_i24_e32 v43, v47, v43
	v_add_nc_u32_e32 v38, v40, v38
	v_bfe_i32 v40, v242, 0, 8
	v_dot4_i32_iu8 v37, v41, v42, v37 neg_lo:[1,1,0]
	v_perm_b32 v41, v231, v51, 0xc0c0501
	v_perm_b32 v42, v245, v242, 0xc0c0503
	v_mul_i32_i24_e32 v8, v34, v8
	v_mul_i32_i24_e32 v46, v50, v46
	v_mul_i32_i24_e32 v45, v49, v45
	v_mul_i32_i24_e32 v44, v48, v44
	v_dot4_i32_iu8 v39, v41, v42, v39 neg_lo:[1,1,0]
	v_ashrrev_i32_e32 v41, 24, v3
	v_bfe_i32 v42, v3, 16, 8
	v_bfe_i32 v19, v201, 16, 8
	;; [unrolled: 1-line block ×3, first 2 shown]
	v_add_nc_u32_e32 v37, v39, v37
	v_bfe_i32 v39, v242, 8, 8
	v_mul_i32_i24_e32 v40, v42, v40
	v_bfe_i32 v42, v30, 16, 8
	v_bfe_i32 v14, v200, 8, 8
	;; [unrolled: 1-line block ×3, first 2 shown]
	v_mul_i32_i24_e32 v39, v41, v39
	v_mad_i32_i24 v10, v33, v10, v40
	v_bfe_i32 v33, v240, 16, 8
	v_bfe_i32 v40, v1, 8, 8
	v_bfe_i32 v41, v30, 0, 8
	v_add3_u32 v37, v38, v37, v39
	v_ashrrev_i32_e32 v38, 24, v239
	v_bfe_i32 v39, v1, 16, 8
	v_mul_i32_i24_e32 v33, v234, v33
	v_bfe_i32 v34, v25, 0, 8
	v_add3_u32 v10, v37, v10, v11
	v_bfe_i32 v37, v240, 0, 8
	v_bfe_i32 v11, v1, 0, 8
	v_mul_i32_i24_e32 v38, v40, v38
	v_perm_b32 v40, v241, v239, 0xc0c0600
	v_mul_i32_i24_e32 v19, v47, v19
	v_mul_i32_i24_e32 v37, v39, v37
	v_perm_b32 v39, v3, v0, 0xc0c0402
	v_mul_i32_i24_e32 v11, v11, v13
	v_ashrrev_i32_e32 v13, 24, v240
	v_ashrrev_i32_e32 v20, 24, v201
	v_lshrrev_b16 v35, 8, v28
	v_dot4_i32_iu8 v33, v39, v40, v33 neg_lo:[1,1,0]
	v_perm_b32 v39, v2, v0, 0xc0c0600
	v_perm_b32 v40, v241, v238, 0xc0c0402
	v_mul_i32_i24_e32 v13, v233, v13
	v_ashrrev_i32_e32 v47, 24, v26
	v_bfe_i32 v9, v9, 0, 8
	v_bfe_i32 v35, v35, 0, 8
	v_dot4_i32_iu8 v38, v39, v40, v38 neg_lo:[1,1,0]
	v_perm_b32 v39, v3, v0, 0xc0c0503
	v_perm_b32 v40, v241, v239, 0xc0c0701
	v_mul_i32_i24_e32 v20, v47, v20
	v_mul_i32_i24_e32 v9, v35, v9
	v_add_nc_u32_e32 v33, v38, v33
	v_bfe_i32 v38, v238, 0, 8
	v_dot4_i32_iu8 v13, v39, v40, v13 neg_lo:[1,1,0]
	v_perm_b32 v39, v2, v0, 0xc0c0701
	v_perm_b32 v40, v241, v238, 0xc0c0503
	v_bfe_i32 v31, v7, 16, 8
	v_bfe_i32 v21, v6, 8, 8
	;; [unrolled: 1-line block ×4, first 2 shown]
	v_dot4_i32_iu8 v37, v39, v40, v37 neg_lo:[1,1,0]
	v_lshrrev_b16 v39, 8, v236
	v_ashrrev_i32_e32 v40, 24, v30
	v_ashrrev_i32_e32 v32, 24, v7
	v_bfe_i32 v225, v36, 8, 8
	v_add_nc_u32_e32 v13, v37, v13
	v_bfe_i32 v37, v238, 8, 8
	v_bfe_i32 v235, v39, 0, 8
	;; [unrolled: 1-line block ×5, first 2 shown]
	v_ashrrev_i32_e32 v228, 24, v36
	v_mul_i32_i24_e32 v37, v235, v37
	v_mul_i32_i24_e32 v38, v39, v38
	v_bfe_i32 v39, v199, 16, 8
	v_perm_b32 v97, v240, v239, 0x7060403
	v_perm_b32 v98, v199, v198, 0x6040503
	v_add3_u32 v13, v33, v13, v37
	v_mad_i32_i24 v12, v232, v12, v38
	v_ashrrev_i32_e32 v37, 24, v29
	v_bfe_i32 v33, v198, 16, 8
	v_bfe_i32 v38, v29, 16, 8
	v_mad_i32_i24 v39, v42, v39, v44
	v_add3_u32 v11, v13, v12, v11
	v_ashrrev_i32_e32 v13, 24, v198
	v_bfe_i32 v12, v25, 8, 8
	v_mul_i32_i24_e32 v33, v38, v33
	v_bfe_i32 v38, v199, 0, 8
	v_bfe_i32 v42, v24, 8, 8
	v_mul_i32_i24_e32 v13, v37, v13
	v_ashrrev_i32_e32 v37, 24, v199
	v_ashrrev_i32_e32 v44, 24, v23
	v_mad_i32_i24 v38, v41, v38, v46
	v_bfe_i32 v41, v6, 16, 8
	v_perm_b32 v99, v200, v199, 0x7060403
	v_mad_i32_i24 v37, v40, v37, v43
	v_bfe_i32 v40, v29, 0, 8
	v_bfe_i32 v43, v24, 0, 8
	v_perm_b32 v100, v5, v4, 0x6040503
	v_perm_b32 v199, v6, v5, 0x7060403
	v_add3_u32 v8, v8, v45, v37
	v_bfe_i32 v37, v198, 8, 8
	v_bfe_i32 v45, v23, 16, 8
	s_delay_alu instid0(VALU_DEP_3) | instskip(SKIP_2) | instid1(VALU_DEP_4)
	v_add3_u32 v8, v38, v39, v8
	v_bfe_i32 v39, v29, 8, 8
	v_bfe_i32 v38, v198, 0, 8
	v_mul_i32_i24_e32 v41, v45, v41
	s_delay_alu instid0(VALU_DEP_3) | instskip(NEXT) | instid1(VALU_DEP_3)
	v_mul_i32_i24_e32 v37, v39, v37
	v_mul_i32_i24_e32 v38, v40, v38
	v_bfe_i32 v39, v7, 0, 8
	v_ashrrev_i32_e32 v40, 24, v6
	s_delay_alu instid0(VALU_DEP_4)
	v_mad_i32_i24 v12, v12, v14, v37
	v_mad_i32_i24 v14, v34, v15, v19
	v_ashrrev_i32_e32 v15, 24, v27
	v_bfe_i32 v19, v27, 16, 8
	v_bfe_i32 v34, v28, 0, 8
	v_add3_u32 v8, v8, v38, v12
	v_add3_u32 v12, v33, v13, v14
	v_ashrrev_i32_e32 v13, 24, v4
	v_bfe_i32 v38, v7, 8, 8
	v_bfe_i32 v14, v4, 16, 8
	v_ashrrev_i32_e32 v33, 24, v28
	v_add3_u32 v8, v8, v12, v20
	v_mul_i32_i24_e32 v13, v15, v13
	v_ashrrev_i32_e32 v15, 24, v5
	v_mul_i32_i24_e32 v38, v42, v38
	v_mul_i32_i24_e32 v14, v19, v14
	v_bfe_i32 v19, v5, 0, 8
	v_bfe_i32 v20, v5, 16, 8
	;; [unrolled: 1-line block ×3, first 2 shown]
	v_mul_i32_i24_e32 v40, v44, v40
	v_mul_i32_i24_e32 v39, v43, v39
	v_mad_i32_i24 v15, v33, v15, v38
	v_mad_i32_i24 v19, v34, v19, v41
	v_bfe_i32 v42, v24, 16, 8
	v_bfe_i32 v12, v23, 8, 8
	v_mad_i32_i24 v20, v37, v20, v39
	v_add3_u32 v9, v9, v40, v15
	v_bfe_i32 v15, v4, 8, 8
	v_mul_i32_i24_e32 v31, v42, v31
	v_bfe_i32 v33, v27, 0, 8
	v_ashrrev_i32_e32 v42, 24, v24
	v_add3_u32 v9, v19, v20, v9
	v_bfe_i32 v20, v27, 8, 8
	v_bfe_i32 v19, v4, 0, 8
	v_mul_lo_u32 v8, v8, v225
	v_mul_i32_i24_e32 v32, v42, v32
	v_perm_b32 v41, v244, v243, 0x7060403
	v_mul_i32_i24_e32 v15, v20, v15
	v_mul_i32_i24_e32 v19, v33, v19
	s_delay_alu instid0(VALU_DEP_2) | instskip(SKIP_1) | instid1(VALU_DEP_2)
	v_mad_i32_i24 v12, v12, v21, v15
	v_mad_i32_i24 v15, v35, v22, v31
	v_add3_u32 v9, v9, v19, v12
	s_delay_alu instid0(VALU_DEP_2) | instskip(NEXT) | instid1(VALU_DEP_1)
	v_add3_u32 v12, v14, v13, v15
	v_add3_u32 v9, v9, v12, v32
	s_delay_alu instid0(VALU_DEP_1) | instskip(NEXT) | instid1(VALU_DEP_1)
	v_mad_co_u64_u32 v[8:9], null, v9, v226, v[8:9]
	v_cvt_f32_i32_e32 v8, v8
	s_delay_alu instid0(VALU_DEP_1) | instskip(SKIP_1) | instid1(VALU_DEP_1)
	v_fma_f32 v12, v68, v8, 0
	v_mul_lo_u32 v8, v11, v227
	v_mad_co_u64_u32 v[8:9], null, v10, v228, v[8:9]
	v_add_nc_u32_e32 v9, s16, v136
	s_delay_alu instid0(VALU_DEP_2) | instskip(NEXT) | instid1(VALU_DEP_1)
	v_cvt_f32_i32_e32 v8, v8
	v_fmac_f32_e32 v12, v69, v8
	v_add3_u32 v8, s17, v190, v135
	ds_load_2addr_b32 v[37:38], v9 offset0:6 offset1:7
	ds_load_2addr_b32 v[55:56], v9 offset0:4 offset1:5
	;; [unrolled: 1-line block ×3, first 2 shown]
	ds_load_2addr_b32 v[53:54], v9 offset1:1
	ds_load_b32 v10, v8
	ds_load_2addr_b32 v[47:48], v9 offset0:14 offset1:15
	ds_load_2addr_b32 v[64:65], v9 offset0:12 offset1:13
	;; [unrolled: 1-line block ×4, first 2 shown]
	v_fmac_f32_e32 v81, v194, v12
	s_wait_dscnt 0x7
	v_perm_b32 v215, v56, v55, 0x6040503
	s_wait_dscnt 0x6
	v_perm_b32 v13, v4, v35, 0x6050401
	v_perm_b32 v216, v37, v56, 0x7060403
	s_wait_dscnt 0x5
	v_perm_b32 v218, v54, v53, 0x6040503
	s_wait_dscnt 0x3
	;; [unrolled: 2-line block ×3, first 2 shown]
	v_perm_b32 v8, v64, v244, 0x6040501
	v_perm_b32 v12, v65, v242, 0x6040503
	;; [unrolled: 1-line block ×3, first 2 shown]
	s_wait_dscnt 0x1
	v_perm_b32 v9, v238, v49, 0x6040501
	s_wait_dscnt 0x0
	v_perm_b32 v230, v49, v67, 0x7060403
	v_dot4_i32_iu8 v8, v11, v8, 0 neg_lo:[1,1,0]
	v_perm_b32 v11, v243, v64, 0x6040503
	v_perm_b32 v219, v35, v54, 0x7060403
	v_bfe_i32 v217, v10, 8, 8
	v_bfe_i32 v220, v10, 0, 8
	;; [unrolled: 1-line block ×3, first 2 shown]
	v_dot4_i32_iu8 v8, v12, v11, v8 neg_lo:[1,1,0]
	v_perm_b32 v12, v67, v238, 0x6040503
	v_ashrrev_i32_e32 v222, 24, v10
	s_delay_alu instid0(VALU_DEP_3) | instskip(NEXT) | instid1(VALU_DEP_1)
	v_dot4_i32_iu8 v8, v41, v229, v8 neg_lo:[1,1,0]
	v_dot4_i32_iu8 v11, v245, v48, v8 neg_lo:[1,1,0]
	v_perm_b32 v8, v66, v240, 0x6040501
	s_delay_alu instid0(VALU_DEP_1) | instskip(SKIP_1) | instid1(VALU_DEP_1)
	v_dot4_i32_iu8 v8, v9, v8, 0 neg_lo:[1,1,0]
	v_perm_b32 v9, v239, v66, 0x6040503
	v_dot4_i32_iu8 v8, v12, v9, v8 neg_lo:[1,1,0]
	v_perm_b32 v9, v198, v37, 0x6050401
	s_delay_alu instid0(VALU_DEP_2) | instskip(NEXT) | instid1(VALU_DEP_1)
	v_dot4_i32_iu8 v8, v97, v230, v8 neg_lo:[1,1,0]
	v_dot4_i32_iu8 v12, v241, v50, v8 neg_lo:[1,1,0]
	v_perm_b32 v8, v55, v200, 0x6050401
	s_delay_alu instid0(VALU_DEP_1) | instskip(SKIP_1) | instid1(VALU_DEP_2)
	v_dot4_i32_iu8 v8, v9, v8, 0 neg_lo:[1,1,0]
	v_perm_b32 v9, v53, v6, 0x6050401
	v_dot4_i32_iu8 v8, v98, v215, v8 neg_lo:[1,1,0]
	s_delay_alu instid0(VALU_DEP_2) | instskip(NEXT) | instid1(VALU_DEP_2)
	v_dot4_i32_iu8 v9, v13, v9, 0 neg_lo:[1,1,0]
	v_dot4_i32_iu8 v8, v99, v216, v8 neg_lo:[1,1,0]
	s_delay_alu instid0(VALU_DEP_2) | instskip(NEXT) | instid1(VALU_DEP_2)
	v_dot4_i32_iu8 v9, v100, v218, v9 neg_lo:[1,1,0]
	;; [unrolled: 3-line block ×3, first 2 shown]
	v_mul_lo_u32 v8, v8, v217
	s_delay_alu instid0(VALU_DEP_2) | instskip(NEXT) | instid1(VALU_DEP_1)
	v_dot4_i32_iu8 v5, v36, v7, v5 neg_lo:[1,1,0]
	v_mad_co_u64_u32 v[8:9], null, v5, v220, v[8:9]
	s_delay_alu instid0(VALU_DEP_1) | instskip(NEXT) | instid1(VALU_DEP_1)
	v_cvt_f32_i32_e32 v5, v8
	v_fma_f32 v13, v68, v5, 0
	v_mul_lo_u32 v5, v12, v221
	s_delay_alu instid0(VALU_DEP_1) | instskip(NEXT) | instid1(VALU_DEP_1)
	v_mad_co_u64_u32 v[8:9], null, v11, v222, v[5:6]
	v_cvt_f32_i32_e32 v5, v8
	s_delay_alu instid0(VALU_DEP_1) | instskip(SKIP_1) | instid1(VALU_DEP_2)
	v_dual_fmac_f32 v13, v69, v5 :: v_dual_add_nc_u32 v8, s16, v138
	v_add3_u32 v5, s17, v191, v137
	v_fmac_f32_e32 v179, v195, v13
	ds_load_2addr_b32 v[33:34], v8 offset0:6 offset1:7
	ds_load_2addr_b32 v[14:15], v8 offset0:4 offset1:5
	;; [unrolled: 1-line block ×3, first 2 shown]
	ds_load_2addr_b32 v[12:13], v8 offset1:1
	ds_load_b32 v10, v5
	ds_load_2addr_b32 v[43:44], v8 offset0:14 offset1:15
	ds_load_2addr_b32 v[60:61], v8 offset0:12 offset1:13
	;; [unrolled: 1-line block ×4, first 2 shown]
	s_wait_dscnt 0x7
	v_perm_b32 v205, v15, v14, 0x6040503
	v_perm_b32 v206, v33, v15, 0x7060403
	s_wait_dscnt 0x5
	v_perm_b32 v208, v13, v12, 0x6040503
	v_perm_b32 v209, v31, v13, 0x7060403
	s_wait_dscnt 0x3
	v_perm_b32 v9, v242, v43, 0x6040501
	s_wait_dscnt 0x2
	v_perm_b32 v5, v60, v244, 0x6040501
	v_perm_b32 v11, v61, v242, 0x6040503
	;; [unrolled: 1-line block ×3, first 2 shown]
	s_wait_dscnt 0x1
	v_perm_b32 v8, v238, v45, 0x6040501
	s_wait_dscnt 0x0
	v_perm_b32 v224, v45, v63, 0x7060403
	v_dot4_i32_iu8 v5, v9, v5, 0 neg_lo:[1,1,0]
	v_perm_b32 v9, v243, v60, 0x6040503
	v_bfe_i32 v207, v10, 8, 8
	v_bfe_i32 v210, v10, 0, 8
	;; [unrolled: 1-line block ×3, first 2 shown]
	v_ashrrev_i32_e32 v212, 24, v10
	v_dot4_i32_iu8 v5, v11, v9, v5 neg_lo:[1,1,0]
	v_perm_b32 v9, v63, v238, 0x6040503
	v_perm_b32 v43, v60, v43, 0x6040501
	;; [unrolled: 1-line block ×3, first 2 shown]
	s_delay_alu instid0(VALU_DEP_4) | instskip(NEXT) | instid1(VALU_DEP_1)
	v_dot4_i32_iu8 v5, v41, v223, v5 neg_lo:[1,1,0]
	v_dot4_i32_iu8 v11, v245, v44, v5 neg_lo:[1,1,0]
	v_perm_b32 v5, v62, v240, 0x6040501
	s_delay_alu instid0(VALU_DEP_1) | instskip(SKIP_1) | instid1(VALU_DEP_1)
	v_dot4_i32_iu8 v5, v8, v5, 0 neg_lo:[1,1,0]
	v_perm_b32 v8, v239, v62, 0x6040503
	v_dot4_i32_iu8 v5, v9, v8, v5 neg_lo:[1,1,0]
	v_perm_b32 v8, v198, v33, 0x6050401
	v_perm_b32 v9, v4, v31, 0x6050401
	s_delay_alu instid0(VALU_DEP_3) | instskip(NEXT) | instid1(VALU_DEP_1)
	v_dot4_i32_iu8 v5, v97, v224, v5 neg_lo:[1,1,0]
	v_dot4_i32_iu8 v19, v241, v46, v5 neg_lo:[1,1,0]
	v_perm_b32 v5, v14, v200, 0x6050401
	s_delay_alu instid0(VALU_DEP_1) | instskip(SKIP_1) | instid1(VALU_DEP_2)
	v_dot4_i32_iu8 v5, v8, v5, 0 neg_lo:[1,1,0]
	v_perm_b32 v8, v12, v6, 0x6050401
	v_dot4_i32_iu8 v5, v98, v205, v5 neg_lo:[1,1,0]
	s_delay_alu instid0(VALU_DEP_2) | instskip(NEXT) | instid1(VALU_DEP_2)
	v_dot4_i32_iu8 v8, v9, v8, 0 neg_lo:[1,1,0]
	v_dot4_i32_iu8 v5, v99, v206, v5 neg_lo:[1,1,0]
	s_delay_alu instid0(VALU_DEP_2) | instskip(NEXT) | instid1(VALU_DEP_2)
	v_dot4_i32_iu8 v8, v100, v208, v8 neg_lo:[1,1,0]
	;; [unrolled: 3-line block ×3, first 2 shown]
	v_mul_lo_u32 v5, v5, v207
	s_delay_alu instid0(VALU_DEP_2) | instskip(NEXT) | instid1(VALU_DEP_1)
	v_dot4_i32_iu8 v8, v32, v7, v8 neg_lo:[1,1,0]
	v_mad_co_u64_u32 v[8:9], null, v8, v210, v[5:6]
	s_delay_alu instid0(VALU_DEP_1) | instskip(NEXT) | instid1(VALU_DEP_1)
	v_cvt_f32_i32_e32 v5, v8
	v_fma_f32 v13, v68, v5, 0
	v_mul_lo_u32 v5, v19, v211
	s_delay_alu instid0(VALU_DEP_1) | instskip(NEXT) | instid1(VALU_DEP_1)
	v_mad_co_u64_u32 v[8:9], null, v11, v212, v[5:6]
	v_cvt_f32_i32_e32 v5, v8
	s_delay_alu instid0(VALU_DEP_1) | instskip(SKIP_1) | instid1(VALU_DEP_2)
	v_fmac_f32_e32 v13, v69, v5
	v_add3_u32 v5, s17, v192, v140
	v_fmac_f32_e32 v184, v196, v13
	v_add_nc_u32_e32 v13, s16, v141
	ds_load_2addr_b32 v[21:22], v13 offset0:6 offset1:7
	ds_load_2addr_b32 v[10:11], v13 offset0:4 offset1:5
	;; [unrolled: 1-line block ×3, first 2 shown]
	ds_load_2addr_b32 v[8:9], v13 offset1:1
	ds_load_b32 v15, v5
	ds_load_2addr_b32 v[39:40], v13 offset0:14 offset1:15
	ds_load_2addr_b32 v[56:57], v13 offset0:12 offset1:13
	s_mov_b32 s16, 8
	s_wait_dscnt 0x5
	v_perm_b32 v204, v11, v10, 0x6040503
	v_perm_b32 v203, v21, v11, 0x7060403
	s_wait_dscnt 0x3
	v_perm_b32 v6, v8, v6, 0x6050401
	v_perm_b32 v4, v4, v19, 0x6050401
	s_wait_dscnt 0x1
	v_perm_b32 v42, v242, v39, 0x6040501
	s_wait_dscnt 0x0
	v_perm_b32 v5, v56, v244, 0x6040501
	v_perm_b32 v54, v57, v242, 0x6040503
	;; [unrolled: 1-line block ×3, first 2 shown]
	v_dot4_i32_iu8 v4, v4, v6, 0 neg_lo:[1,1,0]
	v_bfe_i32 v202, v15, 8, 8
	v_dot4_i32_iu8 v5, v42, v5, 0 neg_lo:[1,1,0]
	v_perm_b32 v42, v243, v56, 0x6040503
	v_perm_b32 v243, v0, v236, 0x7050400
	;; [unrolled: 1-line block ×4, first 2 shown]
	s_delay_alu instid0(VALU_DEP_4) | instskip(NEXT) | instid1(VALU_DEP_1)
	v_dot4_i32_iu8 v5, v54, v42, v5 neg_lo:[1,1,0]
	v_dot4_i32_iu8 v5, v41, v213, v5 neg_lo:[1,1,0]
	ds_load_2addr_b32 v[41:42], v13 offset0:10 offset1:11
	ds_load_2addr_b32 v[58:59], v13 offset0:8 offset1:9
	v_dot4_i32_iu8 v242, v245, v40, v5 neg_lo:[1,1,0]
	v_perm_b32 v245, v3, v2, 0x5040203
	s_wait_dscnt 0x1
	v_perm_b32 v13, v238, v41, 0x6040501
	s_wait_dscnt 0x0
	v_perm_b32 v5, v58, v240, 0x6040501
	v_perm_b32 v54, v59, v238, 0x6040503
	;; [unrolled: 1-line block ×4, first 2 shown]
	s_delay_alu instid0(VALU_DEP_4) | instskip(SKIP_1) | instid1(VALU_DEP_1)
	v_dot4_i32_iu8 v5, v13, v5, 0 neg_lo:[1,1,0]
	v_perm_b32 v13, v239, v58, 0x6040503
	v_dot4_i32_iu8 v5, v54, v13, v5 neg_lo:[1,1,0]
	v_perm_b32 v54, v198, v21, 0x6050401
	v_ashrrev_i32_e32 v198, 24, v15
	v_perm_b32 v21, v10, v21, 0x6050401
	s_delay_alu instid0(VALU_DEP_4) | instskip(NEXT) | instid1(VALU_DEP_1)
	v_dot4_i32_iu8 v5, v97, v214, v5 neg_lo:[1,1,0]
	v_dot4_i32_iu8 v13, v241, v42, v5 neg_lo:[1,1,0]
	v_perm_b32 v5, v10, v200, 0x6050401
	v_perm_b32 v200, v19, v9, 0x7060403
	;; [unrolled: 1-line block ×4, first 2 shown]
	s_delay_alu instid0(VALU_DEP_4) | instskip(SKIP_1) | instid1(VALU_DEP_2)
	v_dot4_i32_iu8 v5, v54, v5, 0 neg_lo:[1,1,0]
	v_bfe_i32 v54, v15, 16, 8
	v_dot4_i32_iu8 v5, v98, v204, v5 neg_lo:[1,1,0]
	s_delay_alu instid0(VALU_DEP_1) | instskip(NEXT) | instid1(VALU_DEP_1)
	v_dot4_i32_iu8 v5, v99, v203, v5 neg_lo:[1,1,0]
	v_dot4_i32_iu8 v5, v22, v201, v5 neg_lo:[1,1,0]
	v_perm_b32 v201, v9, v8, 0x6040503
	s_delay_alu instid0(VALU_DEP_2) | instskip(NEXT) | instid1(VALU_DEP_2)
	v_mul_lo_u32 v5, v5, v202
	v_dot4_i32_iu8 v4, v100, v201, v4 neg_lo:[1,1,0]
	s_delay_alu instid0(VALU_DEP_1) | instskip(SKIP_1) | instid1(VALU_DEP_2)
	v_dot4_i32_iu8 v4, v199, v200, v4 neg_lo:[1,1,0]
	v_bfe_i32 v199, v15, 0, 8
	v_dot4_i32_iu8 v4, v20, v7, v4 neg_lo:[1,1,0]
	s_delay_alu instid0(VALU_DEP_1) | instskip(NEXT) | instid1(VALU_DEP_1)
	v_mad_co_u64_u32 v[4:5], null, v4, v199, v[5:6]
	v_cvt_f32_i32_e32 v4, v4
	s_delay_alu instid0(VALU_DEP_1) | instskip(SKIP_1) | instid1(VALU_DEP_1)
	v_fma_f32 v6, v68, v4, 0
	v_mul_lo_u32 v4, v13, v54
	v_mad_co_u64_u32 v[4:5], null, v242, v198, v[4:5]
	v_perm_b32 v242, v237, v52, 0x5040201
	v_perm_b32 v237, v28, v27, 0x6040503
	s_delay_alu instid0(VALU_DEP_3) | instskip(NEXT) | instid1(VALU_DEP_1)
	v_cvt_f32_i32_e32 v4, v4
	v_fmac_f32_e32 v6, v69, v4
	v_or_b32_e32 v4, s13, v127
	s_delay_alu instid0(VALU_DEP_2) | instskip(NEXT) | instid1(VALU_DEP_2)
	v_fmac_f32_e32 v187, v197, v6
	v_lshlrev_b32_e32 v9, 2, v4
	v_lshrrev_b32_e32 v11, 1, v4
	ds_load_b128 v[4:7], v9 offset:33280
	ds_load_b128 v[246:249], v9 offset:33296
	;; [unrolled: 1-line block ×4, first 2 shown]
	ds_load_b64 v[68:69], v11 offset:43584
	s_wait_dscnt 0x3
	v_perm_b32 v3, v247, v246, 0x6040503
	s_wait_dscnt 0x2
	v_bfe_i32 v9, v252, 8, 8
	v_bfe_i32 v11, v250, 8, 8
	s_wait_dscnt 0x1
	v_perm_b32 v239, v99, v99, 0xc0c0c01
	v_bfe_i32 v13, v252, 16, 8
	v_ashrrev_i32_e32 v15, 24, v252
	v_mul_i32_i24_e32 v9, v9, v232
	v_perm_b32 v238, v97, v52, 0x6040503
	v_or_b32_e32 v239, v240, v239
	v_perm_b32 v94, v98, v97, 0x6040503
	v_mul_i32_i24_e32 v13, v234, v13
	v_mad_i32_i24 v9, v235, v11, v9
	v_perm_b32 v11, v251, v250, 0x5030200
	v_dot4_i32_iu8 v238, v239, v238, 0 neg_lo:[1,1,0]
	v_mul_i32_i24_e32 v15, v233, v15
	v_perm_b32 v98, v99, v98, 0x7060403
	v_perm_b32 v1, v253, v253, 0x3020001
	v_dot4_i32_iu8 v9, v243, v11, v9 neg_lo:[1,1,0]
	v_perm_b32 v11, v252, v251, 0x4030200
	v_dot4_i32_iu8 v51, v94, v241, v238 neg_lo:[1,1,0]
	v_perm_b32 v238, v23, v28, 0x7060403
	s_delay_alu instid0(VALU_DEP_3) | instskip(NEXT) | instid1(VALU_DEP_3)
	v_dot4_i32_iu8 v0, v244, v11, v9 neg_lo:[1,1,0]
	v_dot4_i32_iu8 v51, v242, v98, v51 neg_lo:[1,1,0]
	v_perm_b32 v11, v27, v6, 0x6050401
	v_perm_b32 v9, v248, v247, 0x7060403
	s_delay_alu instid0(VALU_DEP_4) | instskip(NEXT) | instid1(VALU_DEP_4)
	v_add3_u32 v0, v0, v13, v15
	v_dot4_i32_iu8 v239, v231, v100, v51 neg_lo:[1,1,0]
	v_perm_b32 v51, v30, v29, 0x6040503
	v_perm_b32 v15, v250, v252, 0x6040501
	;; [unrolled: 1-line block ×3, first 2 shown]
	v_dot4_i32_iu8 v2, v245, v1, v0 neg_lo:[1,1,0]
	v_perm_b32 v0, v246, v25, 0x6050401
	v_perm_b32 v1, v29, v248, 0x6050401
	s_delay_alu instid0(VALU_DEP_1) | instskip(SKIP_1) | instid1(VALU_DEP_2)
	v_dot4_i32_iu8 v0, v1, v0, 0 neg_lo:[1,1,0]
	v_perm_b32 v1, v4, v23, 0x6050401
	v_dot4_i32_iu8 v0, v51, v3, v0 neg_lo:[1,1,0]
	s_delay_alu instid0(VALU_DEP_2) | instskip(SKIP_4) | instid1(VALU_DEP_4)
	v_dot4_i32_iu8 v1, v11, v1, 0 neg_lo:[1,1,0]
	v_perm_b32 v11, v5, v4, 0x6040503
	v_perm_b32 v5, v6, v5, 0x7060403
	;; [unrolled: 1-line block ×3, first 2 shown]
	v_dot4_i32_iu8 v0, v236, v9, v0 neg_lo:[1,1,0]
	v_dot4_i32_iu8 v1, v237, v11, v1 neg_lo:[1,1,0]
	s_delay_alu instid0(VALU_DEP_2) | instskip(NEXT) | instid1(VALU_DEP_2)
	v_dot4_i32_iu8 v0, v249, v26, v0 neg_lo:[1,1,0]
	v_dot4_i32_iu8 v1, v238, v5, v1 neg_lo:[1,1,0]
	s_delay_alu instid0(VALU_DEP_2) | instskip(NEXT) | instid1(VALU_DEP_2)
	v_mul_lo_u32 v0, v0, v225
	v_dot4_i32_iu8 v1, v7, v24, v1 neg_lo:[1,1,0]
	s_delay_alu instid0(VALU_DEP_1) | instskip(NEXT) | instid1(VALU_DEP_1)
	v_mad_co_u64_u32 v[0:1], null, v1, v226, v[0:1]
	v_cvt_f32_i32_e32 v0, v0
	s_wait_dscnt 0x0
	s_delay_alu instid0(VALU_DEP_1)
	v_fma_f32 v13, v68, v0, 0
	v_mul_lo_u32 v0, v239, v228
	v_perm_b32 v239, v64, v47, 0x6040501
	v_perm_b32 v64, v65, v64, 0x6040503
	v_perm_b32 v65, v66, v49, 0x6040501
	v_perm_b32 v66, v67, v66, 0x6040503
	v_perm_b32 v67, v252, v251, 0x7060403
	v_perm_b32 v47, v55, v37, 0x6050401
	v_perm_b32 v49, v53, v35, 0x6050401
	v_mad_co_u64_u32 v[0:1], null, v2, v227, v[0:1]
	v_perm_b32 v2, v97, v99, 0x6040501
	v_perm_b32 v97, v246, v248, 0x6050401
	s_delay_alu instid0(VALU_DEP_4)
	v_dot4_i32_iu8 v1, v4, v49, 0 neg_lo:[1,1,0]
	v_perm_b32 v53, v61, v60, 0x6040503
	v_perm_b32 v55, v63, v62, 0x6040503
	;; [unrolled: 1-line block ×3, first 2 shown]
	v_cvt_f32_i32_e32 v0, v0
	v_dot4_i32_iu8 v1, v11, v218, v1 neg_lo:[1,1,0]
	v_perm_b32 v37, v57, v56, 0x6040503
	v_perm_b32 v39, v58, v41, 0x6040501
	;; [unrolled: 1-line block ×3, first 2 shown]
	v_fmac_f32_e32 v13, v69, v0
	v_dot4_i32_iu8 v0, v2, v239, 0 neg_lo:[1,1,0]
	v_dot4_i32_iu8 v1, v5, v219, v1 neg_lo:[1,1,0]
	s_delay_alu instid0(VALU_DEP_3) | instskip(NEXT) | instid1(VALU_DEP_3)
	v_fmac_f32_e32 v165, v194, v13
	v_dot4_i32_iu8 v0, v94, v64, v0 neg_lo:[1,1,0]
	s_delay_alu instid0(VALU_DEP_3) | instskip(NEXT) | instid1(VALU_DEP_2)
	v_dot4_i32_iu8 v1, v7, v36, v1 neg_lo:[1,1,0]
	v_dot4_i32_iu8 v0, v98, v229, v0 neg_lo:[1,1,0]
	s_delay_alu instid0(VALU_DEP_1) | instskip(SKIP_1) | instid1(VALU_DEP_1)
	v_dot4_i32_iu8 v13, v100, v48, v0 neg_lo:[1,1,0]
	v_dot4_i32_iu8 v0, v15, v65, 0 neg_lo:[1,1,0]
	;; [unrolled: 1-line block ×3, first 2 shown]
	s_delay_alu instid0(VALU_DEP_1) | instskip(NEXT) | instid1(VALU_DEP_1)
	v_dot4_i32_iu8 v0, v67, v230, v0 neg_lo:[1,1,0]
	v_dot4_i32_iu8 v28, v253, v50, v0 neg_lo:[1,1,0]
	;; [unrolled: 1-line block ×3, first 2 shown]
	s_delay_alu instid0(VALU_DEP_1) | instskip(NEXT) | instid1(VALU_DEP_1)
	v_dot4_i32_iu8 v0, v3, v215, v0 neg_lo:[1,1,0]
	v_dot4_i32_iu8 v0, v9, v216, v0 neg_lo:[1,1,0]
	s_delay_alu instid0(VALU_DEP_1) | instskip(NEXT) | instid1(VALU_DEP_1)
	v_dot4_i32_iu8 v0, v249, v38, v0 neg_lo:[1,1,0]
	v_mul_lo_u32 v0, v0, v217
	s_delay_alu instid0(VALU_DEP_1) | instskip(NEXT) | instid1(VALU_DEP_1)
	v_mad_co_u64_u32 v[0:1], null, v1, v220, v[0:1]
	v_cvt_f32_i32_e32 v0, v0
	s_delay_alu instid0(VALU_DEP_1) | instskip(SKIP_1) | instid1(VALU_DEP_1)
	v_fma_f32 v6, v68, v0, 0
	v_mul_lo_u32 v0, v13, v222
	v_mad_co_u64_u32 v[0:1], null, v28, v221, v[0:1]
	v_perm_b32 v28, v14, v33, 0x6050401
	v_perm_b32 v33, v12, v31, 0x6050401
	s_delay_alu instid0(VALU_DEP_3) | instskip(NEXT) | instid1(VALU_DEP_2)
	v_cvt_f32_i32_e32 v0, v0
	v_dot4_i32_iu8 v1, v4, v33, 0 neg_lo:[1,1,0]
	s_delay_alu instid0(VALU_DEP_2) | instskip(SKIP_1) | instid1(VALU_DEP_3)
	v_fmac_f32_e32 v6, v69, v0
	v_dot4_i32_iu8 v0, v2, v43, 0 neg_lo:[1,1,0]
	v_dot4_i32_iu8 v1, v11, v208, v1 neg_lo:[1,1,0]
	s_delay_alu instid0(VALU_DEP_3) | instskip(NEXT) | instid1(VALU_DEP_3)
	v_fmac_f32_e32 v176, v195, v6
	v_dot4_i32_iu8 v0, v94, v53, v0 neg_lo:[1,1,0]
	s_delay_alu instid0(VALU_DEP_3) | instskip(NEXT) | instid1(VALU_DEP_2)
	v_dot4_i32_iu8 v1, v5, v209, v1 neg_lo:[1,1,0]
	v_dot4_i32_iu8 v0, v98, v223, v0 neg_lo:[1,1,0]
	s_delay_alu instid0(VALU_DEP_2) | instskip(NEXT) | instid1(VALU_DEP_2)
	v_dot4_i32_iu8 v1, v7, v32, v1 neg_lo:[1,1,0]
	v_dot4_i32_iu8 v6, v100, v44, v0 neg_lo:[1,1,0]
	v_dot4_i32_iu8 v0, v15, v45, 0 neg_lo:[1,1,0]
	s_delay_alu instid0(VALU_DEP_1) | instskip(NEXT) | instid1(VALU_DEP_1)
	v_dot4_i32_iu8 v0, v30, v55, v0 neg_lo:[1,1,0]
	v_dot4_i32_iu8 v0, v67, v224, v0 neg_lo:[1,1,0]
	s_delay_alu instid0(VALU_DEP_1) | instskip(SKIP_1) | instid1(VALU_DEP_1)
	v_dot4_i32_iu8 v13, v253, v46, v0 neg_lo:[1,1,0]
	v_dot4_i32_iu8 v0, v97, v28, 0 neg_lo:[1,1,0]
	;; [unrolled: 1-line block ×3, first 2 shown]
	s_delay_alu instid0(VALU_DEP_1) | instskip(NEXT) | instid1(VALU_DEP_1)
	v_dot4_i32_iu8 v0, v9, v206, v0 neg_lo:[1,1,0]
	v_dot4_i32_iu8 v0, v249, v34, v0 neg_lo:[1,1,0]
	s_delay_alu instid0(VALU_DEP_1) | instskip(NEXT) | instid1(VALU_DEP_1)
	v_mul_lo_u32 v0, v0, v207
	v_mad_co_u64_u32 v[0:1], null, v1, v210, v[0:1]
	s_delay_alu instid0(VALU_DEP_1) | instskip(NEXT) | instid1(VALU_DEP_1)
	v_cvt_f32_i32_e32 v0, v0
	v_fma_f32 v12, v68, v0, 0
	v_mul_lo_u32 v0, v6, v212
	s_delay_alu instid0(VALU_DEP_1) | instskip(SKIP_1) | instid1(VALU_DEP_1)
	v_mad_co_u64_u32 v[0:1], null, v13, v211, v[0:1]
	v_dot4_i32_iu8 v1, v4, v19, 0 neg_lo:[1,1,0]
	v_dot4_i32_iu8 v1, v11, v201, v1 neg_lo:[1,1,0]
	s_delay_alu instid0(VALU_DEP_3) | instskip(NEXT) | instid1(VALU_DEP_2)
	v_cvt_f32_i32_e32 v0, v0
	v_dot4_i32_iu8 v1, v5, v200, v1 neg_lo:[1,1,0]
	s_delay_alu instid0(VALU_DEP_2) | instskip(SKIP_1) | instid1(VALU_DEP_3)
	v_fmac_f32_e32 v12, v69, v0
	v_dot4_i32_iu8 v0, v2, v35, 0 neg_lo:[1,1,0]
	v_dot4_i32_iu8 v1, v7, v20, v1 neg_lo:[1,1,0]
	s_delay_alu instid0(VALU_DEP_3) | instskip(NEXT) | instid1(VALU_DEP_3)
	v_fmac_f32_e32 v182, v196, v12
	v_dot4_i32_iu8 v0, v94, v37, v0 neg_lo:[1,1,0]
	s_delay_alu instid0(VALU_DEP_1) | instskip(NEXT) | instid1(VALU_DEP_1)
	v_dot4_i32_iu8 v0, v98, v213, v0 neg_lo:[1,1,0]
	v_dot4_i32_iu8 v2, v100, v40, v0 neg_lo:[1,1,0]
	;; [unrolled: 1-line block ×3, first 2 shown]
	s_delay_alu instid0(VALU_DEP_1) | instskip(NEXT) | instid1(VALU_DEP_1)
	v_dot4_i32_iu8 v0, v30, v41, v0 neg_lo:[1,1,0]
	v_dot4_i32_iu8 v0, v67, v214, v0 neg_lo:[1,1,0]
	s_delay_alu instid0(VALU_DEP_1) | instskip(SKIP_1) | instid1(VALU_DEP_1)
	v_dot4_i32_iu8 v6, v253, v42, v0 neg_lo:[1,1,0]
	v_dot4_i32_iu8 v0, v97, v21, 0 neg_lo:[1,1,0]
	;; [unrolled: 1-line block ×3, first 2 shown]
	s_delay_alu instid0(VALU_DEP_1) | instskip(NEXT) | instid1(VALU_DEP_1)
	v_dot4_i32_iu8 v0, v9, v203, v0 neg_lo:[1,1,0]
	v_dot4_i32_iu8 v0, v249, v22, v0 neg_lo:[1,1,0]
	s_delay_alu instid0(VALU_DEP_1) | instskip(NEXT) | instid1(VALU_DEP_1)
	v_mul_lo_u32 v0, v0, v202
	v_mad_co_u64_u32 v[0:1], null, v1, v199, v[0:1]
	s_delay_alu instid0(VALU_DEP_1) | instskip(NEXT) | instid1(VALU_DEP_1)
	v_cvt_f32_i32_e32 v0, v0
	v_fma_f32 v3, v68, v0, 0
	v_mul_lo_u32 v0, v2, v198
	s_delay_alu instid0(VALU_DEP_1) | instskip(NEXT) | instid1(VALU_DEP_1)
	v_mad_co_u64_u32 v[0:1], null, v6, v54, v[0:1]
	v_cvt_f32_i32_e32 v0, v0
	s_delay_alu instid0(VALU_DEP_1) | instskip(SKIP_1) | instid1(VALU_DEP_2)
	v_fmac_f32_e32 v3, v69, v0
	v_or_b32_e32 v0, s13, v128
	v_fmac_f32_e32 v186, v197, v3
	s_delay_alu instid0(VALU_DEP_2)
	v_lshlrev_b32_e32 v12, 2, v0
	v_lshrrev_b32_e32 v30, 1, v0
	ds_load_b128 v[0:3], v12 offset:33280
	ds_load_b128 v[4:7], v12 offset:33296
	;; [unrolled: 1-line block ×4, first 2 shown]
	ds_load_b64 v[30:31], v30 offset:43584
	s_wait_dscnt 0x4
	v_perm_b32 v63, v1, v0, 0x6040503
	s_wait_dscnt 0x3
	v_perm_b32 v62, v6, v5, 0x7060403
	s_wait_dscnt 0x2
	v_bfe_i32 v56, v10, 8, 8
	v_bfe_i32 v57, v8, 8, 8
	;; [unrolled: 1-line block ×3, first 2 shown]
	v_ashrrev_i32_e32 v59, 24, v10
	s_wait_dscnt 0x1
	v_perm_b32 v61, v14, v14, 0xc0c0c01
	v_mul_i32_i24_e32 v56, v56, v232
	v_perm_b32 v67, v2, v1, 0x7060403
	v_mul_i32_i24_e32 v58, v234, v58
	v_mul_i32_i24_e32 v59, v233, v59
	v_perm_b32 v60, v12, v52, 0x6040503
	v_mad_i32_i24 v56, v235, v57, v56
	v_perm_b32 v57, v9, v8, 0x5030200
	v_or_b32_e32 v61, v240, v61
	s_delay_alu instid0(VALU_DEP_2) | instskip(SKIP_1) | instid1(VALU_DEP_3)
	v_dot4_i32_iu8 v56, v243, v57, v56 neg_lo:[1,1,0]
	v_perm_b32 v57, v10, v9, 0x4030200
	v_dot4_i32_iu8 v60, v61, v60, 0 neg_lo:[1,1,0]
	v_perm_b32 v61, v13, v12, 0x6040503
	v_perm_b32 v13, v14, v13, 0x7060403
	s_delay_alu instid0(VALU_DEP_4) | instskip(SKIP_1) | instid1(VALU_DEP_4)
	v_dot4_i32_iu8 v56, v244, v57, v56 neg_lo:[1,1,0]
	v_perm_b32 v57, v11, v11, 0x3020001
	v_dot4_i32_iu8 v60, v61, v241, v60 neg_lo:[1,1,0]
	s_delay_alu instid0(VALU_DEP_3) | instskip(SKIP_1) | instid1(VALU_DEP_3)
	v_add3_u32 v56, v56, v58, v59
	v_perm_b32 v59, v5, v4, 0x6040503
	v_dot4_i32_iu8 v60, v242, v13, v60 neg_lo:[1,1,0]
	s_delay_alu instid0(VALU_DEP_3) | instskip(SKIP_2) | instid1(VALU_DEP_4)
	v_dot4_i32_iu8 v58, v245, v57, v56 neg_lo:[1,1,0]
	v_perm_b32 v56, v4, v25, 0x6050401
	v_perm_b32 v57, v29, v6, 0x6050401
	v_dot4_i32_iu8 v60, v231, v15, v60 neg_lo:[1,1,0]
	v_perm_b32 v4, v4, v6, 0x6050401
	s_delay_alu instid0(VALU_DEP_3) | instskip(SKIP_1) | instid1(VALU_DEP_2)
	v_dot4_i32_iu8 v56, v57, v56, 0 neg_lo:[1,1,0]
	v_perm_b32 v57, v27, v2, 0x6050401
	v_dot4_i32_iu8 v56, v51, v59, v56 neg_lo:[1,1,0]
	s_delay_alu instid0(VALU_DEP_1) | instskip(SKIP_1) | instid1(VALU_DEP_2)
	v_dot4_i32_iu8 v5, v236, v62, v56 neg_lo:[1,1,0]
	v_perm_b32 v56, v0, v23, 0x6050401
	v_dot4_i32_iu8 v5, v7, v26, v5 neg_lo:[1,1,0]
	s_delay_alu instid0(VALU_DEP_2) | instskip(NEXT) | instid1(VALU_DEP_2)
	v_dot4_i32_iu8 v56, v57, v56, 0 neg_lo:[1,1,0]
	v_mul_lo_u32 v5, v5, v225
	s_delay_alu instid0(VALU_DEP_2) | instskip(NEXT) | instid1(VALU_DEP_1)
	v_dot4_i32_iu8 v56, v237, v63, v56 neg_lo:[1,1,0]
	v_dot4_i32_iu8 v1, v238, v67, v56 neg_lo:[1,1,0]
	s_delay_alu instid0(VALU_DEP_1) | instskip(NEXT) | instid1(VALU_DEP_1)
	v_dot4_i32_iu8 v1, v3, v24, v1 neg_lo:[1,1,0]
	v_mad_co_u64_u32 v[56:57], null, v1, v226, v[5:6]
	s_delay_alu instid0(VALU_DEP_1) | instskip(SKIP_1) | instid1(VALU_DEP_1)
	v_cvt_f32_i32_e32 v1, v56
	s_wait_dscnt 0x0
	v_fma_f32 v5, v30, v1, 0
	v_mul_lo_u32 v1, v60, v228
	s_delay_alu instid0(VALU_DEP_1) | instskip(SKIP_1) | instid1(VALU_DEP_1)
	v_mad_co_u64_u32 v[56:57], null, v58, v227, v[1:2]
	v_perm_b32 v2, v0, v2, 0x6050401
	v_dot4_i32_iu8 v0, v2, v49, 0 neg_lo:[1,1,0]
	s_delay_alu instid0(VALU_DEP_3) | instskip(NEXT) | instid1(VALU_DEP_2)
	v_cvt_f32_i32_e32 v1, v56
	v_dot4_i32_iu8 v0, v63, v218, v0 neg_lo:[1,1,0]
	s_delay_alu instid0(VALU_DEP_2) | instskip(NEXT) | instid1(VALU_DEP_2)
	v_fmac_f32_e32 v5, v31, v1
	v_dot4_i32_iu8 v0, v67, v219, v0 neg_lo:[1,1,0]
	s_delay_alu instid0(VALU_DEP_2)
	v_fmac_f32_e32 v159, v194, v5
	v_perm_b32 v5, v12, v14, 0x6040501
	v_perm_b32 v14, v8, v10, 0x6040501
	;; [unrolled: 1-line block ×4, first 2 shown]
	v_dot4_i32_iu8 v0, v3, v36, v0 neg_lo:[1,1,0]
	v_dot4_i32_iu8 v1, v5, v239, 0 neg_lo:[1,1,0]
	s_delay_alu instid0(VALU_DEP_1) | instskip(NEXT) | instid1(VALU_DEP_1)
	v_dot4_i32_iu8 v1, v61, v64, v1 neg_lo:[1,1,0]
	v_dot4_i32_iu8 v1, v13, v229, v1 neg_lo:[1,1,0]
	s_delay_alu instid0(VALU_DEP_1) | instskip(SKIP_1) | instid1(VALU_DEP_1)
	v_dot4_i32_iu8 v12, v15, v48, v1 neg_lo:[1,1,0]
	v_dot4_i32_iu8 v1, v14, v65, 0 neg_lo:[1,1,0]
	;; [unrolled: 1-line block ×3, first 2 shown]
	s_delay_alu instid0(VALU_DEP_1) | instskip(NEXT) | instid1(VALU_DEP_1)
	v_dot4_i32_iu8 v1, v9, v230, v1 neg_lo:[1,1,0]
	v_dot4_i32_iu8 v10, v11, v50, v1 neg_lo:[1,1,0]
	;; [unrolled: 1-line block ×3, first 2 shown]
	s_delay_alu instid0(VALU_DEP_1) | instskip(NEXT) | instid1(VALU_DEP_1)
	v_dot4_i32_iu8 v1, v59, v215, v1 neg_lo:[1,1,0]
	v_dot4_i32_iu8 v1, v62, v216, v1 neg_lo:[1,1,0]
	s_delay_alu instid0(VALU_DEP_1) | instskip(NEXT) | instid1(VALU_DEP_1)
	v_dot4_i32_iu8 v1, v7, v38, v1 neg_lo:[1,1,0]
	v_mul_lo_u32 v1, v1, v217
	s_delay_alu instid0(VALU_DEP_1) | instskip(NEXT) | instid1(VALU_DEP_1)
	v_mad_co_u64_u32 v[0:1], null, v0, v220, v[1:2]
	v_cvt_f32_i32_e32 v0, v0
	s_delay_alu instid0(VALU_DEP_1) | instskip(SKIP_1) | instid1(VALU_DEP_1)
	v_fma_f32 v6, v30, v0, 0
	v_mul_lo_u32 v0, v12, v222
	v_mad_co_u64_u32 v[0:1], null, v10, v221, v[0:1]
	v_dot4_i32_iu8 v1, v2, v33, 0 neg_lo:[1,1,0]
	s_delay_alu instid0(VALU_DEP_1) | instskip(NEXT) | instid1(VALU_DEP_3)
	v_dot4_i32_iu8 v1, v63, v208, v1 neg_lo:[1,1,0]
	v_cvt_f32_i32_e32 v0, v0
	s_delay_alu instid0(VALU_DEP_2) | instskip(NEXT) | instid1(VALU_DEP_2)
	v_dot4_i32_iu8 v1, v67, v209, v1 neg_lo:[1,1,0]
	v_fmac_f32_e32 v6, v31, v0
	v_dot4_i32_iu8 v0, v5, v43, 0 neg_lo:[1,1,0]
	s_delay_alu instid0(VALU_DEP_3) | instskip(NEXT) | instid1(VALU_DEP_3)
	v_dot4_i32_iu8 v1, v3, v32, v1 neg_lo:[1,1,0]
	v_fmac_f32_e32 v173, v195, v6
	s_delay_alu instid0(VALU_DEP_3) | instskip(NEXT) | instid1(VALU_DEP_1)
	v_dot4_i32_iu8 v0, v61, v53, v0 neg_lo:[1,1,0]
	v_dot4_i32_iu8 v0, v13, v223, v0 neg_lo:[1,1,0]
	s_delay_alu instid0(VALU_DEP_1) | instskip(SKIP_1) | instid1(VALU_DEP_1)
	v_dot4_i32_iu8 v6, v15, v44, v0 neg_lo:[1,1,0]
	v_dot4_i32_iu8 v0, v14, v45, 0 neg_lo:[1,1,0]
	;; [unrolled: 1-line block ×3, first 2 shown]
	s_delay_alu instid0(VALU_DEP_1) | instskip(NEXT) | instid1(VALU_DEP_1)
	v_dot4_i32_iu8 v0, v9, v224, v0 neg_lo:[1,1,0]
	v_dot4_i32_iu8 v10, v11, v46, v0 neg_lo:[1,1,0]
	;; [unrolled: 1-line block ×3, first 2 shown]
	s_delay_alu instid0(VALU_DEP_1) | instskip(NEXT) | instid1(VALU_DEP_1)
	v_dot4_i32_iu8 v0, v59, v205, v0 neg_lo:[1,1,0]
	v_dot4_i32_iu8 v0, v62, v206, v0 neg_lo:[1,1,0]
	s_delay_alu instid0(VALU_DEP_1) | instskip(NEXT) | instid1(VALU_DEP_1)
	v_dot4_i32_iu8 v0, v7, v34, v0 neg_lo:[1,1,0]
	v_mul_lo_u32 v0, v0, v207
	s_delay_alu instid0(VALU_DEP_1) | instskip(NEXT) | instid1(VALU_DEP_1)
	v_mad_co_u64_u32 v[0:1], null, v1, v210, v[0:1]
	v_cvt_f32_i32_e32 v0, v0
	s_delay_alu instid0(VALU_DEP_1) | instskip(SKIP_1) | instid1(VALU_DEP_1)
	v_fma_f32 v12, v30, v0, 0
	v_mul_lo_u32 v0, v6, v212
	v_mad_co_u64_u32 v[0:1], null, v10, v211, v[0:1]
	v_dot4_i32_iu8 v1, v2, v19, 0 neg_lo:[1,1,0]
	s_delay_alu instid0(VALU_DEP_1) | instskip(NEXT) | instid1(VALU_DEP_3)
	v_dot4_i32_iu8 v1, v63, v201, v1 neg_lo:[1,1,0]
	v_cvt_f32_i32_e32 v0, v0
	s_delay_alu instid0(VALU_DEP_2) | instskip(NEXT) | instid1(VALU_DEP_2)
	v_dot4_i32_iu8 v1, v67, v200, v1 neg_lo:[1,1,0]
	v_fmac_f32_e32 v12, v31, v0
	v_dot4_i32_iu8 v0, v5, v35, 0 neg_lo:[1,1,0]
	s_delay_alu instid0(VALU_DEP_3) | instskip(NEXT) | instid1(VALU_DEP_2)
	v_dot4_i32_iu8 v1, v3, v20, v1 neg_lo:[1,1,0]
	v_dot4_i32_iu8 v0, v61, v37, v0 neg_lo:[1,1,0]
	s_delay_alu instid0(VALU_DEP_1) | instskip(NEXT) | instid1(VALU_DEP_1)
	v_dot4_i32_iu8 v0, v13, v213, v0 neg_lo:[1,1,0]
	v_dot4_i32_iu8 v5, v15, v40, v0 neg_lo:[1,1,0]
	v_dot4_i32_iu8 v0, v14, v39, 0 neg_lo:[1,1,0]
	s_delay_alu instid0(VALU_DEP_1) | instskip(NEXT) | instid1(VALU_DEP_1)
	v_dot4_i32_iu8 v0, v8, v41, v0 neg_lo:[1,1,0]
	v_dot4_i32_iu8 v0, v9, v214, v0 neg_lo:[1,1,0]
	s_delay_alu instid0(VALU_DEP_1) | instskip(SKIP_1) | instid1(VALU_DEP_1)
	v_dot4_i32_iu8 v6, v11, v42, v0 neg_lo:[1,1,0]
	v_dot4_i32_iu8 v0, v4, v21, 0 neg_lo:[1,1,0]
	;; [unrolled: 1-line block ×3, first 2 shown]
	s_delay_alu instid0(VALU_DEP_1) | instskip(NEXT) | instid1(VALU_DEP_1)
	v_dot4_i32_iu8 v0, v62, v203, v0 neg_lo:[1,1,0]
	v_dot4_i32_iu8 v0, v7, v22, v0 neg_lo:[1,1,0]
	s_delay_alu instid0(VALU_DEP_1) | instskip(NEXT) | instid1(VALU_DEP_1)
	v_mul_lo_u32 v0, v0, v202
	v_mad_co_u64_u32 v[0:1], null, v1, v199, v[0:1]
	s_delay_alu instid0(VALU_DEP_1) | instskip(NEXT) | instid1(VALU_DEP_1)
	v_cvt_f32_i32_e32 v0, v0
	v_fma_f32 v2, v30, v0, 0
	v_mul_lo_u32 v0, v5, v198
	s_delay_alu instid0(VALU_DEP_1) | instskip(NEXT) | instid1(VALU_DEP_1)
	v_mad_co_u64_u32 v[0:1], null, v6, v54, v[0:1]
	v_cvt_f32_i32_e32 v0, v0
	s_delay_alu instid0(VALU_DEP_1) | instskip(SKIP_1) | instid1(VALU_DEP_2)
	v_fmac_f32_e32 v2, v31, v0
	v_or_b32_e32 v0, s13, v129
	v_dual_fmac_f32 v185, v197, v2 :: v_dual_fmac_f32 v180, v196, v12
	s_delay_alu instid0(VALU_DEP_2)
	v_lshlrev_b32_e32 v12, 2, v0
	v_lshrrev_b32_e32 v30, 1, v0
	ds_load_b128 v[0:3], v12 offset:33280
	ds_load_b128 v[4:7], v12 offset:33296
	;; [unrolled: 1-line block ×4, first 2 shown]
	ds_load_b64 v[30:31], v30 offset:43584
	s_wait_dscnt 0x4
	v_perm_b32 v63, v1, v0, 0x6040503
	s_wait_dscnt 0x3
	v_perm_b32 v62, v6, v5, 0x7060403
	s_wait_dscnt 0x2
	v_bfe_i32 v56, v10, 8, 8
	v_bfe_i32 v57, v8, 8, 8
	;; [unrolled: 1-line block ×3, first 2 shown]
	v_ashrrev_i32_e32 v59, 24, v10
	s_wait_dscnt 0x1
	v_perm_b32 v61, v14, v14, 0xc0c0c01
	v_mul_i32_i24_e32 v56, v56, v232
	v_perm_b32 v67, v2, v1, 0x7060403
	v_mul_i32_i24_e32 v58, v234, v58
	v_mul_i32_i24_e32 v59, v233, v59
	v_perm_b32 v60, v12, v52, 0x6040503
	v_mad_i32_i24 v56, v235, v57, v56
	v_perm_b32 v57, v9, v8, 0x5030200
	v_or_b32_e32 v61, v240, v61
	s_delay_alu instid0(VALU_DEP_2) | instskip(SKIP_1) | instid1(VALU_DEP_3)
	v_dot4_i32_iu8 v56, v243, v57, v56 neg_lo:[1,1,0]
	v_perm_b32 v57, v10, v9, 0x4030200
	v_dot4_i32_iu8 v60, v61, v60, 0 neg_lo:[1,1,0]
	v_perm_b32 v61, v13, v12, 0x6040503
	v_perm_b32 v13, v14, v13, 0x7060403
	s_delay_alu instid0(VALU_DEP_4) | instskip(SKIP_1) | instid1(VALU_DEP_4)
	v_dot4_i32_iu8 v56, v244, v57, v56 neg_lo:[1,1,0]
	v_perm_b32 v57, v11, v11, 0x3020001
	v_dot4_i32_iu8 v60, v61, v241, v60 neg_lo:[1,1,0]
	s_delay_alu instid0(VALU_DEP_3) | instskip(SKIP_1) | instid1(VALU_DEP_3)
	v_add3_u32 v56, v56, v58, v59
	v_perm_b32 v59, v5, v4, 0x6040503
	v_dot4_i32_iu8 v60, v242, v13, v60 neg_lo:[1,1,0]
	s_delay_alu instid0(VALU_DEP_3) | instskip(SKIP_2) | instid1(VALU_DEP_4)
	v_dot4_i32_iu8 v58, v245, v57, v56 neg_lo:[1,1,0]
	v_perm_b32 v56, v4, v25, 0x6050401
	v_perm_b32 v57, v29, v6, 0x6050401
	v_dot4_i32_iu8 v60, v231, v15, v60 neg_lo:[1,1,0]
	v_perm_b32 v4, v4, v6, 0x6050401
	s_delay_alu instid0(VALU_DEP_3) | instskip(SKIP_1) | instid1(VALU_DEP_2)
	v_dot4_i32_iu8 v56, v57, v56, 0 neg_lo:[1,1,0]
	v_perm_b32 v57, v27, v2, 0x6050401
	v_dot4_i32_iu8 v56, v51, v59, v56 neg_lo:[1,1,0]
	s_delay_alu instid0(VALU_DEP_1) | instskip(SKIP_1) | instid1(VALU_DEP_2)
	v_dot4_i32_iu8 v5, v236, v62, v56 neg_lo:[1,1,0]
	v_perm_b32 v56, v0, v23, 0x6050401
	v_dot4_i32_iu8 v5, v7, v26, v5 neg_lo:[1,1,0]
	s_delay_alu instid0(VALU_DEP_2) | instskip(NEXT) | instid1(VALU_DEP_2)
	v_dot4_i32_iu8 v56, v57, v56, 0 neg_lo:[1,1,0]
	v_mul_lo_u32 v5, v5, v225
	s_delay_alu instid0(VALU_DEP_2) | instskip(NEXT) | instid1(VALU_DEP_1)
	v_dot4_i32_iu8 v56, v237, v63, v56 neg_lo:[1,1,0]
	v_dot4_i32_iu8 v1, v238, v67, v56 neg_lo:[1,1,0]
	s_delay_alu instid0(VALU_DEP_1) | instskip(NEXT) | instid1(VALU_DEP_1)
	v_dot4_i32_iu8 v1, v3, v24, v1 neg_lo:[1,1,0]
	v_mad_co_u64_u32 v[56:57], null, v1, v226, v[5:6]
	s_delay_alu instid0(VALU_DEP_1) | instskip(SKIP_1) | instid1(VALU_DEP_1)
	v_cvt_f32_i32_e32 v1, v56
	s_wait_dscnt 0x0
	v_fma_f32 v5, v30, v1, 0
	v_mul_lo_u32 v1, v60, v228
	s_delay_alu instid0(VALU_DEP_1) | instskip(SKIP_1) | instid1(VALU_DEP_1)
	v_mad_co_u64_u32 v[56:57], null, v58, v227, v[1:2]
	v_perm_b32 v2, v0, v2, 0x6050401
	v_dot4_i32_iu8 v0, v2, v49, 0 neg_lo:[1,1,0]
	s_delay_alu instid0(VALU_DEP_3) | instskip(NEXT) | instid1(VALU_DEP_2)
	v_cvt_f32_i32_e32 v1, v56
	v_dot4_i32_iu8 v0, v63, v218, v0 neg_lo:[1,1,0]
	s_delay_alu instid0(VALU_DEP_2) | instskip(NEXT) | instid1(VALU_DEP_2)
	v_fmac_f32_e32 v5, v31, v1
	v_dot4_i32_iu8 v0, v67, v219, v0 neg_lo:[1,1,0]
	s_delay_alu instid0(VALU_DEP_2)
	v_fmac_f32_e32 v153, v194, v5
	v_perm_b32 v5, v12, v14, 0x6040501
	v_perm_b32 v14, v8, v10, 0x6040501
	;; [unrolled: 1-line block ×4, first 2 shown]
	v_dot4_i32_iu8 v0, v3, v36, v0 neg_lo:[1,1,0]
	v_dot4_i32_iu8 v1, v5, v239, 0 neg_lo:[1,1,0]
	s_delay_alu instid0(VALU_DEP_1) | instskip(NEXT) | instid1(VALU_DEP_1)
	v_dot4_i32_iu8 v1, v61, v64, v1 neg_lo:[1,1,0]
	v_dot4_i32_iu8 v1, v13, v229, v1 neg_lo:[1,1,0]
	s_delay_alu instid0(VALU_DEP_1) | instskip(SKIP_1) | instid1(VALU_DEP_1)
	v_dot4_i32_iu8 v12, v15, v48, v1 neg_lo:[1,1,0]
	v_dot4_i32_iu8 v1, v14, v65, 0 neg_lo:[1,1,0]
	;; [unrolled: 1-line block ×3, first 2 shown]
	s_delay_alu instid0(VALU_DEP_1) | instskip(NEXT) | instid1(VALU_DEP_1)
	v_dot4_i32_iu8 v1, v9, v230, v1 neg_lo:[1,1,0]
	v_dot4_i32_iu8 v10, v11, v50, v1 neg_lo:[1,1,0]
	;; [unrolled: 1-line block ×3, first 2 shown]
	s_delay_alu instid0(VALU_DEP_1) | instskip(NEXT) | instid1(VALU_DEP_1)
	v_dot4_i32_iu8 v1, v59, v215, v1 neg_lo:[1,1,0]
	v_dot4_i32_iu8 v1, v62, v216, v1 neg_lo:[1,1,0]
	s_delay_alu instid0(VALU_DEP_1) | instskip(NEXT) | instid1(VALU_DEP_1)
	v_dot4_i32_iu8 v1, v7, v38, v1 neg_lo:[1,1,0]
	v_mul_lo_u32 v1, v1, v217
	s_delay_alu instid0(VALU_DEP_1) | instskip(NEXT) | instid1(VALU_DEP_1)
	v_mad_co_u64_u32 v[0:1], null, v0, v220, v[1:2]
	v_cvt_f32_i32_e32 v0, v0
	s_delay_alu instid0(VALU_DEP_1) | instskip(SKIP_1) | instid1(VALU_DEP_1)
	v_fma_f32 v6, v30, v0, 0
	v_mul_lo_u32 v0, v12, v222
	v_mad_co_u64_u32 v[0:1], null, v10, v221, v[0:1]
	v_dot4_i32_iu8 v1, v2, v33, 0 neg_lo:[1,1,0]
	s_delay_alu instid0(VALU_DEP_1) | instskip(NEXT) | instid1(VALU_DEP_3)
	v_dot4_i32_iu8 v1, v63, v208, v1 neg_lo:[1,1,0]
	v_cvt_f32_i32_e32 v0, v0
	s_delay_alu instid0(VALU_DEP_2) | instskip(NEXT) | instid1(VALU_DEP_2)
	v_dot4_i32_iu8 v1, v67, v209, v1 neg_lo:[1,1,0]
	v_fmac_f32_e32 v6, v31, v0
	v_dot4_i32_iu8 v0, v5, v43, 0 neg_lo:[1,1,0]
	s_delay_alu instid0(VALU_DEP_3) | instskip(NEXT) | instid1(VALU_DEP_3)
	v_dot4_i32_iu8 v1, v3, v32, v1 neg_lo:[1,1,0]
	v_fmac_f32_e32 v167, v195, v6
	s_delay_alu instid0(VALU_DEP_3) | instskip(NEXT) | instid1(VALU_DEP_1)
	v_dot4_i32_iu8 v0, v61, v53, v0 neg_lo:[1,1,0]
	v_dot4_i32_iu8 v0, v13, v223, v0 neg_lo:[1,1,0]
	s_delay_alu instid0(VALU_DEP_1) | instskip(SKIP_1) | instid1(VALU_DEP_1)
	v_dot4_i32_iu8 v6, v15, v44, v0 neg_lo:[1,1,0]
	v_dot4_i32_iu8 v0, v14, v45, 0 neg_lo:[1,1,0]
	;; [unrolled: 1-line block ×3, first 2 shown]
	s_delay_alu instid0(VALU_DEP_1) | instskip(NEXT) | instid1(VALU_DEP_1)
	v_dot4_i32_iu8 v0, v9, v224, v0 neg_lo:[1,1,0]
	v_dot4_i32_iu8 v10, v11, v46, v0 neg_lo:[1,1,0]
	;; [unrolled: 1-line block ×3, first 2 shown]
	s_delay_alu instid0(VALU_DEP_1) | instskip(NEXT) | instid1(VALU_DEP_1)
	v_dot4_i32_iu8 v0, v59, v205, v0 neg_lo:[1,1,0]
	v_dot4_i32_iu8 v0, v62, v206, v0 neg_lo:[1,1,0]
	s_delay_alu instid0(VALU_DEP_1) | instskip(NEXT) | instid1(VALU_DEP_1)
	v_dot4_i32_iu8 v0, v7, v34, v0 neg_lo:[1,1,0]
	v_mul_lo_u32 v0, v0, v207
	s_delay_alu instid0(VALU_DEP_1) | instskip(NEXT) | instid1(VALU_DEP_1)
	v_mad_co_u64_u32 v[0:1], null, v1, v210, v[0:1]
	v_cvt_f32_i32_e32 v0, v0
	s_delay_alu instid0(VALU_DEP_1) | instskip(SKIP_1) | instid1(VALU_DEP_1)
	v_fma_f32 v12, v30, v0, 0
	v_mul_lo_u32 v0, v6, v212
	v_mad_co_u64_u32 v[0:1], null, v10, v211, v[0:1]
	v_dot4_i32_iu8 v1, v2, v19, 0 neg_lo:[1,1,0]
	s_delay_alu instid0(VALU_DEP_1) | instskip(NEXT) | instid1(VALU_DEP_3)
	v_dot4_i32_iu8 v1, v63, v201, v1 neg_lo:[1,1,0]
	v_cvt_f32_i32_e32 v0, v0
	s_delay_alu instid0(VALU_DEP_2) | instskip(NEXT) | instid1(VALU_DEP_2)
	v_dot4_i32_iu8 v1, v67, v200, v1 neg_lo:[1,1,0]
	v_fmac_f32_e32 v12, v31, v0
	v_dot4_i32_iu8 v0, v5, v35, 0 neg_lo:[1,1,0]
	s_delay_alu instid0(VALU_DEP_3) | instskip(NEXT) | instid1(VALU_DEP_3)
	v_dot4_i32_iu8 v1, v3, v20, v1 neg_lo:[1,1,0]
	v_fmac_f32_e32 v177, v196, v12
	s_delay_alu instid0(VALU_DEP_3) | instskip(NEXT) | instid1(VALU_DEP_1)
	v_dot4_i32_iu8 v0, v61, v37, v0 neg_lo:[1,1,0]
	v_dot4_i32_iu8 v0, v13, v213, v0 neg_lo:[1,1,0]
	s_delay_alu instid0(VALU_DEP_1) | instskip(SKIP_1) | instid1(VALU_DEP_1)
	v_dot4_i32_iu8 v5, v15, v40, v0 neg_lo:[1,1,0]
	v_dot4_i32_iu8 v0, v14, v39, 0 neg_lo:[1,1,0]
	v_dot4_i32_iu8 v0, v8, v41, v0 neg_lo:[1,1,0]
	s_delay_alu instid0(VALU_DEP_1) | instskip(NEXT) | instid1(VALU_DEP_1)
	v_dot4_i32_iu8 v0, v9, v214, v0 neg_lo:[1,1,0]
	v_dot4_i32_iu8 v6, v11, v42, v0 neg_lo:[1,1,0]
	;; [unrolled: 1-line block ×3, first 2 shown]
	s_delay_alu instid0(VALU_DEP_1) | instskip(NEXT) | instid1(VALU_DEP_1)
	v_dot4_i32_iu8 v0, v59, v204, v0 neg_lo:[1,1,0]
	v_dot4_i32_iu8 v0, v62, v203, v0 neg_lo:[1,1,0]
	s_delay_alu instid0(VALU_DEP_1) | instskip(NEXT) | instid1(VALU_DEP_1)
	v_dot4_i32_iu8 v0, v7, v22, v0 neg_lo:[1,1,0]
	v_mul_lo_u32 v0, v0, v202
	s_delay_alu instid0(VALU_DEP_1) | instskip(NEXT) | instid1(VALU_DEP_1)
	v_mad_co_u64_u32 v[0:1], null, v1, v199, v[0:1]
	v_cvt_f32_i32_e32 v0, v0
	s_delay_alu instid0(VALU_DEP_1) | instskip(SKIP_1) | instid1(VALU_DEP_1)
	v_fma_f32 v2, v30, v0, 0
	v_mul_lo_u32 v0, v5, v198
	v_mad_co_u64_u32 v[0:1], null, v6, v54, v[0:1]
	s_delay_alu instid0(VALU_DEP_1) | instskip(NEXT) | instid1(VALU_DEP_1)
	v_cvt_f32_i32_e32 v0, v0
	v_fmac_f32_e32 v2, v31, v0
	v_or_b32_e32 v0, s13, v130
	s_delay_alu instid0(VALU_DEP_1)
	v_dual_fmac_f32 v183, v197, v2 :: v_dual_lshlrev_b32 v12, 2, v0
	v_lshrrev_b32_e32 v30, 1, v0
	ds_load_b128 v[0:3], v12 offset:33280
	ds_load_b128 v[4:7], v12 offset:33296
	;; [unrolled: 1-line block ×4, first 2 shown]
	ds_load_b64 v[30:31], v30 offset:43584
	s_wait_dscnt 0x4
	v_perm_b32 v63, v1, v0, 0x6040503
	s_wait_dscnt 0x3
	v_perm_b32 v62, v6, v5, 0x7060403
	s_wait_dscnt 0x2
	v_bfe_i32 v56, v10, 8, 8
	v_bfe_i32 v57, v8, 8, 8
	;; [unrolled: 1-line block ×3, first 2 shown]
	v_ashrrev_i32_e32 v59, 24, v10
	s_wait_dscnt 0x1
	v_perm_b32 v61, v14, v14, 0xc0c0c01
	v_mul_i32_i24_e32 v56, v56, v232
	v_perm_b32 v67, v2, v1, 0x7060403
	v_mul_i32_i24_e32 v58, v234, v58
	v_mul_i32_i24_e32 v59, v233, v59
	v_perm_b32 v60, v12, v52, 0x6040503
	v_mad_i32_i24 v56, v235, v57, v56
	v_perm_b32 v57, v9, v8, 0x5030200
	v_or_b32_e32 v61, v240, v61
	s_delay_alu instid0(VALU_DEP_2) | instskip(SKIP_1) | instid1(VALU_DEP_3)
	v_dot4_i32_iu8 v56, v243, v57, v56 neg_lo:[1,1,0]
	v_perm_b32 v57, v10, v9, 0x4030200
	v_dot4_i32_iu8 v60, v61, v60, 0 neg_lo:[1,1,0]
	v_perm_b32 v61, v13, v12, 0x6040503
	v_perm_b32 v13, v14, v13, 0x7060403
	s_delay_alu instid0(VALU_DEP_4) | instskip(SKIP_1) | instid1(VALU_DEP_4)
	v_dot4_i32_iu8 v56, v244, v57, v56 neg_lo:[1,1,0]
	v_perm_b32 v57, v11, v11, 0x3020001
	v_dot4_i32_iu8 v60, v61, v241, v60 neg_lo:[1,1,0]
	s_delay_alu instid0(VALU_DEP_3) | instskip(SKIP_1) | instid1(VALU_DEP_3)
	v_add3_u32 v56, v56, v58, v59
	v_perm_b32 v59, v5, v4, 0x6040503
	v_dot4_i32_iu8 v60, v242, v13, v60 neg_lo:[1,1,0]
	s_delay_alu instid0(VALU_DEP_3) | instskip(SKIP_2) | instid1(VALU_DEP_4)
	v_dot4_i32_iu8 v58, v245, v57, v56 neg_lo:[1,1,0]
	v_perm_b32 v56, v4, v25, 0x6050401
	v_perm_b32 v57, v29, v6, 0x6050401
	v_dot4_i32_iu8 v60, v231, v15, v60 neg_lo:[1,1,0]
	v_perm_b32 v4, v4, v6, 0x6050401
	s_delay_alu instid0(VALU_DEP_3) | instskip(SKIP_1) | instid1(VALU_DEP_2)
	v_dot4_i32_iu8 v56, v57, v56, 0 neg_lo:[1,1,0]
	v_perm_b32 v57, v27, v2, 0x6050401
	v_dot4_i32_iu8 v56, v51, v59, v56 neg_lo:[1,1,0]
	s_delay_alu instid0(VALU_DEP_1) | instskip(SKIP_1) | instid1(VALU_DEP_2)
	v_dot4_i32_iu8 v5, v236, v62, v56 neg_lo:[1,1,0]
	v_perm_b32 v56, v0, v23, 0x6050401
	v_dot4_i32_iu8 v5, v7, v26, v5 neg_lo:[1,1,0]
	s_delay_alu instid0(VALU_DEP_2) | instskip(NEXT) | instid1(VALU_DEP_2)
	v_dot4_i32_iu8 v56, v57, v56, 0 neg_lo:[1,1,0]
	v_mul_lo_u32 v5, v5, v225
	s_delay_alu instid0(VALU_DEP_2) | instskip(NEXT) | instid1(VALU_DEP_1)
	v_dot4_i32_iu8 v56, v237, v63, v56 neg_lo:[1,1,0]
	v_dot4_i32_iu8 v1, v238, v67, v56 neg_lo:[1,1,0]
	s_delay_alu instid0(VALU_DEP_1) | instskip(NEXT) | instid1(VALU_DEP_1)
	v_dot4_i32_iu8 v1, v3, v24, v1 neg_lo:[1,1,0]
	v_mad_co_u64_u32 v[56:57], null, v1, v226, v[5:6]
	s_delay_alu instid0(VALU_DEP_1) | instskip(SKIP_1) | instid1(VALU_DEP_1)
	v_cvt_f32_i32_e32 v1, v56
	s_wait_dscnt 0x0
	v_fma_f32 v5, v30, v1, 0
	v_mul_lo_u32 v1, v60, v228
	s_delay_alu instid0(VALU_DEP_1) | instskip(SKIP_1) | instid1(VALU_DEP_1)
	v_mad_co_u64_u32 v[56:57], null, v58, v227, v[1:2]
	v_perm_b32 v2, v0, v2, 0x6050401
	v_dot4_i32_iu8 v0, v2, v49, 0 neg_lo:[1,1,0]
	s_delay_alu instid0(VALU_DEP_3) | instskip(NEXT) | instid1(VALU_DEP_2)
	v_cvt_f32_i32_e32 v1, v56
	v_dot4_i32_iu8 v0, v63, v218, v0 neg_lo:[1,1,0]
	s_delay_alu instid0(VALU_DEP_2) | instskip(NEXT) | instid1(VALU_DEP_2)
	v_fmac_f32_e32 v5, v31, v1
	v_dot4_i32_iu8 v0, v67, v219, v0 neg_lo:[1,1,0]
	s_delay_alu instid0(VALU_DEP_2)
	v_fmac_f32_e32 v148, v194, v5
	v_perm_b32 v5, v12, v14, 0x6040501
	v_perm_b32 v14, v8, v10, 0x6040501
	;; [unrolled: 1-line block ×4, first 2 shown]
	v_dot4_i32_iu8 v0, v3, v36, v0 neg_lo:[1,1,0]
	v_dot4_i32_iu8 v1, v5, v239, 0 neg_lo:[1,1,0]
	s_delay_alu instid0(VALU_DEP_1) | instskip(NEXT) | instid1(VALU_DEP_1)
	v_dot4_i32_iu8 v1, v61, v64, v1 neg_lo:[1,1,0]
	v_dot4_i32_iu8 v1, v13, v229, v1 neg_lo:[1,1,0]
	s_delay_alu instid0(VALU_DEP_1) | instskip(SKIP_1) | instid1(VALU_DEP_1)
	v_dot4_i32_iu8 v12, v15, v48, v1 neg_lo:[1,1,0]
	v_dot4_i32_iu8 v1, v14, v65, 0 neg_lo:[1,1,0]
	;; [unrolled: 1-line block ×3, first 2 shown]
	s_delay_alu instid0(VALU_DEP_1) | instskip(NEXT) | instid1(VALU_DEP_1)
	v_dot4_i32_iu8 v1, v9, v230, v1 neg_lo:[1,1,0]
	v_dot4_i32_iu8 v10, v11, v50, v1 neg_lo:[1,1,0]
	;; [unrolled: 1-line block ×3, first 2 shown]
	s_delay_alu instid0(VALU_DEP_1) | instskip(NEXT) | instid1(VALU_DEP_1)
	v_dot4_i32_iu8 v1, v59, v215, v1 neg_lo:[1,1,0]
	v_dot4_i32_iu8 v1, v62, v216, v1 neg_lo:[1,1,0]
	s_delay_alu instid0(VALU_DEP_1) | instskip(NEXT) | instid1(VALU_DEP_1)
	v_dot4_i32_iu8 v1, v7, v38, v1 neg_lo:[1,1,0]
	v_mul_lo_u32 v1, v1, v217
	s_delay_alu instid0(VALU_DEP_1) | instskip(NEXT) | instid1(VALU_DEP_1)
	v_mad_co_u64_u32 v[0:1], null, v0, v220, v[1:2]
	v_cvt_f32_i32_e32 v0, v0
	s_delay_alu instid0(VALU_DEP_1) | instskip(SKIP_1) | instid1(VALU_DEP_1)
	v_fma_f32 v6, v30, v0, 0
	v_mul_lo_u32 v0, v12, v222
	v_mad_co_u64_u32 v[0:1], null, v10, v221, v[0:1]
	v_dot4_i32_iu8 v1, v2, v33, 0 neg_lo:[1,1,0]
	s_delay_alu instid0(VALU_DEP_1) | instskip(NEXT) | instid1(VALU_DEP_3)
	v_dot4_i32_iu8 v1, v63, v208, v1 neg_lo:[1,1,0]
	v_cvt_f32_i32_e32 v0, v0
	s_delay_alu instid0(VALU_DEP_2) | instskip(NEXT) | instid1(VALU_DEP_2)
	v_dot4_i32_iu8 v1, v67, v209, v1 neg_lo:[1,1,0]
	v_fmac_f32_e32 v6, v31, v0
	v_dot4_i32_iu8 v0, v5, v43, 0 neg_lo:[1,1,0]
	s_delay_alu instid0(VALU_DEP_3) | instskip(NEXT) | instid1(VALU_DEP_3)
	v_dot4_i32_iu8 v1, v3, v32, v1 neg_lo:[1,1,0]
	v_fmac_f32_e32 v161, v195, v6
	s_delay_alu instid0(VALU_DEP_3) | instskip(NEXT) | instid1(VALU_DEP_1)
	v_dot4_i32_iu8 v0, v61, v53, v0 neg_lo:[1,1,0]
	v_dot4_i32_iu8 v0, v13, v223, v0 neg_lo:[1,1,0]
	s_delay_alu instid0(VALU_DEP_1) | instskip(SKIP_1) | instid1(VALU_DEP_1)
	v_dot4_i32_iu8 v6, v15, v44, v0 neg_lo:[1,1,0]
	v_dot4_i32_iu8 v0, v14, v45, 0 neg_lo:[1,1,0]
	;; [unrolled: 1-line block ×3, first 2 shown]
	s_delay_alu instid0(VALU_DEP_1) | instskip(NEXT) | instid1(VALU_DEP_1)
	v_dot4_i32_iu8 v0, v9, v224, v0 neg_lo:[1,1,0]
	v_dot4_i32_iu8 v10, v11, v46, v0 neg_lo:[1,1,0]
	;; [unrolled: 1-line block ×3, first 2 shown]
	s_delay_alu instid0(VALU_DEP_1) | instskip(NEXT) | instid1(VALU_DEP_1)
	v_dot4_i32_iu8 v0, v59, v205, v0 neg_lo:[1,1,0]
	v_dot4_i32_iu8 v0, v62, v206, v0 neg_lo:[1,1,0]
	s_delay_alu instid0(VALU_DEP_1) | instskip(NEXT) | instid1(VALU_DEP_1)
	v_dot4_i32_iu8 v0, v7, v34, v0 neg_lo:[1,1,0]
	v_mul_lo_u32 v0, v0, v207
	s_delay_alu instid0(VALU_DEP_1) | instskip(NEXT) | instid1(VALU_DEP_1)
	v_mad_co_u64_u32 v[0:1], null, v1, v210, v[0:1]
	v_cvt_f32_i32_e32 v0, v0
	s_delay_alu instid0(VALU_DEP_1) | instskip(SKIP_1) | instid1(VALU_DEP_1)
	v_fma_f32 v12, v30, v0, 0
	v_mul_lo_u32 v0, v6, v212
	v_mad_co_u64_u32 v[0:1], null, v10, v211, v[0:1]
	v_dot4_i32_iu8 v1, v2, v19, 0 neg_lo:[1,1,0]
	s_delay_alu instid0(VALU_DEP_1) | instskip(NEXT) | instid1(VALU_DEP_3)
	v_dot4_i32_iu8 v1, v63, v201, v1 neg_lo:[1,1,0]
	v_cvt_f32_i32_e32 v0, v0
	s_delay_alu instid0(VALU_DEP_2) | instskip(NEXT) | instid1(VALU_DEP_2)
	v_dot4_i32_iu8 v1, v67, v200, v1 neg_lo:[1,1,0]
	v_fmac_f32_e32 v12, v31, v0
	v_dot4_i32_iu8 v0, v5, v35, 0 neg_lo:[1,1,0]
	s_delay_alu instid0(VALU_DEP_3) | instskip(NEXT) | instid1(VALU_DEP_3)
	v_dot4_i32_iu8 v1, v3, v20, v1 neg_lo:[1,1,0]
	v_fmac_f32_e32 v174, v196, v12
	s_delay_alu instid0(VALU_DEP_3) | instskip(NEXT) | instid1(VALU_DEP_1)
	v_dot4_i32_iu8 v0, v61, v37, v0 neg_lo:[1,1,0]
	v_dot4_i32_iu8 v0, v13, v213, v0 neg_lo:[1,1,0]
	s_delay_alu instid0(VALU_DEP_1) | instskip(SKIP_1) | instid1(VALU_DEP_1)
	v_dot4_i32_iu8 v5, v15, v40, v0 neg_lo:[1,1,0]
	v_dot4_i32_iu8 v0, v14, v39, 0 neg_lo:[1,1,0]
	v_dot4_i32_iu8 v0, v8, v41, v0 neg_lo:[1,1,0]
	s_delay_alu instid0(VALU_DEP_1) | instskip(NEXT) | instid1(VALU_DEP_1)
	v_dot4_i32_iu8 v0, v9, v214, v0 neg_lo:[1,1,0]
	v_dot4_i32_iu8 v6, v11, v42, v0 neg_lo:[1,1,0]
	;; [unrolled: 1-line block ×3, first 2 shown]
	s_delay_alu instid0(VALU_DEP_1) | instskip(NEXT) | instid1(VALU_DEP_1)
	v_dot4_i32_iu8 v0, v59, v204, v0 neg_lo:[1,1,0]
	v_dot4_i32_iu8 v0, v62, v203, v0 neg_lo:[1,1,0]
	s_delay_alu instid0(VALU_DEP_1) | instskip(NEXT) | instid1(VALU_DEP_1)
	v_dot4_i32_iu8 v0, v7, v22, v0 neg_lo:[1,1,0]
	v_mul_lo_u32 v0, v0, v202
	s_delay_alu instid0(VALU_DEP_1) | instskip(NEXT) | instid1(VALU_DEP_1)
	v_mad_co_u64_u32 v[0:1], null, v1, v199, v[0:1]
	v_cvt_f32_i32_e32 v0, v0
	s_delay_alu instid0(VALU_DEP_1) | instskip(SKIP_1) | instid1(VALU_DEP_1)
	v_fma_f32 v2, v30, v0, 0
	v_mul_lo_u32 v0, v5, v198
	v_mad_co_u64_u32 v[0:1], null, v6, v54, v[0:1]
	s_delay_alu instid0(VALU_DEP_1) | instskip(NEXT) | instid1(VALU_DEP_1)
	v_cvt_f32_i32_e32 v0, v0
	v_fmac_f32_e32 v2, v31, v0
	v_or_b32_e32 v0, s13, v131
	s_delay_alu instid0(VALU_DEP_1)
	v_dual_fmac_f32 v181, v197, v2 :: v_dual_lshlrev_b32 v12, 2, v0
	v_lshrrev_b32_e32 v30, 1, v0
	ds_load_b128 v[0:3], v12 offset:33280
	ds_load_b128 v[4:7], v12 offset:33296
	;; [unrolled: 1-line block ×4, first 2 shown]
	ds_load_b64 v[30:31], v30 offset:43584
	s_wait_dscnt 0x4
	v_perm_b32 v63, v1, v0, 0x6040503
	s_wait_dscnt 0x3
	v_perm_b32 v62, v6, v5, 0x7060403
	s_wait_dscnt 0x2
	v_bfe_i32 v56, v10, 8, 8
	v_bfe_i32 v57, v8, 8, 8
	v_bfe_i32 v58, v10, 16, 8
	v_ashrrev_i32_e32 v59, 24, v10
	s_wait_dscnt 0x1
	v_perm_b32 v61, v14, v14, 0xc0c0c01
	v_mul_i32_i24_e32 v56, v56, v232
	v_perm_b32 v67, v2, v1, 0x7060403
	v_mul_i32_i24_e32 v58, v234, v58
	v_mul_i32_i24_e32 v59, v233, v59
	v_perm_b32 v60, v12, v52, 0x6040503
	v_mad_i32_i24 v56, v235, v57, v56
	v_perm_b32 v57, v9, v8, 0x5030200
	v_or_b32_e32 v61, v240, v61
	s_delay_alu instid0(VALU_DEP_2) | instskip(SKIP_1) | instid1(VALU_DEP_3)
	v_dot4_i32_iu8 v56, v243, v57, v56 neg_lo:[1,1,0]
	v_perm_b32 v57, v10, v9, 0x4030200
	v_dot4_i32_iu8 v60, v61, v60, 0 neg_lo:[1,1,0]
	v_perm_b32 v61, v13, v12, 0x6040503
	v_perm_b32 v13, v14, v13, 0x7060403
	s_delay_alu instid0(VALU_DEP_4) | instskip(SKIP_1) | instid1(VALU_DEP_4)
	v_dot4_i32_iu8 v56, v244, v57, v56 neg_lo:[1,1,0]
	v_perm_b32 v57, v11, v11, 0x3020001
	v_dot4_i32_iu8 v60, v61, v241, v60 neg_lo:[1,1,0]
	s_delay_alu instid0(VALU_DEP_3) | instskip(SKIP_1) | instid1(VALU_DEP_3)
	v_add3_u32 v56, v56, v58, v59
	v_perm_b32 v59, v5, v4, 0x6040503
	v_dot4_i32_iu8 v60, v242, v13, v60 neg_lo:[1,1,0]
	s_delay_alu instid0(VALU_DEP_3) | instskip(SKIP_2) | instid1(VALU_DEP_4)
	v_dot4_i32_iu8 v58, v245, v57, v56 neg_lo:[1,1,0]
	v_perm_b32 v56, v4, v25, 0x6050401
	v_perm_b32 v57, v29, v6, 0x6050401
	v_dot4_i32_iu8 v60, v231, v15, v60 neg_lo:[1,1,0]
	v_perm_b32 v4, v4, v6, 0x6050401
	s_delay_alu instid0(VALU_DEP_3) | instskip(SKIP_1) | instid1(VALU_DEP_2)
	v_dot4_i32_iu8 v56, v57, v56, 0 neg_lo:[1,1,0]
	v_perm_b32 v57, v27, v2, 0x6050401
	v_dot4_i32_iu8 v56, v51, v59, v56 neg_lo:[1,1,0]
	s_delay_alu instid0(VALU_DEP_1) | instskip(SKIP_1) | instid1(VALU_DEP_2)
	v_dot4_i32_iu8 v5, v236, v62, v56 neg_lo:[1,1,0]
	v_perm_b32 v56, v0, v23, 0x6050401
	v_dot4_i32_iu8 v5, v7, v26, v5 neg_lo:[1,1,0]
	s_delay_alu instid0(VALU_DEP_2) | instskip(NEXT) | instid1(VALU_DEP_2)
	v_dot4_i32_iu8 v56, v57, v56, 0 neg_lo:[1,1,0]
	v_mul_lo_u32 v5, v5, v225
	s_delay_alu instid0(VALU_DEP_2) | instskip(NEXT) | instid1(VALU_DEP_1)
	v_dot4_i32_iu8 v56, v237, v63, v56 neg_lo:[1,1,0]
	v_dot4_i32_iu8 v1, v238, v67, v56 neg_lo:[1,1,0]
	s_delay_alu instid0(VALU_DEP_1) | instskip(NEXT) | instid1(VALU_DEP_1)
	v_dot4_i32_iu8 v1, v3, v24, v1 neg_lo:[1,1,0]
	v_mad_co_u64_u32 v[56:57], null, v1, v226, v[5:6]
	s_delay_alu instid0(VALU_DEP_1) | instskip(SKIP_1) | instid1(VALU_DEP_1)
	v_cvt_f32_i32_e32 v1, v56
	s_wait_dscnt 0x0
	v_fma_f32 v5, v30, v1, 0
	v_mul_lo_u32 v1, v60, v228
	s_delay_alu instid0(VALU_DEP_1) | instskip(SKIP_1) | instid1(VALU_DEP_1)
	v_mad_co_u64_u32 v[56:57], null, v58, v227, v[1:2]
	v_perm_b32 v2, v0, v2, 0x6050401
	v_dot4_i32_iu8 v0, v2, v49, 0 neg_lo:[1,1,0]
	s_delay_alu instid0(VALU_DEP_3) | instskip(NEXT) | instid1(VALU_DEP_2)
	v_cvt_f32_i32_e32 v1, v56
	v_dot4_i32_iu8 v0, v63, v218, v0 neg_lo:[1,1,0]
	s_delay_alu instid0(VALU_DEP_2) | instskip(NEXT) | instid1(VALU_DEP_2)
	v_fmac_f32_e32 v5, v31, v1
	v_dot4_i32_iu8 v0, v67, v219, v0 neg_lo:[1,1,0]
	s_delay_alu instid0(VALU_DEP_2)
	v_fmac_f32_e32 v143, v194, v5
	v_perm_b32 v5, v12, v14, 0x6040501
	v_perm_b32 v14, v8, v10, 0x6040501
	;; [unrolled: 1-line block ×4, first 2 shown]
	v_dot4_i32_iu8 v0, v3, v36, v0 neg_lo:[1,1,0]
	v_dot4_i32_iu8 v1, v5, v239, 0 neg_lo:[1,1,0]
	s_delay_alu instid0(VALU_DEP_1) | instskip(NEXT) | instid1(VALU_DEP_1)
	v_dot4_i32_iu8 v1, v61, v64, v1 neg_lo:[1,1,0]
	v_dot4_i32_iu8 v1, v13, v229, v1 neg_lo:[1,1,0]
	s_delay_alu instid0(VALU_DEP_1) | instskip(SKIP_1) | instid1(VALU_DEP_1)
	v_dot4_i32_iu8 v12, v15, v48, v1 neg_lo:[1,1,0]
	v_dot4_i32_iu8 v1, v14, v65, 0 neg_lo:[1,1,0]
	;; [unrolled: 1-line block ×3, first 2 shown]
	s_delay_alu instid0(VALU_DEP_1) | instskip(NEXT) | instid1(VALU_DEP_1)
	v_dot4_i32_iu8 v1, v9, v230, v1 neg_lo:[1,1,0]
	v_dot4_i32_iu8 v10, v11, v50, v1 neg_lo:[1,1,0]
	;; [unrolled: 1-line block ×3, first 2 shown]
	s_delay_alu instid0(VALU_DEP_1) | instskip(NEXT) | instid1(VALU_DEP_1)
	v_dot4_i32_iu8 v1, v59, v215, v1 neg_lo:[1,1,0]
	v_dot4_i32_iu8 v1, v62, v216, v1 neg_lo:[1,1,0]
	s_delay_alu instid0(VALU_DEP_1) | instskip(NEXT) | instid1(VALU_DEP_1)
	v_dot4_i32_iu8 v1, v7, v38, v1 neg_lo:[1,1,0]
	v_mul_lo_u32 v1, v1, v217
	s_delay_alu instid0(VALU_DEP_1) | instskip(NEXT) | instid1(VALU_DEP_1)
	v_mad_co_u64_u32 v[0:1], null, v0, v220, v[1:2]
	v_cvt_f32_i32_e32 v0, v0
	s_delay_alu instid0(VALU_DEP_1) | instskip(SKIP_1) | instid1(VALU_DEP_1)
	v_fma_f32 v6, v30, v0, 0
	v_mul_lo_u32 v0, v12, v222
	v_mad_co_u64_u32 v[0:1], null, v10, v221, v[0:1]
	v_dot4_i32_iu8 v1, v2, v33, 0 neg_lo:[1,1,0]
	s_delay_alu instid0(VALU_DEP_1) | instskip(NEXT) | instid1(VALU_DEP_3)
	v_dot4_i32_iu8 v1, v63, v208, v1 neg_lo:[1,1,0]
	v_cvt_f32_i32_e32 v0, v0
	s_delay_alu instid0(VALU_DEP_2) | instskip(NEXT) | instid1(VALU_DEP_2)
	v_dot4_i32_iu8 v1, v67, v209, v1 neg_lo:[1,1,0]
	v_fmac_f32_e32 v6, v31, v0
	v_dot4_i32_iu8 v0, v5, v43, 0 neg_lo:[1,1,0]
	s_delay_alu instid0(VALU_DEP_3) | instskip(NEXT) | instid1(VALU_DEP_3)
	v_dot4_i32_iu8 v1, v3, v32, v1 neg_lo:[1,1,0]
	v_fmac_f32_e32 v155, v195, v6
	s_delay_alu instid0(VALU_DEP_3) | instskip(NEXT) | instid1(VALU_DEP_1)
	v_dot4_i32_iu8 v0, v61, v53, v0 neg_lo:[1,1,0]
	v_dot4_i32_iu8 v0, v13, v223, v0 neg_lo:[1,1,0]
	s_delay_alu instid0(VALU_DEP_1) | instskip(SKIP_1) | instid1(VALU_DEP_1)
	v_dot4_i32_iu8 v6, v15, v44, v0 neg_lo:[1,1,0]
	v_dot4_i32_iu8 v0, v14, v45, 0 neg_lo:[1,1,0]
	;; [unrolled: 1-line block ×3, first 2 shown]
	s_delay_alu instid0(VALU_DEP_1) | instskip(NEXT) | instid1(VALU_DEP_1)
	v_dot4_i32_iu8 v0, v9, v224, v0 neg_lo:[1,1,0]
	v_dot4_i32_iu8 v10, v11, v46, v0 neg_lo:[1,1,0]
	;; [unrolled: 1-line block ×3, first 2 shown]
	s_delay_alu instid0(VALU_DEP_1) | instskip(NEXT) | instid1(VALU_DEP_1)
	v_dot4_i32_iu8 v0, v59, v205, v0 neg_lo:[1,1,0]
	v_dot4_i32_iu8 v0, v62, v206, v0 neg_lo:[1,1,0]
	s_delay_alu instid0(VALU_DEP_1) | instskip(NEXT) | instid1(VALU_DEP_1)
	v_dot4_i32_iu8 v0, v7, v34, v0 neg_lo:[1,1,0]
	v_mul_lo_u32 v0, v0, v207
	s_delay_alu instid0(VALU_DEP_1) | instskip(NEXT) | instid1(VALU_DEP_1)
	v_mad_co_u64_u32 v[0:1], null, v1, v210, v[0:1]
	v_cvt_f32_i32_e32 v0, v0
	s_delay_alu instid0(VALU_DEP_1) | instskip(SKIP_1) | instid1(VALU_DEP_1)
	v_fma_f32 v12, v30, v0, 0
	v_mul_lo_u32 v0, v6, v212
	v_mad_co_u64_u32 v[0:1], null, v10, v211, v[0:1]
	v_dot4_i32_iu8 v1, v2, v19, 0 neg_lo:[1,1,0]
	s_delay_alu instid0(VALU_DEP_1) | instskip(NEXT) | instid1(VALU_DEP_3)
	v_dot4_i32_iu8 v1, v63, v201, v1 neg_lo:[1,1,0]
	v_cvt_f32_i32_e32 v0, v0
	s_delay_alu instid0(VALU_DEP_2) | instskip(NEXT) | instid1(VALU_DEP_2)
	v_dot4_i32_iu8 v1, v67, v200, v1 neg_lo:[1,1,0]
	v_fmac_f32_e32 v12, v31, v0
	v_dot4_i32_iu8 v0, v5, v35, 0 neg_lo:[1,1,0]
	s_delay_alu instid0(VALU_DEP_3) | instskip(NEXT) | instid1(VALU_DEP_3)
	v_dot4_i32_iu8 v1, v3, v20, v1 neg_lo:[1,1,0]
	v_fmac_f32_e32 v169, v196, v12
	s_delay_alu instid0(VALU_DEP_3) | instskip(NEXT) | instid1(VALU_DEP_1)
	v_dot4_i32_iu8 v0, v61, v37, v0 neg_lo:[1,1,0]
	v_dot4_i32_iu8 v0, v13, v213, v0 neg_lo:[1,1,0]
	s_delay_alu instid0(VALU_DEP_1) | instskip(SKIP_1) | instid1(VALU_DEP_1)
	v_dot4_i32_iu8 v5, v15, v40, v0 neg_lo:[1,1,0]
	v_dot4_i32_iu8 v0, v14, v39, 0 neg_lo:[1,1,0]
	;; [unrolled: 1-line block ×3, first 2 shown]
	s_delay_alu instid0(VALU_DEP_1) | instskip(NEXT) | instid1(VALU_DEP_1)
	v_dot4_i32_iu8 v0, v9, v214, v0 neg_lo:[1,1,0]
	v_dot4_i32_iu8 v6, v11, v42, v0 neg_lo:[1,1,0]
	;; [unrolled: 1-line block ×3, first 2 shown]
	s_delay_alu instid0(VALU_DEP_1) | instskip(NEXT) | instid1(VALU_DEP_1)
	v_dot4_i32_iu8 v0, v59, v204, v0 neg_lo:[1,1,0]
	v_dot4_i32_iu8 v0, v62, v203, v0 neg_lo:[1,1,0]
	s_delay_alu instid0(VALU_DEP_1) | instskip(NEXT) | instid1(VALU_DEP_1)
	v_dot4_i32_iu8 v0, v7, v22, v0 neg_lo:[1,1,0]
	v_mul_lo_u32 v0, v0, v202
	s_delay_alu instid0(VALU_DEP_1) | instskip(NEXT) | instid1(VALU_DEP_1)
	v_mad_co_u64_u32 v[0:1], null, v1, v199, v[0:1]
	v_cvt_f32_i32_e32 v0, v0
	s_delay_alu instid0(VALU_DEP_1) | instskip(SKIP_1) | instid1(VALU_DEP_1)
	v_fma_f32 v2, v30, v0, 0
	v_mul_lo_u32 v0, v5, v198
	v_mad_co_u64_u32 v[0:1], null, v6, v54, v[0:1]
	s_delay_alu instid0(VALU_DEP_1) | instskip(NEXT) | instid1(VALU_DEP_1)
	v_cvt_f32_i32_e32 v0, v0
	v_fmac_f32_e32 v2, v31, v0
	v_or_b32_e32 v0, s13, v132
	s_delay_alu instid0(VALU_DEP_2) | instskip(NEXT) | instid1(VALU_DEP_2)
	v_fmac_f32_e32 v178, v197, v2
	v_lshlrev_b32_e32 v12, 2, v0
	v_lshrrev_b32_e32 v30, 1, v0
	ds_load_b128 v[0:3], v12 offset:33280
	ds_load_b128 v[4:7], v12 offset:33296
	;; [unrolled: 1-line block ×4, first 2 shown]
	ds_load_b64 v[30:31], v30 offset:43584
	s_wait_dscnt 0x4
	v_perm_b32 v63, v1, v0, 0x6040503
	s_wait_dscnt 0x3
	v_perm_b32 v62, v6, v5, 0x7060403
	s_wait_dscnt 0x2
	v_bfe_i32 v56, v10, 8, 8
	v_bfe_i32 v57, v8, 8, 8
	;; [unrolled: 1-line block ×3, first 2 shown]
	v_ashrrev_i32_e32 v59, 24, v10
	s_wait_dscnt 0x1
	v_perm_b32 v61, v14, v14, 0xc0c0c01
	v_mul_i32_i24_e32 v56, v56, v232
	v_perm_b32 v67, v2, v1, 0x7060403
	v_mul_i32_i24_e32 v58, v234, v58
	v_mul_i32_i24_e32 v59, v233, v59
	v_perm_b32 v60, v12, v52, 0x6040503
	v_mad_i32_i24 v56, v235, v57, v56
	v_perm_b32 v57, v9, v8, 0x5030200
	v_or_b32_e32 v61, v240, v61
	s_delay_alu instid0(VALU_DEP_2) | instskip(SKIP_1) | instid1(VALU_DEP_3)
	v_dot4_i32_iu8 v56, v243, v57, v56 neg_lo:[1,1,0]
	v_perm_b32 v57, v10, v9, 0x4030200
	v_dot4_i32_iu8 v60, v61, v60, 0 neg_lo:[1,1,0]
	v_perm_b32 v61, v13, v12, 0x6040503
	v_perm_b32 v13, v14, v13, 0x7060403
	s_delay_alu instid0(VALU_DEP_4) | instskip(SKIP_1) | instid1(VALU_DEP_4)
	v_dot4_i32_iu8 v56, v244, v57, v56 neg_lo:[1,1,0]
	v_perm_b32 v57, v11, v11, 0x3020001
	v_dot4_i32_iu8 v60, v61, v241, v60 neg_lo:[1,1,0]
	s_delay_alu instid0(VALU_DEP_3) | instskip(SKIP_1) | instid1(VALU_DEP_3)
	v_add3_u32 v56, v56, v58, v59
	v_perm_b32 v59, v5, v4, 0x6040503
	v_dot4_i32_iu8 v60, v242, v13, v60 neg_lo:[1,1,0]
	s_delay_alu instid0(VALU_DEP_3) | instskip(SKIP_2) | instid1(VALU_DEP_4)
	v_dot4_i32_iu8 v58, v245, v57, v56 neg_lo:[1,1,0]
	v_perm_b32 v56, v4, v25, 0x6050401
	v_perm_b32 v57, v29, v6, 0x6050401
	v_dot4_i32_iu8 v60, v231, v15, v60 neg_lo:[1,1,0]
	v_perm_b32 v4, v4, v6, 0x6050401
	s_delay_alu instid0(VALU_DEP_3) | instskip(SKIP_1) | instid1(VALU_DEP_2)
	v_dot4_i32_iu8 v56, v57, v56, 0 neg_lo:[1,1,0]
	v_perm_b32 v57, v27, v2, 0x6050401
	v_dot4_i32_iu8 v56, v51, v59, v56 neg_lo:[1,1,0]
	s_delay_alu instid0(VALU_DEP_1) | instskip(SKIP_1) | instid1(VALU_DEP_2)
	v_dot4_i32_iu8 v5, v236, v62, v56 neg_lo:[1,1,0]
	v_perm_b32 v56, v0, v23, 0x6050401
	v_dot4_i32_iu8 v5, v7, v26, v5 neg_lo:[1,1,0]
	s_delay_alu instid0(VALU_DEP_2) | instskip(NEXT) | instid1(VALU_DEP_2)
	v_dot4_i32_iu8 v56, v57, v56, 0 neg_lo:[1,1,0]
	v_mul_lo_u32 v5, v5, v225
	s_delay_alu instid0(VALU_DEP_2) | instskip(NEXT) | instid1(VALU_DEP_1)
	v_dot4_i32_iu8 v56, v237, v63, v56 neg_lo:[1,1,0]
	v_dot4_i32_iu8 v1, v238, v67, v56 neg_lo:[1,1,0]
	s_delay_alu instid0(VALU_DEP_1) | instskip(NEXT) | instid1(VALU_DEP_1)
	v_dot4_i32_iu8 v1, v3, v24, v1 neg_lo:[1,1,0]
	v_mad_co_u64_u32 v[56:57], null, v1, v226, v[5:6]
	s_delay_alu instid0(VALU_DEP_1) | instskip(SKIP_1) | instid1(VALU_DEP_1)
	v_cvt_f32_i32_e32 v1, v56
	s_wait_dscnt 0x0
	v_fma_f32 v5, v30, v1, 0
	v_mul_lo_u32 v1, v60, v228
	s_delay_alu instid0(VALU_DEP_1) | instskip(SKIP_1) | instid1(VALU_DEP_1)
	v_mad_co_u64_u32 v[56:57], null, v58, v227, v[1:2]
	v_perm_b32 v2, v0, v2, 0x6050401
	v_dot4_i32_iu8 v0, v2, v49, 0 neg_lo:[1,1,0]
	s_delay_alu instid0(VALU_DEP_3) | instskip(NEXT) | instid1(VALU_DEP_2)
	v_cvt_f32_i32_e32 v1, v56
	v_dot4_i32_iu8 v0, v63, v218, v0 neg_lo:[1,1,0]
	s_delay_alu instid0(VALU_DEP_2) | instskip(NEXT) | instid1(VALU_DEP_2)
	v_fmac_f32_e32 v5, v31, v1
	v_dot4_i32_iu8 v0, v67, v219, v0 neg_lo:[1,1,0]
	s_delay_alu instid0(VALU_DEP_2)
	v_fmac_f32_e32 v142, v194, v5
	v_perm_b32 v5, v12, v14, 0x6040501
	v_perm_b32 v14, v8, v10, 0x6040501
	v_perm_b32 v8, v9, v8, 0x6040503
	v_perm_b32 v9, v10, v9, 0x7060403
	v_dot4_i32_iu8 v0, v3, v36, v0 neg_lo:[1,1,0]
	v_dot4_i32_iu8 v1, v5, v239, 0 neg_lo:[1,1,0]
	s_delay_alu instid0(VALU_DEP_1) | instskip(NEXT) | instid1(VALU_DEP_1)
	v_dot4_i32_iu8 v1, v61, v64, v1 neg_lo:[1,1,0]
	v_dot4_i32_iu8 v1, v13, v229, v1 neg_lo:[1,1,0]
	s_delay_alu instid0(VALU_DEP_1) | instskip(SKIP_1) | instid1(VALU_DEP_1)
	v_dot4_i32_iu8 v12, v15, v48, v1 neg_lo:[1,1,0]
	v_dot4_i32_iu8 v1, v14, v65, 0 neg_lo:[1,1,0]
	v_dot4_i32_iu8 v1, v8, v66, v1 neg_lo:[1,1,0]
	s_delay_alu instid0(VALU_DEP_1) | instskip(NEXT) | instid1(VALU_DEP_1)
	v_dot4_i32_iu8 v1, v9, v230, v1 neg_lo:[1,1,0]
	v_dot4_i32_iu8 v10, v11, v50, v1 neg_lo:[1,1,0]
	v_dot4_i32_iu8 v1, v4, v47, 0 neg_lo:[1,1,0]
	s_delay_alu instid0(VALU_DEP_1) | instskip(NEXT) | instid1(VALU_DEP_1)
	v_dot4_i32_iu8 v1, v59, v215, v1 neg_lo:[1,1,0]
	v_dot4_i32_iu8 v1, v62, v216, v1 neg_lo:[1,1,0]
	s_delay_alu instid0(VALU_DEP_1) | instskip(NEXT) | instid1(VALU_DEP_1)
	v_dot4_i32_iu8 v1, v7, v38, v1 neg_lo:[1,1,0]
	v_mul_lo_u32 v1, v1, v217
	s_delay_alu instid0(VALU_DEP_1) | instskip(NEXT) | instid1(VALU_DEP_1)
	v_mad_co_u64_u32 v[0:1], null, v0, v220, v[1:2]
	v_cvt_f32_i32_e32 v0, v0
	s_delay_alu instid0(VALU_DEP_1) | instskip(SKIP_1) | instid1(VALU_DEP_1)
	v_fma_f32 v6, v30, v0, 0
	v_mul_lo_u32 v0, v12, v222
	v_mad_co_u64_u32 v[0:1], null, v10, v221, v[0:1]
	v_dot4_i32_iu8 v1, v2, v33, 0 neg_lo:[1,1,0]
	s_delay_alu instid0(VALU_DEP_1) | instskip(NEXT) | instid1(VALU_DEP_3)
	v_dot4_i32_iu8 v1, v63, v208, v1 neg_lo:[1,1,0]
	v_cvt_f32_i32_e32 v0, v0
	s_delay_alu instid0(VALU_DEP_2) | instskip(NEXT) | instid1(VALU_DEP_2)
	v_dot4_i32_iu8 v1, v67, v209, v1 neg_lo:[1,1,0]
	v_fmac_f32_e32 v6, v31, v0
	v_dot4_i32_iu8 v0, v5, v43, 0 neg_lo:[1,1,0]
	s_delay_alu instid0(VALU_DEP_3) | instskip(NEXT) | instid1(VALU_DEP_3)
	v_dot4_i32_iu8 v1, v3, v32, v1 neg_lo:[1,1,0]
	v_fmac_f32_e32 v150, v195, v6
	s_delay_alu instid0(VALU_DEP_3) | instskip(NEXT) | instid1(VALU_DEP_1)
	v_dot4_i32_iu8 v0, v61, v53, v0 neg_lo:[1,1,0]
	v_dot4_i32_iu8 v0, v13, v223, v0 neg_lo:[1,1,0]
	s_delay_alu instid0(VALU_DEP_1) | instskip(SKIP_1) | instid1(VALU_DEP_1)
	v_dot4_i32_iu8 v6, v15, v44, v0 neg_lo:[1,1,0]
	v_dot4_i32_iu8 v0, v14, v45, 0 neg_lo:[1,1,0]
	;; [unrolled: 1-line block ×3, first 2 shown]
	s_delay_alu instid0(VALU_DEP_1) | instskip(NEXT) | instid1(VALU_DEP_1)
	v_dot4_i32_iu8 v0, v9, v224, v0 neg_lo:[1,1,0]
	v_dot4_i32_iu8 v10, v11, v46, v0 neg_lo:[1,1,0]
	;; [unrolled: 1-line block ×3, first 2 shown]
	s_delay_alu instid0(VALU_DEP_1) | instskip(NEXT) | instid1(VALU_DEP_1)
	v_dot4_i32_iu8 v0, v59, v205, v0 neg_lo:[1,1,0]
	v_dot4_i32_iu8 v0, v62, v206, v0 neg_lo:[1,1,0]
	s_delay_alu instid0(VALU_DEP_1) | instskip(NEXT) | instid1(VALU_DEP_1)
	v_dot4_i32_iu8 v0, v7, v34, v0 neg_lo:[1,1,0]
	v_mul_lo_u32 v0, v0, v207
	s_delay_alu instid0(VALU_DEP_1) | instskip(NEXT) | instid1(VALU_DEP_1)
	v_mad_co_u64_u32 v[0:1], null, v1, v210, v[0:1]
	v_cvt_f32_i32_e32 v0, v0
	s_delay_alu instid0(VALU_DEP_1) | instskip(SKIP_1) | instid1(VALU_DEP_1)
	v_fma_f32 v12, v30, v0, 0
	v_mul_lo_u32 v0, v6, v212
	v_mad_co_u64_u32 v[0:1], null, v10, v211, v[0:1]
	v_dot4_i32_iu8 v1, v2, v19, 0 neg_lo:[1,1,0]
	s_delay_alu instid0(VALU_DEP_1) | instskip(NEXT) | instid1(VALU_DEP_3)
	v_dot4_i32_iu8 v1, v63, v201, v1 neg_lo:[1,1,0]
	v_cvt_f32_i32_e32 v0, v0
	s_delay_alu instid0(VALU_DEP_2) | instskip(NEXT) | instid1(VALU_DEP_2)
	v_dot4_i32_iu8 v1, v67, v200, v1 neg_lo:[1,1,0]
	v_fmac_f32_e32 v12, v31, v0
	v_dot4_i32_iu8 v0, v5, v35, 0 neg_lo:[1,1,0]
	s_delay_alu instid0(VALU_DEP_3) | instskip(NEXT) | instid1(VALU_DEP_3)
	v_dot4_i32_iu8 v1, v3, v20, v1 neg_lo:[1,1,0]
	v_fmac_f32_e32 v163, v196, v12
	s_delay_alu instid0(VALU_DEP_3) | instskip(NEXT) | instid1(VALU_DEP_1)
	v_dot4_i32_iu8 v0, v61, v37, v0 neg_lo:[1,1,0]
	v_dot4_i32_iu8 v0, v13, v213, v0 neg_lo:[1,1,0]
	s_delay_alu instid0(VALU_DEP_1) | instskip(SKIP_1) | instid1(VALU_DEP_1)
	v_dot4_i32_iu8 v5, v15, v40, v0 neg_lo:[1,1,0]
	v_dot4_i32_iu8 v0, v14, v39, 0 neg_lo:[1,1,0]
	;; [unrolled: 1-line block ×3, first 2 shown]
	s_delay_alu instid0(VALU_DEP_1) | instskip(NEXT) | instid1(VALU_DEP_1)
	v_dot4_i32_iu8 v0, v9, v214, v0 neg_lo:[1,1,0]
	v_dot4_i32_iu8 v6, v11, v42, v0 neg_lo:[1,1,0]
	;; [unrolled: 1-line block ×3, first 2 shown]
	s_delay_alu instid0(VALU_DEP_1) | instskip(NEXT) | instid1(VALU_DEP_1)
	v_dot4_i32_iu8 v0, v59, v204, v0 neg_lo:[1,1,0]
	v_dot4_i32_iu8 v0, v62, v203, v0 neg_lo:[1,1,0]
	s_delay_alu instid0(VALU_DEP_1) | instskip(NEXT) | instid1(VALU_DEP_1)
	v_dot4_i32_iu8 v0, v7, v22, v0 neg_lo:[1,1,0]
	v_mul_lo_u32 v0, v0, v202
	s_delay_alu instid0(VALU_DEP_1) | instskip(NEXT) | instid1(VALU_DEP_1)
	v_mad_co_u64_u32 v[0:1], null, v1, v199, v[0:1]
	v_cvt_f32_i32_e32 v0, v0
	s_delay_alu instid0(VALU_DEP_1) | instskip(SKIP_1) | instid1(VALU_DEP_1)
	v_fma_f32 v2, v30, v0, 0
	v_mul_lo_u32 v0, v5, v198
	v_mad_co_u64_u32 v[0:1], null, v6, v54, v[0:1]
	s_delay_alu instid0(VALU_DEP_1) | instskip(NEXT) | instid1(VALU_DEP_1)
	v_cvt_f32_i32_e32 v0, v0
	v_fmac_f32_e32 v2, v31, v0
	v_or_b32_e32 v0, s13, v133
	s_delay_alu instid0(VALU_DEP_1)
	v_dual_fmac_f32 v175, v197, v2 :: v_dual_lshlrev_b32 v12, 2, v0
	v_lshrrev_b32_e32 v30, 1, v0
	ds_load_b128 v[0:3], v12 offset:33280
	ds_load_b128 v[4:7], v12 offset:33296
	ds_load_b128 v[8:11], v12 offset:33312
	ds_load_b128 v[12:15], v12 offset:33328
	ds_load_b64 v[30:31], v30 offset:43584
	s_wait_dscnt 0x4
	v_perm_b32 v23, v0, v23, 0x6050401
	s_wait_dscnt 0x3
	v_perm_b32 v25, v4, v25, 0x6050401
	v_perm_b32 v29, v29, v6, 0x6050401
	s_wait_dscnt 0x1
	v_perm_b32 v60, v14, v14, 0xc0c0c01
	v_bfe_i32 v56, v10, 8, 8
	v_perm_b32 v52, v12, v52, 0x6040503
	v_bfe_i32 v57, v8, 8, 8
	v_dot4_i32_iu8 v25, v29, v25, 0 neg_lo:[1,1,0]
	v_perm_b32 v29, v5, v4, 0x6040503
	v_or_b32_e32 v60, v240, v60
	v_mul_i32_i24_e32 v56, v56, v232
	v_bfe_i32 v58, v10, 16, 8
	v_ashrrev_i32_e32 v59, 24, v10
	v_dot4_i32_iu8 v25, v51, v29, v25 neg_lo:[1,1,0]
	v_perm_b32 v51, v6, v5, 0x7060403
	v_dot4_i32_iu8 v60, v60, v52, 0 neg_lo:[1,1,0]
	v_perm_b32 v52, v13, v12, 0x6040503
	v_mad_i32_i24 v56, v235, v57, v56
	v_perm_b32 v57, v9, v8, 0x5030200
	v_dot4_i32_iu8 v5, v236, v51, v25 neg_lo:[1,1,0]
	v_perm_b32 v25, v27, v2, 0x6050401
	v_dot4_i32_iu8 v60, v52, v241, v60 neg_lo:[1,1,0]
	;; [unrolled: 2-line block ×3, first 2 shown]
	v_dot4_i32_iu8 v5, v7, v26, v5 neg_lo:[1,1,0]
	v_dot4_i32_iu8 v23, v25, v23, 0 neg_lo:[1,1,0]
	v_perm_b32 v25, v1, v0, 0x6040503
	v_perm_b32 v26, v2, v1, 0x7060403
	;; [unrolled: 1-line block ×3, first 2 shown]
	v_mul_lo_u32 v5, v5, v225
	v_dot4_i32_iu8 v60, v242, v13, v60 neg_lo:[1,1,0]
	v_dot4_i32_iu8 v23, v237, v25, v23 neg_lo:[1,1,0]
	v_mul_i32_i24_e32 v58, v234, v58
	v_mul_i32_i24_e32 v59, v233, v59
	v_dot4_i32_iu8 v56, v244, v57, v56 neg_lo:[1,1,0]
	v_dot4_i32_iu8 v60, v231, v15, v60 neg_lo:[1,1,0]
	;; [unrolled: 1-line block ×3, first 2 shown]
	v_perm_b32 v57, v11, v11, 0x3020001
	v_perm_b32 v4, v4, v6, 0x6050401
	v_add3_u32 v56, v56, v58, v59
	s_delay_alu instid0(VALU_DEP_4) | instskip(NEXT) | instid1(VALU_DEP_2)
	v_dot4_i32_iu8 v1, v3, v24, v1 neg_lo:[1,1,0]
	v_dot4_i32_iu8 v56, v245, v57, v56 neg_lo:[1,1,0]
	s_delay_alu instid0(VALU_DEP_2) | instskip(SKIP_1) | instid1(VALU_DEP_1)
	v_mad_co_u64_u32 v[23:24], null, v1, v226, v[5:6]
	v_perm_b32 v6, v0, v2, 0x6050401
	v_dot4_i32_iu8 v0, v6, v49, 0 neg_lo:[1,1,0]
	s_delay_alu instid0(VALU_DEP_3) | instskip(NEXT) | instid1(VALU_DEP_2)
	v_cvt_f32_i32_e32 v1, v23
	v_dot4_i32_iu8 v0, v25, v218, v0 neg_lo:[1,1,0]
	s_wait_dscnt 0x0
	s_delay_alu instid0(VALU_DEP_2) | instskip(SKIP_1) | instid1(VALU_DEP_3)
	v_fma_f32 v5, v30, v1, 0
	v_mul_lo_u32 v1, v60, v228
	v_dot4_i32_iu8 v0, v26, v219, v0 neg_lo:[1,1,0]
	s_delay_alu instid0(VALU_DEP_2) | instskip(NEXT) | instid1(VALU_DEP_2)
	v_mad_co_u64_u32 v[23:24], null, v56, v227, v[1:2]
	v_dot4_i32_iu8 v0, v3, v36, v0 neg_lo:[1,1,0]
	s_delay_alu instid0(VALU_DEP_2) | instskip(NEXT) | instid1(VALU_DEP_1)
	v_cvt_f32_i32_e32 v1, v23
	v_fmac_f32_e32 v5, v31, v1
	s_delay_alu instid0(VALU_DEP_1) | instskip(SKIP_4) | instid1(VALU_DEP_4)
	v_fmac_f32_e32 v139, v194, v5
	v_perm_b32 v5, v12, v14, 0x6040501
	v_perm_b32 v14, v8, v10, 0x6040501
	;; [unrolled: 1-line block ×4, first 2 shown]
	v_dot4_i32_iu8 v1, v5, v239, 0 neg_lo:[1,1,0]
	s_delay_alu instid0(VALU_DEP_1) | instskip(NEXT) | instid1(VALU_DEP_1)
	v_dot4_i32_iu8 v1, v52, v64, v1 neg_lo:[1,1,0]
	v_dot4_i32_iu8 v1, v13, v229, v1 neg_lo:[1,1,0]
	s_delay_alu instid0(VALU_DEP_1) | instskip(SKIP_1) | instid1(VALU_DEP_1)
	v_dot4_i32_iu8 v12, v15, v48, v1 neg_lo:[1,1,0]
	v_dot4_i32_iu8 v1, v14, v65, 0 neg_lo:[1,1,0]
	;; [unrolled: 1-line block ×3, first 2 shown]
	s_delay_alu instid0(VALU_DEP_1) | instskip(NEXT) | instid1(VALU_DEP_1)
	v_dot4_i32_iu8 v1, v9, v230, v1 neg_lo:[1,1,0]
	v_dot4_i32_iu8 v10, v11, v50, v1 neg_lo:[1,1,0]
	v_dot4_i32_iu8 v1, v4, v47, 0 neg_lo:[1,1,0]
	s_delay_alu instid0(VALU_DEP_1) | instskip(NEXT) | instid1(VALU_DEP_1)
	v_dot4_i32_iu8 v1, v29, v215, v1 neg_lo:[1,1,0]
	v_dot4_i32_iu8 v1, v51, v216, v1 neg_lo:[1,1,0]
	s_delay_alu instid0(VALU_DEP_1) | instskip(NEXT) | instid1(VALU_DEP_1)
	v_dot4_i32_iu8 v1, v7, v38, v1 neg_lo:[1,1,0]
	v_mul_lo_u32 v1, v1, v217
	s_delay_alu instid0(VALU_DEP_1) | instskip(NEXT) | instid1(VALU_DEP_1)
	v_mad_co_u64_u32 v[0:1], null, v0, v220, v[1:2]
	v_cvt_f32_i32_e32 v0, v0
	s_delay_alu instid0(VALU_DEP_1) | instskip(SKIP_1) | instid1(VALU_DEP_1)
	v_fma_f32 v2, v30, v0, 0
	v_mul_lo_u32 v0, v12, v222
	v_mad_co_u64_u32 v[0:1], null, v10, v221, v[0:1]
	v_dot4_i32_iu8 v1, v6, v33, 0 neg_lo:[1,1,0]
	s_delay_alu instid0(VALU_DEP_1) | instskip(NEXT) | instid1(VALU_DEP_3)
	v_dot4_i32_iu8 v1, v25, v208, v1 neg_lo:[1,1,0]
	v_cvt_f32_i32_e32 v0, v0
	s_delay_alu instid0(VALU_DEP_2) | instskip(NEXT) | instid1(VALU_DEP_2)
	v_dot4_i32_iu8 v1, v26, v209, v1 neg_lo:[1,1,0]
	v_fmac_f32_e32 v2, v31, v0
	v_dot4_i32_iu8 v0, v5, v43, 0 neg_lo:[1,1,0]
	s_delay_alu instid0(VALU_DEP_3) | instskip(NEXT) | instid1(VALU_DEP_3)
	v_dot4_i32_iu8 v1, v3, v32, v1 neg_lo:[1,1,0]
	v_fmac_f32_e32 v145, v195, v2
	s_delay_alu instid0(VALU_DEP_3) | instskip(NEXT) | instid1(VALU_DEP_1)
	v_dot4_i32_iu8 v0, v52, v53, v0 neg_lo:[1,1,0]
	v_dot4_i32_iu8 v0, v13, v223, v0 neg_lo:[1,1,0]
	s_delay_alu instid0(VALU_DEP_1) | instskip(SKIP_1) | instid1(VALU_DEP_1)
	v_dot4_i32_iu8 v2, v15, v44, v0 neg_lo:[1,1,0]
	v_dot4_i32_iu8 v0, v14, v45, 0 neg_lo:[1,1,0]
	;; [unrolled: 1-line block ×3, first 2 shown]
	s_delay_alu instid0(VALU_DEP_1) | instskip(NEXT) | instid1(VALU_DEP_1)
	v_dot4_i32_iu8 v0, v9, v224, v0 neg_lo:[1,1,0]
	v_dot4_i32_iu8 v10, v11, v46, v0 neg_lo:[1,1,0]
	;; [unrolled: 1-line block ×3, first 2 shown]
	s_delay_alu instid0(VALU_DEP_1) | instskip(NEXT) | instid1(VALU_DEP_1)
	v_dot4_i32_iu8 v0, v29, v205, v0 neg_lo:[1,1,0]
	v_dot4_i32_iu8 v0, v51, v206, v0 neg_lo:[1,1,0]
	s_delay_alu instid0(VALU_DEP_1) | instskip(NEXT) | instid1(VALU_DEP_1)
	v_dot4_i32_iu8 v0, v7, v34, v0 neg_lo:[1,1,0]
	v_mul_lo_u32 v0, v0, v207
	s_delay_alu instid0(VALU_DEP_1) | instskip(NEXT) | instid1(VALU_DEP_1)
	v_mad_co_u64_u32 v[0:1], null, v1, v210, v[0:1]
	v_cvt_f32_i32_e32 v0, v0
	s_delay_alu instid0(VALU_DEP_1) | instskip(SKIP_1) | instid1(VALU_DEP_1)
	v_fma_f32 v12, v30, v0, 0
	v_mul_lo_u32 v0, v2, v212
	v_mad_co_u64_u32 v[0:1], null, v10, v211, v[0:1]
	s_delay_alu instid0(VALU_DEP_1) | instskip(NEXT) | instid1(VALU_DEP_1)
	v_cvt_f32_i32_e32 v0, v0
	v_fmac_f32_e32 v12, v31, v0
	v_dot4_i32_iu8 v0, v5, v35, 0 neg_lo:[1,1,0]
	s_delay_alu instid0(VALU_DEP_2) | instskip(NEXT) | instid1(VALU_DEP_2)
	v_fmac_f32_e32 v157, v196, v12
	v_dot4_i32_iu8 v0, v52, v37, v0 neg_lo:[1,1,0]
	s_delay_alu instid0(VALU_DEP_1) | instskip(NEXT) | instid1(VALU_DEP_1)
	v_dot4_i32_iu8 v0, v13, v213, v0 neg_lo:[1,1,0]
	v_dot4_i32_iu8 v1, v15, v40, v0 neg_lo:[1,1,0]
	v_dot4_i32_iu8 v0, v14, v39, 0 neg_lo:[1,1,0]
	s_delay_alu instid0(VALU_DEP_1) | instskip(NEXT) | instid1(VALU_DEP_1)
	v_dot4_i32_iu8 v0, v8, v41, v0 neg_lo:[1,1,0]
	v_dot4_i32_iu8 v0, v9, v214, v0 neg_lo:[1,1,0]
	s_delay_alu instid0(VALU_DEP_1) | instskip(SKIP_2) | instid1(VALU_DEP_2)
	v_dot4_i32_iu8 v2, v11, v42, v0 neg_lo:[1,1,0]
	v_dot4_i32_iu8 v0, v4, v21, 0 neg_lo:[1,1,0]
	;; [unrolled: 1-line block ×4, first 2 shown]
	s_delay_alu instid0(VALU_DEP_2) | instskip(NEXT) | instid1(VALU_DEP_2)
	v_dot4_i32_iu8 v4, v25, v201, v4 neg_lo:[1,1,0]
	v_dot4_i32_iu8 v0, v51, v203, v0 neg_lo:[1,1,0]
	s_delay_alu instid0(VALU_DEP_2) | instskip(NEXT) | instid1(VALU_DEP_2)
	v_dot4_i32_iu8 v4, v26, v200, v4 neg_lo:[1,1,0]
	v_dot4_i32_iu8 v0, v7, v22, v0 neg_lo:[1,1,0]
	s_delay_alu instid0(VALU_DEP_2) | instskip(NEXT) | instid1(VALU_DEP_2)
	v_dot4_i32_iu8 v3, v3, v20, v4 neg_lo:[1,1,0]
	v_mul_lo_u32 v0, v0, v202
	s_delay_alu instid0(VALU_DEP_1) | instskip(NEXT) | instid1(VALU_DEP_1)
	v_mad_co_u64_u32 v[3:4], null, v3, v199, v[0:1]
	v_cvt_f32_i32_e32 v0, v3
	s_delay_alu instid0(VALU_DEP_1) | instskip(SKIP_1) | instid1(VALU_DEP_1)
	v_fma_f32 v3, v30, v0, 0
	v_mul_lo_u32 v0, v1, v198
	v_mad_co_u64_u32 v[0:1], null, v2, v54, v[0:1]
	s_delay_alu instid0(VALU_DEP_1) | instskip(NEXT) | instid1(VALU_DEP_1)
	v_cvt_f32_i32_e32 v0, v0
	v_fmac_f32_e32 v3, v31, v0
	s_delay_alu instid0(VALU_DEP_1)
	v_fmac_f32_e32 v171, v197, v3
	s_cbranch_vccnz .LBB155_6
; %bb.7:                                ;   in Loop: Header=BB155_5 Depth=1
	v_add_nc_u32_e32 v8, s5, v119
	v_add_nc_u32_e32 v9, 4, v193
	s_wait_loadcnt 0x0
	s_barrier_signal -1
	s_barrier_wait -1
	v_add_nc_u32_e32 v10, v8, v118
	v_add_nc_u32_e32 v0, v8, v111
	;; [unrolled: 1-line block ×8, first 2 shown]
	v_mad_co_u64_u32 v[8:9], null, v9, 36, s[2:3]
	v_mad_co_i64_i32 v[10:11], null, v10, 36, v[17:18]
	v_mad_co_i64_i32 v[0:1], null, v0, 36, v[17:18]
	;; [unrolled: 1-line block ×7, first 2 shown]
	global_inv scope:SCOPE_SE
	v_mad_co_i64_i32 v[19:20], null, v19, 36, v[17:18]
	s_clause 0x8
	global_load_b32 v8, v[8:9], off
	global_load_b32 v9, v[10:11], off offset:4
	global_load_b32 v0, v[0:1], off offset:4
	;; [unrolled: 1-line block ×8, first 2 shown]
	s_mov_b32 s5, 16
	s_wait_loadcnt 0x8
	v_cvt_f32_f16_e32 v7, v8
	s_wait_loadcnt 0x7
	ds_store_b32 v156, v9
	s_wait_loadcnt 0x6
	ds_store_b32 v144, v0
	s_wait_loadcnt 0x5
	ds_store_b32 v146, v1
	s_wait_loadcnt 0x4
	ds_store_b32 v147, v2
	s_wait_loadcnt 0x3
	ds_store_b32 v149, v3
	s_wait_loadcnt 0x2
	ds_store_b32 v151, v4
	s_wait_loadcnt 0x1
	ds_store_b32 v152, v5
	s_wait_loadcnt 0x0
	ds_store_b32 v154, v6
	ds_store_b32 v110, v7
	s_wait_dscnt 0x0
	s_barrier_signal -1
	s_barrier_wait -1
	global_inv scope:SCOPE_SE
	ds_load_b32 v63, v123
	ds_load_b32 v64, v124 offset:128
	ds_load_b32 v65, v125 offset:256
	;; [unrolled: 1-line block ×3, first 2 shown]
.LBB155_8:                              ;   Parent Loop BB155_5 Depth=1
                                        ; =>  This Inner Loop Header: Depth=2
	s_wait_alu 0xfffe
	s_lshl_b32 s12, s5, 1
	s_lshr_b32 s13, s5, 1
	s_wait_alu 0xfffe
	s_and_b32 s12, s12, 16
	s_add_co_i32 s13, s13, 0xa200
	s_wait_alu 0xfffe
	v_or_b32_e32 v0, s12, v93
	s_lshl_b32 s16, s5, 3
	s_delay_alu instid0(VALU_DEP_1)
	v_lshlrev_b32_e32 v1, 2, v0
	v_lshrrev_b32_e32 v0, 1, v0
	ds_load_b128 v[97:100], v1 offset:33280
	ds_load_b128 v[231:234], v1 offset:33296
	ds_load_b128 v[193:196], v1 offset:33312
	ds_load_b128 v[235:238], v1 offset:33328
	ds_load_b64 v[239:240], v0 offset:43584
	v_add3_u32 v0, s13, v188, v189
	s_wait_alu 0xfffe
	v_add_nc_u32_e32 v29, s16, v134
	ds_load_2addr_b32 v[23:24], v29 offset0:6 offset1:7
	ds_load_2addr_b32 v[27:28], v29 offset0:4 offset1:5
	;; [unrolled: 1-line block ×3, first 2 shown]
	ds_load_2addr_b32 v[25:26], v29 offset1:1
	ds_load_b32 v32, v0
	ds_load_u16 v229, v29 offset:32
	ds_load_b128 v[0:3], v29 offset:34
	ds_load_b64 v[51:52], v29 offset:50
	ds_load_u16 v230, v29 offset:58
	ds_load_b32 v224, v29 offset:60
	s_wait_dscnt 0xe
	v_lshrrev_b16 v5, 8, v98
	s_wait_dscnt 0xd
	v_lshrrev_b16 v4, 8, v232
	s_wait_dscnt 0xc
	v_bfe_i32 v9, v194, 16, 8
	s_wait_dscnt 0xb
	v_bfe_i32 v7, v236, 16, 8
	v_bfe_i32 v34, v237, 16, 8
	v_ashrrev_i32_e32 v36, 24, v236
	v_bfe_i32 v35, v237, 0, 8
	v_bfe_i32 v6, v237, 8, 8
	;; [unrolled: 1-line block ×4, first 2 shown]
	s_wait_dscnt 0x3
	v_bfe_i32 v227, v2, 0, 8
	s_wait_dscnt 0x2
	v_bfe_i32 v33, v52, 0, 8
	s_wait_dscnt 0x1
	v_lshrrev_b16 v37, 8, v230
	v_bfe_i32 v38, v230, 0, 8
	v_bfe_i32 v40, v52, 8, 8
	;; [unrolled: 1-line block ×3, first 2 shown]
	v_mul_i32_i24_e32 v7, v33, v7
	v_ashrrev_i32_e32 v33, 24, v237
	v_bfe_i32 v37, v37, 0, 8
	v_mul_i32_i24_e32 v34, v38, v34
	v_perm_b32 v38, v238, v236, 0xc0c0600
	v_mul_i32_i24_e32 v36, v40, v36
	v_mul_i32_i24_e32 v35, v39, v35
	;; [unrolled: 1-line block ×3, first 2 shown]
	s_wait_dscnt 0x0
	v_perm_b32 v37, v224, v51, 0xc0c0602
	v_ashrrev_i32_e32 v29, 24, v52
	v_bfe_i32 v226, v2, 8, 8
	v_ashrrev_i32_e32 v225, 24, v1
	v_lshrrev_b16 v30, 8, v28
	v_dot4_i32_iu8 v34, v37, v38, v34 neg_lo:[1,1,0]
	v_perm_b32 v37, v224, v51, 0xc0c0400
	v_perm_b32 v38, v238, v235, 0xc0c0402
	v_bfe_i32 v39, v234, 8, 8
	v_bfe_i32 v43, v24, 8, 8
	;; [unrolled: 1-line block ×4, first 2 shown]
	v_dot4_i32_iu8 v36, v37, v38, v36 neg_lo:[1,1,0]
	v_perm_b32 v37, v224, v51, 0xc0c0703
	v_perm_b32 v38, v238, v236, 0xc0c0701
	v_ashrrev_i32_e32 v41, 24, v233
	v_bfe_i32 v42, v233, 16, 8
	v_add_nc_u32_e32 v34, v36, v34
	v_bfe_i32 v36, v235, 0, 8
	v_dot4_i32_iu8 v33, v37, v38, v33 neg_lo:[1,1,0]
	v_perm_b32 v37, v224, v51, 0xc0c0501
	v_perm_b32 v38, v238, v235, 0xc0c0503
	v_bfe_i32 v44, v24, 0, 8
	v_ashrrev_i32_e32 v45, 24, v23
	v_bfe_i32 v46, v23, 16, 8
	v_mul_i32_i24_e32 v39, v43, v39
	v_dot4_i32_iu8 v35, v37, v38, v35 neg_lo:[1,1,0]
	v_ashrrev_i32_e32 v37, 24, v3
	v_bfe_i32 v38, v3, 16, 8
	v_mul_i32_i24_e32 v4, v30, v4
	v_mul_i32_i24_e32 v42, v46, v42
	v_add_nc_u32_e32 v33, v35, v33
	v_bfe_i32 v35, v235, 8, 8
	v_mul_i32_i24_e32 v36, v38, v36
	v_bfe_i32 v38, v28, 16, 8
	v_mul_i32_i24_e32 v41, v45, v41
	v_mul_i32_i24_e32 v40, v44, v40
	;; [unrolled: 1-line block ×3, first 2 shown]
	v_mad_i32_i24 v6, v29, v6, v36
	v_bfe_i32 v29, v195, 16, 8
	v_bfe_i32 v36, v1, 8, 8
	;; [unrolled: 1-line block ×3, first 2 shown]
	v_add3_u32 v33, v34, v33, v35
	v_ashrrev_i32_e32 v34, 24, v194
	v_bfe_i32 v35, v1, 16, 8
	v_mul_i32_i24_e32 v29, v227, v29
	v_bfe_i32 v12, v234, 16, 8
	v_add3_u32 v6, v33, v6, v7
	v_bfe_i32 v33, v195, 0, 8
	v_bfe_i32 v7, v1, 0, 8
	v_mul_i32_i24_e32 v34, v36, v34
	v_perm_b32 v36, v196, v194, 0xc0c0600
	v_bfe_i32 v43, v24, 16, 8
	v_mul_i32_i24_e32 v33, v35, v33
	v_perm_b32 v35, v3, v0, 0xc0c0402
	v_mul_i32_i24_e32 v7, v7, v9
	v_ashrrev_i32_e32 v9, 24, v195
	v_bfe_i32 v10, v233, 8, 8
	v_bfe_i32 v11, v233, 0, 8
	v_dot4_i32_iu8 v29, v35, v36, v29 neg_lo:[1,1,0]
	v_perm_b32 v35, v2, v0, 0xc0c0600
	v_perm_b32 v36, v196, v193, 0xc0c0402
	v_mul_i32_i24_e32 v9, v226, v9
	v_bfe_i32 v30, v23, 0, 8
	v_mul_i32_i24_e32 v12, v43, v12
	v_ashrrev_i32_e32 v13, 24, v234
	v_dot4_i32_iu8 v34, v35, v36, v34 neg_lo:[1,1,0]
	v_perm_b32 v35, v3, v0, 0xc0c0503
	v_perm_b32 v36, v196, v194, 0xc0c0701
	v_lshrrev_b16 v31, 8, v26
	v_ashrrev_i32_e32 v43, 24, v24
	v_add_nc_u32_e32 v29, v34, v29
	v_bfe_i32 v34, v193, 0, 8
	v_dot4_i32_iu8 v9, v35, v36, v9 neg_lo:[1,1,0]
	v_perm_b32 v35, v2, v0, 0xc0c0701
	v_perm_b32 v36, v196, v193, 0xc0c0503
	v_mul_i32_i24_e32 v13, v43, v13
	v_bfe_i32 v5, v5, 0, 8
	v_bfe_i32 v31, v31, 0, 8
	;; [unrolled: 1-line block ×3, first 2 shown]
	v_dot4_i32_iu8 v33, v35, v36, v33 neg_lo:[1,1,0]
	v_lshrrev_b16 v35, 8, v229
	v_ashrrev_i32_e32 v36, 24, v28
	v_mul_i32_i24_e32 v5, v31, v5
	v_bfe_i32 v14, v99, 8, 8
	v_add_nc_u32_e32 v9, v33, v9
	v_bfe_i32 v33, v193, 8, 8
	v_bfe_i32 v228, v35, 0, 8
	v_bfe_i32 v35, v229, 0, 8
	v_bfe_i32 v15, v99, 0, 8
	v_bfe_i32 v31, v21, 0, 8
	v_ashrrev_i32_e32 v20, 24, v100
	v_mul_i32_i24_e32 v33, v228, v33
	v_mul_i32_i24_e32 v34, v35, v34
	v_bfe_i32 v35, v232, 16, 8
	v_bfe_i32 v211, v32, 8, 8
	;; [unrolled: 1-line block ×3, first 2 shown]
	v_add3_u32 v9, v29, v9, v33
	v_mad_i32_i24 v8, v225, v8, v34
	v_ashrrev_i32_e32 v33, 24, v27
	v_bfe_i32 v29, v231, 16, 8
	v_bfe_i32 v34, v27, 16, 8
	v_mad_i32_i24 v35, v38, v35, v40
	v_add3_u32 v7, v9, v8, v7
	v_ashrrev_i32_e32 v9, 24, v231
	v_bfe_i32 v8, v23, 8, 8
	v_mul_i32_i24_e32 v29, v34, v29
	v_bfe_i32 v34, v232, 0, 8
	v_bfe_i32 v38, v22, 8, 8
	v_mul_i32_i24_e32 v9, v33, v9
	v_ashrrev_i32_e32 v33, 24, v232
	v_ashrrev_i32_e32 v40, 24, v21
	v_mad_i32_i24 v34, v37, v34, v42
	v_bfe_i32 v37, v99, 16, 8
	v_bfe_i32 v220, v32, 16, 8
	v_mad_i32_i24 v33, v36, v33, v39
	v_bfe_i32 v36, v27, 0, 8
	v_bfe_i32 v39, v22, 0, 8
	v_ashrrev_i32_e32 v221, 24, v32
	v_perm_b32 v67, v195, v194, 0x7060403
	v_add3_u32 v4, v4, v41, v33
	v_bfe_i32 v33, v231, 8, 8
	v_bfe_i32 v41, v21, 16, 8
	v_perm_b32 v68, v232, v231, 0x6040503
	v_perm_b32 v69, v233, v232, 0x7060403
	v_add3_u32 v4, v34, v35, v4
	v_bfe_i32 v35, v27, 8, 8
	v_bfe_i32 v34, v231, 0, 8
	v_mul_i32_i24_e32 v37, v41, v37
	v_perm_b32 v41, v237, v236, 0x7060403
	v_perm_b32 v94, v98, v97, 0x6040503
	v_mul_i32_i24_e32 v33, v35, v33
	v_mul_i32_i24_e32 v34, v36, v34
	v_bfe_i32 v35, v100, 0, 8
	v_ashrrev_i32_e32 v36, 24, v99
	s_delay_alu instid0(VALU_DEP_4)
	v_mad_i32_i24 v8, v8, v10, v33
	v_mad_i32_i24 v10, v30, v11, v12
	v_ashrrev_i32_e32 v11, 24, v25
	v_bfe_i32 v12, v25, 16, 8
	v_bfe_i32 v30, v26, 0, 8
	v_add3_u32 v4, v4, v34, v8
	v_add3_u32 v8, v29, v9, v10
	v_ashrrev_i32_e32 v9, 24, v97
	v_bfe_i32 v34, v100, 8, 8
	v_bfe_i32 v10, v97, 16, 8
	v_ashrrev_i32_e32 v29, 24, v26
	v_add3_u32 v4, v4, v8, v13
	v_mul_i32_i24_e32 v9, v11, v9
	v_ashrrev_i32_e32 v11, 24, v98
	v_mul_i32_i24_e32 v34, v38, v34
	v_mul_i32_i24_e32 v10, v12, v10
	v_bfe_i32 v12, v98, 0, 8
	v_bfe_i32 v13, v98, 16, 8
	;; [unrolled: 1-line block ×3, first 2 shown]
	v_mul_i32_i24_e32 v36, v40, v36
	v_mul_i32_i24_e32 v35, v39, v35
	v_mad_i32_i24 v11, v29, v11, v34
	v_mad_i32_i24 v12, v30, v12, v37
	v_bfe_i32 v38, v22, 16, 8
	v_bfe_i32 v8, v21, 8, 8
	v_mad_i32_i24 v13, v33, v13, v35
	v_add3_u32 v5, v5, v36, v11
	v_bfe_i32 v11, v97, 8, 8
	v_mul_i32_i24_e32 v19, v38, v19
	v_bfe_i32 v29, v25, 0, 8
	v_ashrrev_i32_e32 v38, 24, v22
	v_add3_u32 v5, v12, v13, v5
	v_bfe_i32 v13, v25, 8, 8
	v_bfe_i32 v12, v97, 0, 8
	v_mul_lo_u32 v4, v4, v211
	v_mul_i32_i24_e32 v20, v38, v20
	v_perm_b32 v98, v99, v98, 0x7060403
	v_mul_i32_i24_e32 v11, v13, v11
	v_mul_i32_i24_e32 v12, v29, v12
	s_delay_alu instid0(VALU_DEP_2) | instskip(SKIP_1) | instid1(VALU_DEP_2)
	v_mad_i32_i24 v8, v8, v14, v11
	v_mad_i32_i24 v11, v31, v15, v19
	v_add3_u32 v5, v5, v12, v8
	s_delay_alu instid0(VALU_DEP_2) | instskip(NEXT) | instid1(VALU_DEP_1)
	v_add3_u32 v8, v10, v9, v11
	v_add3_u32 v5, v5, v8, v20
	s_delay_alu instid0(VALU_DEP_1) | instskip(NEXT) | instid1(VALU_DEP_1)
	v_mad_co_u64_u32 v[4:5], null, v5, v219, v[4:5]
	v_cvt_f32_i32_e32 v4, v4
	s_delay_alu instid0(VALU_DEP_1) | instskip(SKIP_1) | instid1(VALU_DEP_1)
	v_fma_f32 v8, v239, v4, 0
	v_mul_lo_u32 v4, v7, v220
	v_mad_co_u64_u32 v[4:5], null, v6, v221, v[4:5]
	v_add_nc_u32_e32 v5, s16, v136
	s_delay_alu instid0(VALU_DEP_2) | instskip(NEXT) | instid1(VALU_DEP_1)
	v_cvt_f32_i32_e32 v4, v4
	v_fmac_f32_e32 v8, v240, v4
	v_add3_u32 v4, s13, v190, v135
	ds_load_2addr_b32 v[37:38], v5 offset0:6 offset1:7
	ds_load_2addr_b32 v[13:14], v5 offset0:4 offset1:5
	;; [unrolled: 1-line block ×3, first 2 shown]
	ds_load_2addr_b32 v[10:11], v5 offset1:1
	ds_load_b32 v6, v4
	ds_load_2addr_b32 v[47:48], v5 offset0:14 offset1:15
	ds_load_2addr_b32 v[59:60], v5 offset0:12 offset1:13
	;; [unrolled: 1-line block ×4, first 2 shown]
	v_fmac_f32_e32 v81, v63, v8
	s_wait_dscnt 0x7
	v_perm_b32 v206, v14, v13, 0x6040503
	s_wait_dscnt 0x6
	v_perm_b32 v9, v97, v35, 0x6050401
	v_perm_b32 v207, v37, v14, 0x7060403
	s_wait_dscnt 0x5
	v_perm_b32 v210, v11, v10, 0x6040503
	s_wait_dscnt 0x3
	;; [unrolled: 2-line block ×3, first 2 shown]
	v_perm_b32 v4, v59, v237, 0x6040501
	v_perm_b32 v8, v60, v235, 0x6040503
	;; [unrolled: 1-line block ×3, first 2 shown]
	s_wait_dscnt 0x1
	v_perm_b32 v5, v193, v49, 0x6040501
	s_wait_dscnt 0x0
	v_perm_b32 v223, v49, v62, 0x7060403
	v_dot4_i32_iu8 v4, v7, v4, 0 neg_lo:[1,1,0]
	v_perm_b32 v7, v236, v59, 0x6040503
	v_perm_b32 v212, v35, v11, 0x7060403
	v_bfe_i32 v208, v6, 8, 8
	v_bfe_i32 v213, v6, 0, 8
	;; [unrolled: 1-line block ×3, first 2 shown]
	v_dot4_i32_iu8 v4, v8, v7, v4 neg_lo:[1,1,0]
	v_perm_b32 v8, v62, v193, 0x6040503
	v_ashrrev_i32_e32 v216, 24, v6
	s_delay_alu instid0(VALU_DEP_3) | instskip(NEXT) | instid1(VALU_DEP_1)
	v_dot4_i32_iu8 v4, v41, v222, v4 neg_lo:[1,1,0]
	v_dot4_i32_iu8 v7, v238, v48, v4 neg_lo:[1,1,0]
	v_perm_b32 v4, v61, v195, 0x6040501
	s_delay_alu instid0(VALU_DEP_1) | instskip(SKIP_1) | instid1(VALU_DEP_1)
	v_dot4_i32_iu8 v4, v5, v4, 0 neg_lo:[1,1,0]
	v_perm_b32 v5, v194, v61, 0x6040503
	v_dot4_i32_iu8 v4, v8, v5, v4 neg_lo:[1,1,0]
	v_perm_b32 v5, v231, v37, 0x6050401
	s_delay_alu instid0(VALU_DEP_2) | instskip(NEXT) | instid1(VALU_DEP_1)
	v_dot4_i32_iu8 v4, v67, v223, v4 neg_lo:[1,1,0]
	v_dot4_i32_iu8 v8, v196, v50, v4 neg_lo:[1,1,0]
	v_perm_b32 v4, v13, v233, 0x6050401
	s_delay_alu instid0(VALU_DEP_1) | instskip(SKIP_1) | instid1(VALU_DEP_2)
	v_dot4_i32_iu8 v4, v5, v4, 0 neg_lo:[1,1,0]
	v_perm_b32 v5, v10, v99, 0x6050401
	v_dot4_i32_iu8 v4, v68, v206, v4 neg_lo:[1,1,0]
	s_delay_alu instid0(VALU_DEP_2) | instskip(NEXT) | instid1(VALU_DEP_2)
	v_dot4_i32_iu8 v5, v9, v5, 0 neg_lo:[1,1,0]
	v_dot4_i32_iu8 v4, v69, v207, v4 neg_lo:[1,1,0]
	s_delay_alu instid0(VALU_DEP_2) | instskip(NEXT) | instid1(VALU_DEP_2)
	v_dot4_i32_iu8 v5, v94, v210, v5 neg_lo:[1,1,0]
	;; [unrolled: 3-line block ×3, first 2 shown]
	v_mul_lo_u32 v4, v4, v208
	s_delay_alu instid0(VALU_DEP_2) | instskip(NEXT) | instid1(VALU_DEP_1)
	v_dot4_i32_iu8 v5, v36, v100, v5 neg_lo:[1,1,0]
	v_mad_co_u64_u32 v[4:5], null, v5, v213, v[4:5]
	s_delay_alu instid0(VALU_DEP_1) | instskip(NEXT) | instid1(VALU_DEP_1)
	v_cvt_f32_i32_e32 v4, v4
	v_fma_f32 v9, v239, v4, 0
	v_mul_lo_u32 v4, v8, v214
	s_delay_alu instid0(VALU_DEP_1) | instskip(SKIP_1) | instid1(VALU_DEP_2)
	v_mad_co_u64_u32 v[4:5], null, v7, v216, v[4:5]
	v_add_nc_u32_e32 v5, s16, v138
	v_cvt_f32_i32_e32 v4, v4
	s_delay_alu instid0(VALU_DEP_1) | instskip(SKIP_1) | instid1(VALU_DEP_2)
	v_fmac_f32_e32 v9, v240, v4
	v_add3_u32 v4, s13, v191, v137
	v_fmac_f32_e32 v179, v64, v9
	ds_load_2addr_b32 v[33:34], v5 offset0:6 offset1:7
	ds_load_2addr_b32 v[11:12], v5 offset0:4 offset1:5
	;; [unrolled: 1-line block ×3, first 2 shown]
	ds_load_2addr_b32 v[8:9], v5 offset1:1
	ds_load_b32 v6, v4
	ds_load_2addr_b32 v[43:44], v5 offset0:14 offset1:15
	ds_load_2addr_b32 v[55:56], v5 offset0:12 offset1:13
	;; [unrolled: 1-line block ×4, first 2 shown]
	s_wait_dscnt 0x7
	v_perm_b32 v198, v12, v11, 0x6040503
	v_perm_b32 v199, v33, v12, 0x7060403
	s_wait_dscnt 0x6
	v_perm_b32 v12, v97, v31, 0x6050401
	s_wait_dscnt 0x5
	;; [unrolled: 2-line block ×4, first 2 shown]
	v_perm_b32 v4, v55, v237, 0x6040501
	v_perm_b32 v14, v56, v235, 0x6040503
	;; [unrolled: 1-line block ×3, first 2 shown]
	s_wait_dscnt 0x1
	v_perm_b32 v5, v193, v45, 0x6040501
	s_wait_dscnt 0x0
	v_perm_b32 v218, v45, v58, 0x7060403
	v_dot4_i32_iu8 v4, v7, v4, 0 neg_lo:[1,1,0]
	v_perm_b32 v7, v236, v55, 0x6040503
	v_perm_b32 v202, v31, v9, 0x7060403
	v_bfe_i32 v200, v6, 8, 8
	v_bfe_i32 v203, v6, 0, 8
	;; [unrolled: 1-line block ×3, first 2 shown]
	v_dot4_i32_iu8 v4, v14, v7, v4 neg_lo:[1,1,0]
	v_perm_b32 v14, v58, v193, 0x6040503
	v_ashrrev_i32_e32 v205, 24, v6
	v_perm_b32 v43, v55, v43, 0x6040501
	v_perm_b32 v45, v57, v45, 0x6040501
	v_dot4_i32_iu8 v4, v41, v217, v4 neg_lo:[1,1,0]
	v_perm_b32 v31, v8, v31, 0x6050401
	s_delay_alu instid0(VALU_DEP_2) | instskip(SKIP_1) | instid1(VALU_DEP_1)
	v_dot4_i32_iu8 v7, v238, v44, v4 neg_lo:[1,1,0]
	v_perm_b32 v4, v57, v195, 0x6040501
	v_dot4_i32_iu8 v4, v5, v4, 0 neg_lo:[1,1,0]
	v_perm_b32 v5, v194, v57, 0x6040503
	s_delay_alu instid0(VALU_DEP_1) | instskip(SKIP_2) | instid1(VALU_DEP_3)
	v_dot4_i32_iu8 v4, v14, v5, v4 neg_lo:[1,1,0]
	v_perm_b32 v5, v231, v33, 0x6050401
	v_perm_b32 v33, v11, v33, 0x6050401
	v_dot4_i32_iu8 v4, v67, v218, v4 neg_lo:[1,1,0]
	s_delay_alu instid0(VALU_DEP_1) | instskip(SKIP_1) | instid1(VALU_DEP_1)
	v_dot4_i32_iu8 v14, v196, v46, v4 neg_lo:[1,1,0]
	v_perm_b32 v4, v11, v233, 0x6050401
	v_dot4_i32_iu8 v4, v5, v4, 0 neg_lo:[1,1,0]
	v_perm_b32 v5, v8, v99, 0x6050401
	s_delay_alu instid0(VALU_DEP_2) | instskip(NEXT) | instid1(VALU_DEP_2)
	v_dot4_i32_iu8 v4, v68, v198, v4 neg_lo:[1,1,0]
	v_dot4_i32_iu8 v5, v12, v5, 0 neg_lo:[1,1,0]
	v_add_nc_u32_e32 v12, s16, v141
	s_delay_alu instid0(VALU_DEP_3) | instskip(NEXT) | instid1(VALU_DEP_3)
	v_dot4_i32_iu8 v4, v69, v199, v4 neg_lo:[1,1,0]
	v_dot4_i32_iu8 v5, v94, v201, v5 neg_lo:[1,1,0]
	s_delay_alu instid0(VALU_DEP_2) | instskip(NEXT) | instid1(VALU_DEP_2)
	v_dot4_i32_iu8 v4, v34, v234, v4 neg_lo:[1,1,0]
	v_dot4_i32_iu8 v5, v98, v202, v5 neg_lo:[1,1,0]
	s_delay_alu instid0(VALU_DEP_2) | instskip(NEXT) | instid1(VALU_DEP_2)
	v_mul_lo_u32 v4, v4, v200
	v_dot4_i32_iu8 v5, v32, v100, v5 neg_lo:[1,1,0]
	s_delay_alu instid0(VALU_DEP_1) | instskip(NEXT) | instid1(VALU_DEP_1)
	v_mad_co_u64_u32 v[4:5], null, v5, v203, v[4:5]
	v_cvt_f32_i32_e32 v4, v4
	s_delay_alu instid0(VALU_DEP_1) | instskip(SKIP_1) | instid1(VALU_DEP_1)
	v_fma_f32 v9, v239, v4, 0
	v_mul_lo_u32 v4, v14, v204
	v_mad_co_u64_u32 v[4:5], null, v7, v205, v[4:5]
	s_delay_alu instid0(VALU_DEP_1) | instskip(NEXT) | instid1(VALU_DEP_1)
	v_cvt_f32_i32_e32 v4, v4
	v_fmac_f32_e32 v9, v240, v4
	s_delay_alu instid0(VALU_DEP_1)
	v_fmac_f32_e32 v184, v65, v9
	v_add3_u32 v9, s13, v192, v140
	ds_load_2addr_b32 v[29:30], v12 offset0:6 offset1:7
	ds_load_2addr_b32 v[6:7], v12 offset0:4 offset1:5
	;; [unrolled: 1-line block ×3, first 2 shown]
	ds_load_2addr_b32 v[4:5], v12 offset1:1
	ds_load_b32 v9, v9
	ds_load_2addr_b32 v[39:40], v12 offset0:14 offset1:15
	ds_load_2addr_b32 v[14:15], v12 offset0:12 offset1:13
	s_wait_dscnt 0x5
	v_perm_b32 v197, v7, v6, 0x6040503
	s_wait_dscnt 0x1
	v_perm_b32 v53, v235, v39, 0x6040501
	;; [unrolled: 2-line block ×3, first 2 shown]
	v_perm_b32 v54, v15, v235, 0x6040503
	v_perm_b32 v209, v39, v15, 0x7060403
	;; [unrolled: 1-line block ×4, first 2 shown]
	v_dot4_i32_iu8 v42, v53, v42, 0 neg_lo:[1,1,0]
	v_perm_b32 v53, v236, v14, 0x6040503
	v_perm_b32 v236, v230, v52, 0x5040201
	;; [unrolled: 1-line block ×4, first 2 shown]
	s_delay_alu instid0(VALU_DEP_4) | instskip(NEXT) | instid1(VALU_DEP_1)
	v_dot4_i32_iu8 v42, v54, v53, v42 neg_lo:[1,1,0]
	v_dot4_i32_iu8 v41, v41, v209, v42 neg_lo:[1,1,0]
	s_delay_alu instid0(VALU_DEP_1)
	v_dot4_i32_iu8 v232, v238, v40, v41 neg_lo:[1,1,0]
	ds_load_2addr_b32 v[41:42], v12 offset0:10 offset1:11
	ds_load_2addr_b32 v[53:54], v12 offset0:8 offset1:9
	v_perm_b32 v238, v1, v0, 0x6050402
	s_wait_dscnt 0x0
	v_perm_b32 v12, v53, v195, 0x6040501
	v_perm_b32 v195, v193, v41, 0x6040501
	v_perm_b32 v194, v194, v53, 0x6040503
	v_perm_b32 v193, v54, v193, 0x6040503
	v_perm_b32 v215, v41, v54, 0x7060403
	s_delay_alu instid0(VALU_DEP_4) | instskip(SKIP_1) | instid1(VALU_DEP_2)
	v_dot4_i32_iu8 v12, v195, v12, 0 neg_lo:[1,1,0]
	v_bfe_i32 v195, v9, 8, 8
	v_dot4_i32_iu8 v12, v193, v194, v12 neg_lo:[1,1,0]
	v_perm_b32 v193, v231, v29, 0x6050401
	v_perm_b32 v194, v5, v4, 0x6040503
	s_delay_alu instid0(VALU_DEP_3)
	v_dot4_i32_iu8 v12, v67, v215, v12 neg_lo:[1,1,0]
	v_perm_b32 v67, v6, v233, 0x6050401
	v_perm_b32 v233, v59, v47, 0x6040501
	;; [unrolled: 1-line block ×4, first 2 shown]
	v_dot4_i32_iu8 v12, v196, v42, v12 neg_lo:[1,1,0]
	v_dot4_i32_iu8 v67, v193, v67, 0 neg_lo:[1,1,0]
	v_perm_b32 v196, v29, v7, 0x7060403
	v_perm_b32 v193, v19, v5, 0x7060403
	;; [unrolled: 1-line block ×4, first 2 shown]
	v_dot4_i32_iu8 v67, v68, v197, v67 neg_lo:[1,1,0]
	v_perm_b32 v68, v97, v19, 0x6050401
	v_perm_b32 v49, v10, v35, 0x6050401
	;; [unrolled: 1-line block ×4, first 2 shown]
	v_dot4_i32_iu8 v7, v69, v196, v67 neg_lo:[1,1,0]
	v_perm_b32 v67, v4, v99, 0x6050401
	v_bfe_i32 v69, v9, 0, 8
	s_delay_alu instid0(VALU_DEP_3) | instskip(NEXT) | instid1(VALU_DEP_3)
	v_dot4_i32_iu8 v7, v30, v234, v7 neg_lo:[1,1,0]
	v_dot4_i32_iu8 v67, v68, v67, 0 neg_lo:[1,1,0]
	v_perm_b32 v234, v51, v3, 0x402030c
	s_delay_alu instid0(VALU_DEP_3) | instskip(NEXT) | instid1(VALU_DEP_3)
	v_mul_lo_u32 v7, v7, v195
	v_dot4_i32_iu8 v67, v94, v194, v67 neg_lo:[1,1,0]
	s_delay_alu instid0(VALU_DEP_1) | instskip(NEXT) | instid1(VALU_DEP_1)
	v_dot4_i32_iu8 v5, v98, v193, v67 neg_lo:[1,1,0]
	v_dot4_i32_iu8 v5, v20, v100, v5 neg_lo:[1,1,0]
	s_delay_alu instid0(VALU_DEP_1) | instskip(SKIP_1) | instid1(VALU_DEP_2)
	v_mad_co_u64_u32 v[67:68], null, v5, v69, v[7:8]
	v_ashrrev_i32_e32 v68, 24, v9
	v_cvt_f32_i32_e32 v5, v67
	v_bfe_i32 v67, v9, 16, 8
	s_delay_alu instid0(VALU_DEP_2) | instskip(NEXT) | instid1(VALU_DEP_2)
	v_fma_f32 v7, v239, v5, 0
	v_mul_lo_u32 v5, v12, v67
	v_perm_b32 v239, v3, v2, 0x5040203
	s_delay_alu instid0(VALU_DEP_2) | instskip(SKIP_1) | instid1(VALU_DEP_2)
	v_mad_co_u64_u32 v[97:98], null, v232, v68, v[5:6]
	v_perm_b32 v232, v21, v26, 0x7060403
	v_cvt_f32_i32_e32 v5, v97
	s_delay_alu instid0(VALU_DEP_1) | instskip(SKIP_1) | instid1(VALU_DEP_2)
	v_fmac_f32_e32 v7, v240, v5
	v_or_b32_e32 v5, s12, v127
	v_fmac_f32_e32 v187, v66, v7
	s_delay_alu instid0(VALU_DEP_2)
	v_lshlrev_b32_e32 v7, 2, v5
	v_lshrrev_b32_e32 v5, 1, v5
	ds_load_b128 v[97:100], v7 offset:33280
	ds_load_b128 v[240:243], v7 offset:33296
	;; [unrolled: 1-line block ×4, first 2 shown]
	ds_load_b64 v[252:253], v5 offset:43584
	s_wait_dscnt 0x4
	v_perm_b32 v10, v97, v99, 0x6050401
	s_wait_dscnt 0x3
	v_perm_b32 v3, v241, v240, 0x6040503
	s_wait_dscnt 0x2
	v_bfe_i32 v5, v246, 8, 8
	v_bfe_i32 v7, v244, 8, 8
	;; [unrolled: 1-line block ×3, first 2 shown]
	v_ashrrev_i32_e32 v12, 24, v246
	v_perm_b32 v0, v246, v245, 0x4030200
	v_mul_i32_i24_e32 v5, v5, v225
	v_perm_b32 v1, v247, v247, 0x3020001
	v_mul_i32_i24_e32 v9, v227, v9
	v_mul_i32_i24_e32 v12, v226, v12
	s_wait_dscnt 0x1
	v_perm_b32 v231, v250, v250, 0xc0c0c01
	v_mad_i32_i24 v5, v228, v7, v5
	v_perm_b32 v7, v245, v244, 0x5030200
	v_perm_b32 v94, v248, v52, 0x6040503
	;; [unrolled: 1-line block ×3, first 2 shown]
	v_or_b32_e32 v231, v234, v231
	v_perm_b32 v28, v245, v244, 0x6040503
	v_dot4_i32_iu8 v5, v237, v7, v5 neg_lo:[1,1,0]
	v_perm_b32 v7, v25, v99, 0x6050401
	v_perm_b32 v62, v246, v245, 0x7060403
	v_dot4_i32_iu8 v94, v231, v94, 0 neg_lo:[1,1,0]
	v_perm_b32 v231, v26, v25, 0x6040503
	v_dot4_i32_iu8 v0, v238, v0, v5 neg_lo:[1,1,0]
	v_perm_b32 v5, v242, v241, 0x7060403
	v_perm_b32 v26, v244, v246, 0x6040501
	v_dot4_i32_iu8 v51, v95, v235, v94 neg_lo:[1,1,0]
	v_perm_b32 v94, v250, v249, 0x7060403
	v_add3_u32 v0, v0, v9, v12
	v_perm_b32 v9, v99, v98, 0x7060403
	v_perm_b32 v13, v240, v242, 0x6050401
	s_delay_alu instid0(VALU_DEP_4) | instskip(NEXT) | instid1(VALU_DEP_4)
	v_dot4_i32_iu8 v51, v236, v94, v51 neg_lo:[1,1,0]
	v_dot4_i32_iu8 v2, v239, v1, v0 neg_lo:[1,1,0]
	v_perm_b32 v0, v240, v23, 0x6050401
	v_perm_b32 v1, v27, v242, 0x6050401
	s_delay_alu instid0(VALU_DEP_4) | instskip(NEXT) | instid1(VALU_DEP_2)
	v_dot4_i32_iu8 v51, v224, v251, v51 neg_lo:[1,1,0]
	v_dot4_i32_iu8 v0, v1, v0, 0 neg_lo:[1,1,0]
	v_perm_b32 v1, v97, v21, 0x6050401
	s_delay_alu instid0(VALU_DEP_2) | instskip(NEXT) | instid1(VALU_DEP_2)
	v_dot4_i32_iu8 v0, v229, v3, v0 neg_lo:[1,1,0]
	v_dot4_i32_iu8 v1, v7, v1, 0 neg_lo:[1,1,0]
	v_perm_b32 v7, v98, v97, 0x6040503
	s_delay_alu instid0(VALU_DEP_3) | instskip(NEXT) | instid1(VALU_DEP_2)
	v_dot4_i32_iu8 v0, v230, v5, v0 neg_lo:[1,1,0]
	v_dot4_i32_iu8 v1, v231, v7, v1 neg_lo:[1,1,0]
	s_delay_alu instid0(VALU_DEP_2) | instskip(NEXT) | instid1(VALU_DEP_2)
	v_dot4_i32_iu8 v0, v243, v24, v0 neg_lo:[1,1,0]
	v_dot4_i32_iu8 v1, v232, v9, v1 neg_lo:[1,1,0]
	s_delay_alu instid0(VALU_DEP_2) | instskip(NEXT) | instid1(VALU_DEP_2)
	v_mul_lo_u32 v0, v0, v211
	v_dot4_i32_iu8 v1, v100, v22, v1 neg_lo:[1,1,0]
	s_delay_alu instid0(VALU_DEP_1) | instskip(NEXT) | instid1(VALU_DEP_1)
	v_mad_co_u64_u32 v[0:1], null, v1, v219, v[0:1]
	v_cvt_f32_i32_e32 v0, v0
	s_wait_dscnt 0x0
	s_delay_alu instid0(VALU_DEP_1) | instskip(SKIP_1) | instid1(VALU_DEP_1)
	v_fma_f32 v12, v252, v0, 0
	v_mul_lo_u32 v0, v51, v221
	v_mad_co_u64_u32 v[0:1], null, v2, v220, v[0:1]
	v_perm_b32 v2, v248, v250, 0x6040501
	v_dot4_i32_iu8 v1, v10, v49, 0 neg_lo:[1,1,0]
	s_delay_alu instid0(VALU_DEP_3) | instskip(NEXT) | instid1(VALU_DEP_2)
	v_cvt_f32_i32_e32 v0, v0
	v_dot4_i32_iu8 v1, v7, v210, v1 neg_lo:[1,1,0]
	s_delay_alu instid0(VALU_DEP_2) | instskip(SKIP_1) | instid1(VALU_DEP_3)
	v_fmac_f32_e32 v12, v253, v0
	v_dot4_i32_iu8 v0, v2, v233, 0 neg_lo:[1,1,0]
	v_dot4_i32_iu8 v1, v9, v212, v1 neg_lo:[1,1,0]
	s_delay_alu instid0(VALU_DEP_3) | instskip(NEXT) | instid1(VALU_DEP_3)
	v_fmac_f32_e32 v165, v63, v12
	v_dot4_i32_iu8 v0, v95, v59, v0 neg_lo:[1,1,0]
	s_delay_alu instid0(VALU_DEP_3) | instskip(NEXT) | instid1(VALU_DEP_2)
	v_dot4_i32_iu8 v1, v100, v36, v1 neg_lo:[1,1,0]
	v_dot4_i32_iu8 v0, v94, v222, v0 neg_lo:[1,1,0]
	s_delay_alu instid0(VALU_DEP_1) | instskip(SKIP_1) | instid1(VALU_DEP_1)
	v_dot4_i32_iu8 v12, v251, v48, v0 neg_lo:[1,1,0]
	v_dot4_i32_iu8 v0, v26, v60, 0 neg_lo:[1,1,0]
	;; [unrolled: 1-line block ×3, first 2 shown]
	s_delay_alu instid0(VALU_DEP_1) | instskip(NEXT) | instid1(VALU_DEP_1)
	v_dot4_i32_iu8 v0, v62, v223, v0 neg_lo:[1,1,0]
	v_dot4_i32_iu8 v51, v247, v50, v0 neg_lo:[1,1,0]
	;; [unrolled: 1-line block ×3, first 2 shown]
	s_delay_alu instid0(VALU_DEP_1) | instskip(NEXT) | instid1(VALU_DEP_1)
	v_dot4_i32_iu8 v0, v3, v206, v0 neg_lo:[1,1,0]
	v_dot4_i32_iu8 v0, v5, v207, v0 neg_lo:[1,1,0]
	s_delay_alu instid0(VALU_DEP_1) | instskip(NEXT) | instid1(VALU_DEP_1)
	v_dot4_i32_iu8 v0, v243, v38, v0 neg_lo:[1,1,0]
	v_mul_lo_u32 v0, v0, v208
	s_delay_alu instid0(VALU_DEP_1) | instskip(NEXT) | instid1(VALU_DEP_1)
	v_mad_co_u64_u32 v[0:1], null, v1, v213, v[0:1]
	v_cvt_f32_i32_e32 v0, v0
	s_delay_alu instid0(VALU_DEP_1) | instskip(SKIP_1) | instid1(VALU_DEP_1)
	v_fma_f32 v35, v252, v0, 0
	v_mul_lo_u32 v0, v12, v216
	v_mad_co_u64_u32 v[0:1], null, v51, v214, v[0:1]
	v_perm_b32 v51, v56, v55, 0x6040503
	v_perm_b32 v55, v58, v57, 0x6040503
	v_dot4_i32_iu8 v1, v10, v31, 0 neg_lo:[1,1,0]
	s_delay_alu instid0(VALU_DEP_4) | instskip(NEXT) | instid1(VALU_DEP_2)
	v_cvt_f32_i32_e32 v0, v0
	v_dot4_i32_iu8 v1, v7, v201, v1 neg_lo:[1,1,0]
	s_delay_alu instid0(VALU_DEP_2) | instskip(SKIP_1) | instid1(VALU_DEP_3)
	v_fmac_f32_e32 v35, v253, v0
	v_dot4_i32_iu8 v0, v2, v43, 0 neg_lo:[1,1,0]
	v_dot4_i32_iu8 v1, v9, v202, v1 neg_lo:[1,1,0]
	s_delay_alu instid0(VALU_DEP_3) | instskip(NEXT) | instid1(VALU_DEP_3)
	v_fmac_f32_e32 v176, v64, v35
	v_dot4_i32_iu8 v0, v95, v51, v0 neg_lo:[1,1,0]
	s_delay_alu instid0(VALU_DEP_3) | instskip(NEXT) | instid1(VALU_DEP_2)
	v_dot4_i32_iu8 v1, v100, v32, v1 neg_lo:[1,1,0]
	v_dot4_i32_iu8 v0, v94, v217, v0 neg_lo:[1,1,0]
	s_delay_alu instid0(VALU_DEP_1) | instskip(SKIP_1) | instid1(VALU_DEP_1)
	v_dot4_i32_iu8 v12, v251, v44, v0 neg_lo:[1,1,0]
	v_dot4_i32_iu8 v0, v26, v45, 0 neg_lo:[1,1,0]
	;; [unrolled: 1-line block ×3, first 2 shown]
	s_delay_alu instid0(VALU_DEP_1) | instskip(NEXT) | instid1(VALU_DEP_1)
	v_dot4_i32_iu8 v0, v62, v218, v0 neg_lo:[1,1,0]
	v_dot4_i32_iu8 v35, v247, v46, v0 neg_lo:[1,1,0]
	;; [unrolled: 1-line block ×3, first 2 shown]
	s_delay_alu instid0(VALU_DEP_1) | instskip(NEXT) | instid1(VALU_DEP_1)
	v_dot4_i32_iu8 v0, v3, v198, v0 neg_lo:[1,1,0]
	v_dot4_i32_iu8 v0, v5, v199, v0 neg_lo:[1,1,0]
	s_delay_alu instid0(VALU_DEP_1) | instskip(NEXT) | instid1(VALU_DEP_1)
	v_dot4_i32_iu8 v0, v243, v34, v0 neg_lo:[1,1,0]
	v_mul_lo_u32 v0, v0, v200
	s_delay_alu instid0(VALU_DEP_1) | instskip(NEXT) | instid1(VALU_DEP_1)
	v_mad_co_u64_u32 v[0:1], null, v1, v203, v[0:1]
	v_cvt_f32_i32_e32 v0, v0
	s_delay_alu instid0(VALU_DEP_1) | instskip(SKIP_1) | instid1(VALU_DEP_1)
	v_fma_f32 v8, v252, v0, 0
	v_mul_lo_u32 v0, v12, v205
	v_mad_co_u64_u32 v[0:1], null, v35, v204, v[0:1]
	v_perm_b32 v35, v14, v39, 0x6040501
	v_perm_b32 v39, v53, v41, 0x6040501
	;; [unrolled: 1-line block ×3, first 2 shown]
	v_dot4_i32_iu8 v1, v10, v19, 0 neg_lo:[1,1,0]
	v_cvt_f32_i32_e32 v0, v0
	s_delay_alu instid0(VALU_DEP_2) | instskip(NEXT) | instid1(VALU_DEP_2)
	v_dot4_i32_iu8 v1, v7, v194, v1 neg_lo:[1,1,0]
	v_fmac_f32_e32 v8, v253, v0
	v_dot4_i32_iu8 v0, v2, v35, 0 neg_lo:[1,1,0]
	s_delay_alu instid0(VALU_DEP_3) | instskip(NEXT) | instid1(VALU_DEP_3)
	v_dot4_i32_iu8 v1, v9, v193, v1 neg_lo:[1,1,0]
	v_fmac_f32_e32 v182, v65, v8
	s_delay_alu instid0(VALU_DEP_3) | instskip(NEXT) | instid1(VALU_DEP_3)
	v_dot4_i32_iu8 v0, v95, v37, v0 neg_lo:[1,1,0]
	v_dot4_i32_iu8 v1, v100, v20, v1 neg_lo:[1,1,0]
	s_delay_alu instid0(VALU_DEP_2) | instskip(NEXT) | instid1(VALU_DEP_1)
	v_dot4_i32_iu8 v0, v94, v209, v0 neg_lo:[1,1,0]
	v_dot4_i32_iu8 v2, v251, v40, v0 neg_lo:[1,1,0]
	;; [unrolled: 1-line block ×3, first 2 shown]
	v_perm_b32 v26, v6, v29, 0x6050401
	s_delay_alu instid0(VALU_DEP_2) | instskip(NEXT) | instid1(VALU_DEP_1)
	v_dot4_i32_iu8 v0, v28, v41, v0 neg_lo:[1,1,0]
	v_dot4_i32_iu8 v0, v62, v215, v0 neg_lo:[1,1,0]
	s_delay_alu instid0(VALU_DEP_1) | instskip(NEXT) | instid1(VALU_DEP_4)
	v_dot4_i32_iu8 v8, v247, v42, v0 neg_lo:[1,1,0]
	v_dot4_i32_iu8 v0, v13, v26, 0 neg_lo:[1,1,0]
	s_delay_alu instid0(VALU_DEP_1) | instskip(NEXT) | instid1(VALU_DEP_1)
	v_dot4_i32_iu8 v0, v3, v197, v0 neg_lo:[1,1,0]
	v_dot4_i32_iu8 v0, v5, v196, v0 neg_lo:[1,1,0]
	s_delay_alu instid0(VALU_DEP_1) | instskip(NEXT) | instid1(VALU_DEP_1)
	v_dot4_i32_iu8 v0, v243, v30, v0 neg_lo:[1,1,0]
	v_mul_lo_u32 v0, v0, v195
	s_delay_alu instid0(VALU_DEP_1) | instskip(NEXT) | instid1(VALU_DEP_1)
	v_mad_co_u64_u32 v[0:1], null, v1, v69, v[0:1]
	v_cvt_f32_i32_e32 v0, v0
	s_delay_alu instid0(VALU_DEP_1) | instskip(SKIP_1) | instid1(VALU_DEP_1)
	v_fma_f32 v3, v252, v0, 0
	v_mul_lo_u32 v0, v2, v68
	v_mad_co_u64_u32 v[0:1], null, v8, v67, v[0:1]
	s_delay_alu instid0(VALU_DEP_1) | instskip(NEXT) | instid1(VALU_DEP_1)
	v_cvt_f32_i32_e32 v0, v0
	v_fmac_f32_e32 v3, v253, v0
	v_or_b32_e32 v0, s12, v128
	s_delay_alu instid0(VALU_DEP_2) | instskip(NEXT) | instid1(VALU_DEP_2)
	v_fmac_f32_e32 v186, v66, v3
	v_lshlrev_b32_e32 v12, 2, v0
	v_lshrrev_b32_e32 v28, 1, v0
	ds_load_b128 v[0:3], v12 offset:33280
	ds_load_b128 v[4:7], v12 offset:33296
	;; [unrolled: 1-line block ×4, first 2 shown]
	ds_load_b64 v[28:29], v28 offset:43584
	s_wait_dscnt 0x4
	v_perm_b32 v95, v1, v0, 0x6040503
	s_wait_dscnt 0x3
	v_perm_b32 v94, v6, v5, 0x7060403
	s_wait_dscnt 0x2
	v_bfe_i32 v53, v10, 8, 8
	v_bfe_i32 v54, v8, 8, 8
	;; [unrolled: 1-line block ×3, first 2 shown]
	v_ashrrev_i32_e32 v57, 24, v10
	s_wait_dscnt 0x1
	v_perm_b32 v62, v14, v14, 0xc0c0c01
	v_mul_i32_i24_e32 v53, v53, v225
	v_perm_b32 v97, v2, v1, 0x7060403
	v_mul_i32_i24_e32 v56, v227, v56
	v_mul_i32_i24_e32 v57, v226, v57
	v_perm_b32 v58, v12, v52, 0x6040503
	v_mad_i32_i24 v53, v228, v54, v53
	v_perm_b32 v54, v9, v8, 0x5030200
	v_or_b32_e32 v62, v234, v62
	s_delay_alu instid0(VALU_DEP_2) | instskip(SKIP_1) | instid1(VALU_DEP_3)
	v_dot4_i32_iu8 v53, v237, v54, v53 neg_lo:[1,1,0]
	v_perm_b32 v54, v10, v9, 0x4030200
	v_dot4_i32_iu8 v58, v62, v58, 0 neg_lo:[1,1,0]
	v_perm_b32 v62, v13, v12, 0x6040503
	v_perm_b32 v13, v14, v13, 0x7060403
	s_delay_alu instid0(VALU_DEP_4) | instskip(SKIP_1) | instid1(VALU_DEP_4)
	v_dot4_i32_iu8 v53, v238, v54, v53 neg_lo:[1,1,0]
	v_perm_b32 v54, v11, v11, 0x3020001
	v_dot4_i32_iu8 v58, v62, v235, v58 neg_lo:[1,1,0]
	s_delay_alu instid0(VALU_DEP_3) | instskip(SKIP_1) | instid1(VALU_DEP_3)
	v_add3_u32 v53, v53, v56, v57
	v_perm_b32 v57, v5, v4, 0x6040503
	v_dot4_i32_iu8 v58, v236, v13, v58 neg_lo:[1,1,0]
	s_delay_alu instid0(VALU_DEP_3) | instskip(SKIP_2) | instid1(VALU_DEP_4)
	v_dot4_i32_iu8 v56, v239, v54, v53 neg_lo:[1,1,0]
	v_perm_b32 v53, v4, v23, 0x6050401
	v_perm_b32 v54, v27, v6, 0x6050401
	v_dot4_i32_iu8 v58, v224, v15, v58 neg_lo:[1,1,0]
	v_perm_b32 v4, v4, v6, 0x6050401
	s_delay_alu instid0(VALU_DEP_3) | instskip(SKIP_1) | instid1(VALU_DEP_2)
	v_dot4_i32_iu8 v53, v54, v53, 0 neg_lo:[1,1,0]
	v_perm_b32 v54, v25, v2, 0x6050401
	v_dot4_i32_iu8 v53, v229, v57, v53 neg_lo:[1,1,0]
	s_delay_alu instid0(VALU_DEP_1) | instskip(SKIP_1) | instid1(VALU_DEP_2)
	v_dot4_i32_iu8 v5, v230, v94, v53 neg_lo:[1,1,0]
	v_perm_b32 v53, v0, v21, 0x6050401
	v_dot4_i32_iu8 v5, v7, v24, v5 neg_lo:[1,1,0]
	s_delay_alu instid0(VALU_DEP_2) | instskip(NEXT) | instid1(VALU_DEP_2)
	v_dot4_i32_iu8 v53, v54, v53, 0 neg_lo:[1,1,0]
	v_mul_lo_u32 v5, v5, v211
	s_delay_alu instid0(VALU_DEP_2) | instskip(NEXT) | instid1(VALU_DEP_1)
	v_dot4_i32_iu8 v53, v231, v95, v53 neg_lo:[1,1,0]
	v_dot4_i32_iu8 v1, v232, v97, v53 neg_lo:[1,1,0]
	s_delay_alu instid0(VALU_DEP_1) | instskip(NEXT) | instid1(VALU_DEP_1)
	v_dot4_i32_iu8 v1, v3, v22, v1 neg_lo:[1,1,0]
	v_mad_co_u64_u32 v[53:54], null, v1, v219, v[5:6]
	s_delay_alu instid0(VALU_DEP_1) | instskip(SKIP_1) | instid1(VALU_DEP_1)
	v_cvt_f32_i32_e32 v1, v53
	s_wait_dscnt 0x0
	v_fma_f32 v5, v28, v1, 0
	v_mul_lo_u32 v1, v58, v221
	s_delay_alu instid0(VALU_DEP_1) | instskip(SKIP_1) | instid1(VALU_DEP_1)
	v_mad_co_u64_u32 v[53:54], null, v56, v220, v[1:2]
	v_perm_b32 v2, v0, v2, 0x6050401
	v_dot4_i32_iu8 v0, v2, v49, 0 neg_lo:[1,1,0]
	s_delay_alu instid0(VALU_DEP_3) | instskip(NEXT) | instid1(VALU_DEP_2)
	v_cvt_f32_i32_e32 v1, v53
	v_dot4_i32_iu8 v0, v95, v210, v0 neg_lo:[1,1,0]
	s_delay_alu instid0(VALU_DEP_2) | instskip(NEXT) | instid1(VALU_DEP_2)
	v_fmac_f32_e32 v5, v29, v1
	v_dot4_i32_iu8 v0, v97, v212, v0 neg_lo:[1,1,0]
	s_delay_alu instid0(VALU_DEP_2)
	v_fmac_f32_e32 v159, v63, v5
	v_perm_b32 v5, v12, v14, 0x6040501
	v_perm_b32 v14, v8, v10, 0x6040501
	;; [unrolled: 1-line block ×4, first 2 shown]
	v_dot4_i32_iu8 v0, v3, v36, v0 neg_lo:[1,1,0]
	v_dot4_i32_iu8 v1, v5, v233, 0 neg_lo:[1,1,0]
	s_delay_alu instid0(VALU_DEP_1) | instskip(NEXT) | instid1(VALU_DEP_1)
	v_dot4_i32_iu8 v1, v62, v59, v1 neg_lo:[1,1,0]
	v_dot4_i32_iu8 v1, v13, v222, v1 neg_lo:[1,1,0]
	s_delay_alu instid0(VALU_DEP_1) | instskip(SKIP_1) | instid1(VALU_DEP_1)
	v_dot4_i32_iu8 v12, v15, v48, v1 neg_lo:[1,1,0]
	v_dot4_i32_iu8 v1, v14, v60, 0 neg_lo:[1,1,0]
	;; [unrolled: 1-line block ×3, first 2 shown]
	s_delay_alu instid0(VALU_DEP_1) | instskip(NEXT) | instid1(VALU_DEP_1)
	v_dot4_i32_iu8 v1, v9, v223, v1 neg_lo:[1,1,0]
	v_dot4_i32_iu8 v10, v11, v50, v1 neg_lo:[1,1,0]
	;; [unrolled: 1-line block ×3, first 2 shown]
	s_delay_alu instid0(VALU_DEP_1) | instskip(NEXT) | instid1(VALU_DEP_1)
	v_dot4_i32_iu8 v1, v57, v206, v1 neg_lo:[1,1,0]
	v_dot4_i32_iu8 v1, v94, v207, v1 neg_lo:[1,1,0]
	s_delay_alu instid0(VALU_DEP_1) | instskip(NEXT) | instid1(VALU_DEP_1)
	v_dot4_i32_iu8 v1, v7, v38, v1 neg_lo:[1,1,0]
	v_mul_lo_u32 v1, v1, v208
	s_delay_alu instid0(VALU_DEP_1) | instskip(NEXT) | instid1(VALU_DEP_1)
	v_mad_co_u64_u32 v[0:1], null, v0, v213, v[1:2]
	v_cvt_f32_i32_e32 v0, v0
	s_delay_alu instid0(VALU_DEP_1) | instskip(SKIP_1) | instid1(VALU_DEP_1)
	v_fma_f32 v6, v28, v0, 0
	v_mul_lo_u32 v0, v12, v216
	v_mad_co_u64_u32 v[0:1], null, v10, v214, v[0:1]
	v_dot4_i32_iu8 v1, v2, v31, 0 neg_lo:[1,1,0]
	s_delay_alu instid0(VALU_DEP_1) | instskip(NEXT) | instid1(VALU_DEP_3)
	v_dot4_i32_iu8 v1, v95, v201, v1 neg_lo:[1,1,0]
	v_cvt_f32_i32_e32 v0, v0
	s_delay_alu instid0(VALU_DEP_2) | instskip(NEXT) | instid1(VALU_DEP_2)
	v_dot4_i32_iu8 v1, v97, v202, v1 neg_lo:[1,1,0]
	v_fmac_f32_e32 v6, v29, v0
	v_dot4_i32_iu8 v0, v5, v43, 0 neg_lo:[1,1,0]
	s_delay_alu instid0(VALU_DEP_3) | instskip(NEXT) | instid1(VALU_DEP_3)
	v_dot4_i32_iu8 v1, v3, v32, v1 neg_lo:[1,1,0]
	v_fmac_f32_e32 v173, v64, v6
	s_delay_alu instid0(VALU_DEP_3) | instskip(NEXT) | instid1(VALU_DEP_1)
	v_dot4_i32_iu8 v0, v62, v51, v0 neg_lo:[1,1,0]
	v_dot4_i32_iu8 v0, v13, v217, v0 neg_lo:[1,1,0]
	s_delay_alu instid0(VALU_DEP_1) | instskip(SKIP_1) | instid1(VALU_DEP_1)
	v_dot4_i32_iu8 v6, v15, v44, v0 neg_lo:[1,1,0]
	v_dot4_i32_iu8 v0, v14, v45, 0 neg_lo:[1,1,0]
	;; [unrolled: 1-line block ×3, first 2 shown]
	s_delay_alu instid0(VALU_DEP_1) | instskip(NEXT) | instid1(VALU_DEP_1)
	v_dot4_i32_iu8 v0, v9, v218, v0 neg_lo:[1,1,0]
	v_dot4_i32_iu8 v10, v11, v46, v0 neg_lo:[1,1,0]
	v_dot4_i32_iu8 v0, v4, v33, 0 neg_lo:[1,1,0]
	s_delay_alu instid0(VALU_DEP_1) | instskip(NEXT) | instid1(VALU_DEP_1)
	v_dot4_i32_iu8 v0, v57, v198, v0 neg_lo:[1,1,0]
	v_dot4_i32_iu8 v0, v94, v199, v0 neg_lo:[1,1,0]
	s_delay_alu instid0(VALU_DEP_1) | instskip(NEXT) | instid1(VALU_DEP_1)
	v_dot4_i32_iu8 v0, v7, v34, v0 neg_lo:[1,1,0]
	v_mul_lo_u32 v0, v0, v200
	s_delay_alu instid0(VALU_DEP_1) | instskip(NEXT) | instid1(VALU_DEP_1)
	v_mad_co_u64_u32 v[0:1], null, v1, v203, v[0:1]
	v_cvt_f32_i32_e32 v0, v0
	s_delay_alu instid0(VALU_DEP_1) | instskip(SKIP_1) | instid1(VALU_DEP_1)
	v_fma_f32 v12, v28, v0, 0
	v_mul_lo_u32 v0, v6, v205
	v_mad_co_u64_u32 v[0:1], null, v10, v204, v[0:1]
	v_dot4_i32_iu8 v1, v2, v19, 0 neg_lo:[1,1,0]
	s_delay_alu instid0(VALU_DEP_1) | instskip(NEXT) | instid1(VALU_DEP_3)
	v_dot4_i32_iu8 v1, v95, v194, v1 neg_lo:[1,1,0]
	v_cvt_f32_i32_e32 v0, v0
	s_delay_alu instid0(VALU_DEP_2) | instskip(NEXT) | instid1(VALU_DEP_2)
	v_dot4_i32_iu8 v1, v97, v193, v1 neg_lo:[1,1,0]
	v_fmac_f32_e32 v12, v29, v0
	v_dot4_i32_iu8 v0, v5, v35, 0 neg_lo:[1,1,0]
	s_delay_alu instid0(VALU_DEP_3) | instskip(NEXT) | instid1(VALU_DEP_3)
	v_dot4_i32_iu8 v1, v3, v20, v1 neg_lo:[1,1,0]
	v_fmac_f32_e32 v180, v65, v12
	s_delay_alu instid0(VALU_DEP_3) | instskip(NEXT) | instid1(VALU_DEP_1)
	v_dot4_i32_iu8 v0, v62, v37, v0 neg_lo:[1,1,0]
	v_dot4_i32_iu8 v0, v13, v209, v0 neg_lo:[1,1,0]
	s_delay_alu instid0(VALU_DEP_1) | instskip(SKIP_1) | instid1(VALU_DEP_1)
	v_dot4_i32_iu8 v5, v15, v40, v0 neg_lo:[1,1,0]
	v_dot4_i32_iu8 v0, v14, v39, 0 neg_lo:[1,1,0]
	;; [unrolled: 1-line block ×3, first 2 shown]
	s_delay_alu instid0(VALU_DEP_1) | instskip(NEXT) | instid1(VALU_DEP_1)
	v_dot4_i32_iu8 v0, v9, v215, v0 neg_lo:[1,1,0]
	v_dot4_i32_iu8 v6, v11, v42, v0 neg_lo:[1,1,0]
	;; [unrolled: 1-line block ×3, first 2 shown]
	s_delay_alu instid0(VALU_DEP_1) | instskip(NEXT) | instid1(VALU_DEP_1)
	v_dot4_i32_iu8 v0, v57, v197, v0 neg_lo:[1,1,0]
	v_dot4_i32_iu8 v0, v94, v196, v0 neg_lo:[1,1,0]
	s_delay_alu instid0(VALU_DEP_1) | instskip(NEXT) | instid1(VALU_DEP_1)
	v_dot4_i32_iu8 v0, v7, v30, v0 neg_lo:[1,1,0]
	v_mul_lo_u32 v0, v0, v195
	s_delay_alu instid0(VALU_DEP_1) | instskip(NEXT) | instid1(VALU_DEP_1)
	v_mad_co_u64_u32 v[0:1], null, v1, v69, v[0:1]
	v_cvt_f32_i32_e32 v0, v0
	s_delay_alu instid0(VALU_DEP_1) | instskip(SKIP_1) | instid1(VALU_DEP_1)
	v_fma_f32 v2, v28, v0, 0
	v_mul_lo_u32 v0, v5, v68
	v_mad_co_u64_u32 v[0:1], null, v6, v67, v[0:1]
	s_delay_alu instid0(VALU_DEP_1) | instskip(NEXT) | instid1(VALU_DEP_1)
	v_cvt_f32_i32_e32 v0, v0
	v_fmac_f32_e32 v2, v29, v0
	v_or_b32_e32 v0, s12, v129
	s_delay_alu instid0(VALU_DEP_1)
	v_dual_fmac_f32 v185, v66, v2 :: v_dual_lshlrev_b32 v12, 2, v0
	v_lshrrev_b32_e32 v28, 1, v0
	ds_load_b128 v[0:3], v12 offset:33280
	ds_load_b128 v[4:7], v12 offset:33296
	;; [unrolled: 1-line block ×4, first 2 shown]
	ds_load_b64 v[28:29], v28 offset:43584
	s_wait_dscnt 0x4
	v_perm_b32 v95, v1, v0, 0x6040503
	s_wait_dscnt 0x3
	v_perm_b32 v94, v6, v5, 0x7060403
	s_wait_dscnt 0x2
	v_bfe_i32 v53, v10, 8, 8
	v_bfe_i32 v54, v8, 8, 8
	;; [unrolled: 1-line block ×3, first 2 shown]
	v_ashrrev_i32_e32 v57, 24, v10
	s_wait_dscnt 0x1
	v_perm_b32 v62, v14, v14, 0xc0c0c01
	v_mul_i32_i24_e32 v53, v53, v225
	v_perm_b32 v97, v2, v1, 0x7060403
	v_mul_i32_i24_e32 v56, v227, v56
	v_mul_i32_i24_e32 v57, v226, v57
	v_perm_b32 v58, v12, v52, 0x6040503
	v_mad_i32_i24 v53, v228, v54, v53
	v_perm_b32 v54, v9, v8, 0x5030200
	v_or_b32_e32 v62, v234, v62
	s_delay_alu instid0(VALU_DEP_2) | instskip(SKIP_1) | instid1(VALU_DEP_3)
	v_dot4_i32_iu8 v53, v237, v54, v53 neg_lo:[1,1,0]
	v_perm_b32 v54, v10, v9, 0x4030200
	v_dot4_i32_iu8 v58, v62, v58, 0 neg_lo:[1,1,0]
	v_perm_b32 v62, v13, v12, 0x6040503
	v_perm_b32 v13, v14, v13, 0x7060403
	s_delay_alu instid0(VALU_DEP_4) | instskip(SKIP_1) | instid1(VALU_DEP_4)
	v_dot4_i32_iu8 v53, v238, v54, v53 neg_lo:[1,1,0]
	v_perm_b32 v54, v11, v11, 0x3020001
	v_dot4_i32_iu8 v58, v62, v235, v58 neg_lo:[1,1,0]
	s_delay_alu instid0(VALU_DEP_3) | instskip(SKIP_1) | instid1(VALU_DEP_3)
	v_add3_u32 v53, v53, v56, v57
	v_perm_b32 v57, v5, v4, 0x6040503
	v_dot4_i32_iu8 v58, v236, v13, v58 neg_lo:[1,1,0]
	s_delay_alu instid0(VALU_DEP_3) | instskip(SKIP_2) | instid1(VALU_DEP_4)
	v_dot4_i32_iu8 v56, v239, v54, v53 neg_lo:[1,1,0]
	v_perm_b32 v53, v4, v23, 0x6050401
	v_perm_b32 v54, v27, v6, 0x6050401
	v_dot4_i32_iu8 v58, v224, v15, v58 neg_lo:[1,1,0]
	v_perm_b32 v4, v4, v6, 0x6050401
	s_delay_alu instid0(VALU_DEP_3) | instskip(SKIP_1) | instid1(VALU_DEP_2)
	v_dot4_i32_iu8 v53, v54, v53, 0 neg_lo:[1,1,0]
	v_perm_b32 v54, v25, v2, 0x6050401
	v_dot4_i32_iu8 v53, v229, v57, v53 neg_lo:[1,1,0]
	s_delay_alu instid0(VALU_DEP_1) | instskip(SKIP_1) | instid1(VALU_DEP_2)
	v_dot4_i32_iu8 v5, v230, v94, v53 neg_lo:[1,1,0]
	v_perm_b32 v53, v0, v21, 0x6050401
	v_dot4_i32_iu8 v5, v7, v24, v5 neg_lo:[1,1,0]
	s_delay_alu instid0(VALU_DEP_2) | instskip(NEXT) | instid1(VALU_DEP_2)
	v_dot4_i32_iu8 v53, v54, v53, 0 neg_lo:[1,1,0]
	v_mul_lo_u32 v5, v5, v211
	s_delay_alu instid0(VALU_DEP_2) | instskip(NEXT) | instid1(VALU_DEP_1)
	v_dot4_i32_iu8 v53, v231, v95, v53 neg_lo:[1,1,0]
	v_dot4_i32_iu8 v1, v232, v97, v53 neg_lo:[1,1,0]
	s_delay_alu instid0(VALU_DEP_1) | instskip(NEXT) | instid1(VALU_DEP_1)
	v_dot4_i32_iu8 v1, v3, v22, v1 neg_lo:[1,1,0]
	v_mad_co_u64_u32 v[53:54], null, v1, v219, v[5:6]
	s_delay_alu instid0(VALU_DEP_1) | instskip(SKIP_1) | instid1(VALU_DEP_1)
	v_cvt_f32_i32_e32 v1, v53
	s_wait_dscnt 0x0
	v_fma_f32 v5, v28, v1, 0
	v_mul_lo_u32 v1, v58, v221
	s_delay_alu instid0(VALU_DEP_1) | instskip(SKIP_1) | instid1(VALU_DEP_1)
	v_mad_co_u64_u32 v[53:54], null, v56, v220, v[1:2]
	v_perm_b32 v2, v0, v2, 0x6050401
	v_dot4_i32_iu8 v0, v2, v49, 0 neg_lo:[1,1,0]
	s_delay_alu instid0(VALU_DEP_3) | instskip(NEXT) | instid1(VALU_DEP_2)
	v_cvt_f32_i32_e32 v1, v53
	v_dot4_i32_iu8 v0, v95, v210, v0 neg_lo:[1,1,0]
	s_delay_alu instid0(VALU_DEP_2) | instskip(NEXT) | instid1(VALU_DEP_2)
	v_fmac_f32_e32 v5, v29, v1
	v_dot4_i32_iu8 v0, v97, v212, v0 neg_lo:[1,1,0]
	s_delay_alu instid0(VALU_DEP_2)
	v_fmac_f32_e32 v153, v63, v5
	v_perm_b32 v5, v12, v14, 0x6040501
	v_perm_b32 v14, v8, v10, 0x6040501
	;; [unrolled: 1-line block ×4, first 2 shown]
	v_dot4_i32_iu8 v0, v3, v36, v0 neg_lo:[1,1,0]
	v_dot4_i32_iu8 v1, v5, v233, 0 neg_lo:[1,1,0]
	s_delay_alu instid0(VALU_DEP_1) | instskip(NEXT) | instid1(VALU_DEP_1)
	v_dot4_i32_iu8 v1, v62, v59, v1 neg_lo:[1,1,0]
	v_dot4_i32_iu8 v1, v13, v222, v1 neg_lo:[1,1,0]
	s_delay_alu instid0(VALU_DEP_1) | instskip(SKIP_1) | instid1(VALU_DEP_1)
	v_dot4_i32_iu8 v12, v15, v48, v1 neg_lo:[1,1,0]
	v_dot4_i32_iu8 v1, v14, v60, 0 neg_lo:[1,1,0]
	;; [unrolled: 1-line block ×3, first 2 shown]
	s_delay_alu instid0(VALU_DEP_1) | instskip(NEXT) | instid1(VALU_DEP_1)
	v_dot4_i32_iu8 v1, v9, v223, v1 neg_lo:[1,1,0]
	v_dot4_i32_iu8 v10, v11, v50, v1 neg_lo:[1,1,0]
	;; [unrolled: 1-line block ×3, first 2 shown]
	s_delay_alu instid0(VALU_DEP_1) | instskip(NEXT) | instid1(VALU_DEP_1)
	v_dot4_i32_iu8 v1, v57, v206, v1 neg_lo:[1,1,0]
	v_dot4_i32_iu8 v1, v94, v207, v1 neg_lo:[1,1,0]
	s_delay_alu instid0(VALU_DEP_1) | instskip(NEXT) | instid1(VALU_DEP_1)
	v_dot4_i32_iu8 v1, v7, v38, v1 neg_lo:[1,1,0]
	v_mul_lo_u32 v1, v1, v208
	s_delay_alu instid0(VALU_DEP_1) | instskip(NEXT) | instid1(VALU_DEP_1)
	v_mad_co_u64_u32 v[0:1], null, v0, v213, v[1:2]
	v_cvt_f32_i32_e32 v0, v0
	s_delay_alu instid0(VALU_DEP_1) | instskip(SKIP_1) | instid1(VALU_DEP_1)
	v_fma_f32 v6, v28, v0, 0
	v_mul_lo_u32 v0, v12, v216
	v_mad_co_u64_u32 v[0:1], null, v10, v214, v[0:1]
	v_dot4_i32_iu8 v1, v2, v31, 0 neg_lo:[1,1,0]
	s_delay_alu instid0(VALU_DEP_1) | instskip(NEXT) | instid1(VALU_DEP_3)
	v_dot4_i32_iu8 v1, v95, v201, v1 neg_lo:[1,1,0]
	v_cvt_f32_i32_e32 v0, v0
	s_delay_alu instid0(VALU_DEP_2) | instskip(NEXT) | instid1(VALU_DEP_2)
	v_dot4_i32_iu8 v1, v97, v202, v1 neg_lo:[1,1,0]
	v_fmac_f32_e32 v6, v29, v0
	v_dot4_i32_iu8 v0, v5, v43, 0 neg_lo:[1,1,0]
	s_delay_alu instid0(VALU_DEP_3) | instskip(NEXT) | instid1(VALU_DEP_3)
	v_dot4_i32_iu8 v1, v3, v32, v1 neg_lo:[1,1,0]
	v_fmac_f32_e32 v167, v64, v6
	s_delay_alu instid0(VALU_DEP_3) | instskip(NEXT) | instid1(VALU_DEP_1)
	v_dot4_i32_iu8 v0, v62, v51, v0 neg_lo:[1,1,0]
	v_dot4_i32_iu8 v0, v13, v217, v0 neg_lo:[1,1,0]
	s_delay_alu instid0(VALU_DEP_1) | instskip(SKIP_1) | instid1(VALU_DEP_1)
	v_dot4_i32_iu8 v6, v15, v44, v0 neg_lo:[1,1,0]
	v_dot4_i32_iu8 v0, v14, v45, 0 neg_lo:[1,1,0]
	;; [unrolled: 1-line block ×3, first 2 shown]
	s_delay_alu instid0(VALU_DEP_1) | instskip(NEXT) | instid1(VALU_DEP_1)
	v_dot4_i32_iu8 v0, v9, v218, v0 neg_lo:[1,1,0]
	v_dot4_i32_iu8 v10, v11, v46, v0 neg_lo:[1,1,0]
	;; [unrolled: 1-line block ×3, first 2 shown]
	s_delay_alu instid0(VALU_DEP_1) | instskip(NEXT) | instid1(VALU_DEP_1)
	v_dot4_i32_iu8 v0, v57, v198, v0 neg_lo:[1,1,0]
	v_dot4_i32_iu8 v0, v94, v199, v0 neg_lo:[1,1,0]
	s_delay_alu instid0(VALU_DEP_1) | instskip(NEXT) | instid1(VALU_DEP_1)
	v_dot4_i32_iu8 v0, v7, v34, v0 neg_lo:[1,1,0]
	v_mul_lo_u32 v0, v0, v200
	s_delay_alu instid0(VALU_DEP_1) | instskip(NEXT) | instid1(VALU_DEP_1)
	v_mad_co_u64_u32 v[0:1], null, v1, v203, v[0:1]
	v_cvt_f32_i32_e32 v0, v0
	s_delay_alu instid0(VALU_DEP_1) | instskip(SKIP_1) | instid1(VALU_DEP_1)
	v_fma_f32 v12, v28, v0, 0
	v_mul_lo_u32 v0, v6, v205
	v_mad_co_u64_u32 v[0:1], null, v10, v204, v[0:1]
	v_dot4_i32_iu8 v1, v2, v19, 0 neg_lo:[1,1,0]
	s_delay_alu instid0(VALU_DEP_1) | instskip(NEXT) | instid1(VALU_DEP_3)
	v_dot4_i32_iu8 v1, v95, v194, v1 neg_lo:[1,1,0]
	v_cvt_f32_i32_e32 v0, v0
	s_delay_alu instid0(VALU_DEP_2) | instskip(NEXT) | instid1(VALU_DEP_2)
	v_dot4_i32_iu8 v1, v97, v193, v1 neg_lo:[1,1,0]
	v_fmac_f32_e32 v12, v29, v0
	v_dot4_i32_iu8 v0, v5, v35, 0 neg_lo:[1,1,0]
	s_delay_alu instid0(VALU_DEP_3) | instskip(NEXT) | instid1(VALU_DEP_3)
	v_dot4_i32_iu8 v1, v3, v20, v1 neg_lo:[1,1,0]
	v_fmac_f32_e32 v177, v65, v12
	s_delay_alu instid0(VALU_DEP_3) | instskip(NEXT) | instid1(VALU_DEP_1)
	v_dot4_i32_iu8 v0, v62, v37, v0 neg_lo:[1,1,0]
	v_dot4_i32_iu8 v0, v13, v209, v0 neg_lo:[1,1,0]
	s_delay_alu instid0(VALU_DEP_1) | instskip(SKIP_1) | instid1(VALU_DEP_1)
	v_dot4_i32_iu8 v5, v15, v40, v0 neg_lo:[1,1,0]
	v_dot4_i32_iu8 v0, v14, v39, 0 neg_lo:[1,1,0]
	;; [unrolled: 1-line block ×3, first 2 shown]
	s_delay_alu instid0(VALU_DEP_1) | instskip(NEXT) | instid1(VALU_DEP_1)
	v_dot4_i32_iu8 v0, v9, v215, v0 neg_lo:[1,1,0]
	v_dot4_i32_iu8 v6, v11, v42, v0 neg_lo:[1,1,0]
	;; [unrolled: 1-line block ×3, first 2 shown]
	s_delay_alu instid0(VALU_DEP_1) | instskip(NEXT) | instid1(VALU_DEP_1)
	v_dot4_i32_iu8 v0, v57, v197, v0 neg_lo:[1,1,0]
	v_dot4_i32_iu8 v0, v94, v196, v0 neg_lo:[1,1,0]
	s_delay_alu instid0(VALU_DEP_1) | instskip(NEXT) | instid1(VALU_DEP_1)
	v_dot4_i32_iu8 v0, v7, v30, v0 neg_lo:[1,1,0]
	v_mul_lo_u32 v0, v0, v195
	s_delay_alu instid0(VALU_DEP_1) | instskip(NEXT) | instid1(VALU_DEP_1)
	v_mad_co_u64_u32 v[0:1], null, v1, v69, v[0:1]
	v_cvt_f32_i32_e32 v0, v0
	s_delay_alu instid0(VALU_DEP_1) | instskip(SKIP_1) | instid1(VALU_DEP_1)
	v_fma_f32 v2, v28, v0, 0
	v_mul_lo_u32 v0, v5, v68
	v_mad_co_u64_u32 v[0:1], null, v6, v67, v[0:1]
	s_delay_alu instid0(VALU_DEP_1) | instskip(NEXT) | instid1(VALU_DEP_1)
	v_cvt_f32_i32_e32 v0, v0
	v_fmac_f32_e32 v2, v29, v0
	v_or_b32_e32 v0, s12, v130
	s_delay_alu instid0(VALU_DEP_1)
	v_dual_fmac_f32 v183, v66, v2 :: v_dual_lshlrev_b32 v12, 2, v0
	v_lshrrev_b32_e32 v28, 1, v0
	ds_load_b128 v[0:3], v12 offset:33280
	ds_load_b128 v[4:7], v12 offset:33296
	;; [unrolled: 1-line block ×4, first 2 shown]
	ds_load_b64 v[28:29], v28 offset:43584
	s_wait_dscnt 0x4
	v_perm_b32 v95, v1, v0, 0x6040503
	s_wait_dscnt 0x3
	v_perm_b32 v94, v6, v5, 0x7060403
	s_wait_dscnt 0x2
	v_bfe_i32 v53, v10, 8, 8
	v_bfe_i32 v54, v8, 8, 8
	;; [unrolled: 1-line block ×3, first 2 shown]
	v_ashrrev_i32_e32 v57, 24, v10
	s_wait_dscnt 0x1
	v_perm_b32 v62, v14, v14, 0xc0c0c01
	v_mul_i32_i24_e32 v53, v53, v225
	v_perm_b32 v97, v2, v1, 0x7060403
	v_mul_i32_i24_e32 v56, v227, v56
	v_mul_i32_i24_e32 v57, v226, v57
	v_perm_b32 v58, v12, v52, 0x6040503
	v_mad_i32_i24 v53, v228, v54, v53
	v_perm_b32 v54, v9, v8, 0x5030200
	v_or_b32_e32 v62, v234, v62
	s_delay_alu instid0(VALU_DEP_2) | instskip(SKIP_1) | instid1(VALU_DEP_3)
	v_dot4_i32_iu8 v53, v237, v54, v53 neg_lo:[1,1,0]
	v_perm_b32 v54, v10, v9, 0x4030200
	v_dot4_i32_iu8 v58, v62, v58, 0 neg_lo:[1,1,0]
	v_perm_b32 v62, v13, v12, 0x6040503
	v_perm_b32 v13, v14, v13, 0x7060403
	s_delay_alu instid0(VALU_DEP_4) | instskip(SKIP_1) | instid1(VALU_DEP_4)
	v_dot4_i32_iu8 v53, v238, v54, v53 neg_lo:[1,1,0]
	v_perm_b32 v54, v11, v11, 0x3020001
	v_dot4_i32_iu8 v58, v62, v235, v58 neg_lo:[1,1,0]
	s_delay_alu instid0(VALU_DEP_3) | instskip(SKIP_1) | instid1(VALU_DEP_3)
	v_add3_u32 v53, v53, v56, v57
	v_perm_b32 v57, v5, v4, 0x6040503
	v_dot4_i32_iu8 v58, v236, v13, v58 neg_lo:[1,1,0]
	s_delay_alu instid0(VALU_DEP_3) | instskip(SKIP_2) | instid1(VALU_DEP_4)
	v_dot4_i32_iu8 v56, v239, v54, v53 neg_lo:[1,1,0]
	v_perm_b32 v53, v4, v23, 0x6050401
	v_perm_b32 v54, v27, v6, 0x6050401
	v_dot4_i32_iu8 v58, v224, v15, v58 neg_lo:[1,1,0]
	v_perm_b32 v4, v4, v6, 0x6050401
	s_delay_alu instid0(VALU_DEP_3) | instskip(SKIP_1) | instid1(VALU_DEP_2)
	v_dot4_i32_iu8 v53, v54, v53, 0 neg_lo:[1,1,0]
	v_perm_b32 v54, v25, v2, 0x6050401
	v_dot4_i32_iu8 v53, v229, v57, v53 neg_lo:[1,1,0]
	s_delay_alu instid0(VALU_DEP_1) | instskip(SKIP_1) | instid1(VALU_DEP_2)
	v_dot4_i32_iu8 v5, v230, v94, v53 neg_lo:[1,1,0]
	v_perm_b32 v53, v0, v21, 0x6050401
	v_dot4_i32_iu8 v5, v7, v24, v5 neg_lo:[1,1,0]
	s_delay_alu instid0(VALU_DEP_2) | instskip(NEXT) | instid1(VALU_DEP_2)
	v_dot4_i32_iu8 v53, v54, v53, 0 neg_lo:[1,1,0]
	v_mul_lo_u32 v5, v5, v211
	s_delay_alu instid0(VALU_DEP_2) | instskip(NEXT) | instid1(VALU_DEP_1)
	v_dot4_i32_iu8 v53, v231, v95, v53 neg_lo:[1,1,0]
	v_dot4_i32_iu8 v1, v232, v97, v53 neg_lo:[1,1,0]
	s_delay_alu instid0(VALU_DEP_1) | instskip(NEXT) | instid1(VALU_DEP_1)
	v_dot4_i32_iu8 v1, v3, v22, v1 neg_lo:[1,1,0]
	v_mad_co_u64_u32 v[53:54], null, v1, v219, v[5:6]
	s_delay_alu instid0(VALU_DEP_1) | instskip(SKIP_1) | instid1(VALU_DEP_1)
	v_cvt_f32_i32_e32 v1, v53
	s_wait_dscnt 0x0
	v_fma_f32 v5, v28, v1, 0
	v_mul_lo_u32 v1, v58, v221
	s_delay_alu instid0(VALU_DEP_1) | instskip(SKIP_1) | instid1(VALU_DEP_1)
	v_mad_co_u64_u32 v[53:54], null, v56, v220, v[1:2]
	v_perm_b32 v2, v0, v2, 0x6050401
	v_dot4_i32_iu8 v0, v2, v49, 0 neg_lo:[1,1,0]
	s_delay_alu instid0(VALU_DEP_3) | instskip(NEXT) | instid1(VALU_DEP_2)
	v_cvt_f32_i32_e32 v1, v53
	v_dot4_i32_iu8 v0, v95, v210, v0 neg_lo:[1,1,0]
	s_delay_alu instid0(VALU_DEP_2) | instskip(NEXT) | instid1(VALU_DEP_2)
	v_fmac_f32_e32 v5, v29, v1
	v_dot4_i32_iu8 v0, v97, v212, v0 neg_lo:[1,1,0]
	s_delay_alu instid0(VALU_DEP_2)
	v_fmac_f32_e32 v148, v63, v5
	v_perm_b32 v5, v12, v14, 0x6040501
	v_perm_b32 v14, v8, v10, 0x6040501
	;; [unrolled: 1-line block ×4, first 2 shown]
	v_dot4_i32_iu8 v0, v3, v36, v0 neg_lo:[1,1,0]
	v_dot4_i32_iu8 v1, v5, v233, 0 neg_lo:[1,1,0]
	s_delay_alu instid0(VALU_DEP_1) | instskip(NEXT) | instid1(VALU_DEP_1)
	v_dot4_i32_iu8 v1, v62, v59, v1 neg_lo:[1,1,0]
	v_dot4_i32_iu8 v1, v13, v222, v1 neg_lo:[1,1,0]
	s_delay_alu instid0(VALU_DEP_1) | instskip(SKIP_1) | instid1(VALU_DEP_1)
	v_dot4_i32_iu8 v12, v15, v48, v1 neg_lo:[1,1,0]
	v_dot4_i32_iu8 v1, v14, v60, 0 neg_lo:[1,1,0]
	;; [unrolled: 1-line block ×3, first 2 shown]
	s_delay_alu instid0(VALU_DEP_1) | instskip(NEXT) | instid1(VALU_DEP_1)
	v_dot4_i32_iu8 v1, v9, v223, v1 neg_lo:[1,1,0]
	v_dot4_i32_iu8 v10, v11, v50, v1 neg_lo:[1,1,0]
	;; [unrolled: 1-line block ×3, first 2 shown]
	s_delay_alu instid0(VALU_DEP_1) | instskip(NEXT) | instid1(VALU_DEP_1)
	v_dot4_i32_iu8 v1, v57, v206, v1 neg_lo:[1,1,0]
	v_dot4_i32_iu8 v1, v94, v207, v1 neg_lo:[1,1,0]
	s_delay_alu instid0(VALU_DEP_1) | instskip(NEXT) | instid1(VALU_DEP_1)
	v_dot4_i32_iu8 v1, v7, v38, v1 neg_lo:[1,1,0]
	v_mul_lo_u32 v1, v1, v208
	s_delay_alu instid0(VALU_DEP_1) | instskip(NEXT) | instid1(VALU_DEP_1)
	v_mad_co_u64_u32 v[0:1], null, v0, v213, v[1:2]
	v_cvt_f32_i32_e32 v0, v0
	s_delay_alu instid0(VALU_DEP_1) | instskip(SKIP_1) | instid1(VALU_DEP_1)
	v_fma_f32 v6, v28, v0, 0
	v_mul_lo_u32 v0, v12, v216
	v_mad_co_u64_u32 v[0:1], null, v10, v214, v[0:1]
	v_dot4_i32_iu8 v1, v2, v31, 0 neg_lo:[1,1,0]
	s_delay_alu instid0(VALU_DEP_1) | instskip(NEXT) | instid1(VALU_DEP_3)
	v_dot4_i32_iu8 v1, v95, v201, v1 neg_lo:[1,1,0]
	v_cvt_f32_i32_e32 v0, v0
	s_delay_alu instid0(VALU_DEP_2) | instskip(NEXT) | instid1(VALU_DEP_2)
	v_dot4_i32_iu8 v1, v97, v202, v1 neg_lo:[1,1,0]
	v_fmac_f32_e32 v6, v29, v0
	v_dot4_i32_iu8 v0, v5, v43, 0 neg_lo:[1,1,0]
	s_delay_alu instid0(VALU_DEP_3) | instskip(NEXT) | instid1(VALU_DEP_3)
	v_dot4_i32_iu8 v1, v3, v32, v1 neg_lo:[1,1,0]
	v_fmac_f32_e32 v161, v64, v6
	s_delay_alu instid0(VALU_DEP_3) | instskip(NEXT) | instid1(VALU_DEP_1)
	v_dot4_i32_iu8 v0, v62, v51, v0 neg_lo:[1,1,0]
	v_dot4_i32_iu8 v0, v13, v217, v0 neg_lo:[1,1,0]
	s_delay_alu instid0(VALU_DEP_1) | instskip(SKIP_1) | instid1(VALU_DEP_1)
	v_dot4_i32_iu8 v6, v15, v44, v0 neg_lo:[1,1,0]
	v_dot4_i32_iu8 v0, v14, v45, 0 neg_lo:[1,1,0]
	v_dot4_i32_iu8 v0, v8, v55, v0 neg_lo:[1,1,0]
	s_delay_alu instid0(VALU_DEP_1) | instskip(NEXT) | instid1(VALU_DEP_1)
	v_dot4_i32_iu8 v0, v9, v218, v0 neg_lo:[1,1,0]
	v_dot4_i32_iu8 v10, v11, v46, v0 neg_lo:[1,1,0]
	;; [unrolled: 1-line block ×3, first 2 shown]
	s_delay_alu instid0(VALU_DEP_1) | instskip(NEXT) | instid1(VALU_DEP_1)
	v_dot4_i32_iu8 v0, v57, v198, v0 neg_lo:[1,1,0]
	v_dot4_i32_iu8 v0, v94, v199, v0 neg_lo:[1,1,0]
	s_delay_alu instid0(VALU_DEP_1) | instskip(NEXT) | instid1(VALU_DEP_1)
	v_dot4_i32_iu8 v0, v7, v34, v0 neg_lo:[1,1,0]
	v_mul_lo_u32 v0, v0, v200
	s_delay_alu instid0(VALU_DEP_1) | instskip(NEXT) | instid1(VALU_DEP_1)
	v_mad_co_u64_u32 v[0:1], null, v1, v203, v[0:1]
	v_cvt_f32_i32_e32 v0, v0
	s_delay_alu instid0(VALU_DEP_1) | instskip(SKIP_1) | instid1(VALU_DEP_1)
	v_fma_f32 v12, v28, v0, 0
	v_mul_lo_u32 v0, v6, v205
	v_mad_co_u64_u32 v[0:1], null, v10, v204, v[0:1]
	v_dot4_i32_iu8 v1, v2, v19, 0 neg_lo:[1,1,0]
	s_delay_alu instid0(VALU_DEP_1) | instskip(NEXT) | instid1(VALU_DEP_3)
	v_dot4_i32_iu8 v1, v95, v194, v1 neg_lo:[1,1,0]
	v_cvt_f32_i32_e32 v0, v0
	s_delay_alu instid0(VALU_DEP_2) | instskip(NEXT) | instid1(VALU_DEP_2)
	v_dot4_i32_iu8 v1, v97, v193, v1 neg_lo:[1,1,0]
	v_fmac_f32_e32 v12, v29, v0
	v_dot4_i32_iu8 v0, v5, v35, 0 neg_lo:[1,1,0]
	s_delay_alu instid0(VALU_DEP_3) | instskip(NEXT) | instid1(VALU_DEP_3)
	v_dot4_i32_iu8 v1, v3, v20, v1 neg_lo:[1,1,0]
	v_fmac_f32_e32 v174, v65, v12
	s_delay_alu instid0(VALU_DEP_3) | instskip(NEXT) | instid1(VALU_DEP_1)
	v_dot4_i32_iu8 v0, v62, v37, v0 neg_lo:[1,1,0]
	v_dot4_i32_iu8 v0, v13, v209, v0 neg_lo:[1,1,0]
	s_delay_alu instid0(VALU_DEP_1) | instskip(SKIP_1) | instid1(VALU_DEP_1)
	v_dot4_i32_iu8 v5, v15, v40, v0 neg_lo:[1,1,0]
	v_dot4_i32_iu8 v0, v14, v39, 0 neg_lo:[1,1,0]
	;; [unrolled: 1-line block ×3, first 2 shown]
	s_delay_alu instid0(VALU_DEP_1) | instskip(NEXT) | instid1(VALU_DEP_1)
	v_dot4_i32_iu8 v0, v9, v215, v0 neg_lo:[1,1,0]
	v_dot4_i32_iu8 v6, v11, v42, v0 neg_lo:[1,1,0]
	;; [unrolled: 1-line block ×3, first 2 shown]
	s_delay_alu instid0(VALU_DEP_1) | instskip(NEXT) | instid1(VALU_DEP_1)
	v_dot4_i32_iu8 v0, v57, v197, v0 neg_lo:[1,1,0]
	v_dot4_i32_iu8 v0, v94, v196, v0 neg_lo:[1,1,0]
	s_delay_alu instid0(VALU_DEP_1) | instskip(NEXT) | instid1(VALU_DEP_1)
	v_dot4_i32_iu8 v0, v7, v30, v0 neg_lo:[1,1,0]
	v_mul_lo_u32 v0, v0, v195
	s_delay_alu instid0(VALU_DEP_1) | instskip(NEXT) | instid1(VALU_DEP_1)
	v_mad_co_u64_u32 v[0:1], null, v1, v69, v[0:1]
	v_cvt_f32_i32_e32 v0, v0
	s_delay_alu instid0(VALU_DEP_1) | instskip(SKIP_1) | instid1(VALU_DEP_1)
	v_fma_f32 v2, v28, v0, 0
	v_mul_lo_u32 v0, v5, v68
	v_mad_co_u64_u32 v[0:1], null, v6, v67, v[0:1]
	s_delay_alu instid0(VALU_DEP_1) | instskip(NEXT) | instid1(VALU_DEP_1)
	v_cvt_f32_i32_e32 v0, v0
	v_fmac_f32_e32 v2, v29, v0
	v_or_b32_e32 v0, s12, v131
	s_delay_alu instid0(VALU_DEP_1)
	v_dual_fmac_f32 v181, v66, v2 :: v_dual_lshlrev_b32 v12, 2, v0
	v_lshrrev_b32_e32 v28, 1, v0
	ds_load_b128 v[0:3], v12 offset:33280
	ds_load_b128 v[4:7], v12 offset:33296
	;; [unrolled: 1-line block ×4, first 2 shown]
	ds_load_b64 v[28:29], v28 offset:43584
	s_wait_dscnt 0x4
	v_perm_b32 v95, v1, v0, 0x6040503
	s_wait_dscnt 0x3
	v_perm_b32 v94, v6, v5, 0x7060403
	s_wait_dscnt 0x2
	v_bfe_i32 v53, v10, 8, 8
	v_bfe_i32 v54, v8, 8, 8
	;; [unrolled: 1-line block ×3, first 2 shown]
	v_ashrrev_i32_e32 v57, 24, v10
	s_wait_dscnt 0x1
	v_perm_b32 v62, v14, v14, 0xc0c0c01
	v_mul_i32_i24_e32 v53, v53, v225
	v_perm_b32 v97, v2, v1, 0x7060403
	v_mul_i32_i24_e32 v56, v227, v56
	v_mul_i32_i24_e32 v57, v226, v57
	v_perm_b32 v58, v12, v52, 0x6040503
	v_mad_i32_i24 v53, v228, v54, v53
	v_perm_b32 v54, v9, v8, 0x5030200
	v_or_b32_e32 v62, v234, v62
	s_delay_alu instid0(VALU_DEP_2) | instskip(SKIP_1) | instid1(VALU_DEP_3)
	v_dot4_i32_iu8 v53, v237, v54, v53 neg_lo:[1,1,0]
	v_perm_b32 v54, v10, v9, 0x4030200
	v_dot4_i32_iu8 v58, v62, v58, 0 neg_lo:[1,1,0]
	v_perm_b32 v62, v13, v12, 0x6040503
	v_perm_b32 v13, v14, v13, 0x7060403
	s_delay_alu instid0(VALU_DEP_4) | instskip(SKIP_1) | instid1(VALU_DEP_4)
	v_dot4_i32_iu8 v53, v238, v54, v53 neg_lo:[1,1,0]
	v_perm_b32 v54, v11, v11, 0x3020001
	v_dot4_i32_iu8 v58, v62, v235, v58 neg_lo:[1,1,0]
	s_delay_alu instid0(VALU_DEP_3) | instskip(SKIP_1) | instid1(VALU_DEP_3)
	v_add3_u32 v53, v53, v56, v57
	v_perm_b32 v57, v5, v4, 0x6040503
	v_dot4_i32_iu8 v58, v236, v13, v58 neg_lo:[1,1,0]
	s_delay_alu instid0(VALU_DEP_3) | instskip(SKIP_2) | instid1(VALU_DEP_4)
	v_dot4_i32_iu8 v56, v239, v54, v53 neg_lo:[1,1,0]
	v_perm_b32 v53, v4, v23, 0x6050401
	v_perm_b32 v54, v27, v6, 0x6050401
	v_dot4_i32_iu8 v58, v224, v15, v58 neg_lo:[1,1,0]
	v_perm_b32 v4, v4, v6, 0x6050401
	s_delay_alu instid0(VALU_DEP_3) | instskip(SKIP_1) | instid1(VALU_DEP_2)
	v_dot4_i32_iu8 v53, v54, v53, 0 neg_lo:[1,1,0]
	v_perm_b32 v54, v25, v2, 0x6050401
	v_dot4_i32_iu8 v53, v229, v57, v53 neg_lo:[1,1,0]
	s_delay_alu instid0(VALU_DEP_1) | instskip(SKIP_1) | instid1(VALU_DEP_2)
	v_dot4_i32_iu8 v5, v230, v94, v53 neg_lo:[1,1,0]
	v_perm_b32 v53, v0, v21, 0x6050401
	v_dot4_i32_iu8 v5, v7, v24, v5 neg_lo:[1,1,0]
	s_delay_alu instid0(VALU_DEP_2) | instskip(NEXT) | instid1(VALU_DEP_2)
	v_dot4_i32_iu8 v53, v54, v53, 0 neg_lo:[1,1,0]
	v_mul_lo_u32 v5, v5, v211
	s_delay_alu instid0(VALU_DEP_2) | instskip(NEXT) | instid1(VALU_DEP_1)
	v_dot4_i32_iu8 v53, v231, v95, v53 neg_lo:[1,1,0]
	v_dot4_i32_iu8 v1, v232, v97, v53 neg_lo:[1,1,0]
	s_delay_alu instid0(VALU_DEP_1) | instskip(NEXT) | instid1(VALU_DEP_1)
	v_dot4_i32_iu8 v1, v3, v22, v1 neg_lo:[1,1,0]
	v_mad_co_u64_u32 v[53:54], null, v1, v219, v[5:6]
	s_delay_alu instid0(VALU_DEP_1) | instskip(SKIP_1) | instid1(VALU_DEP_1)
	v_cvt_f32_i32_e32 v1, v53
	s_wait_dscnt 0x0
	v_fma_f32 v5, v28, v1, 0
	v_mul_lo_u32 v1, v58, v221
	s_delay_alu instid0(VALU_DEP_1) | instskip(SKIP_1) | instid1(VALU_DEP_1)
	v_mad_co_u64_u32 v[53:54], null, v56, v220, v[1:2]
	v_perm_b32 v2, v0, v2, 0x6050401
	v_dot4_i32_iu8 v0, v2, v49, 0 neg_lo:[1,1,0]
	s_delay_alu instid0(VALU_DEP_3) | instskip(NEXT) | instid1(VALU_DEP_2)
	v_cvt_f32_i32_e32 v1, v53
	v_dot4_i32_iu8 v0, v95, v210, v0 neg_lo:[1,1,0]
	s_delay_alu instid0(VALU_DEP_2) | instskip(NEXT) | instid1(VALU_DEP_2)
	v_fmac_f32_e32 v5, v29, v1
	v_dot4_i32_iu8 v0, v97, v212, v0 neg_lo:[1,1,0]
	s_delay_alu instid0(VALU_DEP_2)
	v_fmac_f32_e32 v143, v63, v5
	v_perm_b32 v5, v12, v14, 0x6040501
	v_perm_b32 v14, v8, v10, 0x6040501
	;; [unrolled: 1-line block ×4, first 2 shown]
	v_dot4_i32_iu8 v0, v3, v36, v0 neg_lo:[1,1,0]
	v_dot4_i32_iu8 v1, v5, v233, 0 neg_lo:[1,1,0]
	s_delay_alu instid0(VALU_DEP_1) | instskip(NEXT) | instid1(VALU_DEP_1)
	v_dot4_i32_iu8 v1, v62, v59, v1 neg_lo:[1,1,0]
	v_dot4_i32_iu8 v1, v13, v222, v1 neg_lo:[1,1,0]
	s_delay_alu instid0(VALU_DEP_1) | instskip(SKIP_1) | instid1(VALU_DEP_1)
	v_dot4_i32_iu8 v12, v15, v48, v1 neg_lo:[1,1,0]
	v_dot4_i32_iu8 v1, v14, v60, 0 neg_lo:[1,1,0]
	;; [unrolled: 1-line block ×3, first 2 shown]
	s_delay_alu instid0(VALU_DEP_1) | instskip(NEXT) | instid1(VALU_DEP_1)
	v_dot4_i32_iu8 v1, v9, v223, v1 neg_lo:[1,1,0]
	v_dot4_i32_iu8 v10, v11, v50, v1 neg_lo:[1,1,0]
	;; [unrolled: 1-line block ×3, first 2 shown]
	s_delay_alu instid0(VALU_DEP_1) | instskip(NEXT) | instid1(VALU_DEP_1)
	v_dot4_i32_iu8 v1, v57, v206, v1 neg_lo:[1,1,0]
	v_dot4_i32_iu8 v1, v94, v207, v1 neg_lo:[1,1,0]
	s_delay_alu instid0(VALU_DEP_1) | instskip(NEXT) | instid1(VALU_DEP_1)
	v_dot4_i32_iu8 v1, v7, v38, v1 neg_lo:[1,1,0]
	v_mul_lo_u32 v1, v1, v208
	s_delay_alu instid0(VALU_DEP_1) | instskip(NEXT) | instid1(VALU_DEP_1)
	v_mad_co_u64_u32 v[0:1], null, v0, v213, v[1:2]
	v_cvt_f32_i32_e32 v0, v0
	s_delay_alu instid0(VALU_DEP_1) | instskip(SKIP_1) | instid1(VALU_DEP_1)
	v_fma_f32 v6, v28, v0, 0
	v_mul_lo_u32 v0, v12, v216
	v_mad_co_u64_u32 v[0:1], null, v10, v214, v[0:1]
	v_dot4_i32_iu8 v1, v2, v31, 0 neg_lo:[1,1,0]
	s_delay_alu instid0(VALU_DEP_1) | instskip(NEXT) | instid1(VALU_DEP_3)
	v_dot4_i32_iu8 v1, v95, v201, v1 neg_lo:[1,1,0]
	v_cvt_f32_i32_e32 v0, v0
	s_delay_alu instid0(VALU_DEP_2) | instskip(NEXT) | instid1(VALU_DEP_2)
	v_dot4_i32_iu8 v1, v97, v202, v1 neg_lo:[1,1,0]
	v_fmac_f32_e32 v6, v29, v0
	v_dot4_i32_iu8 v0, v5, v43, 0 neg_lo:[1,1,0]
	s_delay_alu instid0(VALU_DEP_3) | instskip(NEXT) | instid1(VALU_DEP_3)
	v_dot4_i32_iu8 v1, v3, v32, v1 neg_lo:[1,1,0]
	v_fmac_f32_e32 v155, v64, v6
	s_delay_alu instid0(VALU_DEP_3) | instskip(NEXT) | instid1(VALU_DEP_1)
	v_dot4_i32_iu8 v0, v62, v51, v0 neg_lo:[1,1,0]
	v_dot4_i32_iu8 v0, v13, v217, v0 neg_lo:[1,1,0]
	s_delay_alu instid0(VALU_DEP_1) | instskip(SKIP_1) | instid1(VALU_DEP_1)
	v_dot4_i32_iu8 v6, v15, v44, v0 neg_lo:[1,1,0]
	v_dot4_i32_iu8 v0, v14, v45, 0 neg_lo:[1,1,0]
	;; [unrolled: 1-line block ×3, first 2 shown]
	s_delay_alu instid0(VALU_DEP_1) | instskip(NEXT) | instid1(VALU_DEP_1)
	v_dot4_i32_iu8 v0, v9, v218, v0 neg_lo:[1,1,0]
	v_dot4_i32_iu8 v10, v11, v46, v0 neg_lo:[1,1,0]
	;; [unrolled: 1-line block ×3, first 2 shown]
	s_delay_alu instid0(VALU_DEP_1) | instskip(NEXT) | instid1(VALU_DEP_1)
	v_dot4_i32_iu8 v0, v57, v198, v0 neg_lo:[1,1,0]
	v_dot4_i32_iu8 v0, v94, v199, v0 neg_lo:[1,1,0]
	s_delay_alu instid0(VALU_DEP_1) | instskip(NEXT) | instid1(VALU_DEP_1)
	v_dot4_i32_iu8 v0, v7, v34, v0 neg_lo:[1,1,0]
	v_mul_lo_u32 v0, v0, v200
	s_delay_alu instid0(VALU_DEP_1) | instskip(NEXT) | instid1(VALU_DEP_1)
	v_mad_co_u64_u32 v[0:1], null, v1, v203, v[0:1]
	v_cvt_f32_i32_e32 v0, v0
	s_delay_alu instid0(VALU_DEP_1) | instskip(SKIP_1) | instid1(VALU_DEP_1)
	v_fma_f32 v12, v28, v0, 0
	v_mul_lo_u32 v0, v6, v205
	v_mad_co_u64_u32 v[0:1], null, v10, v204, v[0:1]
	v_dot4_i32_iu8 v1, v2, v19, 0 neg_lo:[1,1,0]
	s_delay_alu instid0(VALU_DEP_1) | instskip(NEXT) | instid1(VALU_DEP_3)
	v_dot4_i32_iu8 v1, v95, v194, v1 neg_lo:[1,1,0]
	v_cvt_f32_i32_e32 v0, v0
	s_delay_alu instid0(VALU_DEP_2) | instskip(NEXT) | instid1(VALU_DEP_2)
	v_dot4_i32_iu8 v1, v97, v193, v1 neg_lo:[1,1,0]
	v_fmac_f32_e32 v12, v29, v0
	v_dot4_i32_iu8 v0, v5, v35, 0 neg_lo:[1,1,0]
	s_delay_alu instid0(VALU_DEP_3) | instskip(NEXT) | instid1(VALU_DEP_3)
	v_dot4_i32_iu8 v1, v3, v20, v1 neg_lo:[1,1,0]
	v_fmac_f32_e32 v169, v65, v12
	s_delay_alu instid0(VALU_DEP_3) | instskip(NEXT) | instid1(VALU_DEP_1)
	v_dot4_i32_iu8 v0, v62, v37, v0 neg_lo:[1,1,0]
	v_dot4_i32_iu8 v0, v13, v209, v0 neg_lo:[1,1,0]
	s_delay_alu instid0(VALU_DEP_1) | instskip(SKIP_1) | instid1(VALU_DEP_1)
	v_dot4_i32_iu8 v5, v15, v40, v0 neg_lo:[1,1,0]
	v_dot4_i32_iu8 v0, v14, v39, 0 neg_lo:[1,1,0]
	;; [unrolled: 1-line block ×3, first 2 shown]
	s_delay_alu instid0(VALU_DEP_1) | instskip(NEXT) | instid1(VALU_DEP_1)
	v_dot4_i32_iu8 v0, v9, v215, v0 neg_lo:[1,1,0]
	v_dot4_i32_iu8 v6, v11, v42, v0 neg_lo:[1,1,0]
	;; [unrolled: 1-line block ×3, first 2 shown]
	s_delay_alu instid0(VALU_DEP_1) | instskip(NEXT) | instid1(VALU_DEP_1)
	v_dot4_i32_iu8 v0, v57, v197, v0 neg_lo:[1,1,0]
	v_dot4_i32_iu8 v0, v94, v196, v0 neg_lo:[1,1,0]
	s_delay_alu instid0(VALU_DEP_1) | instskip(NEXT) | instid1(VALU_DEP_1)
	v_dot4_i32_iu8 v0, v7, v30, v0 neg_lo:[1,1,0]
	v_mul_lo_u32 v0, v0, v195
	s_delay_alu instid0(VALU_DEP_1) | instskip(NEXT) | instid1(VALU_DEP_1)
	v_mad_co_u64_u32 v[0:1], null, v1, v69, v[0:1]
	v_cvt_f32_i32_e32 v0, v0
	s_delay_alu instid0(VALU_DEP_1) | instskip(SKIP_1) | instid1(VALU_DEP_1)
	v_fma_f32 v2, v28, v0, 0
	v_mul_lo_u32 v0, v5, v68
	v_mad_co_u64_u32 v[0:1], null, v6, v67, v[0:1]
	s_delay_alu instid0(VALU_DEP_1) | instskip(NEXT) | instid1(VALU_DEP_1)
	v_cvt_f32_i32_e32 v0, v0
	v_fmac_f32_e32 v2, v29, v0
	v_or_b32_e32 v0, s12, v132
	s_delay_alu instid0(VALU_DEP_2) | instskip(NEXT) | instid1(VALU_DEP_2)
	v_fmac_f32_e32 v178, v66, v2
	v_lshlrev_b32_e32 v12, 2, v0
	v_lshrrev_b32_e32 v28, 1, v0
	ds_load_b128 v[0:3], v12 offset:33280
	ds_load_b128 v[4:7], v12 offset:33296
	;; [unrolled: 1-line block ×4, first 2 shown]
	ds_load_b64 v[28:29], v28 offset:43584
	s_wait_dscnt 0x4
	v_perm_b32 v95, v1, v0, 0x6040503
	s_wait_dscnt 0x3
	v_perm_b32 v94, v6, v5, 0x7060403
	s_wait_dscnt 0x2
	v_bfe_i32 v53, v10, 8, 8
	v_bfe_i32 v54, v8, 8, 8
	;; [unrolled: 1-line block ×3, first 2 shown]
	v_ashrrev_i32_e32 v57, 24, v10
	s_wait_dscnt 0x1
	v_perm_b32 v62, v14, v14, 0xc0c0c01
	v_mul_i32_i24_e32 v53, v53, v225
	v_perm_b32 v97, v2, v1, 0x7060403
	v_mul_i32_i24_e32 v56, v227, v56
	v_mul_i32_i24_e32 v57, v226, v57
	v_perm_b32 v58, v12, v52, 0x6040503
	v_mad_i32_i24 v53, v228, v54, v53
	v_perm_b32 v54, v9, v8, 0x5030200
	v_or_b32_e32 v62, v234, v62
	s_delay_alu instid0(VALU_DEP_2) | instskip(SKIP_1) | instid1(VALU_DEP_3)
	v_dot4_i32_iu8 v53, v237, v54, v53 neg_lo:[1,1,0]
	v_perm_b32 v54, v10, v9, 0x4030200
	v_dot4_i32_iu8 v58, v62, v58, 0 neg_lo:[1,1,0]
	v_perm_b32 v62, v13, v12, 0x6040503
	v_perm_b32 v13, v14, v13, 0x7060403
	s_delay_alu instid0(VALU_DEP_4) | instskip(SKIP_1) | instid1(VALU_DEP_4)
	v_dot4_i32_iu8 v53, v238, v54, v53 neg_lo:[1,1,0]
	v_perm_b32 v54, v11, v11, 0x3020001
	v_dot4_i32_iu8 v58, v62, v235, v58 neg_lo:[1,1,0]
	s_delay_alu instid0(VALU_DEP_3) | instskip(SKIP_1) | instid1(VALU_DEP_3)
	v_add3_u32 v53, v53, v56, v57
	v_perm_b32 v57, v5, v4, 0x6040503
	v_dot4_i32_iu8 v58, v236, v13, v58 neg_lo:[1,1,0]
	s_delay_alu instid0(VALU_DEP_3) | instskip(SKIP_2) | instid1(VALU_DEP_4)
	v_dot4_i32_iu8 v56, v239, v54, v53 neg_lo:[1,1,0]
	v_perm_b32 v53, v4, v23, 0x6050401
	v_perm_b32 v54, v27, v6, 0x6050401
	v_dot4_i32_iu8 v58, v224, v15, v58 neg_lo:[1,1,0]
	v_perm_b32 v4, v4, v6, 0x6050401
	s_delay_alu instid0(VALU_DEP_3) | instskip(SKIP_1) | instid1(VALU_DEP_2)
	v_dot4_i32_iu8 v53, v54, v53, 0 neg_lo:[1,1,0]
	v_perm_b32 v54, v25, v2, 0x6050401
	v_dot4_i32_iu8 v53, v229, v57, v53 neg_lo:[1,1,0]
	s_delay_alu instid0(VALU_DEP_1) | instskip(SKIP_1) | instid1(VALU_DEP_2)
	v_dot4_i32_iu8 v5, v230, v94, v53 neg_lo:[1,1,0]
	v_perm_b32 v53, v0, v21, 0x6050401
	v_dot4_i32_iu8 v5, v7, v24, v5 neg_lo:[1,1,0]
	s_delay_alu instid0(VALU_DEP_2) | instskip(NEXT) | instid1(VALU_DEP_2)
	v_dot4_i32_iu8 v53, v54, v53, 0 neg_lo:[1,1,0]
	v_mul_lo_u32 v5, v5, v211
	s_delay_alu instid0(VALU_DEP_2) | instskip(NEXT) | instid1(VALU_DEP_1)
	v_dot4_i32_iu8 v53, v231, v95, v53 neg_lo:[1,1,0]
	v_dot4_i32_iu8 v1, v232, v97, v53 neg_lo:[1,1,0]
	s_delay_alu instid0(VALU_DEP_1) | instskip(NEXT) | instid1(VALU_DEP_1)
	v_dot4_i32_iu8 v1, v3, v22, v1 neg_lo:[1,1,0]
	v_mad_co_u64_u32 v[53:54], null, v1, v219, v[5:6]
	s_delay_alu instid0(VALU_DEP_1) | instskip(SKIP_1) | instid1(VALU_DEP_1)
	v_cvt_f32_i32_e32 v1, v53
	s_wait_dscnt 0x0
	v_fma_f32 v5, v28, v1, 0
	v_mul_lo_u32 v1, v58, v221
	s_delay_alu instid0(VALU_DEP_1) | instskip(SKIP_1) | instid1(VALU_DEP_1)
	v_mad_co_u64_u32 v[53:54], null, v56, v220, v[1:2]
	v_perm_b32 v2, v0, v2, 0x6050401
	v_dot4_i32_iu8 v0, v2, v49, 0 neg_lo:[1,1,0]
	s_delay_alu instid0(VALU_DEP_3) | instskip(NEXT) | instid1(VALU_DEP_2)
	v_cvt_f32_i32_e32 v1, v53
	v_dot4_i32_iu8 v0, v95, v210, v0 neg_lo:[1,1,0]
	s_delay_alu instid0(VALU_DEP_2) | instskip(NEXT) | instid1(VALU_DEP_2)
	v_fmac_f32_e32 v5, v29, v1
	v_dot4_i32_iu8 v0, v97, v212, v0 neg_lo:[1,1,0]
	s_delay_alu instid0(VALU_DEP_2)
	v_fmac_f32_e32 v142, v63, v5
	v_perm_b32 v5, v12, v14, 0x6040501
	v_perm_b32 v14, v8, v10, 0x6040501
	;; [unrolled: 1-line block ×4, first 2 shown]
	v_dot4_i32_iu8 v0, v3, v36, v0 neg_lo:[1,1,0]
	v_dot4_i32_iu8 v1, v5, v233, 0 neg_lo:[1,1,0]
	s_delay_alu instid0(VALU_DEP_1) | instskip(NEXT) | instid1(VALU_DEP_1)
	v_dot4_i32_iu8 v1, v62, v59, v1 neg_lo:[1,1,0]
	v_dot4_i32_iu8 v1, v13, v222, v1 neg_lo:[1,1,0]
	s_delay_alu instid0(VALU_DEP_1) | instskip(SKIP_1) | instid1(VALU_DEP_1)
	v_dot4_i32_iu8 v12, v15, v48, v1 neg_lo:[1,1,0]
	v_dot4_i32_iu8 v1, v14, v60, 0 neg_lo:[1,1,0]
	;; [unrolled: 1-line block ×3, first 2 shown]
	s_delay_alu instid0(VALU_DEP_1) | instskip(NEXT) | instid1(VALU_DEP_1)
	v_dot4_i32_iu8 v1, v9, v223, v1 neg_lo:[1,1,0]
	v_dot4_i32_iu8 v10, v11, v50, v1 neg_lo:[1,1,0]
	;; [unrolled: 1-line block ×3, first 2 shown]
	s_delay_alu instid0(VALU_DEP_1) | instskip(NEXT) | instid1(VALU_DEP_1)
	v_dot4_i32_iu8 v1, v57, v206, v1 neg_lo:[1,1,0]
	v_dot4_i32_iu8 v1, v94, v207, v1 neg_lo:[1,1,0]
	s_delay_alu instid0(VALU_DEP_1) | instskip(NEXT) | instid1(VALU_DEP_1)
	v_dot4_i32_iu8 v1, v7, v38, v1 neg_lo:[1,1,0]
	v_mul_lo_u32 v1, v1, v208
	s_delay_alu instid0(VALU_DEP_1) | instskip(NEXT) | instid1(VALU_DEP_1)
	v_mad_co_u64_u32 v[0:1], null, v0, v213, v[1:2]
	v_cvt_f32_i32_e32 v0, v0
	s_delay_alu instid0(VALU_DEP_1) | instskip(SKIP_1) | instid1(VALU_DEP_1)
	v_fma_f32 v6, v28, v0, 0
	v_mul_lo_u32 v0, v12, v216
	v_mad_co_u64_u32 v[0:1], null, v10, v214, v[0:1]
	v_dot4_i32_iu8 v1, v2, v31, 0 neg_lo:[1,1,0]
	s_delay_alu instid0(VALU_DEP_1) | instskip(NEXT) | instid1(VALU_DEP_3)
	v_dot4_i32_iu8 v1, v95, v201, v1 neg_lo:[1,1,0]
	v_cvt_f32_i32_e32 v0, v0
	s_delay_alu instid0(VALU_DEP_2) | instskip(NEXT) | instid1(VALU_DEP_2)
	v_dot4_i32_iu8 v1, v97, v202, v1 neg_lo:[1,1,0]
	v_fmac_f32_e32 v6, v29, v0
	v_dot4_i32_iu8 v0, v5, v43, 0 neg_lo:[1,1,0]
	s_delay_alu instid0(VALU_DEP_3) | instskip(NEXT) | instid1(VALU_DEP_3)
	v_dot4_i32_iu8 v1, v3, v32, v1 neg_lo:[1,1,0]
	v_fmac_f32_e32 v150, v64, v6
	s_delay_alu instid0(VALU_DEP_3) | instskip(NEXT) | instid1(VALU_DEP_1)
	v_dot4_i32_iu8 v0, v62, v51, v0 neg_lo:[1,1,0]
	v_dot4_i32_iu8 v0, v13, v217, v0 neg_lo:[1,1,0]
	s_delay_alu instid0(VALU_DEP_1) | instskip(SKIP_1) | instid1(VALU_DEP_1)
	v_dot4_i32_iu8 v6, v15, v44, v0 neg_lo:[1,1,0]
	v_dot4_i32_iu8 v0, v14, v45, 0 neg_lo:[1,1,0]
	;; [unrolled: 1-line block ×3, first 2 shown]
	s_delay_alu instid0(VALU_DEP_1) | instskip(NEXT) | instid1(VALU_DEP_1)
	v_dot4_i32_iu8 v0, v9, v218, v0 neg_lo:[1,1,0]
	v_dot4_i32_iu8 v10, v11, v46, v0 neg_lo:[1,1,0]
	;; [unrolled: 1-line block ×3, first 2 shown]
	s_delay_alu instid0(VALU_DEP_1) | instskip(NEXT) | instid1(VALU_DEP_1)
	v_dot4_i32_iu8 v0, v57, v198, v0 neg_lo:[1,1,0]
	v_dot4_i32_iu8 v0, v94, v199, v0 neg_lo:[1,1,0]
	s_delay_alu instid0(VALU_DEP_1) | instskip(NEXT) | instid1(VALU_DEP_1)
	v_dot4_i32_iu8 v0, v7, v34, v0 neg_lo:[1,1,0]
	v_mul_lo_u32 v0, v0, v200
	s_delay_alu instid0(VALU_DEP_1) | instskip(NEXT) | instid1(VALU_DEP_1)
	v_mad_co_u64_u32 v[0:1], null, v1, v203, v[0:1]
	v_cvt_f32_i32_e32 v0, v0
	s_delay_alu instid0(VALU_DEP_1) | instskip(SKIP_1) | instid1(VALU_DEP_1)
	v_fma_f32 v12, v28, v0, 0
	v_mul_lo_u32 v0, v6, v205
	v_mad_co_u64_u32 v[0:1], null, v10, v204, v[0:1]
	v_dot4_i32_iu8 v1, v2, v19, 0 neg_lo:[1,1,0]
	s_delay_alu instid0(VALU_DEP_1) | instskip(NEXT) | instid1(VALU_DEP_3)
	v_dot4_i32_iu8 v1, v95, v194, v1 neg_lo:[1,1,0]
	v_cvt_f32_i32_e32 v0, v0
	s_delay_alu instid0(VALU_DEP_2) | instskip(NEXT) | instid1(VALU_DEP_2)
	v_dot4_i32_iu8 v1, v97, v193, v1 neg_lo:[1,1,0]
	v_fmac_f32_e32 v12, v29, v0
	v_dot4_i32_iu8 v0, v5, v35, 0 neg_lo:[1,1,0]
	s_delay_alu instid0(VALU_DEP_3) | instskip(NEXT) | instid1(VALU_DEP_3)
	v_dot4_i32_iu8 v1, v3, v20, v1 neg_lo:[1,1,0]
	v_fmac_f32_e32 v163, v65, v12
	s_delay_alu instid0(VALU_DEP_3) | instskip(NEXT) | instid1(VALU_DEP_1)
	v_dot4_i32_iu8 v0, v62, v37, v0 neg_lo:[1,1,0]
	v_dot4_i32_iu8 v0, v13, v209, v0 neg_lo:[1,1,0]
	s_delay_alu instid0(VALU_DEP_1) | instskip(SKIP_1) | instid1(VALU_DEP_1)
	v_dot4_i32_iu8 v5, v15, v40, v0 neg_lo:[1,1,0]
	v_dot4_i32_iu8 v0, v14, v39, 0 neg_lo:[1,1,0]
	;; [unrolled: 1-line block ×3, first 2 shown]
	s_delay_alu instid0(VALU_DEP_1) | instskip(NEXT) | instid1(VALU_DEP_1)
	v_dot4_i32_iu8 v0, v9, v215, v0 neg_lo:[1,1,0]
	v_dot4_i32_iu8 v6, v11, v42, v0 neg_lo:[1,1,0]
	;; [unrolled: 1-line block ×3, first 2 shown]
	s_delay_alu instid0(VALU_DEP_1) | instskip(NEXT) | instid1(VALU_DEP_1)
	v_dot4_i32_iu8 v0, v57, v197, v0 neg_lo:[1,1,0]
	v_dot4_i32_iu8 v0, v94, v196, v0 neg_lo:[1,1,0]
	s_delay_alu instid0(VALU_DEP_1) | instskip(NEXT) | instid1(VALU_DEP_1)
	v_dot4_i32_iu8 v0, v7, v30, v0 neg_lo:[1,1,0]
	v_mul_lo_u32 v0, v0, v195
	s_delay_alu instid0(VALU_DEP_1) | instskip(NEXT) | instid1(VALU_DEP_1)
	v_mad_co_u64_u32 v[0:1], null, v1, v69, v[0:1]
	v_cvt_f32_i32_e32 v0, v0
	s_delay_alu instid0(VALU_DEP_1) | instskip(SKIP_1) | instid1(VALU_DEP_1)
	v_fma_f32 v2, v28, v0, 0
	v_mul_lo_u32 v0, v5, v68
	v_mad_co_u64_u32 v[0:1], null, v6, v67, v[0:1]
	s_delay_alu instid0(VALU_DEP_1) | instskip(NEXT) | instid1(VALU_DEP_1)
	v_cvt_f32_i32_e32 v0, v0
	v_fmac_f32_e32 v2, v29, v0
	v_or_b32_e32 v0, s12, v133
	s_add_co_i32 s12, s5, 8
	s_cmp_lt_u32 s5, 24
	s_wait_alu 0xfffe
	s_mov_b32 s5, s12
	v_dual_fmac_f32 v175, v66, v2 :: v_dual_lshlrev_b32 v12, 2, v0
	v_lshrrev_b32_e32 v28, 1, v0
	ds_load_b128 v[0:3], v12 offset:33280
	ds_load_b128 v[4:7], v12 offset:33296
	;; [unrolled: 1-line block ×4, first 2 shown]
	ds_load_b64 v[28:29], v28 offset:43584
	s_wait_dscnt 0x4
	v_perm_b32 v21, v0, v21, 0x6050401
	s_wait_dscnt 0x3
	v_perm_b32 v23, v4, v23, 0x6050401
	s_wait_dscnt 0x2
	v_bfe_i32 v53, v10, 8, 8
	v_bfe_i32 v54, v8, 8, 8
	;; [unrolled: 1-line block ×3, first 2 shown]
	v_ashrrev_i32_e32 v57, 24, v10
	v_perm_b32 v27, v27, v6, 0x6050401
	v_mul_i32_i24_e32 v53, v53, v225
	s_wait_dscnt 0x1
	v_perm_b32 v58, v14, v14, 0xc0c0c01
	v_mul_i32_i24_e32 v56, v227, v56
	v_mul_i32_i24_e32 v57, v226, v57
	v_dot4_i32_iu8 v23, v27, v23, 0 neg_lo:[1,1,0]
	v_mad_i32_i24 v53, v228, v54, v53
	v_perm_b32 v54, v9, v8, 0x5030200
	v_perm_b32 v27, v5, v4, 0x6040503
	;; [unrolled: 1-line block ×3, first 2 shown]
	v_or_b32_e32 v58, v234, v58
	v_perm_b32 v4, v4, v6, 0x6050401
	v_dot4_i32_iu8 v53, v237, v54, v53 neg_lo:[1,1,0]
	v_perm_b32 v54, v10, v9, 0x4030200
	v_dot4_i32_iu8 v23, v229, v27, v23 neg_lo:[1,1,0]
	v_dot4_i32_iu8 v58, v58, v52, 0 neg_lo:[1,1,0]
	v_perm_b32 v52, v13, v12, 0x6040503
	v_perm_b32 v13, v14, v13, 0x7060403
	v_dot4_i32_iu8 v53, v238, v54, v53 neg_lo:[1,1,0]
	v_perm_b32 v54, v11, v11, 0x3020001
	s_delay_alu instid0(VALU_DEP_4) | instskip(NEXT) | instid1(VALU_DEP_3)
	v_dot4_i32_iu8 v58, v52, v235, v58 neg_lo:[1,1,0]
	v_add3_u32 v53, v53, v56, v57
	s_delay_alu instid0(VALU_DEP_2) | instskip(NEXT) | instid1(VALU_DEP_2)
	v_dot4_i32_iu8 v58, v236, v13, v58 neg_lo:[1,1,0]
	v_dot4_i32_iu8 v53, v239, v54, v53 neg_lo:[1,1,0]
	v_perm_b32 v54, v6, v5, 0x7060403
	s_delay_alu instid0(VALU_DEP_3) | instskip(NEXT) | instid1(VALU_DEP_2)
	v_dot4_i32_iu8 v58, v224, v15, v58 neg_lo:[1,1,0]
	v_dot4_i32_iu8 v5, v230, v54, v23 neg_lo:[1,1,0]
	v_perm_b32 v23, v25, v2, 0x6050401
	s_delay_alu instid0(VALU_DEP_2) | instskip(NEXT) | instid1(VALU_DEP_2)
	v_dot4_i32_iu8 v5, v7, v24, v5 neg_lo:[1,1,0]
	v_dot4_i32_iu8 v21, v23, v21, 0 neg_lo:[1,1,0]
	v_perm_b32 v23, v1, v0, 0x6040503
	v_perm_b32 v24, v2, v1, 0x7060403
	s_delay_alu instid0(VALU_DEP_4) | instskip(NEXT) | instid1(VALU_DEP_3)
	v_mul_lo_u32 v5, v5, v211
	v_dot4_i32_iu8 v21, v231, v23, v21 neg_lo:[1,1,0]
	s_delay_alu instid0(VALU_DEP_1) | instskip(NEXT) | instid1(VALU_DEP_1)
	v_dot4_i32_iu8 v1, v232, v24, v21 neg_lo:[1,1,0]
	v_dot4_i32_iu8 v1, v3, v22, v1 neg_lo:[1,1,0]
	s_delay_alu instid0(VALU_DEP_1) | instskip(SKIP_1) | instid1(VALU_DEP_1)
	v_mad_co_u64_u32 v[21:22], null, v1, v219, v[5:6]
	v_perm_b32 v6, v0, v2, 0x6050401
	v_dot4_i32_iu8 v0, v6, v49, 0 neg_lo:[1,1,0]
	s_delay_alu instid0(VALU_DEP_3) | instskip(NEXT) | instid1(VALU_DEP_2)
	v_cvt_f32_i32_e32 v1, v21
	v_dot4_i32_iu8 v0, v23, v210, v0 neg_lo:[1,1,0]
	s_wait_dscnt 0x0
	s_delay_alu instid0(VALU_DEP_2) | instskip(SKIP_1) | instid1(VALU_DEP_3)
	v_fma_f32 v5, v28, v1, 0
	v_mul_lo_u32 v1, v58, v221
	v_dot4_i32_iu8 v0, v24, v212, v0 neg_lo:[1,1,0]
	s_delay_alu instid0(VALU_DEP_2) | instskip(NEXT) | instid1(VALU_DEP_2)
	v_mad_co_u64_u32 v[21:22], null, v53, v220, v[1:2]
	v_dot4_i32_iu8 v0, v3, v36, v0 neg_lo:[1,1,0]
	s_delay_alu instid0(VALU_DEP_2) | instskip(NEXT) | instid1(VALU_DEP_1)
	v_cvt_f32_i32_e32 v1, v21
	v_fmac_f32_e32 v5, v29, v1
	s_delay_alu instid0(VALU_DEP_1) | instskip(SKIP_4) | instid1(VALU_DEP_4)
	v_fmac_f32_e32 v139, v63, v5
	v_perm_b32 v5, v12, v14, 0x6040501
	v_perm_b32 v14, v8, v10, 0x6040501
	;; [unrolled: 1-line block ×4, first 2 shown]
	v_dot4_i32_iu8 v1, v5, v233, 0 neg_lo:[1,1,0]
	s_delay_alu instid0(VALU_DEP_1) | instskip(NEXT) | instid1(VALU_DEP_1)
	v_dot4_i32_iu8 v1, v52, v59, v1 neg_lo:[1,1,0]
	v_dot4_i32_iu8 v1, v13, v222, v1 neg_lo:[1,1,0]
	s_delay_alu instid0(VALU_DEP_1) | instskip(SKIP_1) | instid1(VALU_DEP_1)
	v_dot4_i32_iu8 v12, v15, v48, v1 neg_lo:[1,1,0]
	v_dot4_i32_iu8 v1, v14, v60, 0 neg_lo:[1,1,0]
	;; [unrolled: 1-line block ×3, first 2 shown]
	s_delay_alu instid0(VALU_DEP_1) | instskip(NEXT) | instid1(VALU_DEP_1)
	v_dot4_i32_iu8 v1, v9, v223, v1 neg_lo:[1,1,0]
	v_dot4_i32_iu8 v10, v11, v50, v1 neg_lo:[1,1,0]
	;; [unrolled: 1-line block ×3, first 2 shown]
	s_delay_alu instid0(VALU_DEP_1) | instskip(NEXT) | instid1(VALU_DEP_1)
	v_dot4_i32_iu8 v1, v27, v206, v1 neg_lo:[1,1,0]
	v_dot4_i32_iu8 v1, v54, v207, v1 neg_lo:[1,1,0]
	s_delay_alu instid0(VALU_DEP_1) | instskip(NEXT) | instid1(VALU_DEP_1)
	v_dot4_i32_iu8 v1, v7, v38, v1 neg_lo:[1,1,0]
	v_mul_lo_u32 v1, v1, v208
	s_delay_alu instid0(VALU_DEP_1) | instskip(NEXT) | instid1(VALU_DEP_1)
	v_mad_co_u64_u32 v[0:1], null, v0, v213, v[1:2]
	v_cvt_f32_i32_e32 v0, v0
	s_delay_alu instid0(VALU_DEP_1) | instskip(SKIP_1) | instid1(VALU_DEP_1)
	v_fma_f32 v2, v28, v0, 0
	v_mul_lo_u32 v0, v12, v216
	v_mad_co_u64_u32 v[0:1], null, v10, v214, v[0:1]
	v_dot4_i32_iu8 v1, v6, v31, 0 neg_lo:[1,1,0]
	s_delay_alu instid0(VALU_DEP_1) | instskip(NEXT) | instid1(VALU_DEP_3)
	v_dot4_i32_iu8 v1, v23, v201, v1 neg_lo:[1,1,0]
	v_cvt_f32_i32_e32 v0, v0
	s_delay_alu instid0(VALU_DEP_2) | instskip(NEXT) | instid1(VALU_DEP_2)
	v_dot4_i32_iu8 v1, v24, v202, v1 neg_lo:[1,1,0]
	v_fmac_f32_e32 v2, v29, v0
	v_dot4_i32_iu8 v0, v5, v43, 0 neg_lo:[1,1,0]
	s_delay_alu instid0(VALU_DEP_3) | instskip(NEXT) | instid1(VALU_DEP_3)
	v_dot4_i32_iu8 v1, v3, v32, v1 neg_lo:[1,1,0]
	v_fmac_f32_e32 v145, v64, v2
	s_delay_alu instid0(VALU_DEP_3) | instskip(NEXT) | instid1(VALU_DEP_1)
	v_dot4_i32_iu8 v0, v52, v51, v0 neg_lo:[1,1,0]
	v_dot4_i32_iu8 v0, v13, v217, v0 neg_lo:[1,1,0]
	s_delay_alu instid0(VALU_DEP_1) | instskip(SKIP_1) | instid1(VALU_DEP_1)
	v_dot4_i32_iu8 v2, v15, v44, v0 neg_lo:[1,1,0]
	v_dot4_i32_iu8 v0, v14, v45, 0 neg_lo:[1,1,0]
	;; [unrolled: 1-line block ×3, first 2 shown]
	s_delay_alu instid0(VALU_DEP_1) | instskip(NEXT) | instid1(VALU_DEP_1)
	v_dot4_i32_iu8 v0, v9, v218, v0 neg_lo:[1,1,0]
	v_dot4_i32_iu8 v10, v11, v46, v0 neg_lo:[1,1,0]
	;; [unrolled: 1-line block ×3, first 2 shown]
	s_delay_alu instid0(VALU_DEP_1) | instskip(NEXT) | instid1(VALU_DEP_1)
	v_dot4_i32_iu8 v0, v27, v198, v0 neg_lo:[1,1,0]
	v_dot4_i32_iu8 v0, v54, v199, v0 neg_lo:[1,1,0]
	s_delay_alu instid0(VALU_DEP_1) | instskip(NEXT) | instid1(VALU_DEP_1)
	v_dot4_i32_iu8 v0, v7, v34, v0 neg_lo:[1,1,0]
	v_mul_lo_u32 v0, v0, v200
	s_delay_alu instid0(VALU_DEP_1) | instskip(NEXT) | instid1(VALU_DEP_1)
	v_mad_co_u64_u32 v[0:1], null, v1, v203, v[0:1]
	v_cvt_f32_i32_e32 v0, v0
	s_delay_alu instid0(VALU_DEP_1) | instskip(SKIP_1) | instid1(VALU_DEP_1)
	v_fma_f32 v12, v28, v0, 0
	v_mul_lo_u32 v0, v2, v205
	v_mad_co_u64_u32 v[0:1], null, v10, v204, v[0:1]
	s_delay_alu instid0(VALU_DEP_1) | instskip(NEXT) | instid1(VALU_DEP_1)
	v_cvt_f32_i32_e32 v0, v0
	v_fmac_f32_e32 v12, v29, v0
	v_dot4_i32_iu8 v0, v5, v35, 0 neg_lo:[1,1,0]
	s_delay_alu instid0(VALU_DEP_2) | instskip(NEXT) | instid1(VALU_DEP_2)
	v_fmac_f32_e32 v157, v65, v12
	v_dot4_i32_iu8 v0, v52, v37, v0 neg_lo:[1,1,0]
	s_delay_alu instid0(VALU_DEP_1) | instskip(NEXT) | instid1(VALU_DEP_1)
	v_dot4_i32_iu8 v0, v13, v209, v0 neg_lo:[1,1,0]
	v_dot4_i32_iu8 v2, v15, v40, v0 neg_lo:[1,1,0]
	;; [unrolled: 1-line block ×3, first 2 shown]
	s_delay_alu instid0(VALU_DEP_2) | instskip(NEXT) | instid1(VALU_DEP_2)
	v_mul_lo_u32 v2, v2, v68
	v_dot4_i32_iu8 v0, v8, v41, v0 neg_lo:[1,1,0]
	s_delay_alu instid0(VALU_DEP_1) | instskip(NEXT) | instid1(VALU_DEP_1)
	v_dot4_i32_iu8 v0, v9, v215, v0 neg_lo:[1,1,0]
	v_dot4_i32_iu8 v1, v11, v42, v0 neg_lo:[1,1,0]
	;; [unrolled: 1-line block ×4, first 2 shown]
	s_delay_alu instid0(VALU_DEP_2) | instskip(NEXT) | instid1(VALU_DEP_2)
	v_dot4_i32_iu8 v0, v27, v197, v0 neg_lo:[1,1,0]
	v_dot4_i32_iu8 v4, v23, v194, v4 neg_lo:[1,1,0]
	s_delay_alu instid0(VALU_DEP_2) | instskip(NEXT) | instid1(VALU_DEP_2)
	v_dot4_i32_iu8 v0, v54, v196, v0 neg_lo:[1,1,0]
	v_dot4_i32_iu8 v4, v24, v193, v4 neg_lo:[1,1,0]
	;; [unrolled: 3-line block ×3, first 2 shown]
	s_delay_alu instid0(VALU_DEP_2) | instskip(NEXT) | instid1(VALU_DEP_1)
	v_mul_lo_u32 v0, v0, v195
	v_mad_co_u64_u32 v[3:4], null, v3, v69, v[0:1]
	s_delay_alu instid0(VALU_DEP_1) | instskip(SKIP_1) | instid1(VALU_DEP_1)
	v_mad_co_u64_u32 v[1:2], null, v1, v67, v[2:3]
	v_cvt_f32_i32_e32 v0, v3
	v_fma_f32 v0, v28, v0, 0
	s_delay_alu instid0(VALU_DEP_3) | instskip(NEXT) | instid1(VALU_DEP_1)
	v_cvt_f32_i32_e32 v1, v1
	v_fmac_f32_e32 v0, v29, v1
	s_delay_alu instid0(VALU_DEP_1)
	v_fmac_f32_e32 v171, v66, v0
	s_cbranch_scc1 .LBB155_8
; %bb.9:                                ;   in Loop: Header=BB155_5 Depth=1
	s_add_co_i32 s10, s10, 1
	s_wait_loadcnt 0x0
	s_wait_alu 0xfffe
	s_cmp_eq_u32 s10, s15
	s_barrier_signal -1
	s_barrier_wait -1
	global_inv scope:SCOPE_SE
	s_cbranch_scc0 .LBB155_5
; %bb.10:
	s_clause 0x1
	scratch_load_b32 v34, off, off th:TH_LOAD_LU
	scratch_load_b32 v36, off, off offset:4
	v_cvt_f16_f32_e32 v12, v81
	v_cvt_f16_f32_e64 v13, v179
	v_cvt_f16_f32_e64 v14, v184
	;; [unrolled: 1-line block ×31, first 2 shown]
	v_mov_b32_e32 v6, v70
.LBB155_11:
	s_mov_b32 s0, exec_lo
	s_wait_loadcnt 0x0
	v_cmpx_gt_u32_e64 s4, v36
	s_cbranch_execz .LBB155_62
; %bb.12:
	v_add_nc_u32_e32 v0, s14, v34
	v_mul_lo_u32 v34, v36, s6
	s_delay_alu instid0(VALU_DEP_2)
	v_cmp_gt_u32_e32 vcc_lo, s6, v0
	s_and_saveexec_b32 s1, vcc_lo
	s_cbranch_execz .LBB155_14
; %bb.13:
	s_delay_alu instid0(VALU_DEP_2) | instskip(NEXT) | instid1(VALU_DEP_1)
	v_dual_mov_b32 v36, 0 :: v_dual_add_nc_u32 v35, v0, v34
	v_lshlrev_b64_e32 v[35:36], 1, v[35:36]
	s_wait_kmcnt 0x0
	s_delay_alu instid0(VALU_DEP_1) | instskip(NEXT) | instid1(VALU_DEP_1)
	v_add_co_u32 v35, s0, s8, v35
	v_add_co_ci_u32_e64 v36, null, s9, v36, s0
	global_store_b16 v[35:36], v12, off
.LBB155_14:
	s_or_b32 exec_lo, exec_lo, s1
	v_add_nc_u32_e32 v12, 32, v0
	s_delay_alu instid0(VALU_DEP_1)
	v_cmp_gt_u32_e64 s0, s6, v12
	s_and_saveexec_b32 s2, s0
	s_cbranch_execz .LBB155_16
; %bb.15:
	v_dual_mov_b32 v36, 0 :: v_dual_add_nc_u32 v35, v12, v34
	s_delay_alu instid0(VALU_DEP_1) | instskip(SKIP_1) | instid1(VALU_DEP_1)
	v_lshlrev_b64_e32 v[35:36], 1, v[35:36]
	s_wait_kmcnt 0x0
	v_add_co_u32 v35, s1, s8, v35
	s_wait_alu 0xf1ff
	s_delay_alu instid0(VALU_DEP_2)
	v_add_co_ci_u32_e64 v36, null, s9, v36, s1
	global_store_b16 v[35:36], v13, off
.LBB155_16:
	s_wait_alu 0xfffe
	s_or_b32 exec_lo, exec_lo, s2
	v_add_nc_u32_e32 v13, 64, v0
	s_delay_alu instid0(VALU_DEP_1)
	v_cmp_gt_u32_e64 s1, s6, v13
	s_and_saveexec_b32 s3, s1
	s_cbranch_execz .LBB155_18
; %bb.17:
	v_dual_mov_b32 v36, 0 :: v_dual_add_nc_u32 v35, v13, v34
	s_delay_alu instid0(VALU_DEP_1) | instskip(SKIP_1) | instid1(VALU_DEP_1)
	v_lshlrev_b64_e32 v[35:36], 1, v[35:36]
	s_wait_kmcnt 0x0
	v_add_co_u32 v35, s2, s8, v35
	s_wait_alu 0xf1ff
	s_delay_alu instid0(VALU_DEP_2)
	v_add_co_ci_u32_e64 v36, null, s9, v36, s2
	global_store_b16 v[35:36], v14, off
.LBB155_18:
	s_wait_alu 0xfffe
	;; [unrolled: 18-line block ×3, first 2 shown]
	s_or_b32 exec_lo, exec_lo, s5
	v_add3_u32 v33, v6, s7, 8
	s_delay_alu instid0(VALU_DEP_1)
	v_cmp_gt_u32_e64 s3, s4, v33
	s_and_b32 exec_lo, exec_lo, s3
	s_cbranch_execz .LBB155_62
; %bb.21:
	v_mul_lo_u32 v33, v33, s6
	s_and_saveexec_b32 s5, vcc_lo
	s_cbranch_execnz .LBB155_63
; %bb.22:
	s_wait_alu 0xfffe
	s_or_b32 exec_lo, exec_lo, s5
	s_and_saveexec_b32 s5, s0
	s_cbranch_execnz .LBB155_64
.LBB155_23:
	s_wait_alu 0xfffe
	s_or_b32 exec_lo, exec_lo, s5
	s_and_saveexec_b32 s5, s1
	s_cbranch_execnz .LBB155_65
.LBB155_24:
	s_wait_alu 0xfffe
	s_or_b32 exec_lo, exec_lo, s5
	s_and_saveexec_b32 s5, s2
	s_cbranch_execz .LBB155_26
.LBB155_25:
	v_dual_mov_b32 v31, 0 :: v_dual_add_nc_u32 v30, v33, v14
	s_delay_alu instid0(VALU_DEP_1) | instskip(SKIP_1) | instid1(VALU_DEP_1)
	v_lshlrev_b64_e32 v[30:31], 1, v[30:31]
	s_wait_kmcnt 0x0
	v_add_co_u32 v30, s3, s8, v30
	s_wait_alu 0xf1ff
	s_delay_alu instid0(VALU_DEP_2)
	v_add_co_ci_u32_e64 v31, null, s9, v31, s3
	global_store_b16 v[30:31], v29, off
.LBB155_26:
	s_wait_alu 0xfffe
	s_or_b32 exec_lo, exec_lo, s5
	v_add3_u32 v29, v6, s7, 16
	s_delay_alu instid0(VALU_DEP_1)
	v_cmp_gt_u32_e64 s3, s4, v29
	s_and_b32 exec_lo, exec_lo, s3
	s_cbranch_execz .LBB155_62
; %bb.27:
	v_mul_lo_u32 v29, v29, s6
	s_and_saveexec_b32 s5, vcc_lo
	s_cbranch_execnz .LBB155_66
; %bb.28:
	s_wait_alu 0xfffe
	s_or_b32 exec_lo, exec_lo, s5
	s_and_saveexec_b32 s5, s0
	s_cbranch_execnz .LBB155_67
.LBB155_29:
	s_wait_alu 0xfffe
	s_or_b32 exec_lo, exec_lo, s5
	s_and_saveexec_b32 s5, s1
	s_cbranch_execnz .LBB155_68
.LBB155_30:
	s_wait_alu 0xfffe
	s_or_b32 exec_lo, exec_lo, s5
	s_and_saveexec_b32 s5, s2
	s_cbranch_execz .LBB155_32
.LBB155_31:
	v_dual_mov_b32 v27, 0 :: v_dual_add_nc_u32 v26, v29, v14
	s_delay_alu instid0(VALU_DEP_1) | instskip(SKIP_1) | instid1(VALU_DEP_1)
	v_lshlrev_b64_e32 v[26:27], 1, v[26:27]
	s_wait_kmcnt 0x0
	v_add_co_u32 v26, s3, s8, v26
	s_wait_alu 0xf1ff
	s_delay_alu instid0(VALU_DEP_2)
	v_add_co_ci_u32_e64 v27, null, s9, v27, s3
	global_store_b16 v[26:27], v25, off
.LBB155_32:
	s_wait_alu 0xfffe
	s_or_b32 exec_lo, exec_lo, s5
	v_add3_u32 v25, v6, s7, 24
	s_delay_alu instid0(VALU_DEP_1)
	v_cmp_gt_u32_e64 s3, s4, v25
	s_and_b32 exec_lo, exec_lo, s3
	s_cbranch_execz .LBB155_62
; %bb.33:
	v_mul_lo_u32 v25, v25, s6
	s_and_saveexec_b32 s5, vcc_lo
	s_cbranch_execnz .LBB155_69
; %bb.34:
	s_wait_alu 0xfffe
	s_or_b32 exec_lo, exec_lo, s5
	s_and_saveexec_b32 s5, s0
	s_cbranch_execnz .LBB155_70
.LBB155_35:
	s_wait_alu 0xfffe
	s_or_b32 exec_lo, exec_lo, s5
	s_and_saveexec_b32 s5, s1
	s_cbranch_execnz .LBB155_71
.LBB155_36:
	s_wait_alu 0xfffe
	s_or_b32 exec_lo, exec_lo, s5
	s_and_saveexec_b32 s5, s2
	s_cbranch_execz .LBB155_38
.LBB155_37:
	v_dual_mov_b32 v23, 0 :: v_dual_add_nc_u32 v22, v25, v14
	s_delay_alu instid0(VALU_DEP_1) | instskip(SKIP_1) | instid1(VALU_DEP_1)
	v_lshlrev_b64_e32 v[22:23], 1, v[22:23]
	s_wait_kmcnt 0x0
	v_add_co_u32 v22, s3, s8, v22
	s_wait_alu 0xf1ff
	s_delay_alu instid0(VALU_DEP_2)
	v_add_co_ci_u32_e64 v23, null, s9, v23, s3
	global_store_b16 v[22:23], v21, off
.LBB155_38:
	s_wait_alu 0xfffe
	s_or_b32 exec_lo, exec_lo, s5
	v_add3_u32 v21, v6, s7, 32
	s_delay_alu instid0(VALU_DEP_1)
	v_cmp_gt_u32_e64 s3, s4, v21
	s_and_b32 exec_lo, exec_lo, s3
	s_cbranch_execz .LBB155_62
; %bb.39:
	v_mul_lo_u32 v21, v21, s6
	s_and_saveexec_b32 s5, vcc_lo
	s_cbranch_execnz .LBB155_72
; %bb.40:
	s_wait_alu 0xfffe
	s_or_b32 exec_lo, exec_lo, s5
	s_and_saveexec_b32 s5, s0
	s_cbranch_execnz .LBB155_73
.LBB155_41:
	s_wait_alu 0xfffe
	s_or_b32 exec_lo, exec_lo, s5
	s_and_saveexec_b32 s5, s1
	s_cbranch_execnz .LBB155_74
.LBB155_42:
	s_wait_alu 0xfffe
	s_or_b32 exec_lo, exec_lo, s5
	s_and_saveexec_b32 s5, s2
	s_cbranch_execz .LBB155_44
.LBB155_43:
	v_dual_mov_b32 v19, 0 :: v_dual_add_nc_u32 v18, v21, v14
	s_delay_alu instid0(VALU_DEP_1) | instskip(SKIP_1) | instid1(VALU_DEP_1)
	v_lshlrev_b64_e32 v[18:19], 1, v[18:19]
	s_wait_kmcnt 0x0
	v_add_co_u32 v18, s3, s8, v18
	s_wait_alu 0xf1ff
	s_delay_alu instid0(VALU_DEP_2)
	v_add_co_ci_u32_e64 v19, null, s9, v19, s3
	global_store_b16 v[18:19], v17, off
.LBB155_44:
	s_wait_alu 0xfffe
	s_or_b32 exec_lo, exec_lo, s5
	v_add3_u32 v17, v6, s7, 40
	s_delay_alu instid0(VALU_DEP_1)
	v_cmp_gt_u32_e64 s3, s4, v17
	s_and_b32 exec_lo, exec_lo, s3
	s_cbranch_execz .LBB155_62
; %bb.45:
	v_mul_lo_u32 v17, v17, s6
	s_and_saveexec_b32 s5, vcc_lo
	s_cbranch_execnz .LBB155_75
; %bb.46:
	s_wait_alu 0xfffe
	s_or_b32 exec_lo, exec_lo, s5
	s_and_saveexec_b32 s5, s0
	s_cbranch_execnz .LBB155_76
.LBB155_47:
	s_wait_alu 0xfffe
	s_or_b32 exec_lo, exec_lo, s5
	s_and_saveexec_b32 s5, s1
	s_cbranch_execnz .LBB155_77
.LBB155_48:
	s_wait_alu 0xfffe
	s_or_b32 exec_lo, exec_lo, s5
	s_and_saveexec_b32 s5, s2
	s_cbranch_execz .LBB155_50
.LBB155_49:
	v_dual_mov_b32 v16, 0 :: v_dual_add_nc_u32 v15, v17, v14
	s_delay_alu instid0(VALU_DEP_1) | instskip(SKIP_1) | instid1(VALU_DEP_1)
	v_lshlrev_b64_e32 v[15:16], 1, v[15:16]
	s_wait_kmcnt 0x0
	v_add_co_u32 v15, s3, s8, v15
	s_wait_alu 0xf1ff
	s_delay_alu instid0(VALU_DEP_2)
	v_add_co_ci_u32_e64 v16, null, s9, v16, s3
	global_store_b16 v[15:16], v10, off
.LBB155_50:
	s_wait_alu 0xfffe
	s_or_b32 exec_lo, exec_lo, s5
	v_add3_u32 v10, v6, s7, 48
	s_delay_alu instid0(VALU_DEP_1)
	v_cmp_gt_u32_e64 s3, s4, v10
	s_and_b32 exec_lo, exec_lo, s3
	s_cbranch_execz .LBB155_62
; %bb.51:
	v_mul_lo_u32 v10, v10, s6
	s_and_saveexec_b32 s5, vcc_lo
	s_cbranch_execnz .LBB155_78
; %bb.52:
	s_wait_alu 0xfffe
	s_or_b32 exec_lo, exec_lo, s5
	s_and_saveexec_b32 s5, s0
	s_cbranch_execnz .LBB155_79
.LBB155_53:
	s_wait_alu 0xfffe
	s_or_b32 exec_lo, exec_lo, s5
	s_and_saveexec_b32 s5, s1
	s_cbranch_execnz .LBB155_80
.LBB155_54:
	s_wait_alu 0xfffe
	s_or_b32 exec_lo, exec_lo, s5
	s_and_saveexec_b32 s5, s2
	s_cbranch_execz .LBB155_56
.LBB155_55:
	v_dual_mov_b32 v8, 0 :: v_dual_add_nc_u32 v7, v10, v14
	s_delay_alu instid0(VALU_DEP_1) | instskip(SKIP_1) | instid1(VALU_DEP_1)
	v_lshlrev_b64_e32 v[7:8], 1, v[7:8]
	s_wait_kmcnt 0x0
	v_add_co_u32 v7, s3, s8, v7
	s_wait_alu 0xf1ff
	s_delay_alu instid0(VALU_DEP_2)
	v_add_co_ci_u32_e64 v8, null, s9, v8, s3
	global_store_b16 v[7:8], v5, off
.LBB155_56:
	s_wait_alu 0xfffe
	s_or_b32 exec_lo, exec_lo, s5
	v_add3_u32 v5, v6, s7, 56
	s_delay_alu instid0(VALU_DEP_1)
	v_cmp_gt_u32_e64 s3, s4, v5
	s_and_b32 exec_lo, exec_lo, s3
	s_cbranch_execz .LBB155_62
; %bb.57:
	v_mul_lo_u32 v5, v5, s6
	s_and_saveexec_b32 s3, vcc_lo
	s_cbranch_execnz .LBB155_81
; %bb.58:
	s_wait_alu 0xfffe
	s_or_b32 exec_lo, exec_lo, s3
	s_and_saveexec_b32 s3, s0
	s_cbranch_execnz .LBB155_82
.LBB155_59:
	s_wait_alu 0xfffe
	s_or_b32 exec_lo, exec_lo, s3
	s_and_saveexec_b32 s0, s1
	s_cbranch_execnz .LBB155_83
.LBB155_60:
	s_wait_alu 0xfffe
	s_or_b32 exec_lo, exec_lo, s0
	s_delay_alu instid0(SALU_CYCLE_1)
	s_and_b32 exec_lo, exec_lo, s2
	s_cbranch_execz .LBB155_62
.LBB155_61:
	v_dual_mov_b32 v3, 0 :: v_dual_add_nc_u32 v2, v5, v14
	s_delay_alu instid0(VALU_DEP_1) | instskip(SKIP_1) | instid1(VALU_DEP_1)
	v_lshlrev_b64_e32 v[2:3], 1, v[2:3]
	s_wait_kmcnt 0x0
	v_add_co_u32 v2, vcc_lo, s8, v2
	s_wait_alu 0xfffd
	s_delay_alu instid0(VALU_DEP_2)
	v_add_co_ci_u32_e64 v3, null, s9, v3, vcc_lo
	global_store_b16 v[2:3], v1, off
.LBB155_62:
	s_nop 0
	s_sendmsg sendmsg(MSG_DEALLOC_VGPRS)
	s_endpgm
.LBB155_63:
	s_delay_alu instid0(VALU_DEP_1) | instskip(NEXT) | instid1(VALU_DEP_1)
	v_dual_mov_b32 v35, 0 :: v_dual_add_nc_u32 v34, v33, v0
	v_lshlrev_b64_e32 v[34:35], 1, v[34:35]
	s_wait_kmcnt 0x0
	s_delay_alu instid0(VALU_DEP_1) | instskip(SKIP_1) | instid1(VALU_DEP_2)
	v_add_co_u32 v34, s3, s8, v34
	s_wait_alu 0xf1ff
	v_add_co_ci_u32_e64 v35, null, s9, v35, s3
	global_store_b16 v[34:35], v32, off
	s_wait_alu 0xfffe
	s_or_b32 exec_lo, exec_lo, s5
	s_and_saveexec_b32 s5, s0
	s_cbranch_execz .LBB155_23
.LBB155_64:
	s_delay_alu instid0(VALU_DEP_1) | instskip(NEXT) | instid1(VALU_DEP_1)
	v_dual_mov_b32 v35, 0 :: v_dual_add_nc_u32 v34, v33, v12
	v_lshlrev_b64_e32 v[34:35], 1, v[34:35]
	s_wait_kmcnt 0x0
	s_delay_alu instid0(VALU_DEP_1) | instskip(SKIP_1) | instid1(VALU_DEP_2)
	v_add_co_u32 v34, s3, s8, v34
	s_wait_alu 0xf1ff
	v_add_co_ci_u32_e64 v35, null, s9, v35, s3
	global_store_b16 v[34:35], v31, off
	s_wait_alu 0xfffe
	s_or_b32 exec_lo, exec_lo, s5
	s_and_saveexec_b32 s5, s1
	s_cbranch_execz .LBB155_24
.LBB155_65:
	v_dual_mov_b32 v32, 0 :: v_dual_add_nc_u32 v31, v33, v13
	s_delay_alu instid0(VALU_DEP_1) | instskip(SKIP_1) | instid1(VALU_DEP_1)
	v_lshlrev_b64_e32 v[31:32], 1, v[31:32]
	s_wait_kmcnt 0x0
	v_add_co_u32 v31, s3, s8, v31
	s_wait_alu 0xf1ff
	s_delay_alu instid0(VALU_DEP_2)
	v_add_co_ci_u32_e64 v32, null, s9, v32, s3
	global_store_b16 v[31:32], v30, off
	s_wait_alu 0xfffe
	s_or_b32 exec_lo, exec_lo, s5
	s_and_saveexec_b32 s5, s2
	s_cbranch_execnz .LBB155_25
	s_branch .LBB155_26
.LBB155_66:
	s_delay_alu instid0(VALU_DEP_1) | instskip(NEXT) | instid1(VALU_DEP_1)
	v_dual_mov_b32 v31, 0 :: v_dual_add_nc_u32 v30, v29, v0
	v_lshlrev_b64_e32 v[30:31], 1, v[30:31]
	s_wait_kmcnt 0x0
	s_delay_alu instid0(VALU_DEP_1) | instskip(SKIP_1) | instid1(VALU_DEP_2)
	v_add_co_u32 v30, s3, s8, v30
	s_wait_alu 0xf1ff
	v_add_co_ci_u32_e64 v31, null, s9, v31, s3
	global_store_b16 v[30:31], v28, off
	s_wait_alu 0xfffe
	s_or_b32 exec_lo, exec_lo, s5
	s_and_saveexec_b32 s5, s0
	s_cbranch_execz .LBB155_29
.LBB155_67:
	s_delay_alu instid0(VALU_DEP_1) | instskip(NEXT) | instid1(VALU_DEP_1)
	v_dual_mov_b32 v31, 0 :: v_dual_add_nc_u32 v30, v29, v12
	v_lshlrev_b64_e32 v[30:31], 1, v[30:31]
	s_wait_kmcnt 0x0
	s_delay_alu instid0(VALU_DEP_1) | instskip(SKIP_1) | instid1(VALU_DEP_2)
	v_add_co_u32 v30, s3, s8, v30
	s_wait_alu 0xf1ff
	v_add_co_ci_u32_e64 v31, null, s9, v31, s3
	global_store_b16 v[30:31], v27, off
	s_wait_alu 0xfffe
	s_or_b32 exec_lo, exec_lo, s5
	s_and_saveexec_b32 s5, s1
	s_cbranch_execz .LBB155_30
.LBB155_68:
	v_dual_mov_b32 v28, 0 :: v_dual_add_nc_u32 v27, v29, v13
	s_delay_alu instid0(VALU_DEP_1) | instskip(SKIP_1) | instid1(VALU_DEP_1)
	v_lshlrev_b64_e32 v[27:28], 1, v[27:28]
	s_wait_kmcnt 0x0
	v_add_co_u32 v27, s3, s8, v27
	s_wait_alu 0xf1ff
	s_delay_alu instid0(VALU_DEP_2)
	v_add_co_ci_u32_e64 v28, null, s9, v28, s3
	global_store_b16 v[27:28], v26, off
	s_wait_alu 0xfffe
	s_or_b32 exec_lo, exec_lo, s5
	s_and_saveexec_b32 s5, s2
	s_cbranch_execnz .LBB155_31
	s_branch .LBB155_32
.LBB155_69:
	s_delay_alu instid0(VALU_DEP_1) | instskip(NEXT) | instid1(VALU_DEP_1)
	v_dual_mov_b32 v27, 0 :: v_dual_add_nc_u32 v26, v25, v0
	v_lshlrev_b64_e32 v[26:27], 1, v[26:27]
	s_wait_kmcnt 0x0
	s_delay_alu instid0(VALU_DEP_1) | instskip(SKIP_1) | instid1(VALU_DEP_2)
	v_add_co_u32 v26, s3, s8, v26
	s_wait_alu 0xf1ff
	v_add_co_ci_u32_e64 v27, null, s9, v27, s3
	global_store_b16 v[26:27], v24, off
	s_wait_alu 0xfffe
	s_or_b32 exec_lo, exec_lo, s5
	s_and_saveexec_b32 s5, s0
	s_cbranch_execz .LBB155_35
.LBB155_70:
	s_delay_alu instid0(VALU_DEP_1) | instskip(NEXT) | instid1(VALU_DEP_1)
	v_dual_mov_b32 v27, 0 :: v_dual_add_nc_u32 v26, v25, v12
	v_lshlrev_b64_e32 v[26:27], 1, v[26:27]
	s_wait_kmcnt 0x0
	s_delay_alu instid0(VALU_DEP_1) | instskip(SKIP_1) | instid1(VALU_DEP_2)
	v_add_co_u32 v26, s3, s8, v26
	s_wait_alu 0xf1ff
	v_add_co_ci_u32_e64 v27, null, s9, v27, s3
	global_store_b16 v[26:27], v23, off
	s_wait_alu 0xfffe
	s_or_b32 exec_lo, exec_lo, s5
	s_and_saveexec_b32 s5, s1
	s_cbranch_execz .LBB155_36
.LBB155_71:
	v_dual_mov_b32 v24, 0 :: v_dual_add_nc_u32 v23, v25, v13
	s_delay_alu instid0(VALU_DEP_1) | instskip(SKIP_1) | instid1(VALU_DEP_1)
	v_lshlrev_b64_e32 v[23:24], 1, v[23:24]
	s_wait_kmcnt 0x0
	v_add_co_u32 v23, s3, s8, v23
	s_wait_alu 0xf1ff
	s_delay_alu instid0(VALU_DEP_2)
	v_add_co_ci_u32_e64 v24, null, s9, v24, s3
	global_store_b16 v[23:24], v22, off
	s_wait_alu 0xfffe
	s_or_b32 exec_lo, exec_lo, s5
	s_and_saveexec_b32 s5, s2
	s_cbranch_execnz .LBB155_37
	s_branch .LBB155_38
.LBB155_72:
	s_delay_alu instid0(VALU_DEP_1) | instskip(NEXT) | instid1(VALU_DEP_1)
	v_dual_mov_b32 v23, 0 :: v_dual_add_nc_u32 v22, v21, v0
	v_lshlrev_b64_e32 v[22:23], 1, v[22:23]
	s_wait_kmcnt 0x0
	s_delay_alu instid0(VALU_DEP_1) | instskip(SKIP_1) | instid1(VALU_DEP_2)
	v_add_co_u32 v22, s3, s8, v22
	s_wait_alu 0xf1ff
	v_add_co_ci_u32_e64 v23, null, s9, v23, s3
	global_store_b16 v[22:23], v20, off
	s_wait_alu 0xfffe
	s_or_b32 exec_lo, exec_lo, s5
	s_and_saveexec_b32 s5, s0
	s_cbranch_execz .LBB155_41
.LBB155_73:
	s_delay_alu instid0(VALU_DEP_1) | instskip(NEXT) | instid1(VALU_DEP_1)
	v_dual_mov_b32 v23, 0 :: v_dual_add_nc_u32 v22, v21, v12
	v_lshlrev_b64_e32 v[22:23], 1, v[22:23]
	s_wait_kmcnt 0x0
	s_delay_alu instid0(VALU_DEP_1) | instskip(SKIP_1) | instid1(VALU_DEP_2)
	v_add_co_u32 v22, s3, s8, v22
	s_wait_alu 0xf1ff
	v_add_co_ci_u32_e64 v23, null, s9, v23, s3
	global_store_b16 v[22:23], v19, off
	s_wait_alu 0xfffe
	s_or_b32 exec_lo, exec_lo, s5
	s_and_saveexec_b32 s5, s1
	s_cbranch_execz .LBB155_42
.LBB155_74:
	v_dual_mov_b32 v20, 0 :: v_dual_add_nc_u32 v19, v21, v13
	s_delay_alu instid0(VALU_DEP_1) | instskip(SKIP_1) | instid1(VALU_DEP_1)
	v_lshlrev_b64_e32 v[19:20], 1, v[19:20]
	s_wait_kmcnt 0x0
	v_add_co_u32 v19, s3, s8, v19
	s_wait_alu 0xf1ff
	s_delay_alu instid0(VALU_DEP_2)
	v_add_co_ci_u32_e64 v20, null, s9, v20, s3
	global_store_b16 v[19:20], v18, off
	s_wait_alu 0xfffe
	s_or_b32 exec_lo, exec_lo, s5
	s_and_saveexec_b32 s5, s2
	s_cbranch_execnz .LBB155_43
	s_branch .LBB155_44
.LBB155_75:
	s_delay_alu instid0(VALU_DEP_1) | instskip(NEXT) | instid1(VALU_DEP_1)
	v_dual_mov_b32 v19, 0 :: v_dual_add_nc_u32 v18, v17, v0
	v_lshlrev_b64_e32 v[18:19], 1, v[18:19]
	s_wait_kmcnt 0x0
	s_delay_alu instid0(VALU_DEP_1) | instskip(SKIP_1) | instid1(VALU_DEP_2)
	v_add_co_u32 v18, s3, s8, v18
	s_wait_alu 0xf1ff
	v_add_co_ci_u32_e64 v19, null, s9, v19, s3
	global_store_b16 v[18:19], v16, off
	s_wait_alu 0xfffe
	s_or_b32 exec_lo, exec_lo, s5
	s_and_saveexec_b32 s5, s0
	s_cbranch_execz .LBB155_47
.LBB155_76:
	s_delay_alu instid0(VALU_DEP_1) | instskip(NEXT) | instid1(VALU_DEP_1)
	v_dual_mov_b32 v19, 0 :: v_dual_add_nc_u32 v18, v17, v12
	v_lshlrev_b64_e32 v[18:19], 1, v[18:19]
	s_wait_kmcnt 0x0
	s_delay_alu instid0(VALU_DEP_1) | instskip(SKIP_1) | instid1(VALU_DEP_2)
	v_add_co_u32 v18, s3, s8, v18
	s_wait_alu 0xf1ff
	v_add_co_ci_u32_e64 v19, null, s9, v19, s3
	global_store_b16 v[18:19], v15, off
	s_wait_alu 0xfffe
	s_or_b32 exec_lo, exec_lo, s5
	s_and_saveexec_b32 s5, s1
	s_cbranch_execz .LBB155_48
.LBB155_77:
	v_dual_mov_b32 v16, 0 :: v_dual_add_nc_u32 v15, v17, v13
	s_delay_alu instid0(VALU_DEP_1) | instskip(SKIP_1) | instid1(VALU_DEP_1)
	v_lshlrev_b64_e32 v[15:16], 1, v[15:16]
	s_wait_kmcnt 0x0
	v_add_co_u32 v15, s3, s8, v15
	s_wait_alu 0xf1ff
	s_delay_alu instid0(VALU_DEP_2)
	v_add_co_ci_u32_e64 v16, null, s9, v16, s3
	global_store_b16 v[15:16], v11, off
	s_wait_alu 0xfffe
	s_or_b32 exec_lo, exec_lo, s5
	s_and_saveexec_b32 s5, s2
	s_cbranch_execnz .LBB155_49
	s_branch .LBB155_50
.LBB155_78:
	s_delay_alu instid0(VALU_DEP_1) | instskip(NEXT) | instid1(VALU_DEP_1)
	v_dual_mov_b32 v16, 0 :: v_dual_add_nc_u32 v15, v10, v0
	v_lshlrev_b64_e32 v[15:16], 1, v[15:16]
	s_wait_kmcnt 0x0
	s_delay_alu instid0(VALU_DEP_1) | instskip(SKIP_1) | instid1(VALU_DEP_2)
	v_add_co_u32 v15, s3, s8, v15
	s_wait_alu 0xf1ff
	v_add_co_ci_u32_e64 v16, null, s9, v16, s3
	global_store_b16 v[15:16], v9, off
	s_wait_alu 0xfffe
	s_or_b32 exec_lo, exec_lo, s5
	s_and_saveexec_b32 s5, s0
	s_cbranch_execz .LBB155_53
.LBB155_79:
	s_delay_alu instid0(VALU_DEP_1) | instskip(NEXT) | instid1(VALU_DEP_1)
	v_dual_mov_b32 v16, 0 :: v_dual_add_nc_u32 v15, v10, v12
	v_lshlrev_b64_e32 v[15:16], 1, v[15:16]
	s_wait_kmcnt 0x0
	s_delay_alu instid0(VALU_DEP_1) | instskip(SKIP_1) | instid1(VALU_DEP_2)
	v_add_co_u32 v15, s3, s8, v15
	s_wait_alu 0xf1ff
	v_add_co_ci_u32_e64 v16, null, s9, v16, s3
	global_store_b16 v[15:16], v8, off
	s_wait_alu 0xfffe
	s_or_b32 exec_lo, exec_lo, s5
	s_and_saveexec_b32 s5, s1
	s_cbranch_execz .LBB155_54
.LBB155_80:
	v_dual_mov_b32 v9, 0 :: v_dual_add_nc_u32 v8, v10, v13
	s_delay_alu instid0(VALU_DEP_1) | instskip(SKIP_1) | instid1(VALU_DEP_1)
	v_lshlrev_b64_e32 v[8:9], 1, v[8:9]
	s_wait_kmcnt 0x0
	v_add_co_u32 v8, s3, s8, v8
	s_wait_alu 0xf1ff
	s_delay_alu instid0(VALU_DEP_2)
	v_add_co_ci_u32_e64 v9, null, s9, v9, s3
	global_store_b16 v[8:9], v7, off
	s_wait_alu 0xfffe
	s_or_b32 exec_lo, exec_lo, s5
	s_and_saveexec_b32 s5, s2
	s_cbranch_execnz .LBB155_55
	s_branch .LBB155_56
.LBB155_81:
	s_delay_alu instid0(VALU_DEP_1) | instskip(NEXT) | instid1(VALU_DEP_1)
	v_dual_mov_b32 v7, 0 :: v_dual_add_nc_u32 v6, v5, v0
	v_lshlrev_b64_e32 v[6:7], 1, v[6:7]
	s_wait_kmcnt 0x0
	s_delay_alu instid0(VALU_DEP_1) | instskip(SKIP_1) | instid1(VALU_DEP_2)
	v_add_co_u32 v6, vcc_lo, s8, v6
	s_wait_alu 0xfffd
	v_add_co_ci_u32_e64 v7, null, s9, v7, vcc_lo
	global_store_b16 v[6:7], v4, off
	s_wait_alu 0xfffe
	s_or_b32 exec_lo, exec_lo, s3
	s_and_saveexec_b32 s3, s0
	s_cbranch_execz .LBB155_59
.LBB155_82:
	s_delay_alu instid0(VALU_DEP_1) | instskip(NEXT) | instid1(VALU_DEP_1)
	v_dual_mov_b32 v7, 0 :: v_dual_add_nc_u32 v6, v5, v12
	v_lshlrev_b64_e32 v[6:7], 1, v[6:7]
	s_wait_kmcnt 0x0
	s_delay_alu instid0(VALU_DEP_1) | instskip(SKIP_1) | instid1(VALU_DEP_2)
	v_add_co_u32 v6, vcc_lo, s8, v6
	s_wait_alu 0xfffd
	v_add_co_ci_u32_e64 v7, null, s9, v7, vcc_lo
	global_store_b16 v[6:7], v3, off
	s_wait_alu 0xfffe
	s_or_b32 exec_lo, exec_lo, s3
	s_and_saveexec_b32 s0, s1
	s_cbranch_execz .LBB155_60
.LBB155_83:
	v_dual_mov_b32 v4, 0 :: v_dual_add_nc_u32 v3, v5, v13
	s_delay_alu instid0(VALU_DEP_1) | instskip(SKIP_1) | instid1(VALU_DEP_1)
	v_lshlrev_b64_e32 v[3:4], 1, v[3:4]
	s_wait_kmcnt 0x0
	v_add_co_u32 v3, vcc_lo, s8, v3
	s_wait_alu 0xfffd
	s_delay_alu instid0(VALU_DEP_2) | instskip(SKIP_3) | instid1(SALU_CYCLE_1)
	v_add_co_ci_u32_e64 v4, null, s9, v4, vcc_lo
	global_store_b16 v[3:4], v2, off
	s_wait_alu 0xfffe
	s_or_b32 exec_lo, exec_lo, s0
	s_and_b32 exec_lo, exec_lo, s2
	s_cbranch_execnz .LBB155_61
	s_branch .LBB155_62
	.section	.rodata,"a",@progbits
	.p2align	6, 0x0
	.amdhsa_kernel _ZL12mul_mat_q6_KIN3c104HalfELb0EEvPKvS3_PT_iiiii
		.amdhsa_group_segment_fixed_size 45136
		.amdhsa_private_segment_fixed_size 12
		.amdhsa_kernarg_size 44
		.amdhsa_user_sgpr_count 2
		.amdhsa_user_sgpr_dispatch_ptr 0
		.amdhsa_user_sgpr_queue_ptr 0
		.amdhsa_user_sgpr_kernarg_segment_ptr 1
		.amdhsa_user_sgpr_dispatch_id 0
		.amdhsa_user_sgpr_private_segment_size 0
		.amdhsa_wavefront_size32 1
		.amdhsa_uses_dynamic_stack 0
		.amdhsa_enable_private_segment 1
		.amdhsa_system_sgpr_workgroup_id_x 1
		.amdhsa_system_sgpr_workgroup_id_y 1
		.amdhsa_system_sgpr_workgroup_id_z 0
		.amdhsa_system_sgpr_workgroup_info 0
		.amdhsa_system_vgpr_workitem_id 1
		.amdhsa_next_free_vgpr 256
		.amdhsa_next_free_sgpr 18
		.amdhsa_reserve_vcc 1
		.amdhsa_float_round_mode_32 0
		.amdhsa_float_round_mode_16_64 0
		.amdhsa_float_denorm_mode_32 3
		.amdhsa_float_denorm_mode_16_64 3
		.amdhsa_fp16_overflow 0
		.amdhsa_workgroup_processor_mode 1
		.amdhsa_memory_ordered 1
		.amdhsa_forward_progress 1
		.amdhsa_inst_pref_size 255
		.amdhsa_round_robin_scheduling 0
		.amdhsa_exception_fp_ieee_invalid_op 0
		.amdhsa_exception_fp_denorm_src 0
		.amdhsa_exception_fp_ieee_div_zero 0
		.amdhsa_exception_fp_ieee_overflow 0
		.amdhsa_exception_fp_ieee_underflow 0
		.amdhsa_exception_fp_ieee_inexact 0
		.amdhsa_exception_int_div_zero 0
	.end_amdhsa_kernel
	.section	.text._ZL12mul_mat_q6_KIN3c104HalfELb0EEvPKvS3_PT_iiiii,"axG",@progbits,_ZL12mul_mat_q6_KIN3c104HalfELb0EEvPKvS3_PT_iiiii,comdat
.Lfunc_end155:
	.size	_ZL12mul_mat_q6_KIN3c104HalfELb0EEvPKvS3_PT_iiiii, .Lfunc_end155-_ZL12mul_mat_q6_KIN3c104HalfELb0EEvPKvS3_PT_iiiii
                                        ; -- End function
	.set _ZL12mul_mat_q6_KIN3c104HalfELb0EEvPKvS3_PT_iiiii.num_vgpr, 256
	.set _ZL12mul_mat_q6_KIN3c104HalfELb0EEvPKvS3_PT_iiiii.num_agpr, 0
	.set _ZL12mul_mat_q6_KIN3c104HalfELb0EEvPKvS3_PT_iiiii.numbered_sgpr, 18
	.set _ZL12mul_mat_q6_KIN3c104HalfELb0EEvPKvS3_PT_iiiii.num_named_barrier, 0
	.set _ZL12mul_mat_q6_KIN3c104HalfELb0EEvPKvS3_PT_iiiii.private_seg_size, 12
	.set _ZL12mul_mat_q6_KIN3c104HalfELb0EEvPKvS3_PT_iiiii.uses_vcc, 1
	.set _ZL12mul_mat_q6_KIN3c104HalfELb0EEvPKvS3_PT_iiiii.uses_flat_scratch, 1
	.set _ZL12mul_mat_q6_KIN3c104HalfELb0EEvPKvS3_PT_iiiii.has_dyn_sized_stack, 0
	.set _ZL12mul_mat_q6_KIN3c104HalfELb0EEvPKvS3_PT_iiiii.has_recursion, 0
	.set _ZL12mul_mat_q6_KIN3c104HalfELb0EEvPKvS3_PT_iiiii.has_indirect_call, 0
	.section	.AMDGPU.csdata,"",@progbits
; Kernel info:
; codeLenInByte = 37804
; TotalNumSgprs: 20
; NumVgprs: 256
; ScratchSize: 12
; MemoryBound: 0
; FloatMode: 240
; IeeeMode: 1
; LDSByteSize: 45136 bytes/workgroup (compile time only)
; SGPRBlocks: 0
; VGPRBlocks: 31
; NumSGPRsForWavesPerEU: 20
; NumVGPRsForWavesPerEU: 256
; Occupancy: 4
; WaveLimiterHint : 0
; COMPUTE_PGM_RSRC2:SCRATCH_EN: 1
; COMPUTE_PGM_RSRC2:USER_SGPR: 2
; COMPUTE_PGM_RSRC2:TRAP_HANDLER: 0
; COMPUTE_PGM_RSRC2:TGID_X_EN: 1
; COMPUTE_PGM_RSRC2:TGID_Y_EN: 1
; COMPUTE_PGM_RSRC2:TGID_Z_EN: 0
; COMPUTE_PGM_RSRC2:TIDIG_COMP_CNT: 1
	.section	.text._ZL12mul_mat_q6_KIN3c104HalfELb1EEvPKvS3_PT_iiiii,"axG",@progbits,_ZL12mul_mat_q6_KIN3c104HalfELb1EEvPKvS3_PT_iiiii,comdat
	.globl	_ZL12mul_mat_q6_KIN3c104HalfELb1EEvPKvS3_PT_iiiii ; -- Begin function _ZL12mul_mat_q6_KIN3c104HalfELb1EEvPKvS3_PT_iiiii
	.p2align	8
	.type	_ZL12mul_mat_q6_KIN3c104HalfELb1EEvPKvS3_PT_iiiii,@function
_ZL12mul_mat_q6_KIN3c104HalfELb1EEvPKvS3_PT_iiiii: ; @_ZL12mul_mat_q6_KIN3c104HalfELb1EEvPKvS3_PT_iiiii
; %bb.0:
	s_clause 0x1
	s_load_b128 s[4:7], s[0:1], 0x18
	s_load_b32 s12, s[0:1], 0x28
	v_bfe_u32 v48, v0, 10, 10
	v_and_b32_e32 v49, 0x3ff, v0
	s_lshl_b32 s13, ttmp7, 6
	s_wait_kmcnt 0x0
	s_cmp_gt_i32 s4, 0xff
	s_cbranch_scc1 .LBB156_2
; %bb.1:
	v_bfe_u32 v6, v0, 10, 10
	v_and_b32_e32 v34, 0x3ff, v0
	s_mov_b32 s2, 0
	s_delay_alu instid0(VALU_DEP_2)
	v_add_nc_u32_e32 v35, s13, v6
	s_branch .LBB156_3
.LBB156_2:
	s_mov_b32 s2, -1
                                        ; implicit-def: $vgpr6
                                        ; implicit-def: $vgpr34
                                        ; implicit-def: $vgpr35
.LBB156_3:
	s_load_b64 s[8:9], s[0:1], 0x10
	v_dual_mov_b32 v1, 0 :: v_dual_mov_b32 v10, 0
	v_dual_mov_b32 v5, 0 :: v_dual_mov_b32 v2, 0
	;; [unrolled: 1-line block ×15, first 2 shown]
	v_mov_b32_e32 v13, 0
	v_mov_b32_e32 v9, 0
	s_and_not1_b32 vcc_lo, exec_lo, s2
	s_lshl_b32 s14, ttmp9, 7
	s_cbranch_vccnz .LBB156_11
; %bb.4:
	v_and_b32_e32 v1, 31, v0
	s_ashr_i32 s10, s4, 31
	s_ashr_i32 s11, s7, 31
	s_lshr_b32 s10, s10, 24
	v_dual_mov_b32 v139, 0 :: v_dual_add_nc_u32 v36, 8, v48
	v_dual_mov_b32 v159, 0 :: v_dual_lshlrev_b32 v2, 1, v1
	v_cmp_gt_u32_e32 vcc_lo, 16, v1
	s_add_co_i32 s4, s4, s10
	s_lshr_b32 s10, s11, 27
	s_delay_alu instid0(VALU_DEP_2)
	v_add_nc_u32_e32 v4, 0xe0, v2
	s_ashr_i32 s15, s4, 8
	s_add_co_i32 s4, s7, s10
	s_not_b32 s7, s14
	v_dual_mov_b32 v170, 0 :: v_dual_add_nc_u32 v37, 16, v48
	v_cndmask_b32_e32 v4, v4, v2, vcc_lo
	v_add_nc_u16 v3, v1, -16
	s_add_co_i32 s5, s5, s7
	v_dual_mov_b32 v145, 0 :: v_dual_lshlrev_b32 v84, 2, v1
	s_delay_alu instid0(VALU_DEP_3) | instskip(NEXT) | instid1(VALU_DEP_3)
	v_dual_mov_b32 v147, 0 :: v_dual_and_b32 v4, 0xfe, v4
	v_cndmask_b32_e32 v3, v3, v1, vcc_lo
	v_dual_mov_b32 v141, 0 :: v_dual_add_nc_u32 v38, 24, v48
	v_mov_b32_e32 v137, 0
	s_delay_alu instid0(VALU_DEP_4) | instskip(SKIP_4) | instid1(VALU_DEP_4)
	v_sub_nc_u32_e32 v1, v2, v4
	v_and_b32_e32 v2, 15, v0
	v_min_i32_e32 v4, s5, v48
	v_cmp_lt_u16_e32 vcc_lo, 7, v3
	v_dual_mov_b32 v146, 0 :: v_dual_add_nc_u32 v39, 32, v48
	v_add_lshl_u32 v1, v1, v2, 2
	s_delay_alu instid0(VALU_DEP_4)
	v_mul_lo_u32 v2, v4, s15
	v_dual_mov_b32 v173, 0 :: v_dual_add_nc_u32 v40, 40, v48
	v_dual_mov_b32 v178, 0 :: v_dual_add_nc_u32 v41, 48, v48
	s_add_co_i32 s7, s6, -1
	v_lshrrev_b32_e32 v5, 1, v0
	v_dual_mov_b32 v153, 0 :: v_dual_and_b32 v6, 7, v0
	s_clause 0x1
	scratch_store_b32 off, v2, off
	scratch_store_b32 off, v48, off offset:12
	v_min_i32_e32 v2, s5, v36
	v_dual_mov_b32 v176, 0 :: v_dual_add_nc_u32 v27, s13, v48
	v_and_or_b32 v5, v5, 8, v6
	v_mov_b32_e32 v82, 0
	s_delay_alu instid0(VALU_DEP_4)
	v_mad_co_u64_u32 v[3:4], null, 0x104, v4, v[1:2]
	v_mul_lo_u32 v81, v2, s15
	v_mad_co_u64_u32 v[17:18], null, 0x104, v2, v[1:2]
	v_min_i32_e32 v2, s5, v38
	v_dual_mov_b32 v155, 0 :: v_dual_add_nc_u32 v6, 8, v27
	s_clause 0x1
	scratch_store_b64 off, v[3:4], off offset:4
	scratch_store_b32 off, v49, off offset:16
	v_min_i32_e32 v3, s5, v37
	v_mul_lo_u32 v16, v2, s15
	v_dual_mov_b32 v161, 0 :: v_dual_add_nc_u32 v8, 16, v27
	v_mov_b32_e32 v149, 0
	s_delay_alu instid0(VALU_DEP_4)
	v_mad_co_u64_u32 v[18:19], null, 0x104, v3, v[1:2]
	v_mul_lo_u32 v79, v3, s15
	v_min_i32_e32 v3, s5, v39
	v_mad_co_u64_u32 v[19:20], null, 0x104, v2, v[1:2]
	v_min_i32_e32 v2, s5, v40
	v_dual_mov_b32 v143, 0 :: v_dual_add_nc_u32 v10, 24, v27
	s_delay_alu instid0(VALU_DEP_4) | instskip(SKIP_1) | instid1(VALU_DEP_4)
	v_mul_lo_u32 v91, v3, s15
	v_dual_mov_b32 v171, 0 :: v_dual_add_nc_u32 v12, 32, v27
	v_mad_co_u64_u32 v[20:21], null, 0x104, v3, v[1:2]
	v_min_i32_e32 v3, s5, v41
	v_mul_lo_u32 v92, v2, s15
	v_mad_co_u64_u32 v[21:22], null, 0x104, v2, v[1:2]
	v_add_nc_u32_e32 v2, 64, v48
	s_delay_alu instid0(VALU_DEP_4) | instskip(SKIP_2) | instid1(VALU_DEP_4)
	v_mul_lo_u32 v93, v3, s15
	v_dual_mov_b32 v163, 0 :: v_dual_add_nc_u32 v14, 40, v27
	v_lshlrev_b32_e32 v85, 2, v5
	v_mad_co_u64_u32 v[22:23], null, 0x104, v3, v[1:2]
	v_min_i32_e32 v25, s5, v2
	v_cvt_f64_i32_e32 v[2:3], s7
	v_dual_mov_b32 v174, 0 :: v_dual_add_nc_u32 v23, 48, v27
	v_cvt_f64_u32_e32 v[4:5], v27
	v_cvt_f64_u32_e32 v[6:7], v6
	;; [unrolled: 1-line block ×7, first 2 shown]
	scratch_store_b32 off, v27, off offset:20 ; 4-byte Folded Spill
	v_dual_mov_b32 v168, 0 :: v_dual_add_nc_u32 v27, 56, v27
	v_dual_mov_b32 v167, 0 :: v_dual_add_nc_u32 v42, 56, v48
	;; [unrolled: 1-line block ×3, first 2 shown]
	s_delay_alu instid0(VALU_DEP_3) | instskip(SKIP_4) | instid1(VALU_DEP_4)
	v_cvt_f64_u32_e32 v[32:33], v27
	v_dual_mov_b32 v151, 0 :: v_dual_add_nc_u32 v28, 0x50, v48
	v_dual_mov_b32 v180, 0 :: v_dual_add_nc_u32 v27, 0x58, v48
	v_min_i32_e32 v24, s5, v42
	v_min_i32_e32 v26, s5, v26
	;; [unrolled: 1-line block ×3, first 2 shown]
	v_dual_mov_b32 v172, 0 :: v_dual_add_nc_u32 v29, 0x60, v48
	v_min_i32_e32 v34, s5, v27
	v_lshlrev_b32_e32 v99, 5, v48
	v_mul_lo_u32 v94, v24, s15
	v_mul_lo_u32 v95, v25, s15
	;; [unrolled: 1-line block ×3, first 2 shown]
	v_min_i32_e32 v29, s5, v29
	v_mul_lo_u32 v97, v28, s15
	v_mul_lo_u32 v98, v34, s15
	v_add_nc_u32_e32 v35, v99, v49
	v_mov_b32_e32 v181, 0
	v_mul_lo_u32 v100, v29, s15
	v_mad_co_u64_u32 v[23:24], null, 0x104, v24, v[1:2]
	v_mad_co_u64_u32 v[24:25], null, 0x104, v25, v[1:2]
	;; [unrolled: 1-line block ×5, first 2 shown]
	v_add_nc_u32_e32 v34, 0x68, v48
	v_mad_co_u64_u32 v[28:29], null, 0x104, v29, v[1:2]
	v_min_num_f64_e32 v[4:5], v[4:5], v[2:3]
	v_min_num_f64_e32 v[6:7], v[6:7], v[2:3]
	;; [unrolled: 1-line block ×3, first 2 shown]
	v_min_i32_e32 v29, s5, v34
	v_min_num_f64_e32 v[10:11], v[10:11], v[2:3]
	v_and_b32_e32 v43, 0x7f, v35
	v_min_num_f64_e32 v[12:13], v[12:13], v[2:3]
	v_min_num_f64_e32 v[14:15], v[14:15], v[2:3]
	;; [unrolled: 1-line block ×4, first 2 shown]
	v_dual_mov_b32 v179, 0 :: v_dual_add_nc_u32 v44, 0x70, v48
	v_min_i32_e32 v43, s5, v43
	v_bfe_u32 v30, v0, 2, 8
	v_mov_b32_e32 v177, 0
	s_delay_alu instid0(VALU_DEP_4)
	v_min_i32_e32 v31, s5, v44
	v_add_nc_u32_e32 v44, 0x78, v48
	v_ashrrev_i32_e32 v32, 31, v43
	v_lshl_add_u32 v33, v48, 3, v30
	v_mul_lo_u32 v101, v29, s15
	v_mul_lo_u32 v102, v31, s15
	v_min_i32_e32 v44, s5, v44
	v_lshrrev_b32_e32 v32, 27, v32
	v_and_b32_e32 v45, 0x7f, v33
	v_mov_b32_e32 v175, 0
	s_load_b128 s[0:3], s[0:1], 0x0
	v_mul_lo_u32 v103, v44, s15
	v_add_nc_u32_e32 v47, v43, v32
	v_min_i32_e32 v46, s5, v45
	v_xor_b32_e32 v45, 64, v45
	s_ashr_i32 s4, s4, 5
	v_mov_b32_e32 v169, 0
	v_mov_b32_e32 v165, 0
	v_bfe_u32 v83, v0, 5, 5
	v_lshlrev_b32_e32 v109, 2, v49
	v_mul_lo_u32 v104, v43, s15
	s_mul_i32 s10, s15, s14
	v_mul_lo_u32 v107, v46, s15
	v_cvt_i32_f64_e32 v4, v[4:5]
	v_cvt_i32_f64_e32 v5, v[6:7]
	;; [unrolled: 1-line block ×3, first 2 shown]
	s_ashr_i32 s11, s10, 31
	v_cvt_i32_f64_e32 v9, v[10:11]
	v_cndmask_b32_e64 v86, 0, 2, vcc_lo
	v_cvt_i32_f64_e32 v11, v[12:13]
	v_cvt_i32_f64_e32 v12, v[14:15]
	;; [unrolled: 1-line block ×3, first 2 shown]
	v_mad_co_u64_u32 v[29:30], null, 0x104, v29, v[1:2]
	v_mad_co_u64_u32 v[30:31], null, 0x104, v31, v[1:2]
	;; [unrolled: 1-line block ×3, first 2 shown]
	v_cvt_i32_f64_e32 v2, v[2:3]
	v_min_i32_e32 v32, s5, v45
	v_ashrrev_i32_e32 v44, 5, v47
	v_ashrrev_i32_e32 v1, 31, v46
	v_lshlrev_b32_e32 v14, 2, v43
	v_and_b32_e32 v34, 28, v109
	v_ashrrev_i32_e32 v6, 31, v32
	v_lshlrev_b32_e32 v8, 2, v44
	v_lshrrev_b32_e32 v1, 29, v1
	v_mul_lo_u32 v108, v32, s15
	v_lshlrev_b32_e32 v15, 4, v32
	v_lshrrev_b32_e32 v6, 29, v6
	v_add3_u32 v106, v8, v14, 0xae40
	v_and_b32_e32 v8, 63, v33
	v_add_nc_u32_e32 v10, v46, v1
	v_and_b32_e32 v1, 3, v0
	v_add_nc_u32_e32 v6, v32, v6
	v_or_b32_e32 v35, 0x8200, v84
	v_or_b32_e32 v14, s13, v8
	v_ashrrev_i32_e32 v10, 3, v10
	v_lshlrev_b32_e32 v105, 2, v1
	v_ashrrev_i32_e32 v6, 3, v6
	v_bfe_u32 v122, v0, 3, 7
	v_min_i32_e32 v14, s7, v14
	v_lshlrev_b32_e32 v3, 2, v10
	v_lshl_or_b32 v8, v8, 4, v105
	v_lshlrev_b32_e32 v6, 2, v6
	s_wait_alu 0xfffe
	v_mul_lo_u32 v111, s4, v4
	v_mul_lo_u32 v112, s4, v5
	;; [unrolled: 1-line block ×5, first 2 shown]
	v_add_nc_u32_e32 v11, 32, v49
	v_add_nc_u32_e32 v12, 64, v49
	;; [unrolled: 1-line block ×3, first 2 shown]
	v_mul_lo_u32 v113, s4, v7
	v_mul_lo_u32 v114, s4, v9
	v_lshrrev_b32_e32 v119, 3, v11
	v_lshrrev_b32_e32 v120, 3, v12
	;; [unrolled: 1-line block ×3, first 2 shown]
	v_mad_co_u64_u32 v[32:33], null, v14, s4, v[1:2]
	v_mul_lo_u32 v118, s4, v2
	s_movk_i32 s4, 0x2080
	v_lshlrev_b32_e32 v33, 2, v83
	s_wait_alu 0xfffe
	v_mad_u32_u24 v136, 0x104, v49, s4
	s_movk_i32 s4, 0x4100
	v_add3_u32 v3, v3, v105, 0xa200
	v_lshlrev_b32_e32 v10, 4, v46
	v_add3_u32 v6, v6, v105, 0xa200
	v_add_nc_u32_e32 v110, 0xaa40, v8
	v_lshlrev_b32_e32 v1, 7, v48
	v_lshlrev_b32_e32 v4, 7, v36
	;; [unrolled: 1-line block ×8, first 2 shown]
	v_and_b32_e32 v43, 60, v119
	v_and_b32_e32 v44, 60, v120
	;; [unrolled: 1-line block ×3, first 2 shown]
	s_wait_alu 0xfffe
	v_mad_u32_u24 v140, 0x104, v49, s4
	s_movk_i32 s4, 0x6180
	v_add3_u32 v123, v33, v109, 0xae40
	s_wait_alu 0xfffe
	v_mad_u32_u24 v144, 0x104, v49, s4
	s_wait_kmcnt 0x0
	v_add_co_u32 v33, s4, s2, v34
	v_add3_u32 v124, v109, v43, 0xae40
	v_add3_u32 v125, v109, v44, 0xae40
	;; [unrolled: 1-line block ×3, first 2 shown]
	v_lshlrev_b32_e32 v127, 5, v36
	v_lshlrev_b32_e32 v128, 5, v37
	;; [unrolled: 1-line block ×7, first 2 shown]
	v_mul_u32_u24_e32 v134, 0x104, v49
	v_lshlrev_b32_e32 v135, 4, v11
	v_lshlrev_b32_e32 v138, 4, v12
	;; [unrolled: 1-line block ×3, first 2 shown]
	s_wait_alu 0xf1ff
	v_add_co_ci_u32_e64 v34, null, s3, 0, s4
	v_add_nc_u32_e32 v148, v3, v10
	v_add_nc_u32_e32 v150, v6, v15
	;; [unrolled: 1-line block ×10, first 2 shown]
	s_mul_u64 s[10:11], s[10:11], 0xd2
	s_mov_b32 s5, 0
	s_add_nc_u64 s[0:1], s[0:1], s[10:11]
	s_wait_alu 0xfffe
	s_mov_b32 s4, s5
.LBB156_5:                              ; =>This Loop Header: Depth=1
                                        ;     Child Loop BB156_6 Depth 2
                                        ;     Child Loop BB156_8 Depth 2
	scratch_load_b32 v2, off, off           ; 4-byte Folded Reload
	s_wait_alu 0xfffe
	s_mul_u64 s[10:11], s[4:5], 0xd2
	s_lshl_b32 s7, s4, 3
	s_wait_alu 0xfffe
	s_add_nc_u64 s[10:11], s[0:1], s[10:11]
	s_mov_b32 s16, 0
	s_wait_alu 0xfffe
	v_mad_co_u64_u32 v[0:1], null, 0xd2, v83, s[10:11]
	s_delay_alu instid0(VALU_DEP_1)
	v_mad_co_i64_i32 v[4:5], null, 0xd2, v81, v[0:1]
	v_mad_co_i64_i32 v[6:7], null, 0xd2, v79, v[0:1]
	;; [unrolled: 1-line block ×4, first 2 shown]
	s_wait_loadcnt 0x0
	v_mad_co_i64_i32 v[2:3], null, 0xd2, v2, v[0:1]
	s_delay_alu instid0(VALU_DEP_1) | instskip(SKIP_1) | instid1(VALU_DEP_2)
	v_add_co_u32 v8, vcc_lo, v2, v84
	s_wait_alu 0xfffd
	v_add_co_ci_u32_e64 v9, null, 0, v3, vcc_lo
	v_add_co_u32 v2, vcc_lo, v2, v85
	s_wait_alu 0xfffd
	v_add_co_ci_u32_e64 v3, null, 0, v3, vcc_lo
	;; [unrolled: 3-line block ×9, first 2 shown]
	s_clause 0x8
	global_load_b32 v43, v[8:9], off
	global_load_b32 v44, v[2:3], off offset:128
	global_load_b32 v45, v[10:11], off
	global_load_b32 v46, v[4:5], off offset:128
	;; [unrolled: 2-line block ×4, first 2 shown]
	global_load_b32 v51, v[39:40], off
	v_mad_co_i64_i32 v[2:3], null, 0xd2, v92, v[0:1]
	v_mad_co_i64_i32 v[6:7], null, 0xd2, v93, v[0:1]
	v_add_co_u32 v4, vcc_lo, v35, v85
	s_wait_alu 0xfffd
	v_add_co_ci_u32_e64 v5, null, 0, v36, vcc_lo
	s_delay_alu instid0(VALU_DEP_4)
	v_add_co_u32 v8, vcc_lo, v2, v84
	s_wait_alu 0xfffd
	v_add_co_ci_u32_e64 v9, null, 0, v3, vcc_lo
	v_add_co_u32 v2, vcc_lo, v2, v85
	s_wait_alu 0xfffd
	v_add_co_ci_u32_e64 v3, null, 0, v3, vcc_lo
	;; [unrolled: 3-line block ×4, first 2 shown]
	s_clause 0x4
	global_load_b32 v52, v[4:5], off offset:128
	global_load_b32 v53, v[8:9], off
	global_load_b32 v54, v[2:3], off offset:128
	global_load_b32 v55, v[10:11], off
	global_load_b32 v56, v[6:7], off offset:128
	v_mad_co_i64_i32 v[2:3], null, 0xd2, v94, v[0:1]
	v_mad_co_i64_i32 v[4:5], null, 0xd2, v95, v[0:1]
	;; [unrolled: 1-line block ×4, first 2 shown]
	s_delay_alu instid0(VALU_DEP_4)
	v_add_co_u32 v14, vcc_lo, v2, v84
	s_wait_alu 0xfffd
	v_add_co_ci_u32_e64 v15, null, 0, v3, vcc_lo
	v_add_co_u32 v2, vcc_lo, v2, v85
	s_wait_alu 0xfffd
	v_add_co_ci_u32_e64 v3, null, 0, v3, vcc_lo
	;; [unrolled: 3-line block ×3, first 2 shown]
	v_add_co_u32 v4, vcc_lo, v4, v85
	v_mad_co_i64_i32 v[10:11], null, 0xd2, v98, v[0:1]
	s_wait_alu 0xfffd
	v_add_co_ci_u32_e64 v5, null, 0, v5, vcc_lo
	s_clause 0x1
	global_load_b32 v57, v[14:15], off
	global_load_b32 v58, v[2:3], off offset:128
	v_add_co_u32 v2, vcc_lo, v6, v84
	s_wait_alu 0xfffd
	v_add_co_ci_u32_e64 v3, null, 0, v7, vcc_lo
	v_add_co_u32 v6, vcc_lo, v6, v85
	v_mad_co_i64_i32 v[12:13], null, 0xd2, v100, v[0:1]
	s_wait_alu 0xfffd
	v_add_co_ci_u32_e64 v7, null, 0, v7, vcc_lo
	v_add_co_u32 v14, vcc_lo, v8, v84
	s_wait_alu 0xfffd
	v_add_co_ci_u32_e64 v15, null, 0, v9, vcc_lo
	v_add_co_u32 v37, vcc_lo, v8, v85
	s_wait_alu 0xfffd
	v_add_co_ci_u32_e64 v38, null, 0, v9, vcc_lo
	v_add_co_u32 v39, vcc_lo, v10, v84
	s_wait_alu 0xfffd
	v_add_co_ci_u32_e64 v40, null, 0, v11, vcc_lo
	v_add_co_u32 v10, vcc_lo, v10, v85
	s_wait_alu 0xfffd
	v_add_co_ci_u32_e64 v11, null, 0, v11, vcc_lo
	v_add_co_u32 v41, vcc_lo, v12, v84
	s_wait_alu 0xfffd
	v_add_co_ci_u32_e64 v42, null, 0, v13, vcc_lo
	v_add_co_u32 v12, vcc_lo, v12, v85
	s_wait_alu 0xfffd
	v_add_co_ci_u32_e64 v13, null, 0, v13, vcc_lo
	s_clause 0x9
	global_load_b32 v35, v[35:36], off
	global_load_b32 v36, v[4:5], off offset:128
	global_load_b32 v8, v[2:3], off
	global_load_b32 v9, v[6:7], off offset:128
	;; [unrolled: 2-line block ×5, first 2 shown]
	s_wait_loadcnt 0x19
	v_lshrrev_b32_e32 v11, 4, v43
	s_wait_loadcnt 0x18
	v_ashrrev_i32_e32 v12, v86, v44
	v_and_b32_e32 v10, 0xf0f0f0f, v43
	s_wait_loadcnt 0x17
	v_and_b32_e32 v13, 0xf0f0f0f, v45
	v_lshrrev_b32_e32 v14, 4, v45
	s_wait_loadcnt 0x16
	v_ashrrev_i32_e32 v15, v86, v46
	s_wait_loadcnt 0x15
	v_lshrrev_b32_e32 v38, 4, v47
	s_wait_loadcnt 0x14
	v_ashrrev_i32_e32 v39, v86, v48
	s_wait_loadcnt 0x13
	;; [unrolled: 4-line block ×3, first 2 shown]
	v_lshrrev_b32_e32 v44, 4, v51
	v_and_b32_e32 v11, 0xf0f0f0f, v11
	v_and_b32_e32 v37, 0xf0f0f0f, v47
	;; [unrolled: 1-line block ×7, first 2 shown]
	v_and_or_b32 v11, 0x30303030, v12, v11
	v_and_b32_e32 v43, 0xf0f0f0f, v51
	s_wait_loadcnt 0x10
	v_ashrrev_i32_e32 v45, v86, v52
	v_lshlrev_b32_e32 v52, 4, v12
	s_wait_loadcnt 0xe
	v_ashrrev_i32_e32 v48, v86, v54
	v_and_b32_e32 v46, 0xf0f0f0f, v53
	v_lshrrev_b32_e32 v47, 4, v53
	s_wait_loadcnt 0xd
	v_and_b32_e32 v49, 0xf0f0f0f, v55
	v_lshrrev_b32_e32 v50, 4, v55
	v_lshlrev_b32_e32 v53, 4, v15
	v_lshlrev_b32_e32 v54, 4, v39
	;; [unrolled: 1-line block ×4, first 2 shown]
	v_and_or_b32 v10, 0x30303030, v52, v10
	s_wait_loadcnt 0xc
	v_ashrrev_i32_e32 v51, v86, v56
	v_lshlrev_b32_e32 v56, 4, v45
	v_and_b32_e32 v47, 0xf0f0f0f, v47
	v_and_or_b32 v12, 0x30303030, v53, v13
	v_and_or_b32 v13, 0x30303030, v15, v14
	;; [unrolled: 1-line block ×8, first 2 shown]
	v_lshrrev_b32_e32 v44, 16, v10
	v_and_b32_e32 v45, 0x3f00, v10
	v_lshlrev_b16 v10, 8, v10
	v_lshrrev_b32_e32 v46, 16, v11
	v_and_or_b32 v42, 0x30303030, v48, v47
	v_and_b32_e32 v47, 0x3f00, v11
	v_lshlrev_b16 v11, 8, v11
	v_add_nc_u16 v10, 0xe000, v10
	v_and_b32_e32 v74, 0x3f00, v44
	v_lshlrev_b16 v44, 8, v44
	v_and_b32_e32 v75, 0x3f00, v46
	v_lshlrev_b16 v46, 8, v46
	v_add_nc_u16 v11, 0xe000, v11
	v_lshrrev_b16 v10, 8, v10
	v_add_nc_u16 v44, 0xe000, v44
	v_lshlrev_b32_e32 v60, 4, v51
	v_add_nc_u16 v46, 0xe000, v46
	v_lshrrev_b16 v11, 8, v11
	v_or_b32_e32 v10, v45, v10
	v_lshrrev_b16 v44, 8, v44
	v_and_or_b32 v39, 0x30303030, v56, v43
	v_lshrrev_b16 v45, 8, v46
	v_or_b32_e32 v11, v47, v11
	v_add_nc_u16 v10, 0xe000, v10
	v_or_b32_e32 v44, v74, v44
	v_lshrrev_b32_e32 v48, 16, v12
	v_or_b32_e32 v45, v75, v45
	v_add_nc_u16 v11, 0xe000, v11
	v_and_b32_e32 v10, 0xffff, v10
	v_add_nc_u16 v44, 0xe000, v44
	v_lshrrev_b32_e32 v52, 16, v13
	v_add_nc_u16 v45, 0xe000, v45
	v_and_b32_e32 v11, 0xffff, v11
	v_and_or_b32 v43, 0x30303030, v60, v49
	v_lshlrev_b32_e32 v44, 16, v44
	v_and_b32_e32 v49, 0x3f00, v12
	v_lshlrev_b32_e32 v45, 16, v45
	v_lshlrev_b16 v12, 8, v12
	v_lshrrev_b32_e32 v54, 16, v14
	v_or_b32_e32 v10, v10, v44
	v_lshrrev_b32_e32 v56, 16, v15
	v_or_b32_e32 v11, v11, v45
	scratch_load_b64 v[44:45], off, off offset:4 ; 8-byte Folded Reload
	v_and_b32_e32 v53, 0x3f00, v13
	v_lshlrev_b16 v13, 8, v13
	v_lshrrev_b32_e32 v60, 16, v37
	v_lshrrev_b32_e32 v62, 16, v38
	v_and_b32_e32 v55, 0x3f00, v14
	v_lshlrev_b16 v14, 8, v14
	v_lshrrev_b32_e32 v64, 16, v39
	v_lshrrev_b32_e32 v66, 16, v40
	v_and_b32_e32 v76, 0x3f00, v48
	v_lshlrev_b16 v48, 8, v48
	v_and_b32_e32 v77, 0x3f00, v52
	v_lshlrev_b16 v52, 8, v52
	v_and_b32_e32 v59, 0x3f00, v15
	v_lshlrev_b16 v15, 8, v15
	v_add_nc_u16 v12, 0xe000, v12
	v_and_b32_e32 v78, 0x3f00, v54
	v_lshlrev_b16 v54, 8, v54
	v_and_b32_e32 v87, 0x3f00, v56
	v_lshlrev_b16 v56, 8, v56
	v_and_b32_e32 v61, 0x3f00, v37
	v_lshlrev_b16 v37, 8, v37
	v_and_b32_e32 v63, 0x3f00, v38
	v_lshlrev_b16 v38, 8, v38
	v_add_nc_u16 v13, 0xe000, v13
	v_and_b32_e32 v88, 0x3f00, v60
	v_lshlrev_b16 v60, 8, v60
	;; [unrolled: 9-line block ×3, first 2 shown]
	v_and_b32_e32 v182, 0x3f00, v66
	v_lshlrev_b16 v66, 8, v66
	v_add_nc_u16 v48, 0xe000, v48
	v_add_nc_u16 v52, 0xe000, v52
	v_add_nc_u16 v15, 0xe000, v15
	v_lshrrev_b16 v12, 8, v12
	v_add_nc_u16 v54, 0xe000, v54
	v_add_nc_u16 v56, 0xe000, v56
	v_add_nc_u16 v37, 0xe000, v37
	v_add_nc_u16 v38, 0xe000, v38
	v_lshrrev_b16 v13, 8, v13
	v_add_nc_u16 v60, 0xe000, v60
	;; [unrolled: 5-line block ×3, first 2 shown]
	v_add_nc_u16 v66, 0xe000, v66
	v_lshrrev_b16 v46, 8, v48
	v_lshrrev_b16 v47, 8, v52
	v_lshrrev_b16 v15, 8, v15
	v_or_b32_e32 v12, v49, v12
	v_lshrrev_b16 v48, 8, v54
	v_lshrrev_b16 v49, 8, v56
	v_lshrrev_b16 v37, 8, v37
	v_lshrrev_b16 v38, 8, v38
	v_or_b32_e32 v13, v53, v13
	v_lshrrev_b16 v52, 8, v60
	;; [unrolled: 5-line block ×3, first 2 shown]
	v_lshrrev_b16 v55, 8, v66
	v_or_b32_e32 v46, v76, v46
	v_or_b32_e32 v47, v77, v47
	;; [unrolled: 1-line block ×13, first 2 shown]
	v_lshrrev_b32_e32 v68, 16, v41
	v_add_nc_u16 v12, 0xe000, v12
	v_add_nc_u16 v13, 0xe000, v13
	;; [unrolled: 1-line block ×8, first 2 shown]
	v_lshrrev_b32_e32 v70, 16, v42
	v_add_nc_u16 v37, 0xe000, v37
	v_add_nc_u16 v38, 0xe000, v38
	;; [unrolled: 1-line block ×8, first 2 shown]
	v_and_b32_e32 v69, 0x3f00, v41
	v_lshlrev_b16 v41, 8, v41
	v_and_b32_e32 v183, 0x3f00, v68
	v_lshlrev_b16 v68, 8, v68
	v_and_b32_e32 v12, 0xffff, v12
	v_and_b32_e32 v13, 0xffff, v13
	v_lshlrev_b32_e32 v46, 16, v46
	v_lshlrev_b32_e32 v47, 16, v47
	v_and_b32_e32 v14, 0xffff, v14
	v_and_b32_e32 v15, 0xffff, v15
	v_lshlrev_b32_e32 v48, 16, v48
	v_lshlrev_b32_e32 v49, 16, v49
	v_and_b32_e32 v71, 0x3f00, v42
	v_lshlrev_b16 v42, 8, v42
	v_and_b32_e32 v184, 0x3f00, v70
	v_lshlrev_b16 v70, 8, v70
	v_and_b32_e32 v37, 0xffff, v37
	v_and_b32_e32 v38, 0xffff, v38
	v_lshlrev_b32_e32 v52, 16, v52
	v_lshlrev_b32_e32 v53, 16, v53
	v_and_b32_e32 v39, 0xffff, v39
	v_and_b32_e32 v40, 0xffff, v40
	v_lshlrev_b32_e32 v54, 16, v54
	v_lshlrev_b32_e32 v55, 16, v55
	v_lshrrev_b32_e32 v72, 16, v43
	v_add_nc_u16 v41, 0xe000, v41
	v_add_nc_u16 v68, 0xe000, v68
	v_or_b32_e32 v12, v12, v46
	v_or_b32_e32 v13, v13, v47
	;; [unrolled: 1-line block ×4, first 2 shown]
	v_add_nc_u16 v42, 0xe000, v42
	v_add_nc_u16 v70, 0xe000, v70
	v_or_b32_e32 v37, v37, v52
	v_or_b32_e32 v38, v38, v53
	;; [unrolled: 1-line block ×4, first 2 shown]
	v_lshrrev_b16 v41, 8, v41
	v_lshrrev_b16 v56, 8, v68
	;; [unrolled: 1-line block ×4, first 2 shown]
	v_lshlrev_b16 v73, 8, v43
	v_or_b32_e32 v41, v69, v41
	v_or_b32_e32 v56, v183, v56
	;; [unrolled: 1-line block ×4, first 2 shown]
	s_wait_loadcnt 0x9
	v_ashrrev_i32_e32 v36, v86, v36
	v_add_nc_u16 v41, 0xe000, v41
	v_add_nc_u16 v56, 0xe000, v56
	;; [unrolled: 1-line block ×4, first 2 shown]
	v_add_nc_u32_e32 v77, s7, v32
	v_and_b32_e32 v41, 0xffff, v41
	v_lshlrev_b32_e32 v56, 16, v56
	v_and_b32_e32 v42, 0xffff, v42
	v_lshlrev_b32_e32 v59, 16, v59
	s_wait_loadcnt 0x7
	v_ashrrev_i32_e32 v9, v86, v9
	s_wait_loadcnt 0x5
	v_ashrrev_i32_e32 v7, v86, v7
	;; [unrolled: 2-line block ×4, first 2 shown]
	s_wait_loadcnt 0x0
	ds_store_2addr_b32 v44, v10, v11 offset1:16
	ds_store_2addr_b32 v17, v12, v13 offset1:16
	;; [unrolled: 1-line block ×5, first 2 shown]
	v_lshlrev_b16 v10, 8, v72
	v_and_b32_e32 v12, 0xf0f0f0f, v50
	v_add_nc_u16 v13, 0xe000, v73
	v_or_b32_e32 v14, v41, v56
	v_and_b32_e32 v39, 0x3f00, v43
	v_add_nc_u16 v37, 0xe000, v10
	v_mad_co_i64_i32 v[10:11], null, 0xd2, v101, v[0:1]
	v_and_or_b32 v38, 0x30303030, v51, v12
	v_lshrrev_b16 v40, 8, v13
	v_and_b32_e32 v41, 0x3f00, v72
	v_lshrrev_b16 v37, 8, v37
	v_or_b32_e32 v15, v42, v59
	v_lshlrev_b16 v42, 8, v38
	v_add_co_u32 v12, vcc_lo, v10, v84
	s_wait_alu 0xfffd
	v_add_co_ci_u32_e64 v13, null, 0, v11, vcc_lo
	v_add_co_u32 v10, vcc_lo, v10, v85
	s_wait_alu 0xfffd
	v_add_co_ci_u32_e64 v11, null, 0, v11, vcc_lo
	s_clause 0x1
	global_load_b32 v45, v[12:13], off
	global_load_b32 v46, v[10:11], off offset:128
	v_or_b32_e32 v39, v39, v40
	v_or_b32_e32 v37, v41, v37
	v_add_nc_u16 v40, 0xe000, v42
	v_and_b32_e32 v12, 0x3f00, v38
	ds_store_2addr_b32 v21, v14, v15 offset1:16
	v_add_nc_u16 v10, 0xe000, v39
	v_add_nc_u16 v11, 0xe000, v37
	v_lshrrev_b16 v13, 8, v40
	v_lshrrev_b32_e32 v37, 16, v38
	v_ashrrev_i32_e32 v38, v86, v58
	v_and_b32_e32 v10, 0xffff, v10
	v_lshlrev_b32_e32 v11, 16, v11
	v_or_b32_e32 v12, v12, v13
	v_lshlrev_b16 v13, 8, v37
	v_and_b32_e32 v39, 0xf0f0f0f, v57
	v_lshlrev_b32_e32 v40, 4, v38
	v_or_b32_e32 v14, v10, v11
	v_mad_co_i64_i32 v[10:11], null, 0xd2, v102, v[0:1]
	v_add_nc_u16 v12, 0xe000, v12
	v_add_nc_u16 v13, 0xe000, v13
	v_and_or_b32 v15, 0x30303030, v40, v39
	v_lshrrev_b32_e32 v41, 4, v57
	v_and_b32_e32 v37, 0x3f00, v37
	v_and_b32_e32 v39, 0xffff, v12
	v_add_co_u32 v12, vcc_lo, v10, v84
	v_lshrrev_b16 v40, 8, v13
	s_wait_alu 0xfffd
	v_add_co_ci_u32_e64 v13, null, 0, v11, vcc_lo
	v_add_co_u32 v10, vcc_lo, v10, v85
	s_wait_alu 0xfffd
	v_add_co_ci_u32_e64 v11, null, 0, v11, vcc_lo
	s_clause 0x1
	global_load_b32 v47, v[12:13], off
	global_load_b32 v48, v[10:11], off offset:128
	v_and_b32_e32 v41, 0xf0f0f0f, v41
	v_lshrrev_b32_e32 v42, 16, v15
	v_or_b32_e32 v11, v37, v40
	v_lshlrev_b16 v43, 8, v15
	v_mad_co_i64_i32 v[0:1], null, 0xd2, v103, v[0:1]
	v_and_or_b32 v10, 0x30303030, v38, v41
	v_lshlrev_b16 v44, 8, v42
	v_add_nc_u16 v11, 0xe000, v11
	v_add_nc_u16 v43, 0xe000, v43
	v_and_b32_e32 v38, 0x3f00, v42
	v_lshlrev_b16 v37, 8, v10
	v_add_nc_u16 v13, 0xe000, v44
	v_lshrrev_b32_e32 v40, 16, v10
	v_and_b32_e32 v10, 0x3f00, v10
	v_lshlrev_b32_e32 v11, 16, v11
	v_add_nc_u16 v37, 0xe000, v37
	v_lshrrev_b16 v13, 8, v13
	v_and_b32_e32 v12, 0x3f00, v15
	v_lshrrev_b16 v15, 8, v43
	s_delay_alu instid0(VALU_DEP_4) | instskip(NEXT) | instid1(VALU_DEP_4)
	v_lshrrev_b16 v37, 8, v37
	v_or_b32_e32 v13, v38, v13
	v_or_b32_e32 v38, v39, v11
	s_delay_alu instid0(VALU_DEP_4)
	v_or_b32_e32 v12, v12, v15
	v_lshlrev_b16 v15, 8, v40
	v_or_b32_e32 v10, v10, v37
	v_and_b32_e32 v37, 0x3f00, v40
	v_add_nc_u16 v13, 0xe000, v13
	v_add_nc_u16 v12, 0xe000, v12
	;; [unrolled: 1-line block ×4, first 2 shown]
	v_add_co_u32 v10, vcc_lo, v0, v84
	s_wait_alu 0xfffd
	v_add_co_ci_u32_e64 v11, null, 0, v1, vcc_lo
	v_add_co_u32 v0, vcc_lo, v0, v85
	s_wait_alu 0xfffd
	v_add_co_ci_u32_e64 v1, null, 0, v1, vcc_lo
	s_clause 0x1
	global_load_b32 v49, v[10:11], off
	global_load_b32 v50, v[0:1], off offset:128
	v_lshrrev_b16 v15, 8, v15
	v_lshlrev_b32_e32 v40, 4, v36
	v_and_b32_e32 v0, 0xffff, v39
	v_and_b32_e32 v12, 0xffff, v12
	v_lshlrev_b32_e32 v13, 16, v13
	v_or_b32_e32 v15, v37, v15
	v_and_b32_e32 v37, 0xf0f0f0f, v35
	v_lshrrev_b32_e32 v10, 4, v35
	ds_store_2addr_b32 v22, v14, v38 offset1:16
	v_or_b32_e32 v52, v12, v13
	v_add_nc_u16 v15, 0xe000, v15
	v_and_or_b32 v51, 0x30303030, v40, v37
	v_mad_co_i64_i32 v[12:13], null, 0xd2, v108, s[10:11]
	v_and_b32_e32 v14, 0xf0f0f0f, v10
	s_delay_alu instid0(VALU_DEP_4) | instskip(NEXT) | instid1(VALU_DEP_4)
	v_lshlrev_b32_e32 v1, 16, v15
	v_lshlrev_b16 v11, 8, v51
	v_add_nc_u32_e32 v39, s7, v122
	v_mad_co_u64_u32 v[37:38], null, v77, 36, s[2:3]
	s_delay_alu instid0(VALU_DEP_4)
	v_or_b32_e32 v53, v0, v1
	v_mad_co_i64_i32 v[0:1], null, 0xd2, v107, s[10:11]
	v_add_nc_u16 v55, 0xe000, v11
	v_mad_co_i64_i32 v[10:11], null, 0xd2, v104, s[10:11]
	v_and_or_b32 v56, 0x30303030, v36, v14
	v_add_nc_u32_e32 v14, v39, v111
	v_add_nc_u32_e32 v35, v39, v115
	v_add_co_u32 v0, vcc_lo, v0, v105
	s_wait_alu 0xfffd
	v_add_co_ci_u32_e64 v1, null, 0, v1, vcc_lo
	v_add_co_u32 v12, vcc_lo, v12, v105
	s_wait_alu 0xfffd
	v_add_co_ci_u32_e64 v13, null, 0, v13, vcc_lo
	s_clause 0x2
	global_load_u16 v57, v[10:11], off offset:208
	global_load_b32 v58, v[0:1], off offset:192
	global_load_b32 v59, v[12:13], off offset:192
	v_add_nc_u32_e32 v10, v39, v112
	v_add_nc_u32_e32 v12, v39, v113
	v_mad_co_i64_i32 v[0:1], null, v14, 36, v[33:34]
	v_add_nc_u32_e32 v14, v39, v114
	v_add_nc_u32_e32 v40, v39, v116
	v_mad_co_i64_i32 v[10:11], null, v10, 36, v[33:34]
	v_add_nc_u32_e32 v41, v39, v117
	v_mad_co_i64_i32 v[12:13], null, v12, 36, v[33:34]
	;; [unrolled: 2-line block ×3, first 2 shown]
	v_mad_co_i64_i32 v[35:36], null, v35, 36, v[33:34]
	v_mad_co_i64_i32 v[39:40], null, v40, 36, v[33:34]
	;; [unrolled: 1-line block ×4, first 2 shown]
	s_clause 0x8
	global_load_b32 v37, v[37:38], off
	global_load_b32 v0, v[0:1], off offset:4
	global_load_b32 v1, v[10:11], off offset:4
	;; [unrolled: 1-line block ×8, first 2 shown]
	v_lshrrev_b32_e32 v54, 16, v51
	v_lshrrev_b32_e32 v39, 16, v56
	v_lshlrev_b16 v40, 8, v56
	v_and_b32_e32 v35, 0x3f00, v51
	v_lshrrev_b16 v38, 8, v55
	v_lshlrev_b16 v36, 8, v54
	v_lshlrev_b16 v41, 8, v39
	v_add_nc_u16 v40, 0xe000, v40
	v_and_b32_e32 v42, 0x3f00, v56
	v_or_b32_e32 v35, v35, v38
	v_add_nc_u16 v36, 0xe000, v36
	v_and_b32_e32 v38, 0x3f00, v54
	v_add_nc_u16 v41, 0xe000, v41
	v_lshrrev_b16 v40, 8, v40
	v_add_nc_u16 v35, 0xe000, v35
	v_lshrrev_b16 v36, 8, v36
	ds_store_2addr_b32 v23, v52, v53 offset1:16
	s_mov_b32 s10, -1
	v_or_b32_e32 v40, v42, v40
	v_lshlrev_b32_e32 v42, 4, v9
	v_or_b32_e32 v36, v38, v36
	v_and_b32_e32 v38, 0x3f00, v39
	v_lshrrev_b16 v39, 8, v41
	v_and_b32_e32 v41, 0xf0f0f0f, v8
	v_lshrrev_b32_e32 v8, 4, v8
	v_add_nc_u16 v36, 0xe000, v36
	v_and_b32_e32 v35, 0xffff, v35
	v_or_b32_e32 v38, v38, v39
	v_add_nc_u16 v39, 0xe000, v40
	v_and_or_b32 v40, 0x30303030, v42, v41
	v_lshlrev_b32_e32 v36, 16, v36
	v_and_b32_e32 v8, 0xf0f0f0f, v8
	v_add_nc_u16 v38, 0xe000, v38
	v_and_b32_e32 v39, 0xffff, v39
	v_lshrrev_b32_e32 v41, 16, v40
	v_lshlrev_b16 v42, 8, v40
	v_or_b32_e32 v35, v35, v36
	v_lshlrev_b32_e32 v38, 16, v38
	v_and_or_b32 v8, 0x30303030, v9, v8
	v_lshlrev_b16 v36, 8, v41
	v_add_nc_u16 v42, 0xe000, v42
	v_and_b32_e32 v9, 0x3f00, v40
	v_or_b32_e32 v38, v39, v38
	v_and_b32_e32 v40, 0x3f00, v41
	v_add_nc_u16 v36, 0xe000, v36
	v_lshrrev_b16 v39, 8, v42
	v_lshrrev_b32_e32 v41, 16, v8
	v_lshlrev_b16 v42, 8, v8
	ds_store_2addr_b32 v24, v35, v38 offset1:16
	v_lshrrev_b16 v36, 8, v36
	v_or_b32_e32 v9, v9, v39
	v_lshlrev_b16 v35, 8, v41
	v_add_nc_u16 v38, 0xe000, v42
	v_and_b32_e32 v8, 0x3f00, v8
	v_or_b32_e32 v36, v40, v36
	v_and_b32_e32 v39, 0x3f00, v41
	v_add_nc_u16 v35, 0xe000, v35
	v_lshrrev_b16 v38, 8, v38
	v_and_b32_e32 v40, 0xf0f0f0f, v6
	v_lshlrev_b32_e32 v41, 4, v7
	v_lshrrev_b32_e32 v6, 4, v6
	v_lshrrev_b16 v35, 8, v35
	v_or_b32_e32 v8, v8, v38
	v_add_nc_u16 v9, 0xe000, v9
	v_and_or_b32 v38, 0x30303030, v41, v40
	v_add_nc_u16 v36, 0xe000, v36
	v_or_b32_e32 v35, v39, v35
	v_add_nc_u16 v8, 0xe000, v8
	v_and_b32_e32 v6, 0xf0f0f0f, v6
	v_lshlrev_b16 v39, 8, v38
	v_lshrrev_b32_e32 v40, 16, v38
	v_add_nc_u16 v35, 0xe000, v35
	v_and_b32_e32 v9, 0xffff, v9
	v_lshlrev_b32_e32 v36, 16, v36
	v_add_nc_u16 v39, 0xe000, v39
	v_and_b32_e32 v8, 0xffff, v8
	v_lshlrev_b32_e32 v35, 16, v35
	v_and_b32_e32 v38, 0x3f00, v38
	v_lshlrev_b16 v41, 8, v40
	v_lshrrev_b16 v39, 8, v39
	v_and_or_b32 v6, 0x30303030, v7, v6
	v_or_b32_e32 v9, v9, v36
	v_or_b32_e32 v7, v8, v35
	v_add_nc_u16 v8, 0xe000, v41
	v_or_b32_e32 v35, v38, v39
	v_lshrrev_b32_e32 v38, 16, v6
	v_lshlrev_b16 v39, 8, v6
	v_and_b32_e32 v36, 0x3f00, v40
	v_lshrrev_b16 v8, 8, v8
	ds_store_2addr_b32 v25, v9, v7 offset1:16
	v_add_nc_u16 v7, 0xe000, v35
	v_lshlrev_b16 v9, 8, v38
	v_add_nc_u16 v35, 0xe000, v39
	v_or_b32_e32 v8, v36, v8
	v_and_b32_e32 v6, 0x3f00, v6
	v_and_b32_e32 v36, 0x3f00, v38
	v_add_nc_u16 v9, 0xe000, v9
	v_lshrrev_b16 v35, 8, v35
	v_and_b32_e32 v38, 0xf0f0f0f, v4
	v_lshlrev_b32_e32 v39, 4, v5
	v_lshrrev_b32_e32 v4, 4, v4
	v_lshrrev_b16 v9, 8, v9
	v_or_b32_e32 v6, v6, v35
	v_add_nc_u16 v8, 0xe000, v8
	v_and_or_b32 v35, 0x30303030, v39, v38
	v_and_b32_e32 v4, 0xf0f0f0f, v4
	v_or_b32_e32 v9, v36, v9
	v_and_b32_e32 v7, 0xffff, v7
	v_add_nc_u16 v6, 0xe000, v6
	v_lshlrev_b16 v36, 8, v35
	v_lshlrev_b32_e32 v8, 16, v8
	v_add_nc_u16 v9, 0xe000, v9
	v_lshrrev_b32_e32 v38, 16, v35
	v_and_or_b32 v4, 0x30303030, v5, v4
	v_add_nc_u16 v36, 0xe000, v36
	v_and_b32_e32 v6, 0xffff, v6
	v_lshlrev_b32_e32 v9, 16, v9
	v_and_b32_e32 v35, 0x3f00, v35
	v_lshlrev_b16 v5, 8, v38
	v_lshrrev_b16 v36, 8, v36
	v_or_b32_e32 v7, v7, v8
	v_lshrrev_b32_e32 v8, 16, v4
	v_or_b32_e32 v6, v6, v9
	v_add_nc_u16 v5, 0xe000, v5
	v_or_b32_e32 v9, v35, v36
	v_lshlrev_b16 v35, 8, v4
	v_and_b32_e32 v36, 0x3f00, v38
	v_lshlrev_b16 v38, 8, v8
	v_lshrrev_b16 v5, 8, v5
	v_and_b32_e32 v39, 0xf0f0f0f, v2
	v_add_nc_u16 v35, 0xe000, v35
	v_lshlrev_b32_e32 v40, 4, v3
	v_add_nc_u16 v38, 0xe000, v38
	v_and_b32_e32 v4, 0x3f00, v4
	v_and_b32_e32 v8, 0x3f00, v8
	v_lshrrev_b16 v35, 8, v35
	v_or_b32_e32 v5, v36, v5
	v_lshrrev_b16 v38, 8, v38
	v_and_or_b32 v36, 0x30303030, v40, v39
	v_lshrrev_b32_e32 v2, 4, v2
	v_or_b32_e32 v4, v4, v35
	v_add_nc_u16 v9, 0xe000, v9
	v_or_b32_e32 v8, v8, v38
	v_lshlrev_b16 v35, 8, v36
	v_add_nc_u16 v5, 0xe000, v5
	v_add_nc_u16 v4, 0xe000, v4
	v_and_b32_e32 v38, 0x3f00, v36
	v_add_nc_u16 v8, 0xe000, v8
	v_add_nc_u16 v35, 0xe000, v35
	v_and_b32_e32 v2, 0xf0f0f0f, v2
	v_and_b32_e32 v4, 0xffff, v4
	;; [unrolled: 1-line block ×3, first 2 shown]
	v_lshlrev_b32_e32 v8, 16, v8
	v_lshrrev_b16 v35, 8, v35
	v_lshlrev_b32_e32 v5, 16, v5
	v_lshrrev_b32_e32 v36, 16, v36
	v_and_or_b32 v2, 0x30303030, v3, v2
	v_or_b32_e32 v4, v4, v8
	v_or_b32_e32 v8, v38, v35
	;; [unrolled: 1-line block ×3, first 2 shown]
	v_lshlrev_b16 v9, 8, v36
	ds_store_2addr_b32 v26, v7, v6 offset1:16
	ds_store_2addr_b32 v27, v5, v4 offset1:16
	v_add_nc_u16 v3, 0xe000, v8
	v_lshlrev_b16 v5, 8, v2
	v_lshrrev_b32_e32 v6, 16, v2
	v_add_nc_u16 v4, 0xe000, v9
	v_and_b32_e32 v7, 0x3f00, v36
	v_and_b32_e32 v2, 0x3f00, v2
	v_add_nc_u16 v5, 0xe000, v5
	v_lshlrev_b16 v9, 8, v6
	v_lshrrev_b16 v4, 8, v4
	v_and_b32_e32 v3, 0xffff, v3
	s_delay_alu instid0(VALU_DEP_4)
	v_lshrrev_b16 v5, 8, v5
	s_wait_loadcnt 0x11
	v_and_b32_e32 v35, 0xf0f0f0f, v45
	s_wait_loadcnt 0x10
	v_ashrrev_i32_e32 v8, v86, v46
	v_add_nc_u16 v9, 0xe000, v9
	v_or_b32_e32 v4, v7, v4
	v_or_b32_e32 v2, v2, v5
	v_and_b32_e32 v5, 0x3f00, v6
	v_lshlrev_b32_e32 v36, 4, v8
	v_lshrrev_b16 v6, 8, v9
	v_add_nc_u16 v4, 0xe000, v4
	v_add_nc_u16 v2, 0xe000, v2
	s_delay_alu instid0(VALU_DEP_4) | instskip(NEXT) | instid1(VALU_DEP_4)
	v_and_or_b32 v35, 0x30303030, v36, v35
	v_or_b32_e32 v5, v5, v6
	v_lshrrev_b32_e32 v36, 4, v45
	v_lshlrev_b32_e32 v4, 16, v4
	v_and_b32_e32 v2, 0xffff, v2
	v_lshrrev_b32_e32 v7, 16, v35
	v_lshlrev_b16 v9, 8, v35
	v_add_nc_u16 v5, 0xe000, v5
	v_and_b32_e32 v35, 0x3f00, v35
	v_and_b32_e32 v36, 0xf0f0f0f, v36
	v_lshlrev_b16 v6, 8, v7
	v_add_nc_u16 v9, 0xe000, v9
	v_and_b32_e32 v7, 0x3f00, v7
	v_lshlrev_b32_e32 v5, 16, v5
	v_or_b32_e32 v3, v3, v4
	v_add_nc_u16 v6, 0xe000, v6
	v_lshrrev_b16 v9, 8, v9
	s_delay_alu instid0(VALU_DEP_4) | instskip(NEXT) | instid1(VALU_DEP_3)
	v_or_b32_e32 v2, v2, v5
	v_lshrrev_b16 v6, 8, v6
	s_delay_alu instid0(VALU_DEP_3)
	v_or_b32_e32 v4, v35, v9
	ds_store_2addr_b32 v28, v3, v2 offset1:16
	v_or_b32_e32 v6, v7, v6
	v_and_or_b32 v7, 0x30303030, v8, v36
	s_wait_loadcnt 0xe
	v_ashrrev_i32_e32 v5, v86, v48
	v_add_nc_u16 v4, 0xe000, v4
	v_and_b32_e32 v9, 0xf0f0f0f, v47
	v_add_nc_u16 v6, 0xe000, v6
	v_lshlrev_b16 v8, 8, v7
	v_lshlrev_b32_e32 v35, 4, v5
	v_and_b32_e32 v4, 0xffff, v4
	v_lshrrev_b32_e32 v36, 16, v7
	v_lshlrev_b32_e32 v6, 16, v6
	v_add_nc_u16 v8, 0xe000, v8
	v_and_or_b32 v9, 0x30303030, v35, v9
	v_and_b32_e32 v7, 0x3f00, v7
	v_lshlrev_b16 v35, 8, v36
	v_or_b32_e32 v4, v4, v6
	v_lshrrev_b16 v8, 8, v8
	v_lshlrev_b16 v6, 8, v9
	v_lshrrev_b32_e32 v38, 4, v47
	v_add_nc_u16 v35, 0xe000, v35
	s_delay_alu instid0(VALU_DEP_4)
	v_or_b32_e32 v7, v7, v8
	v_and_b32_e32 v8, 0x3f00, v36
	v_add_nc_u16 v6, 0xe000, v6
	v_and_b32_e32 v36, 0xf0f0f0f, v38
	v_lshrrev_b32_e32 v38, 16, v9
	v_lshrrev_b16 v35, 8, v35
	v_and_b32_e32 v9, 0x3f00, v9
	v_lshrrev_b16 v6, 8, v6
	v_and_or_b32 v5, 0x30303030, v5, v36
	v_lshlrev_b16 v36, 8, v38
	v_or_b32_e32 v8, v8, v35
	v_add_nc_u16 v7, 0xe000, v7
	v_or_b32_e32 v6, v9, v6
	v_lshlrev_b16 v9, 8, v5
	v_add_nc_u16 v35, 0xe000, v36
	v_and_b32_e32 v36, 0x3f00, v38
	v_and_b32_e32 v38, 0x3f00, v5
	v_lshrrev_b32_e32 v5, 16, v5
	v_add_nc_u16 v9, 0xe000, v9
	v_lshrrev_b16 v35, 8, v35
	v_add_nc_u16 v8, 0xe000, v8
	v_add_nc_u16 v6, 0xe000, v6
	v_lshlrev_b16 v41, 8, v5
	v_lshrrev_b16 v9, 8, v9
	v_or_b32_e32 v35, v36, v35
	s_wait_loadcnt 0xc
	v_ashrrev_i32_e32 v36, v86, v50
	v_lshrrev_b32_e32 v39, 4, v49
	v_and_b32_e32 v5, 0x3f00, v5
	v_or_b32_e32 v9, v38, v9
	v_and_b32_e32 v38, 0xf0f0f0f, v49
	v_lshlrev_b32_e32 v40, 4, v36
	v_and_b32_e32 v39, 0xf0f0f0f, v39
	v_add_nc_u16 v35, 0xe000, v35
	v_add_nc_u16 v9, 0xe000, v9
	v_and_b32_e32 v7, 0xffff, v7
	v_and_or_b32 v38, 0x30303030, v40, v38
	v_and_or_b32 v36, 0x30303030, v36, v39
	v_add_nc_u16 v40, 0xe000, v41
	v_lshlrev_b32_e32 v8, 16, v8
	v_and_b32_e32 v6, 0xffff, v6
	v_lshrrev_b32_e32 v39, 16, v38
	v_lshrrev_b32_e32 v42, 16, v36
	v_lshlrev_b16 v41, 8, v38
	v_lshlrev_b16 v44, 8, v36
	v_lshrrev_b16 v40, 8, v40
	v_lshlrev_b16 v43, 8, v39
	v_lshlrev_b16 v45, 8, v42
	v_add_nc_u16 v41, 0xe000, v41
	v_add_nc_u16 v44, 0xe000, v44
	v_and_b32_e32 v38, 0x3f00, v38
	v_add_nc_u16 v43, 0xe000, v43
	v_add_nc_u16 v45, 0xe000, v45
	v_lshrrev_b16 v41, 8, v41
	v_and_b32_e32 v39, 0x3f00, v39
	v_and_b32_e32 v36, 0x3f00, v36
	v_lshrrev_b16 v43, 8, v43
	v_lshrrev_b16 v44, 8, v44
	v_and_b32_e32 v42, 0x3f00, v42
	v_lshrrev_b16 v45, 8, v45
	v_or_b32_e32 v5, v5, v40
	v_or_b32_e32 v38, v38, v41
	;; [unrolled: 1-line block ×5, first 2 shown]
	v_add_nc_u16 v5, 0xe000, v5
	v_add_nc_u16 v38, 0xe000, v38
	;; [unrolled: 1-line block ×5, first 2 shown]
	v_lshlrev_b32_e32 v35, 16, v35
	v_and_b32_e32 v9, 0xffff, v9
	v_lshlrev_b32_e32 v5, 16, v5
	v_and_b32_e32 v38, 0xffff, v38
	;; [unrolled: 2-line block ×3, first 2 shown]
	v_lshlrev_b32_e32 v40, 16, v40
	v_or_b32_e32 v7, v7, v8
	s_wait_loadcnt 0xb
	v_cvt_f32_f16_e32 v2, v57
	v_or_b32_e32 v6, v6, v35
	v_or_b32_e32 v5, v9, v5
	;; [unrolled: 1-line block ×4, first 2 shown]
	ds_store_2addr_b32 v29, v4, v7 offset1:16
	ds_store_2addr_b32 v30, v6, v5 offset1:16
	;; [unrolled: 1-line block ×3, first 2 shown]
	s_wait_loadcnt 0x8
	v_cvt_f32_f16_e32 v3, v37
	ds_store_b32 v106, v2
	ds_store_b32 v148, v58
	ds_store_b32 v150, v59
	s_wait_loadcnt 0x6
	ds_store_b32 v154, v1
	s_wait_loadcnt 0x4
	ds_store_b32 v158, v11
	;; [unrolled: 2-line block ×4, first 2 shown]
	ds_store_b32 v152, v0
	ds_store_b32 v156, v10
	;; [unrolled: 1-line block ×5, first 2 shown]
	s_wait_storecnt_dscnt 0x0
	s_barrier_signal -1
	s_barrier_wait -1
	global_inv scope:SCOPE_SE
	ds_load_b32 v78, v123
	ds_load_b32 v187, v124 offset:128
	ds_load_b32 v188, v125 offset:256
	;; [unrolled: 1-line block ×3, first 2 shown]
.LBB156_6:                              ;   Parent Loop BB156_5 Depth=1
                                        ; =>  This Inner Loop Header: Depth=2
	s_lshl_b32 s11, s16, 1
	s_lshr_b32 s17, s16, 1
	s_wait_alu 0xfffe
	v_or_b32_e32 v0, s11, v99
	s_add_co_i32 s17, s17, 0xa200
	s_lshl_b32 s16, s16, 3
	v_lshlrev_b32_e32 v185, 2, v120
	s_wait_alu 0xfffe
	v_add_nc_u32_e32 v45, s16, v134
	v_lshlrev_b32_e32 v1, 2, v0
	v_lshrrev_b32_e32 v0, 1, v0
	v_lshlrev_b32_e32 v186, 2, v121
	v_add_nc_u32_e32 v69, s16, v144
	s_and_b32 vcc_lo, exec_lo, s10
	ds_load_b128 v[231:234], v1 offset:33280
	ds_load_b128 v[190:193], v1 offset:33296
	;; [unrolled: 1-line block ×4, first 2 shown]
	ds_load_b64 v[87:88], v0 offset:43584
	v_lshlrev_b32_e32 v182, 2, v122
	v_lshlrev_b32_e32 v183, 2, v109
	ds_load_2addr_b32 v[39:40], v45 offset0:6 offset1:7
	ds_load_2addr_b32 v[43:44], v45 offset0:4 offset1:5
	;; [unrolled: 1-line block ×3, first 2 shown]
	ds_load_2addr_b32 v[41:42], v45 offset1:1
	v_lshlrev_b32_e32 v184, 2, v119
	s_mov_b32 s10, 0
	v_add3_u32 v0, s17, v182, v183
	ds_load_b32 v48, v0
	ds_load_u16 v229, v45 offset:32
	ds_load_b128 v[0:3], v45 offset:34
	ds_load_b64 v[67:68], v45 offset:50
	ds_load_u16 v230, v45 offset:58
	ds_load_b32 v224, v45 offset:60
	s_wait_dscnt 0xe
	v_lshrrev_b16 v5, 8, v232
	s_wait_dscnt 0xd
	v_lshrrev_b16 v4, 8, v191
	s_wait_dscnt 0xc
	v_bfe_i32 v9, v195, 16, 8
	s_wait_dscnt 0xb
	v_bfe_i32 v7, v236, 16, 8
	v_bfe_i32 v50, v237, 16, 8
	v_ashrrev_i32_e32 v52, 24, v236
	v_bfe_i32 v51, v237, 0, 8
	v_bfe_i32 v6, v237, 8, 8
	;; [unrolled: 1-line block ×3, first 2 shown]
	s_wait_dscnt 0x8
	v_lshrrev_b16 v46, 8, v44
	v_bfe_i32 v59, v40, 8, 8
	v_bfe_i32 v4, v4, 0, 8
	v_ashrrev_i32_e32 v57, 24, v192
	s_wait_dscnt 0x3
	v_bfe_i32 v227, v2, 0, 8
	s_wait_dscnt 0x2
	v_bfe_i32 v49, v68, 0, 8
	s_wait_dscnt 0x1
	v_lshrrev_b16 v53, 8, v230
	v_bfe_i32 v54, v230, 0, 8
	v_bfe_i32 v56, v68, 8, 8
	;; [unrolled: 1-line block ×3, first 2 shown]
	v_mul_i32_i24_e32 v7, v49, v7
	v_ashrrev_i32_e32 v49, 24, v237
	v_bfe_i32 v53, v53, 0, 8
	v_mul_i32_i24_e32 v50, v54, v50
	v_perm_b32 v54, v238, v236, 0xc0c0600
	v_mul_i32_i24_e32 v52, v56, v52
	v_mul_i32_i24_e32 v51, v55, v51
	;; [unrolled: 1-line block ×3, first 2 shown]
	s_wait_dscnt 0x0
	v_perm_b32 v53, v224, v67, 0xc0c0602
	v_ashrrev_i32_e32 v45, 24, v68
	v_bfe_i32 v226, v2, 8, 8
	v_ashrrev_i32_e32 v225, 24, v1
	v_bfe_i32 v55, v193, 8, 8
	v_dot4_i32_iu8 v50, v53, v54, v50 neg_lo:[1,1,0]
	v_perm_b32 v53, v224, v67, 0xc0c0400
	v_perm_b32 v54, v238, v235, 0xc0c0402
	v_bfe_i32 v46, v46, 0, 8
	v_bfe_i32 v56, v193, 0, 8
	;; [unrolled: 1-line block ×4, first 2 shown]
	v_dot4_i32_iu8 v52, v53, v54, v52 neg_lo:[1,1,0]
	v_perm_b32 v53, v224, v67, 0xc0c0703
	v_perm_b32 v54, v238, v236, 0xc0c0701
	v_ashrrev_i32_e32 v61, 24, v39
	v_bfe_i32 v62, v39, 16, 8
	v_add_nc_u32_e32 v50, v52, v50
	v_bfe_i32 v52, v235, 0, 8
	v_dot4_i32_iu8 v49, v53, v54, v49 neg_lo:[1,1,0]
	v_perm_b32 v53, v224, v67, 0xc0c0501
	v_perm_b32 v54, v238, v235, 0xc0c0503
	v_mul_i32_i24_e32 v55, v59, v55
	v_mul_i32_i24_e32 v4, v46, v4
	v_mul_i32_i24_e32 v58, v62, v58
	v_mul_i32_i24_e32 v57, v61, v57
	v_dot4_i32_iu8 v51, v53, v54, v51 neg_lo:[1,1,0]
	v_ashrrev_i32_e32 v53, 24, v3
	v_bfe_i32 v54, v3, 16, 8
	v_mul_i32_i24_e32 v56, v60, v56
	v_bfe_i32 v12, v193, 16, 8
	v_add_nc_u32_e32 v49, v51, v49
	v_bfe_i32 v51, v235, 8, 8
	v_mul_i32_i24_e32 v52, v54, v52
	v_bfe_i32 v54, v44, 16, 8
	v_bfe_i32 v59, v40, 16, 8
	;; [unrolled: 1-line block ×3, first 2 shown]
	v_mul_i32_i24_e32 v51, v53, v51
	v_mad_i32_i24 v6, v45, v6, v52
	v_bfe_i32 v45, v196, 16, 8
	v_bfe_i32 v52, v1, 8, 8
	v_bfe_i32 v53, v44, 0, 8
	v_add3_u32 v49, v50, v49, v51
	v_ashrrev_i32_e32 v50, 24, v195
	v_bfe_i32 v51, v1, 16, 8
	v_mul_i32_i24_e32 v45, v227, v45
	v_bfe_i32 v11, v192, 0, 8
	v_add3_u32 v6, v49, v6, v7
	v_bfe_i32 v49, v196, 0, 8
	v_bfe_i32 v7, v1, 0, 8
	v_mul_i32_i24_e32 v50, v52, v50
	v_perm_b32 v52, v197, v195, 0xc0c0600
	v_bfe_i32 v46, v39, 0, 8
	v_mul_i32_i24_e32 v49, v51, v49
	v_perm_b32 v51, v3, v0, 0xc0c0402
	v_mul_i32_i24_e32 v7, v7, v9
	v_ashrrev_i32_e32 v9, 24, v196
	v_mul_i32_i24_e32 v12, v59, v12
	v_ashrrev_i32_e32 v13, 24, v193
	v_dot4_i32_iu8 v45, v51, v52, v45 neg_lo:[1,1,0]
	v_perm_b32 v51, v2, v0, 0xc0c0600
	v_perm_b32 v52, v197, v194, 0xc0c0402
	v_mul_i32_i24_e32 v9, v226, v9
	v_lshrrev_b16 v47, 8, v42
	v_ashrrev_i32_e32 v59, 24, v40
	v_bfe_i32 v5, v5, 0, 8
	v_dot4_i32_iu8 v50, v51, v52, v50 neg_lo:[1,1,0]
	v_perm_b32 v51, v3, v0, 0xc0c0503
	v_perm_b32 v52, v197, v195, 0xc0c0701
	v_mul_i32_i24_e32 v13, v59, v13
	v_bfe_i32 v47, v47, 0, 8
	v_add_nc_u32_e32 v45, v50, v45
	v_bfe_i32 v50, v194, 0, 8
	v_dot4_i32_iu8 v9, v51, v52, v9 neg_lo:[1,1,0]
	v_perm_b32 v51, v2, v0, 0xc0c0701
	v_perm_b32 v52, v197, v194, 0xc0c0503
	v_mul_i32_i24_e32 v5, v47, v5
	v_bfe_i32 v37, v234, 16, 8
	v_bfe_i32 v14, v233, 8, 8
	v_bfe_i32 v15, v233, 0, 8
	v_dot4_i32_iu8 v49, v51, v52, v49 neg_lo:[1,1,0]
	v_lshrrev_b16 v51, 8, v229
	v_ashrrev_i32_e32 v52, 24, v44
	v_bfe_i32 v47, v35, 0, 8
	v_ashrrev_i32_e32 v38, 24, v234
	v_add_nc_u32_e32 v9, v49, v9
	v_bfe_i32 v49, v194, 8, 8
	v_bfe_i32 v228, v51, 0, 8
	;; [unrolled: 1-line block ×6, first 2 shown]
	v_mul_i32_i24_e32 v49, v228, v49
	v_mul_i32_i24_e32 v50, v51, v50
	v_bfe_i32 v51, v191, 16, 8
	v_ashrrev_i32_e32 v221, 24, v48
	v_perm_b32 v89, v196, v195, 0x7060403
	v_add3_u32 v9, v45, v9, v49
	v_mad_i32_i24 v8, v225, v8, v50
	v_ashrrev_i32_e32 v49, 24, v43
	v_bfe_i32 v45, v190, 16, 8
	v_bfe_i32 v50, v43, 16, 8
	v_mad_i32_i24 v51, v54, v51, v56
	v_add3_u32 v7, v9, v8, v7
	v_ashrrev_i32_e32 v9, 24, v190
	v_bfe_i32 v8, v39, 8, 8
	v_mul_i32_i24_e32 v45, v50, v45
	v_bfe_i32 v50, v191, 0, 8
	v_bfe_i32 v54, v36, 8, 8
	v_mul_i32_i24_e32 v9, v49, v9
	v_ashrrev_i32_e32 v49, 24, v191
	v_ashrrev_i32_e32 v56, 24, v35
	v_mad_i32_i24 v50, v53, v50, v58
	v_bfe_i32 v53, v233, 16, 8
	v_perm_b32 v90, v191, v190, 0x6040503
	v_mad_i32_i24 v49, v52, v49, v55
	v_bfe_i32 v52, v43, 0, 8
	v_bfe_i32 v55, v36, 0, 8
	v_perm_b32 v191, v192, v191, 0x7060403
	v_perm_b32 v239, v232, v231, 0x6040503
	v_add3_u32 v4, v4, v57, v49
	v_bfe_i32 v49, v190, 8, 8
	v_bfe_i32 v57, v35, 16, 8
	s_delay_alu instid0(VALU_DEP_3) | instskip(SKIP_2) | instid1(VALU_DEP_4)
	v_add3_u32 v4, v50, v51, v4
	v_bfe_i32 v51, v43, 8, 8
	v_bfe_i32 v50, v190, 0, 8
	v_mul_i32_i24_e32 v53, v57, v53
	v_perm_b32 v57, v237, v236, 0x7060403
	s_delay_alu instid0(VALU_DEP_4) | instskip(NEXT) | instid1(VALU_DEP_4)
	v_mul_i32_i24_e32 v49, v51, v49
	v_mul_i32_i24_e32 v50, v52, v50
	v_bfe_i32 v51, v234, 0, 8
	v_ashrrev_i32_e32 v52, 24, v233
	s_delay_alu instid0(VALU_DEP_4)
	v_mad_i32_i24 v8, v8, v10, v49
	v_mad_i32_i24 v10, v46, v11, v12
	v_ashrrev_i32_e32 v11, 24, v41
	v_bfe_i32 v12, v41, 16, 8
	v_bfe_i32 v46, v42, 0, 8
	v_add3_u32 v4, v4, v50, v8
	v_add3_u32 v8, v45, v9, v10
	v_ashrrev_i32_e32 v9, 24, v231
	v_bfe_i32 v50, v234, 8, 8
	v_bfe_i32 v10, v231, 16, 8
	v_ashrrev_i32_e32 v45, 24, v42
	v_add3_u32 v4, v4, v8, v13
	v_mul_i32_i24_e32 v9, v11, v9
	v_ashrrev_i32_e32 v11, 24, v232
	v_mul_i32_i24_e32 v50, v54, v50
	v_mul_i32_i24_e32 v10, v12, v10
	v_bfe_i32 v12, v232, 0, 8
	v_bfe_i32 v13, v232, 16, 8
	;; [unrolled: 1-line block ×3, first 2 shown]
	v_mul_i32_i24_e32 v52, v56, v52
	v_mul_i32_i24_e32 v51, v55, v51
	v_mad_i32_i24 v11, v45, v11, v50
	v_mad_i32_i24 v12, v46, v12, v53
	v_bfe_i32 v54, v36, 16, 8
	v_bfe_i32 v8, v35, 8, 8
	v_mad_i32_i24 v13, v49, v13, v51
	v_add3_u32 v5, v5, v52, v11
	v_bfe_i32 v11, v231, 8, 8
	v_mul_i32_i24_e32 v37, v54, v37
	v_bfe_i32 v45, v41, 0, 8
	v_ashrrev_i32_e32 v54, 24, v36
	v_add3_u32 v5, v12, v13, v5
	v_bfe_i32 v13, v41, 8, 8
	v_bfe_i32 v12, v231, 0, 8
	v_mul_lo_u32 v4, v4, v209
	v_mul_i32_i24_e32 v38, v54, v38
	v_perm_b32 v232, v233, v232, 0x7060403
	v_mul_i32_i24_e32 v11, v13, v11
	v_mul_i32_i24_e32 v12, v45, v12
	s_delay_alu instid0(VALU_DEP_2) | instskip(SKIP_1) | instid1(VALU_DEP_2)
	v_mad_i32_i24 v8, v8, v14, v11
	v_mad_i32_i24 v11, v47, v15, v37
	v_add3_u32 v5, v5, v12, v8
	s_delay_alu instid0(VALU_DEP_2) | instskip(NEXT) | instid1(VALU_DEP_1)
	v_add3_u32 v8, v10, v9, v11
	v_add3_u32 v5, v5, v8, v38
	s_delay_alu instid0(VALU_DEP_1) | instskip(NEXT) | instid1(VALU_DEP_1)
	v_mad_co_u64_u32 v[4:5], null, v5, v219, v[4:5]
	v_cvt_f32_i32_e32 v4, v4
	s_delay_alu instid0(VALU_DEP_1) | instskip(SKIP_1) | instid1(VALU_DEP_1)
	v_fma_f32 v8, v87, v4, 0
	v_mul_lo_u32 v4, v7, v220
	v_mad_co_u64_u32 v[4:5], null, v6, v221, v[4:5]
	v_add_nc_u32_e32 v5, s16, v136
	s_delay_alu instid0(VALU_DEP_2) | instskip(NEXT) | instid1(VALU_DEP_1)
	v_cvt_f32_i32_e32 v4, v4
	v_fmac_f32_e32 v8, v88, v4
	v_add3_u32 v4, s17, v184, v135
	s_delay_alu instid0(VALU_DEP_2)
	v_fmac_f32_e32 v82, v78, v8
	ds_load_2addr_b32 v[53:54], v5 offset0:6 offset1:7
	ds_load_2addr_b32 v[10:11], v5 offset0:4 offset1:5
	ds_load_2addr_b32 v[51:52], v5 offset0:2 offset1:3
	ds_load_2addr_b32 v[6:7], v5 offset1:1
	ds_load_b32 v8, v4
	ds_load_2addr_b32 v[63:64], v5 offset0:14 offset1:15
	ds_load_2addr_b32 v[73:74], v5 offset0:12 offset1:13
	;; [unrolled: 1-line block ×4, first 2 shown]
	s_wait_dscnt 0x7
	v_perm_b32 v206, v11, v10, 0x6040503
	v_perm_b32 v207, v53, v11, 0x7060403
	s_wait_dscnt 0x6
	v_perm_b32 v11, v231, v51, 0x6050401
	s_wait_dscnt 0x5
	;; [unrolled: 2-line block ×4, first 2 shown]
	v_perm_b32 v4, v73, v237, 0x6040501
	v_perm_b32 v12, v74, v235, 0x6040503
	;; [unrolled: 1-line block ×3, first 2 shown]
	s_wait_dscnt 0x1
	v_perm_b32 v5, v194, v65, 0x6040501
	s_wait_dscnt 0x0
	v_perm_b32 v223, v65, v76, 0x7060403
	v_dot4_i32_iu8 v4, v9, v4, 0 neg_lo:[1,1,0]
	v_perm_b32 v9, v236, v73, 0x6040503
	v_perm_b32 v212, v51, v7, 0x7060403
	v_bfe_i32 v208, v8, 8, 8
	v_bfe_i32 v213, v8, 0, 8
	v_bfe_i32 v214, v8, 16, 8
	v_dot4_i32_iu8 v4, v12, v9, v4 neg_lo:[1,1,0]
	v_perm_b32 v12, v76, v194, 0x6040503
	v_ashrrev_i32_e32 v215, 24, v8
	s_delay_alu instid0(VALU_DEP_3) | instskip(NEXT) | instid1(VALU_DEP_1)
	v_dot4_i32_iu8 v4, v57, v222, v4 neg_lo:[1,1,0]
	v_dot4_i32_iu8 v9, v238, v64, v4 neg_lo:[1,1,0]
	v_perm_b32 v4, v75, v196, 0x6040501
	s_delay_alu instid0(VALU_DEP_1) | instskip(SKIP_1) | instid1(VALU_DEP_1)
	v_dot4_i32_iu8 v4, v5, v4, 0 neg_lo:[1,1,0]
	v_perm_b32 v5, v195, v75, 0x6040503
	v_dot4_i32_iu8 v4, v12, v5, v4 neg_lo:[1,1,0]
	v_perm_b32 v5, v190, v53, 0x6050401
	s_delay_alu instid0(VALU_DEP_2) | instskip(NEXT) | instid1(VALU_DEP_1)
	v_dot4_i32_iu8 v4, v89, v223, v4 neg_lo:[1,1,0]
	v_dot4_i32_iu8 v12, v197, v66, v4 neg_lo:[1,1,0]
	v_perm_b32 v4, v10, v192, 0x6050401
	s_delay_alu instid0(VALU_DEP_1) | instskip(SKIP_1) | instid1(VALU_DEP_2)
	v_dot4_i32_iu8 v4, v5, v4, 0 neg_lo:[1,1,0]
	v_perm_b32 v5, v6, v233, 0x6050401
	v_dot4_i32_iu8 v4, v90, v206, v4 neg_lo:[1,1,0]
	s_delay_alu instid0(VALU_DEP_2) | instskip(NEXT) | instid1(VALU_DEP_2)
	v_dot4_i32_iu8 v5, v11, v5, 0 neg_lo:[1,1,0]
	v_dot4_i32_iu8 v4, v191, v207, v4 neg_lo:[1,1,0]
	s_delay_alu instid0(VALU_DEP_2) | instskip(NEXT) | instid1(VALU_DEP_2)
	v_dot4_i32_iu8 v5, v239, v210, v5 neg_lo:[1,1,0]
	;; [unrolled: 3-line block ×3, first 2 shown]
	v_mul_lo_u32 v4, v4, v208
	s_delay_alu instid0(VALU_DEP_2) | instskip(NEXT) | instid1(VALU_DEP_1)
	v_dot4_i32_iu8 v5, v52, v234, v5 neg_lo:[1,1,0]
	v_mad_co_u64_u32 v[4:5], null, v5, v213, v[4:5]
	s_delay_alu instid0(VALU_DEP_1) | instskip(NEXT) | instid1(VALU_DEP_1)
	v_cvt_f32_i32_e32 v4, v4
	v_fma_f32 v7, v87, v4, 0
	v_mul_lo_u32 v4, v12, v214
	s_delay_alu instid0(VALU_DEP_1) | instskip(SKIP_2) | instid1(VALU_DEP_2)
	v_mad_co_u64_u32 v[4:5], null, v9, v215, v[4:5]
	v_add_nc_u32_e32 v5, s16, v140
	s_mov_b32 s16, 8
	v_cvt_f32_i32_e32 v4, v4
	s_delay_alu instid0(VALU_DEP_1) | instskip(SKIP_1) | instid1(VALU_DEP_2)
	v_fmac_f32_e32 v7, v88, v4
	v_add3_u32 v4, s17, v185, v138
	v_fmac_f32_e32 v173, v187, v7
	ds_load_2addr_b32 v[49:50], v5 offset0:6 offset1:7
	ds_load_2addr_b32 v[11:12], v5 offset0:4 offset1:5
	;; [unrolled: 1-line block ×3, first 2 shown]
	ds_load_2addr_b32 v[7:8], v5 offset1:1
	ds_load_b32 v9, v4
	ds_load_2addr_b32 v[59:60], v5 offset0:14 offset1:15
	ds_load_2addr_b32 v[14:15], v5 offset0:12 offset1:13
	;; [unrolled: 1-line block ×4, first 2 shown]
	s_wait_dscnt 0x7
	v_perm_b32 v198, v12, v11, 0x6040503
	v_perm_b32 v199, v49, v12, 0x7060403
	s_wait_dscnt 0x6
	v_perm_b32 v12, v231, v47, 0x6050401
	s_wait_dscnt 0x5
	;; [unrolled: 2-line block ×4, first 2 shown]
	v_perm_b32 v4, v14, v237, 0x6040501
	v_perm_b32 v37, v15, v235, 0x6040503
	;; [unrolled: 1-line block ×3, first 2 shown]
	s_wait_dscnt 0x1
	v_perm_b32 v5, v194, v61, 0x6040501
	s_wait_dscnt 0x0
	v_perm_b32 v218, v61, v72, 0x7060403
	v_dot4_i32_iu8 v4, v13, v4, 0 neg_lo:[1,1,0]
	v_perm_b32 v13, v236, v14, 0x6040503
	v_perm_b32 v202, v47, v8, 0x7060403
	v_bfe_i32 v200, v9, 8, 8
	v_bfe_i32 v203, v9, 0, 8
	;; [unrolled: 1-line block ×3, first 2 shown]
	v_dot4_i32_iu8 v4, v37, v13, v4 neg_lo:[1,1,0]
	v_perm_b32 v37, v72, v194, 0x6040503
	v_ashrrev_i32_e32 v205, 24, v9
	v_perm_b32 v59, v14, v59, 0x6040501
	v_perm_b32 v61, v71, v61, 0x6040501
	v_dot4_i32_iu8 v4, v57, v217, v4 neg_lo:[1,1,0]
	v_perm_b32 v47, v7, v47, 0x6050401
	s_delay_alu instid0(VALU_DEP_2) | instskip(SKIP_1) | instid1(VALU_DEP_1)
	v_dot4_i32_iu8 v13, v238, v60, v4 neg_lo:[1,1,0]
	v_perm_b32 v4, v71, v196, 0x6040501
	v_dot4_i32_iu8 v4, v5, v4, 0 neg_lo:[1,1,0]
	v_perm_b32 v5, v195, v71, 0x6040503
	v_perm_b32 v71, v72, v71, 0x6040503
	s_delay_alu instid0(VALU_DEP_2) | instskip(SKIP_2) | instid1(VALU_DEP_3)
	v_dot4_i32_iu8 v4, v37, v5, v4 neg_lo:[1,1,0]
	v_perm_b32 v5, v190, v49, 0x6050401
	v_perm_b32 v49, v11, v49, 0x6050401
	v_dot4_i32_iu8 v4, v89, v218, v4 neg_lo:[1,1,0]
	s_delay_alu instid0(VALU_DEP_1) | instskip(SKIP_1) | instid1(VALU_DEP_1)
	v_dot4_i32_iu8 v37, v197, v62, v4 neg_lo:[1,1,0]
	v_perm_b32 v4, v11, v192, 0x6050401
	v_dot4_i32_iu8 v4, v5, v4, 0 neg_lo:[1,1,0]
	v_perm_b32 v5, v7, v233, 0x6050401
	s_delay_alu instid0(VALU_DEP_2) | instskip(NEXT) | instid1(VALU_DEP_2)
	v_dot4_i32_iu8 v4, v90, v198, v4 neg_lo:[1,1,0]
	v_dot4_i32_iu8 v5, v12, v5, 0 neg_lo:[1,1,0]
	v_add3_u32 v12, s17, v186, v142
	s_delay_alu instid0(VALU_DEP_3) | instskip(NEXT) | instid1(VALU_DEP_3)
	v_dot4_i32_iu8 v4, v191, v199, v4 neg_lo:[1,1,0]
	v_dot4_i32_iu8 v5, v239, v201, v5 neg_lo:[1,1,0]
	s_delay_alu instid0(VALU_DEP_2) | instskip(NEXT) | instid1(VALU_DEP_2)
	v_dot4_i32_iu8 v4, v50, v193, v4 neg_lo:[1,1,0]
	v_dot4_i32_iu8 v5, v232, v202, v5 neg_lo:[1,1,0]
	s_delay_alu instid0(VALU_DEP_2) | instskip(NEXT) | instid1(VALU_DEP_2)
	v_mul_lo_u32 v4, v4, v200
	v_dot4_i32_iu8 v5, v48, v234, v5 neg_lo:[1,1,0]
	s_delay_alu instid0(VALU_DEP_1) | instskip(NEXT) | instid1(VALU_DEP_1)
	v_mad_co_u64_u32 v[4:5], null, v5, v203, v[4:5]
	v_cvt_f32_i32_e32 v4, v4
	s_delay_alu instid0(VALU_DEP_1) | instskip(SKIP_1) | instid1(VALU_DEP_1)
	v_fma_f32 v8, v87, v4, 0
	v_mul_lo_u32 v4, v37, v204
	v_mad_co_u64_u32 v[4:5], null, v13, v205, v[4:5]
	s_delay_alu instid0(VALU_DEP_1) | instskip(NEXT) | instid1(VALU_DEP_1)
	v_cvt_f32_i32_e32 v4, v4
	v_fmac_f32_e32 v8, v88, v4
	s_delay_alu instid0(VALU_DEP_1)
	v_fmac_f32_e32 v178, v188, v8
	ds_load_2addr_b32 v[45:46], v69 offset0:6 offset1:7
	ds_load_2addr_b32 v[8:9], v69 offset0:4 offset1:5
	;; [unrolled: 1-line block ×3, first 2 shown]
	ds_load_2addr_b32 v[4:5], v69 offset1:1
	ds_load_b32 v240, v12
	ds_load_2addr_b32 v[55:56], v69 offset0:14 offset1:15
	ds_load_2addr_b32 v[12:13], v69 offset0:12 offset1:13
	s_wait_dscnt 0x6
	v_perm_b32 v190, v190, v45, 0x6050401
	s_wait_dscnt 0x1
	v_perm_b32 v70, v235, v55, 0x6040501
	;; [unrolled: 2-line block ×3, first 2 shown]
	v_perm_b32 v211, v13, v235, 0x6040503
	v_perm_b32 v237, v0, v229, 0x7050400
	;; [unrolled: 1-line block ×3, first 2 shown]
	s_delay_alu instid0(VALU_DEP_4) | instskip(SKIP_1) | instid1(VALU_DEP_1)
	v_dot4_i32_iu8 v58, v70, v58, 0 neg_lo:[1,1,0]
	v_perm_b32 v70, v236, v12, 0x6040503
	v_dot4_i32_iu8 v58, v211, v70, v58 neg_lo:[1,1,0]
	v_perm_b32 v211, v55, v13, 0x7060403
	s_delay_alu instid0(VALU_DEP_1) | instskip(NEXT) | instid1(VALU_DEP_1)
	v_dot4_i32_iu8 v57, v57, v211, v58 neg_lo:[1,1,0]
	v_dot4_i32_iu8 v235, v238, v56, v57 neg_lo:[1,1,0]
	ds_load_2addr_b32 v[57:58], v69 offset0:10 offset1:11
	ds_load_2addr_b32 v[69:70], v69 offset0:8 offset1:9
	v_perm_b32 v238, v1, v0, 0x6050402
	s_wait_dscnt 0x1
	v_perm_b32 v216, v194, v57, 0x6040501
	s_wait_dscnt 0x0
	v_perm_b32 v196, v69, v196, 0x6040501
	v_perm_b32 v195, v195, v69, 0x6040503
	;; [unrolled: 1-line block ×3, first 2 shown]
	s_delay_alu instid0(VALU_DEP_3) | instskip(SKIP_1) | instid1(VALU_DEP_2)
	v_dot4_i32_iu8 v196, v216, v196, 0 neg_lo:[1,1,0]
	v_perm_b32 v216, v57, v70, 0x7060403
	v_dot4_i32_iu8 v194, v194, v195, v196 neg_lo:[1,1,0]
	v_perm_b32 v196, v45, v9, 0x7060403
	v_bfe_i32 v195, v240, 8, 8
	s_delay_alu instid0(VALU_DEP_3) | instskip(SKIP_1) | instid1(VALU_DEP_2)
	v_dot4_i32_iu8 v89, v89, v216, v194 neg_lo:[1,1,0]
	v_perm_b32 v194, v5, v4, 0x6040503
	v_dot4_i32_iu8 v236, v197, v58, v89 neg_lo:[1,1,0]
	v_perm_b32 v89, v8, v192, 0x6050401
	v_perm_b32 v197, v9, v8, 0x6040503
	v_ashrrev_i32_e32 v192, 24, v240
	s_delay_alu instid0(VALU_DEP_3) | instskip(SKIP_1) | instid1(VALU_DEP_2)
	v_dot4_i32_iu8 v89, v190, v89, 0 neg_lo:[1,1,0]
	v_bfe_i32 v190, v240, 16, 8
	v_dot4_i32_iu8 v89, v90, v197, v89 neg_lo:[1,1,0]
	v_perm_b32 v90, v231, v37, 0x6050401
	s_delay_alu instid0(VALU_DEP_2)
	v_dot4_i32_iu8 v9, v191, v196, v89 neg_lo:[1,1,0]
	v_perm_b32 v89, v4, v233, 0x6050401
	v_bfe_i32 v191, v240, 0, 8
	v_perm_b32 v233, v73, v63, 0x6040501
	v_perm_b32 v73, v74, v73, 0x6040503
	v_dot4_i32_iu8 v9, v46, v193, v9 neg_lo:[1,1,0]
	v_dot4_i32_iu8 v89, v90, v89, 0 neg_lo:[1,1,0]
	v_perm_b32 v193, v37, v5, 0x7060403
	v_perm_b32 v74, v75, v65, 0x6040501
	;; [unrolled: 1-line block ×3, first 2 shown]
	v_mul_lo_u32 v9, v9, v195
	v_dot4_i32_iu8 v89, v239, v194, v89 neg_lo:[1,1,0]
	v_perm_b32 v239, v3, v2, 0x5040203
	v_perm_b32 v63, v10, v53, 0x6050401
	;; [unrolled: 1-line block ×4, first 2 shown]
	v_dot4_i32_iu8 v5, v232, v193, v89 neg_lo:[1,1,0]
	v_perm_b32 v53, v13, v12, 0x6040503
	v_perm_b32 v55, v69, v57, 0x6040501
	;; [unrolled: 1-line block ×4, first 2 shown]
	v_dot4_i32_iu8 v5, v38, v234, v5 neg_lo:[1,1,0]
	v_perm_b32 v234, v67, v3, 0x402030c
	s_delay_alu instid0(VALU_DEP_2) | instskip(NEXT) | instid1(VALU_DEP_1)
	v_mad_co_u64_u32 v[89:90], null, v5, v191, v[9:10]
	v_cvt_f32_i32_e32 v5, v89
	s_delay_alu instid0(VALU_DEP_1) | instskip(SKIP_3) | instid1(VALU_DEP_3)
	v_fma_f32 v9, v87, v5, 0
	v_mul_lo_u32 v5, v236, v190
	v_perm_b32 v236, v230, v68, 0x5040201
	v_perm_b32 v230, v39, v44, 0x7060403
	v_mad_co_u64_u32 v[89:90], null, v235, v192, v[5:6]
	v_perm_b32 v235, v68, v67, 0x4020301
	s_delay_alu instid0(VALU_DEP_2) | instskip(NEXT) | instid1(VALU_DEP_1)
	v_cvt_f32_i32_e32 v5, v89
	v_fmac_f32_e32 v9, v88, v5
	v_or_b32_e32 v5, s11, v127
	s_delay_alu instid0(VALU_DEP_2) | instskip(NEXT) | instid1(VALU_DEP_2)
	v_fmac_f32_e32 v181, v189, v9
	v_lshlrev_b32_e32 v9, 2, v5
	v_lshrrev_b32_e32 v5, 1, v5
	ds_load_b128 v[240:243], v9 offset:33280
	ds_load_b128 v[244:247], v9 offset:33296
	;; [unrolled: 1-line block ×4, first 2 shown]
	ds_load_b64 v[87:88], v5 offset:43584
	s_wait_dscnt 0x4
	v_perm_b32 v44, v242, v241, 0x7060403
	s_wait_dscnt 0x3
	v_perm_b32 v3, v245, v244, 0x6040503
	s_wait_dscnt 0x2
	v_bfe_i32 v5, v250, 8, 8
	v_bfe_i32 v9, v248, 8, 8
	;; [unrolled: 1-line block ×3, first 2 shown]
	v_ashrrev_i32_e32 v90, 24, v250
	v_perm_b32 v1, v251, v251, 0x3020001
	v_mul_i32_i24_e32 v5, v5, v225
	s_wait_dscnt 0x1
	v_perm_b32 v232, v254, v254, 0xc0c0c01
	v_mul_i32_i24_e32 v89, v227, v89
	v_mul_i32_i24_e32 v90, v226, v90
	v_perm_b32 v231, v252, v68, 0x6040503
	v_mad_i32_i24 v5, v228, v9, v5
	v_perm_b32 v9, v249, v248, 0x5030200
	v_or_b32_e32 v232, v234, v232
	v_perm_b32 v80, v253, v252, 0x6040503
	v_perm_b32 v253, v254, v253, 0x7060403
	;; [unrolled: 1-line block ×3, first 2 shown]
	v_dot4_i32_iu8 v5, v237, v9, v5 neg_lo:[1,1,0]
	v_perm_b32 v9, v250, v249, 0x4030200
	v_dot4_i32_iu8 v231, v232, v231, 0 neg_lo:[1,1,0]
	v_perm_b32 v232, v35, v42, 0x7060403
	v_perm_b32 v10, v240, v242, 0x6050401
	s_delay_alu instid0(VALU_DEP_4)
	v_dot4_i32_iu8 v0, v238, v9, v5 neg_lo:[1,1,0]
	v_perm_b32 v9, v41, v242, 0x6050401
	v_perm_b32 v5, v246, v245, 0x7060403
	v_dot4_i32_iu8 v67, v80, v235, v231 neg_lo:[1,1,0]
	v_perm_b32 v231, v42, v41, 0x6040503
	v_add3_u32 v0, v0, v89, v90
	v_perm_b32 v89, v248, v250, 0x6040501
	v_perm_b32 v90, v249, v248, 0x6040503
	v_dot4_i32_iu8 v67, v236, v253, v67 neg_lo:[1,1,0]
	s_delay_alu instid0(VALU_DEP_4) | instskip(SKIP_2) | instid1(VALU_DEP_4)
	v_dot4_i32_iu8 v2, v239, v1, v0 neg_lo:[1,1,0]
	v_perm_b32 v0, v244, v39, 0x6050401
	v_perm_b32 v1, v43, v246, 0x6050401
	v_dot4_i32_iu8 v67, v224, v255, v67 neg_lo:[1,1,0]
	s_delay_alu instid0(VALU_DEP_2) | instskip(SKIP_1) | instid1(VALU_DEP_2)
	v_dot4_i32_iu8 v0, v1, v0, 0 neg_lo:[1,1,0]
	v_perm_b32 v1, v240, v35, 0x6050401
	v_dot4_i32_iu8 v0, v229, v3, v0 neg_lo:[1,1,0]
	s_delay_alu instid0(VALU_DEP_2) | instskip(SKIP_2) | instid1(VALU_DEP_4)
	v_dot4_i32_iu8 v1, v9, v1, 0 neg_lo:[1,1,0]
	v_perm_b32 v9, v241, v240, 0x6040503
	v_perm_b32 v241, v244, v246, 0x6050401
	v_dot4_i32_iu8 v0, v230, v5, v0 neg_lo:[1,1,0]
	s_delay_alu instid0(VALU_DEP_3) | instskip(NEXT) | instid1(VALU_DEP_2)
	v_dot4_i32_iu8 v1, v231, v9, v1 neg_lo:[1,1,0]
	v_dot4_i32_iu8 v0, v247, v40, v0 neg_lo:[1,1,0]
	s_delay_alu instid0(VALU_DEP_2) | instskip(NEXT) | instid1(VALU_DEP_2)
	v_dot4_i32_iu8 v1, v232, v44, v1 neg_lo:[1,1,0]
	v_mul_lo_u32 v0, v0, v209
	s_delay_alu instid0(VALU_DEP_2) | instskip(NEXT) | instid1(VALU_DEP_1)
	v_dot4_i32_iu8 v1, v243, v36, v1 neg_lo:[1,1,0]
	v_mad_co_u64_u32 v[0:1], null, v1, v219, v[0:1]
	s_delay_alu instid0(VALU_DEP_1) | instskip(SKIP_1) | instid1(VALU_DEP_1)
	v_cvt_f32_i32_e32 v0, v0
	s_wait_dscnt 0x0
	v_fma_f32 v42, v87, v0, 0
	v_mul_lo_u32 v0, v67, v221
	s_delay_alu instid0(VALU_DEP_1) | instskip(SKIP_2) | instid1(VALU_DEP_3)
	v_mad_co_u64_u32 v[0:1], null, v2, v220, v[0:1]
	v_perm_b32 v2, v252, v254, 0x6040501
	v_dot4_i32_iu8 v1, v10, v65, 0 neg_lo:[1,1,0]
	v_cvt_f32_i32_e32 v0, v0
	s_delay_alu instid0(VALU_DEP_2) | instskip(NEXT) | instid1(VALU_DEP_2)
	v_dot4_i32_iu8 v1, v9, v210, v1 neg_lo:[1,1,0]
	v_fmac_f32_e32 v42, v88, v0
	v_dot4_i32_iu8 v0, v2, v233, 0 neg_lo:[1,1,0]
	s_delay_alu instid0(VALU_DEP_3) | instskip(NEXT) | instid1(VALU_DEP_3)
	v_dot4_i32_iu8 v1, v44, v212, v1 neg_lo:[1,1,0]
	v_fmac_f32_e32 v159, v78, v42
	s_delay_alu instid0(VALU_DEP_3) | instskip(NEXT) | instid1(VALU_DEP_3)
	v_dot4_i32_iu8 v0, v80, v73, v0 neg_lo:[1,1,0]
	v_dot4_i32_iu8 v1, v243, v52, v1 neg_lo:[1,1,0]
	s_delay_alu instid0(VALU_DEP_2) | instskip(NEXT) | instid1(VALU_DEP_1)
	v_dot4_i32_iu8 v0, v253, v222, v0 neg_lo:[1,1,0]
	v_dot4_i32_iu8 v42, v255, v64, v0 neg_lo:[1,1,0]
	;; [unrolled: 1-line block ×3, first 2 shown]
	s_delay_alu instid0(VALU_DEP_1) | instskip(NEXT) | instid1(VALU_DEP_1)
	v_dot4_i32_iu8 v0, v90, v75, v0 neg_lo:[1,1,0]
	v_dot4_i32_iu8 v0, v76, v223, v0 neg_lo:[1,1,0]
	s_delay_alu instid0(VALU_DEP_1) | instskip(SKIP_1) | instid1(VALU_DEP_1)
	v_dot4_i32_iu8 v67, v251, v66, v0 neg_lo:[1,1,0]
	v_dot4_i32_iu8 v0, v241, v63, 0 neg_lo:[1,1,0]
	v_dot4_i32_iu8 v0, v3, v206, v0 neg_lo:[1,1,0]
	s_delay_alu instid0(VALU_DEP_1) | instskip(NEXT) | instid1(VALU_DEP_1)
	v_dot4_i32_iu8 v0, v5, v207, v0 neg_lo:[1,1,0]
	v_dot4_i32_iu8 v0, v247, v54, v0 neg_lo:[1,1,0]
	s_delay_alu instid0(VALU_DEP_1) | instskip(NEXT) | instid1(VALU_DEP_1)
	v_mul_lo_u32 v0, v0, v208
	v_mad_co_u64_u32 v[0:1], null, v1, v213, v[0:1]
	s_delay_alu instid0(VALU_DEP_1) | instskip(NEXT) | instid1(VALU_DEP_1)
	v_cvt_f32_i32_e32 v0, v0
	v_fma_f32 v6, v87, v0, 0
	v_mul_lo_u32 v0, v42, v215
	v_perm_b32 v42, v8, v45, 0x6050401
	s_delay_alu instid0(VALU_DEP_2) | instskip(SKIP_2) | instid1(VALU_DEP_3)
	v_mad_co_u64_u32 v[0:1], null, v67, v214, v[0:1]
	v_perm_b32 v67, v15, v14, 0x6040503
	v_dot4_i32_iu8 v1, v10, v47, 0 neg_lo:[1,1,0]
	v_cvt_f32_i32_e32 v0, v0
	s_delay_alu instid0(VALU_DEP_2) | instskip(NEXT) | instid1(VALU_DEP_2)
	v_dot4_i32_iu8 v1, v9, v201, v1 neg_lo:[1,1,0]
	v_fmac_f32_e32 v6, v88, v0
	v_dot4_i32_iu8 v0, v2, v59, 0 neg_lo:[1,1,0]
	s_delay_alu instid0(VALU_DEP_3) | instskip(NEXT) | instid1(VALU_DEP_3)
	v_dot4_i32_iu8 v1, v44, v202, v1 neg_lo:[1,1,0]
	v_fmac_f32_e32 v170, v187, v6
	s_delay_alu instid0(VALU_DEP_3) | instskip(NEXT) | instid1(VALU_DEP_3)
	v_dot4_i32_iu8 v0, v80, v67, v0 neg_lo:[1,1,0]
	v_dot4_i32_iu8 v1, v243, v48, v1 neg_lo:[1,1,0]
	s_delay_alu instid0(VALU_DEP_2) | instskip(NEXT) | instid1(VALU_DEP_1)
	v_dot4_i32_iu8 v0, v253, v217, v0 neg_lo:[1,1,0]
	v_dot4_i32_iu8 v6, v255, v60, v0 neg_lo:[1,1,0]
	;; [unrolled: 1-line block ×3, first 2 shown]
	s_delay_alu instid0(VALU_DEP_1) | instskip(NEXT) | instid1(VALU_DEP_1)
	v_dot4_i32_iu8 v0, v90, v71, v0 neg_lo:[1,1,0]
	v_dot4_i32_iu8 v0, v76, v218, v0 neg_lo:[1,1,0]
	s_delay_alu instid0(VALU_DEP_1) | instskip(SKIP_1) | instid1(VALU_DEP_1)
	v_dot4_i32_iu8 v14, v251, v62, v0 neg_lo:[1,1,0]
	v_dot4_i32_iu8 v0, v241, v49, 0 neg_lo:[1,1,0]
	;; [unrolled: 1-line block ×3, first 2 shown]
	s_delay_alu instid0(VALU_DEP_1) | instskip(NEXT) | instid1(VALU_DEP_1)
	v_dot4_i32_iu8 v0, v5, v199, v0 neg_lo:[1,1,0]
	v_dot4_i32_iu8 v0, v247, v50, v0 neg_lo:[1,1,0]
	s_delay_alu instid0(VALU_DEP_1) | instskip(NEXT) | instid1(VALU_DEP_1)
	v_mul_lo_u32 v0, v0, v200
	v_mad_co_u64_u32 v[0:1], null, v1, v203, v[0:1]
	s_delay_alu instid0(VALU_DEP_1) | instskip(NEXT) | instid1(VALU_DEP_1)
	v_cvt_f32_i32_e32 v0, v0
	v_fma_f32 v7, v87, v0, 0
	v_mul_lo_u32 v0, v6, v205
	s_delay_alu instid0(VALU_DEP_1) | instskip(SKIP_1) | instid1(VALU_DEP_1)
	v_mad_co_u64_u32 v[0:1], null, v14, v204, v[0:1]
	v_dot4_i32_iu8 v1, v10, v37, 0 neg_lo:[1,1,0]
	v_dot4_i32_iu8 v1, v9, v194, v1 neg_lo:[1,1,0]
	s_delay_alu instid0(VALU_DEP_3) | instskip(NEXT) | instid1(VALU_DEP_2)
	v_cvt_f32_i32_e32 v0, v0
	v_dot4_i32_iu8 v1, v44, v193, v1 neg_lo:[1,1,0]
	s_delay_alu instid0(VALU_DEP_2) | instskip(SKIP_1) | instid1(VALU_DEP_3)
	v_fmac_f32_e32 v7, v88, v0
	v_dot4_i32_iu8 v0, v2, v51, 0 neg_lo:[1,1,0]
	v_dot4_i32_iu8 v1, v243, v38, v1 neg_lo:[1,1,0]
	s_delay_alu instid0(VALU_DEP_3) | instskip(NEXT) | instid1(VALU_DEP_3)
	v_fmac_f32_e32 v176, v188, v7
	v_dot4_i32_iu8 v0, v80, v53, v0 neg_lo:[1,1,0]
	s_delay_alu instid0(VALU_DEP_1) | instskip(NEXT) | instid1(VALU_DEP_1)
	v_dot4_i32_iu8 v0, v253, v211, v0 neg_lo:[1,1,0]
	v_dot4_i32_iu8 v2, v255, v56, v0 neg_lo:[1,1,0]
	v_dot4_i32_iu8 v0, v89, v55, 0 neg_lo:[1,1,0]
	s_delay_alu instid0(VALU_DEP_1) | instskip(NEXT) | instid1(VALU_DEP_1)
	v_dot4_i32_iu8 v0, v90, v57, v0 neg_lo:[1,1,0]
	v_dot4_i32_iu8 v0, v76, v216, v0 neg_lo:[1,1,0]
	s_delay_alu instid0(VALU_DEP_1) | instskip(SKIP_1) | instid1(VALU_DEP_1)
	v_dot4_i32_iu8 v6, v251, v58, v0 neg_lo:[1,1,0]
	v_dot4_i32_iu8 v0, v241, v42, 0 neg_lo:[1,1,0]
	v_dot4_i32_iu8 v0, v3, v197, v0 neg_lo:[1,1,0]
	s_delay_alu instid0(VALU_DEP_1) | instskip(NEXT) | instid1(VALU_DEP_1)
	v_dot4_i32_iu8 v0, v5, v196, v0 neg_lo:[1,1,0]
	v_dot4_i32_iu8 v0, v247, v46, v0 neg_lo:[1,1,0]
	s_delay_alu instid0(VALU_DEP_1) | instskip(NEXT) | instid1(VALU_DEP_1)
	v_mul_lo_u32 v0, v0, v195
	v_mad_co_u64_u32 v[0:1], null, v1, v191, v[0:1]
	s_delay_alu instid0(VALU_DEP_1) | instskip(NEXT) | instid1(VALU_DEP_1)
	v_cvt_f32_i32_e32 v0, v0
	v_fma_f32 v3, v87, v0, 0
	v_mul_lo_u32 v0, v2, v192
	s_delay_alu instid0(VALU_DEP_1) | instskip(NEXT) | instid1(VALU_DEP_1)
	v_mad_co_u64_u32 v[0:1], null, v6, v190, v[0:1]
	v_cvt_f32_i32_e32 v0, v0
	s_delay_alu instid0(VALU_DEP_1) | instskip(SKIP_1) | instid1(VALU_DEP_2)
	v_fmac_f32_e32 v3, v88, v0
	v_or_b32_e32 v0, s11, v128
	v_fmac_f32_e32 v180, v189, v3
	s_delay_alu instid0(VALU_DEP_2)
	v_lshlrev_b32_e32 v12, 2, v0
	v_lshrrev_b32_e32 v44, 1, v0
	ds_load_b128 v[0:3], v12 offset:33280
	ds_load_b128 v[4:7], v12 offset:33296
	;; [unrolled: 1-line block ×4, first 2 shown]
	ds_load_b64 v[44:45], v44 offset:43584
	s_wait_dscnt 0x4
	v_perm_b32 v89, v1, v0, 0x6040503
	s_wait_dscnt 0x3
	v_perm_b32 v88, v6, v5, 0x7060403
	s_wait_dscnt 0x2
	v_bfe_i32 v69, v10, 8, 8
	v_bfe_i32 v70, v8, 8, 8
	;; [unrolled: 1-line block ×3, first 2 shown]
	v_ashrrev_i32_e32 v76, 24, v10
	s_wait_dscnt 0x1
	v_perm_b32 v87, v14, v14, 0xc0c0c01
	v_mul_i32_i24_e32 v69, v69, v225
	v_perm_b32 v90, v2, v1, 0x7060403
	v_mul_i32_i24_e32 v72, v227, v72
	v_mul_i32_i24_e32 v76, v226, v76
	v_perm_b32 v80, v12, v68, 0x6040503
	v_mad_i32_i24 v69, v228, v70, v69
	v_perm_b32 v70, v9, v8, 0x5030200
	v_or_b32_e32 v87, v234, v87
	s_delay_alu instid0(VALU_DEP_2) | instskip(SKIP_1) | instid1(VALU_DEP_3)
	v_dot4_i32_iu8 v69, v237, v70, v69 neg_lo:[1,1,0]
	v_perm_b32 v70, v10, v9, 0x4030200
	v_dot4_i32_iu8 v80, v87, v80, 0 neg_lo:[1,1,0]
	v_perm_b32 v87, v13, v12, 0x6040503
	v_perm_b32 v13, v14, v13, 0x7060403
	s_delay_alu instid0(VALU_DEP_4) | instskip(SKIP_1) | instid1(VALU_DEP_4)
	v_dot4_i32_iu8 v69, v238, v70, v69 neg_lo:[1,1,0]
	v_perm_b32 v70, v11, v11, 0x3020001
	v_dot4_i32_iu8 v80, v87, v235, v80 neg_lo:[1,1,0]
	s_delay_alu instid0(VALU_DEP_3) | instskip(SKIP_1) | instid1(VALU_DEP_3)
	v_add3_u32 v69, v69, v72, v76
	v_perm_b32 v76, v5, v4, 0x6040503
	v_dot4_i32_iu8 v80, v236, v13, v80 neg_lo:[1,1,0]
	s_delay_alu instid0(VALU_DEP_3) | instskip(SKIP_2) | instid1(VALU_DEP_4)
	v_dot4_i32_iu8 v72, v239, v70, v69 neg_lo:[1,1,0]
	v_perm_b32 v69, v4, v39, 0x6050401
	v_perm_b32 v70, v43, v6, 0x6050401
	v_dot4_i32_iu8 v80, v224, v15, v80 neg_lo:[1,1,0]
	v_perm_b32 v4, v4, v6, 0x6050401
	s_delay_alu instid0(VALU_DEP_3) | instskip(SKIP_1) | instid1(VALU_DEP_2)
	v_dot4_i32_iu8 v69, v70, v69, 0 neg_lo:[1,1,0]
	v_perm_b32 v70, v41, v2, 0x6050401
	v_dot4_i32_iu8 v69, v229, v76, v69 neg_lo:[1,1,0]
	s_delay_alu instid0(VALU_DEP_1) | instskip(SKIP_1) | instid1(VALU_DEP_2)
	v_dot4_i32_iu8 v5, v230, v88, v69 neg_lo:[1,1,0]
	v_perm_b32 v69, v0, v35, 0x6050401
	v_dot4_i32_iu8 v5, v7, v40, v5 neg_lo:[1,1,0]
	s_delay_alu instid0(VALU_DEP_2) | instskip(NEXT) | instid1(VALU_DEP_2)
	v_dot4_i32_iu8 v69, v70, v69, 0 neg_lo:[1,1,0]
	v_mul_lo_u32 v5, v5, v209
	s_delay_alu instid0(VALU_DEP_2) | instskip(NEXT) | instid1(VALU_DEP_1)
	v_dot4_i32_iu8 v69, v231, v89, v69 neg_lo:[1,1,0]
	v_dot4_i32_iu8 v1, v232, v90, v69 neg_lo:[1,1,0]
	s_delay_alu instid0(VALU_DEP_1) | instskip(NEXT) | instid1(VALU_DEP_1)
	v_dot4_i32_iu8 v1, v3, v36, v1 neg_lo:[1,1,0]
	v_mad_co_u64_u32 v[69:70], null, v1, v219, v[5:6]
	s_delay_alu instid0(VALU_DEP_1) | instskip(SKIP_1) | instid1(VALU_DEP_1)
	v_cvt_f32_i32_e32 v1, v69
	s_wait_dscnt 0x0
	v_fma_f32 v5, v44, v1, 0
	v_mul_lo_u32 v1, v80, v221
	s_delay_alu instid0(VALU_DEP_1) | instskip(SKIP_1) | instid1(VALU_DEP_1)
	v_mad_co_u64_u32 v[69:70], null, v72, v220, v[1:2]
	v_perm_b32 v2, v0, v2, 0x6050401
	v_dot4_i32_iu8 v0, v2, v65, 0 neg_lo:[1,1,0]
	s_delay_alu instid0(VALU_DEP_3) | instskip(NEXT) | instid1(VALU_DEP_2)
	v_cvt_f32_i32_e32 v1, v69
	v_dot4_i32_iu8 v0, v89, v210, v0 neg_lo:[1,1,0]
	s_delay_alu instid0(VALU_DEP_2) | instskip(NEXT) | instid1(VALU_DEP_2)
	v_fmac_f32_e32 v5, v45, v1
	v_dot4_i32_iu8 v0, v90, v212, v0 neg_lo:[1,1,0]
	s_delay_alu instid0(VALU_DEP_2)
	v_fmac_f32_e32 v153, v78, v5
	v_perm_b32 v5, v12, v14, 0x6040501
	v_perm_b32 v14, v8, v10, 0x6040501
	;; [unrolled: 1-line block ×4, first 2 shown]
	v_dot4_i32_iu8 v0, v3, v52, v0 neg_lo:[1,1,0]
	v_dot4_i32_iu8 v1, v5, v233, 0 neg_lo:[1,1,0]
	s_delay_alu instid0(VALU_DEP_1) | instskip(NEXT) | instid1(VALU_DEP_1)
	v_dot4_i32_iu8 v1, v87, v73, v1 neg_lo:[1,1,0]
	v_dot4_i32_iu8 v1, v13, v222, v1 neg_lo:[1,1,0]
	s_delay_alu instid0(VALU_DEP_1) | instskip(SKIP_1) | instid1(VALU_DEP_1)
	v_dot4_i32_iu8 v12, v15, v64, v1 neg_lo:[1,1,0]
	v_dot4_i32_iu8 v1, v14, v74, 0 neg_lo:[1,1,0]
	;; [unrolled: 1-line block ×3, first 2 shown]
	s_delay_alu instid0(VALU_DEP_1) | instskip(NEXT) | instid1(VALU_DEP_1)
	v_dot4_i32_iu8 v1, v9, v223, v1 neg_lo:[1,1,0]
	v_dot4_i32_iu8 v10, v11, v66, v1 neg_lo:[1,1,0]
	;; [unrolled: 1-line block ×3, first 2 shown]
	s_delay_alu instid0(VALU_DEP_1) | instskip(NEXT) | instid1(VALU_DEP_1)
	v_dot4_i32_iu8 v1, v76, v206, v1 neg_lo:[1,1,0]
	v_dot4_i32_iu8 v1, v88, v207, v1 neg_lo:[1,1,0]
	s_delay_alu instid0(VALU_DEP_1) | instskip(NEXT) | instid1(VALU_DEP_1)
	v_dot4_i32_iu8 v1, v7, v54, v1 neg_lo:[1,1,0]
	v_mul_lo_u32 v1, v1, v208
	s_delay_alu instid0(VALU_DEP_1) | instskip(NEXT) | instid1(VALU_DEP_1)
	v_mad_co_u64_u32 v[0:1], null, v0, v213, v[1:2]
	v_cvt_f32_i32_e32 v0, v0
	s_delay_alu instid0(VALU_DEP_1) | instskip(SKIP_1) | instid1(VALU_DEP_1)
	v_fma_f32 v6, v44, v0, 0
	v_mul_lo_u32 v0, v12, v215
	v_mad_co_u64_u32 v[0:1], null, v10, v214, v[0:1]
	v_dot4_i32_iu8 v1, v2, v47, 0 neg_lo:[1,1,0]
	s_delay_alu instid0(VALU_DEP_1) | instskip(NEXT) | instid1(VALU_DEP_3)
	v_dot4_i32_iu8 v1, v89, v201, v1 neg_lo:[1,1,0]
	v_cvt_f32_i32_e32 v0, v0
	s_delay_alu instid0(VALU_DEP_2) | instskip(NEXT) | instid1(VALU_DEP_2)
	v_dot4_i32_iu8 v1, v90, v202, v1 neg_lo:[1,1,0]
	v_fmac_f32_e32 v6, v45, v0
	v_dot4_i32_iu8 v0, v5, v59, 0 neg_lo:[1,1,0]
	s_delay_alu instid0(VALU_DEP_3) | instskip(NEXT) | instid1(VALU_DEP_3)
	v_dot4_i32_iu8 v1, v3, v48, v1 neg_lo:[1,1,0]
	v_fmac_f32_e32 v167, v187, v6
	s_delay_alu instid0(VALU_DEP_3) | instskip(NEXT) | instid1(VALU_DEP_1)
	v_dot4_i32_iu8 v0, v87, v67, v0 neg_lo:[1,1,0]
	v_dot4_i32_iu8 v0, v13, v217, v0 neg_lo:[1,1,0]
	s_delay_alu instid0(VALU_DEP_1) | instskip(SKIP_1) | instid1(VALU_DEP_1)
	v_dot4_i32_iu8 v6, v15, v60, v0 neg_lo:[1,1,0]
	v_dot4_i32_iu8 v0, v14, v61, 0 neg_lo:[1,1,0]
	;; [unrolled: 1-line block ×3, first 2 shown]
	s_delay_alu instid0(VALU_DEP_1) | instskip(NEXT) | instid1(VALU_DEP_1)
	v_dot4_i32_iu8 v0, v9, v218, v0 neg_lo:[1,1,0]
	v_dot4_i32_iu8 v10, v11, v62, v0 neg_lo:[1,1,0]
	v_dot4_i32_iu8 v0, v4, v49, 0 neg_lo:[1,1,0]
	s_delay_alu instid0(VALU_DEP_1) | instskip(NEXT) | instid1(VALU_DEP_1)
	v_dot4_i32_iu8 v0, v76, v198, v0 neg_lo:[1,1,0]
	v_dot4_i32_iu8 v0, v88, v199, v0 neg_lo:[1,1,0]
	s_delay_alu instid0(VALU_DEP_1) | instskip(NEXT) | instid1(VALU_DEP_1)
	v_dot4_i32_iu8 v0, v7, v50, v0 neg_lo:[1,1,0]
	v_mul_lo_u32 v0, v0, v200
	s_delay_alu instid0(VALU_DEP_1) | instskip(NEXT) | instid1(VALU_DEP_1)
	v_mad_co_u64_u32 v[0:1], null, v1, v203, v[0:1]
	v_cvt_f32_i32_e32 v0, v0
	s_delay_alu instid0(VALU_DEP_1) | instskip(SKIP_1) | instid1(VALU_DEP_1)
	v_fma_f32 v12, v44, v0, 0
	v_mul_lo_u32 v0, v6, v205
	v_mad_co_u64_u32 v[0:1], null, v10, v204, v[0:1]
	v_dot4_i32_iu8 v1, v2, v37, 0 neg_lo:[1,1,0]
	s_delay_alu instid0(VALU_DEP_1) | instskip(NEXT) | instid1(VALU_DEP_3)
	v_dot4_i32_iu8 v1, v89, v194, v1 neg_lo:[1,1,0]
	v_cvt_f32_i32_e32 v0, v0
	s_delay_alu instid0(VALU_DEP_2) | instskip(NEXT) | instid1(VALU_DEP_2)
	v_dot4_i32_iu8 v1, v90, v193, v1 neg_lo:[1,1,0]
	v_fmac_f32_e32 v12, v45, v0
	v_dot4_i32_iu8 v0, v5, v51, 0 neg_lo:[1,1,0]
	s_delay_alu instid0(VALU_DEP_3) | instskip(NEXT) | instid1(VALU_DEP_3)
	v_dot4_i32_iu8 v1, v3, v38, v1 neg_lo:[1,1,0]
	v_fmac_f32_e32 v174, v188, v12
	s_delay_alu instid0(VALU_DEP_3) | instskip(NEXT) | instid1(VALU_DEP_1)
	v_dot4_i32_iu8 v0, v87, v53, v0 neg_lo:[1,1,0]
	v_dot4_i32_iu8 v0, v13, v211, v0 neg_lo:[1,1,0]
	s_delay_alu instid0(VALU_DEP_1) | instskip(SKIP_1) | instid1(VALU_DEP_1)
	v_dot4_i32_iu8 v5, v15, v56, v0 neg_lo:[1,1,0]
	v_dot4_i32_iu8 v0, v14, v55, 0 neg_lo:[1,1,0]
	;; [unrolled: 1-line block ×3, first 2 shown]
	s_delay_alu instid0(VALU_DEP_1) | instskip(NEXT) | instid1(VALU_DEP_1)
	v_dot4_i32_iu8 v0, v9, v216, v0 neg_lo:[1,1,0]
	v_dot4_i32_iu8 v6, v11, v58, v0 neg_lo:[1,1,0]
	v_dot4_i32_iu8 v0, v4, v42, 0 neg_lo:[1,1,0]
	s_delay_alu instid0(VALU_DEP_1) | instskip(NEXT) | instid1(VALU_DEP_1)
	v_dot4_i32_iu8 v0, v76, v197, v0 neg_lo:[1,1,0]
	v_dot4_i32_iu8 v0, v88, v196, v0 neg_lo:[1,1,0]
	s_delay_alu instid0(VALU_DEP_1) | instskip(NEXT) | instid1(VALU_DEP_1)
	v_dot4_i32_iu8 v0, v7, v46, v0 neg_lo:[1,1,0]
	v_mul_lo_u32 v0, v0, v195
	s_delay_alu instid0(VALU_DEP_1) | instskip(NEXT) | instid1(VALU_DEP_1)
	v_mad_co_u64_u32 v[0:1], null, v1, v191, v[0:1]
	v_cvt_f32_i32_e32 v0, v0
	s_delay_alu instid0(VALU_DEP_1) | instskip(SKIP_1) | instid1(VALU_DEP_1)
	v_fma_f32 v2, v44, v0, 0
	v_mul_lo_u32 v0, v5, v192
	v_mad_co_u64_u32 v[0:1], null, v6, v190, v[0:1]
	s_delay_alu instid0(VALU_DEP_1) | instskip(NEXT) | instid1(VALU_DEP_1)
	v_cvt_f32_i32_e32 v0, v0
	v_fmac_f32_e32 v2, v45, v0
	v_or_b32_e32 v0, s11, v129
	s_delay_alu instid0(VALU_DEP_1)
	v_dual_fmac_f32 v179, v189, v2 :: v_dual_lshlrev_b32 v12, 2, v0
	v_lshrrev_b32_e32 v44, 1, v0
	ds_load_b128 v[0:3], v12 offset:33280
	ds_load_b128 v[4:7], v12 offset:33296
	;; [unrolled: 1-line block ×4, first 2 shown]
	ds_load_b64 v[44:45], v44 offset:43584
	s_wait_dscnt 0x4
	v_perm_b32 v89, v1, v0, 0x6040503
	s_wait_dscnt 0x3
	v_perm_b32 v88, v6, v5, 0x7060403
	s_wait_dscnt 0x2
	v_bfe_i32 v69, v10, 8, 8
	v_bfe_i32 v70, v8, 8, 8
	;; [unrolled: 1-line block ×3, first 2 shown]
	v_ashrrev_i32_e32 v76, 24, v10
	s_wait_dscnt 0x1
	v_perm_b32 v87, v14, v14, 0xc0c0c01
	v_mul_i32_i24_e32 v69, v69, v225
	v_perm_b32 v90, v2, v1, 0x7060403
	v_mul_i32_i24_e32 v72, v227, v72
	v_mul_i32_i24_e32 v76, v226, v76
	v_perm_b32 v80, v12, v68, 0x6040503
	v_mad_i32_i24 v69, v228, v70, v69
	v_perm_b32 v70, v9, v8, 0x5030200
	v_or_b32_e32 v87, v234, v87
	s_delay_alu instid0(VALU_DEP_2) | instskip(SKIP_1) | instid1(VALU_DEP_3)
	v_dot4_i32_iu8 v69, v237, v70, v69 neg_lo:[1,1,0]
	v_perm_b32 v70, v10, v9, 0x4030200
	v_dot4_i32_iu8 v80, v87, v80, 0 neg_lo:[1,1,0]
	v_perm_b32 v87, v13, v12, 0x6040503
	v_perm_b32 v13, v14, v13, 0x7060403
	s_delay_alu instid0(VALU_DEP_4) | instskip(SKIP_1) | instid1(VALU_DEP_4)
	v_dot4_i32_iu8 v69, v238, v70, v69 neg_lo:[1,1,0]
	v_perm_b32 v70, v11, v11, 0x3020001
	v_dot4_i32_iu8 v80, v87, v235, v80 neg_lo:[1,1,0]
	s_delay_alu instid0(VALU_DEP_3) | instskip(SKIP_1) | instid1(VALU_DEP_3)
	v_add3_u32 v69, v69, v72, v76
	v_perm_b32 v76, v5, v4, 0x6040503
	v_dot4_i32_iu8 v80, v236, v13, v80 neg_lo:[1,1,0]
	s_delay_alu instid0(VALU_DEP_3) | instskip(SKIP_2) | instid1(VALU_DEP_4)
	v_dot4_i32_iu8 v72, v239, v70, v69 neg_lo:[1,1,0]
	v_perm_b32 v69, v4, v39, 0x6050401
	v_perm_b32 v70, v43, v6, 0x6050401
	v_dot4_i32_iu8 v80, v224, v15, v80 neg_lo:[1,1,0]
	v_perm_b32 v4, v4, v6, 0x6050401
	s_delay_alu instid0(VALU_DEP_3) | instskip(SKIP_1) | instid1(VALU_DEP_2)
	v_dot4_i32_iu8 v69, v70, v69, 0 neg_lo:[1,1,0]
	v_perm_b32 v70, v41, v2, 0x6050401
	v_dot4_i32_iu8 v69, v229, v76, v69 neg_lo:[1,1,0]
	s_delay_alu instid0(VALU_DEP_1) | instskip(SKIP_1) | instid1(VALU_DEP_2)
	v_dot4_i32_iu8 v5, v230, v88, v69 neg_lo:[1,1,0]
	v_perm_b32 v69, v0, v35, 0x6050401
	v_dot4_i32_iu8 v5, v7, v40, v5 neg_lo:[1,1,0]
	s_delay_alu instid0(VALU_DEP_2) | instskip(NEXT) | instid1(VALU_DEP_2)
	v_dot4_i32_iu8 v69, v70, v69, 0 neg_lo:[1,1,0]
	v_mul_lo_u32 v5, v5, v209
	s_delay_alu instid0(VALU_DEP_2) | instskip(NEXT) | instid1(VALU_DEP_1)
	v_dot4_i32_iu8 v69, v231, v89, v69 neg_lo:[1,1,0]
	v_dot4_i32_iu8 v1, v232, v90, v69 neg_lo:[1,1,0]
	s_delay_alu instid0(VALU_DEP_1) | instskip(NEXT) | instid1(VALU_DEP_1)
	v_dot4_i32_iu8 v1, v3, v36, v1 neg_lo:[1,1,0]
	v_mad_co_u64_u32 v[69:70], null, v1, v219, v[5:6]
	s_delay_alu instid0(VALU_DEP_1) | instskip(SKIP_1) | instid1(VALU_DEP_1)
	v_cvt_f32_i32_e32 v1, v69
	s_wait_dscnt 0x0
	v_fma_f32 v5, v44, v1, 0
	v_mul_lo_u32 v1, v80, v221
	s_delay_alu instid0(VALU_DEP_1) | instskip(SKIP_1) | instid1(VALU_DEP_1)
	v_mad_co_u64_u32 v[69:70], null, v72, v220, v[1:2]
	v_perm_b32 v2, v0, v2, 0x6050401
	v_dot4_i32_iu8 v0, v2, v65, 0 neg_lo:[1,1,0]
	s_delay_alu instid0(VALU_DEP_3) | instskip(NEXT) | instid1(VALU_DEP_2)
	v_cvt_f32_i32_e32 v1, v69
	v_dot4_i32_iu8 v0, v89, v210, v0 neg_lo:[1,1,0]
	s_delay_alu instid0(VALU_DEP_2) | instskip(NEXT) | instid1(VALU_DEP_2)
	v_fmac_f32_e32 v5, v45, v1
	v_dot4_i32_iu8 v0, v90, v212, v0 neg_lo:[1,1,0]
	s_delay_alu instid0(VALU_DEP_2)
	v_fmac_f32_e32 v147, v78, v5
	v_perm_b32 v5, v12, v14, 0x6040501
	v_perm_b32 v14, v8, v10, 0x6040501
	;; [unrolled: 1-line block ×4, first 2 shown]
	v_dot4_i32_iu8 v0, v3, v52, v0 neg_lo:[1,1,0]
	v_dot4_i32_iu8 v1, v5, v233, 0 neg_lo:[1,1,0]
	s_delay_alu instid0(VALU_DEP_1) | instskip(NEXT) | instid1(VALU_DEP_1)
	v_dot4_i32_iu8 v1, v87, v73, v1 neg_lo:[1,1,0]
	v_dot4_i32_iu8 v1, v13, v222, v1 neg_lo:[1,1,0]
	s_delay_alu instid0(VALU_DEP_1) | instskip(SKIP_1) | instid1(VALU_DEP_1)
	v_dot4_i32_iu8 v12, v15, v64, v1 neg_lo:[1,1,0]
	v_dot4_i32_iu8 v1, v14, v74, 0 neg_lo:[1,1,0]
	v_dot4_i32_iu8 v1, v8, v75, v1 neg_lo:[1,1,0]
	s_delay_alu instid0(VALU_DEP_1) | instskip(NEXT) | instid1(VALU_DEP_1)
	v_dot4_i32_iu8 v1, v9, v223, v1 neg_lo:[1,1,0]
	v_dot4_i32_iu8 v10, v11, v66, v1 neg_lo:[1,1,0]
	;; [unrolled: 1-line block ×3, first 2 shown]
	s_delay_alu instid0(VALU_DEP_1) | instskip(NEXT) | instid1(VALU_DEP_1)
	v_dot4_i32_iu8 v1, v76, v206, v1 neg_lo:[1,1,0]
	v_dot4_i32_iu8 v1, v88, v207, v1 neg_lo:[1,1,0]
	s_delay_alu instid0(VALU_DEP_1) | instskip(NEXT) | instid1(VALU_DEP_1)
	v_dot4_i32_iu8 v1, v7, v54, v1 neg_lo:[1,1,0]
	v_mul_lo_u32 v1, v1, v208
	s_delay_alu instid0(VALU_DEP_1) | instskip(NEXT) | instid1(VALU_DEP_1)
	v_mad_co_u64_u32 v[0:1], null, v0, v213, v[1:2]
	v_cvt_f32_i32_e32 v0, v0
	s_delay_alu instid0(VALU_DEP_1) | instskip(SKIP_1) | instid1(VALU_DEP_1)
	v_fma_f32 v6, v44, v0, 0
	v_mul_lo_u32 v0, v12, v215
	v_mad_co_u64_u32 v[0:1], null, v10, v214, v[0:1]
	v_dot4_i32_iu8 v1, v2, v47, 0 neg_lo:[1,1,0]
	s_delay_alu instid0(VALU_DEP_1) | instskip(NEXT) | instid1(VALU_DEP_3)
	v_dot4_i32_iu8 v1, v89, v201, v1 neg_lo:[1,1,0]
	v_cvt_f32_i32_e32 v0, v0
	s_delay_alu instid0(VALU_DEP_2) | instskip(NEXT) | instid1(VALU_DEP_2)
	v_dot4_i32_iu8 v1, v90, v202, v1 neg_lo:[1,1,0]
	v_fmac_f32_e32 v6, v45, v0
	v_dot4_i32_iu8 v0, v5, v59, 0 neg_lo:[1,1,0]
	s_delay_alu instid0(VALU_DEP_3) | instskip(NEXT) | instid1(VALU_DEP_3)
	v_dot4_i32_iu8 v1, v3, v48, v1 neg_lo:[1,1,0]
	v_fmac_f32_e32 v161, v187, v6
	s_delay_alu instid0(VALU_DEP_3) | instskip(NEXT) | instid1(VALU_DEP_1)
	v_dot4_i32_iu8 v0, v87, v67, v0 neg_lo:[1,1,0]
	v_dot4_i32_iu8 v0, v13, v217, v0 neg_lo:[1,1,0]
	s_delay_alu instid0(VALU_DEP_1) | instskip(SKIP_1) | instid1(VALU_DEP_1)
	v_dot4_i32_iu8 v6, v15, v60, v0 neg_lo:[1,1,0]
	v_dot4_i32_iu8 v0, v14, v61, 0 neg_lo:[1,1,0]
	;; [unrolled: 1-line block ×3, first 2 shown]
	s_delay_alu instid0(VALU_DEP_1) | instskip(NEXT) | instid1(VALU_DEP_1)
	v_dot4_i32_iu8 v0, v9, v218, v0 neg_lo:[1,1,0]
	v_dot4_i32_iu8 v10, v11, v62, v0 neg_lo:[1,1,0]
	;; [unrolled: 1-line block ×3, first 2 shown]
	s_delay_alu instid0(VALU_DEP_1) | instskip(NEXT) | instid1(VALU_DEP_1)
	v_dot4_i32_iu8 v0, v76, v198, v0 neg_lo:[1,1,0]
	v_dot4_i32_iu8 v0, v88, v199, v0 neg_lo:[1,1,0]
	s_delay_alu instid0(VALU_DEP_1) | instskip(NEXT) | instid1(VALU_DEP_1)
	v_dot4_i32_iu8 v0, v7, v50, v0 neg_lo:[1,1,0]
	v_mul_lo_u32 v0, v0, v200
	s_delay_alu instid0(VALU_DEP_1) | instskip(NEXT) | instid1(VALU_DEP_1)
	v_mad_co_u64_u32 v[0:1], null, v1, v203, v[0:1]
	v_cvt_f32_i32_e32 v0, v0
	s_delay_alu instid0(VALU_DEP_1) | instskip(SKIP_1) | instid1(VALU_DEP_1)
	v_fma_f32 v12, v44, v0, 0
	v_mul_lo_u32 v0, v6, v205
	v_mad_co_u64_u32 v[0:1], null, v10, v204, v[0:1]
	v_dot4_i32_iu8 v1, v2, v37, 0 neg_lo:[1,1,0]
	s_delay_alu instid0(VALU_DEP_1) | instskip(NEXT) | instid1(VALU_DEP_3)
	v_dot4_i32_iu8 v1, v89, v194, v1 neg_lo:[1,1,0]
	v_cvt_f32_i32_e32 v0, v0
	s_delay_alu instid0(VALU_DEP_2) | instskip(NEXT) | instid1(VALU_DEP_2)
	v_dot4_i32_iu8 v1, v90, v193, v1 neg_lo:[1,1,0]
	v_fmac_f32_e32 v12, v45, v0
	v_dot4_i32_iu8 v0, v5, v51, 0 neg_lo:[1,1,0]
	s_delay_alu instid0(VALU_DEP_3) | instskip(NEXT) | instid1(VALU_DEP_3)
	v_dot4_i32_iu8 v1, v3, v38, v1 neg_lo:[1,1,0]
	v_fmac_f32_e32 v171, v188, v12
	s_delay_alu instid0(VALU_DEP_3) | instskip(NEXT) | instid1(VALU_DEP_1)
	v_dot4_i32_iu8 v0, v87, v53, v0 neg_lo:[1,1,0]
	v_dot4_i32_iu8 v0, v13, v211, v0 neg_lo:[1,1,0]
	s_delay_alu instid0(VALU_DEP_1) | instskip(SKIP_1) | instid1(VALU_DEP_1)
	v_dot4_i32_iu8 v5, v15, v56, v0 neg_lo:[1,1,0]
	v_dot4_i32_iu8 v0, v14, v55, 0 neg_lo:[1,1,0]
	;; [unrolled: 1-line block ×3, first 2 shown]
	s_delay_alu instid0(VALU_DEP_1) | instskip(NEXT) | instid1(VALU_DEP_1)
	v_dot4_i32_iu8 v0, v9, v216, v0 neg_lo:[1,1,0]
	v_dot4_i32_iu8 v6, v11, v58, v0 neg_lo:[1,1,0]
	;; [unrolled: 1-line block ×3, first 2 shown]
	s_delay_alu instid0(VALU_DEP_1) | instskip(NEXT) | instid1(VALU_DEP_1)
	v_dot4_i32_iu8 v0, v76, v197, v0 neg_lo:[1,1,0]
	v_dot4_i32_iu8 v0, v88, v196, v0 neg_lo:[1,1,0]
	s_delay_alu instid0(VALU_DEP_1) | instskip(NEXT) | instid1(VALU_DEP_1)
	v_dot4_i32_iu8 v0, v7, v46, v0 neg_lo:[1,1,0]
	v_mul_lo_u32 v0, v0, v195
	s_delay_alu instid0(VALU_DEP_1) | instskip(NEXT) | instid1(VALU_DEP_1)
	v_mad_co_u64_u32 v[0:1], null, v1, v191, v[0:1]
	v_cvt_f32_i32_e32 v0, v0
	s_delay_alu instid0(VALU_DEP_1) | instskip(SKIP_1) | instid1(VALU_DEP_1)
	v_fma_f32 v2, v44, v0, 0
	v_mul_lo_u32 v0, v5, v192
	v_mad_co_u64_u32 v[0:1], null, v6, v190, v[0:1]
	s_delay_alu instid0(VALU_DEP_1) | instskip(NEXT) | instid1(VALU_DEP_1)
	v_cvt_f32_i32_e32 v0, v0
	v_fmac_f32_e32 v2, v45, v0
	v_or_b32_e32 v0, s11, v130
	s_delay_alu instid0(VALU_DEP_1)
	v_dual_fmac_f32 v177, v189, v2 :: v_dual_lshlrev_b32 v12, 2, v0
	v_lshrrev_b32_e32 v44, 1, v0
	ds_load_b128 v[0:3], v12 offset:33280
	ds_load_b128 v[4:7], v12 offset:33296
	;; [unrolled: 1-line block ×4, first 2 shown]
	ds_load_b64 v[44:45], v44 offset:43584
	s_wait_dscnt 0x4
	v_perm_b32 v89, v1, v0, 0x6040503
	s_wait_dscnt 0x3
	v_perm_b32 v88, v6, v5, 0x7060403
	s_wait_dscnt 0x2
	v_bfe_i32 v69, v10, 8, 8
	v_bfe_i32 v70, v8, 8, 8
	;; [unrolled: 1-line block ×3, first 2 shown]
	v_ashrrev_i32_e32 v76, 24, v10
	s_wait_dscnt 0x1
	v_perm_b32 v87, v14, v14, 0xc0c0c01
	v_mul_i32_i24_e32 v69, v69, v225
	v_perm_b32 v90, v2, v1, 0x7060403
	v_mul_i32_i24_e32 v72, v227, v72
	v_mul_i32_i24_e32 v76, v226, v76
	v_perm_b32 v80, v12, v68, 0x6040503
	v_mad_i32_i24 v69, v228, v70, v69
	v_perm_b32 v70, v9, v8, 0x5030200
	v_or_b32_e32 v87, v234, v87
	s_delay_alu instid0(VALU_DEP_2) | instskip(SKIP_1) | instid1(VALU_DEP_3)
	v_dot4_i32_iu8 v69, v237, v70, v69 neg_lo:[1,1,0]
	v_perm_b32 v70, v10, v9, 0x4030200
	v_dot4_i32_iu8 v80, v87, v80, 0 neg_lo:[1,1,0]
	v_perm_b32 v87, v13, v12, 0x6040503
	v_perm_b32 v13, v14, v13, 0x7060403
	s_delay_alu instid0(VALU_DEP_4) | instskip(SKIP_1) | instid1(VALU_DEP_4)
	v_dot4_i32_iu8 v69, v238, v70, v69 neg_lo:[1,1,0]
	v_perm_b32 v70, v11, v11, 0x3020001
	v_dot4_i32_iu8 v80, v87, v235, v80 neg_lo:[1,1,0]
	s_delay_alu instid0(VALU_DEP_3) | instskip(SKIP_1) | instid1(VALU_DEP_3)
	v_add3_u32 v69, v69, v72, v76
	v_perm_b32 v76, v5, v4, 0x6040503
	v_dot4_i32_iu8 v80, v236, v13, v80 neg_lo:[1,1,0]
	s_delay_alu instid0(VALU_DEP_3) | instskip(SKIP_2) | instid1(VALU_DEP_4)
	v_dot4_i32_iu8 v72, v239, v70, v69 neg_lo:[1,1,0]
	v_perm_b32 v69, v4, v39, 0x6050401
	v_perm_b32 v70, v43, v6, 0x6050401
	v_dot4_i32_iu8 v80, v224, v15, v80 neg_lo:[1,1,0]
	v_perm_b32 v4, v4, v6, 0x6050401
	s_delay_alu instid0(VALU_DEP_3) | instskip(SKIP_1) | instid1(VALU_DEP_2)
	v_dot4_i32_iu8 v69, v70, v69, 0 neg_lo:[1,1,0]
	v_perm_b32 v70, v41, v2, 0x6050401
	v_dot4_i32_iu8 v69, v229, v76, v69 neg_lo:[1,1,0]
	s_delay_alu instid0(VALU_DEP_1) | instskip(SKIP_1) | instid1(VALU_DEP_2)
	v_dot4_i32_iu8 v5, v230, v88, v69 neg_lo:[1,1,0]
	v_perm_b32 v69, v0, v35, 0x6050401
	v_dot4_i32_iu8 v5, v7, v40, v5 neg_lo:[1,1,0]
	s_delay_alu instid0(VALU_DEP_2) | instskip(NEXT) | instid1(VALU_DEP_2)
	v_dot4_i32_iu8 v69, v70, v69, 0 neg_lo:[1,1,0]
	v_mul_lo_u32 v5, v5, v209
	s_delay_alu instid0(VALU_DEP_2) | instskip(NEXT) | instid1(VALU_DEP_1)
	v_dot4_i32_iu8 v69, v231, v89, v69 neg_lo:[1,1,0]
	v_dot4_i32_iu8 v1, v232, v90, v69 neg_lo:[1,1,0]
	s_delay_alu instid0(VALU_DEP_1) | instskip(NEXT) | instid1(VALU_DEP_1)
	v_dot4_i32_iu8 v1, v3, v36, v1 neg_lo:[1,1,0]
	v_mad_co_u64_u32 v[69:70], null, v1, v219, v[5:6]
	s_delay_alu instid0(VALU_DEP_1) | instskip(SKIP_1) | instid1(VALU_DEP_1)
	v_cvt_f32_i32_e32 v1, v69
	s_wait_dscnt 0x0
	v_fma_f32 v5, v44, v1, 0
	v_mul_lo_u32 v1, v80, v221
	s_delay_alu instid0(VALU_DEP_1) | instskip(SKIP_1) | instid1(VALU_DEP_1)
	v_mad_co_u64_u32 v[69:70], null, v72, v220, v[1:2]
	v_perm_b32 v2, v0, v2, 0x6050401
	v_dot4_i32_iu8 v0, v2, v65, 0 neg_lo:[1,1,0]
	s_delay_alu instid0(VALU_DEP_3) | instskip(NEXT) | instid1(VALU_DEP_2)
	v_cvt_f32_i32_e32 v1, v69
	v_dot4_i32_iu8 v0, v89, v210, v0 neg_lo:[1,1,0]
	s_delay_alu instid0(VALU_DEP_2) | instskip(NEXT) | instid1(VALU_DEP_2)
	v_fmac_f32_e32 v5, v45, v1
	v_dot4_i32_iu8 v0, v90, v212, v0 neg_lo:[1,1,0]
	s_delay_alu instid0(VALU_DEP_2)
	v_fmac_f32_e32 v145, v78, v5
	v_perm_b32 v5, v12, v14, 0x6040501
	v_perm_b32 v14, v8, v10, 0x6040501
	;; [unrolled: 1-line block ×4, first 2 shown]
	v_dot4_i32_iu8 v0, v3, v52, v0 neg_lo:[1,1,0]
	v_dot4_i32_iu8 v1, v5, v233, 0 neg_lo:[1,1,0]
	s_delay_alu instid0(VALU_DEP_1) | instskip(NEXT) | instid1(VALU_DEP_1)
	v_dot4_i32_iu8 v1, v87, v73, v1 neg_lo:[1,1,0]
	v_dot4_i32_iu8 v1, v13, v222, v1 neg_lo:[1,1,0]
	s_delay_alu instid0(VALU_DEP_1) | instskip(SKIP_1) | instid1(VALU_DEP_1)
	v_dot4_i32_iu8 v12, v15, v64, v1 neg_lo:[1,1,0]
	v_dot4_i32_iu8 v1, v14, v74, 0 neg_lo:[1,1,0]
	v_dot4_i32_iu8 v1, v8, v75, v1 neg_lo:[1,1,0]
	s_delay_alu instid0(VALU_DEP_1) | instskip(NEXT) | instid1(VALU_DEP_1)
	v_dot4_i32_iu8 v1, v9, v223, v1 neg_lo:[1,1,0]
	v_dot4_i32_iu8 v10, v11, v66, v1 neg_lo:[1,1,0]
	;; [unrolled: 1-line block ×3, first 2 shown]
	s_delay_alu instid0(VALU_DEP_1) | instskip(NEXT) | instid1(VALU_DEP_1)
	v_dot4_i32_iu8 v1, v76, v206, v1 neg_lo:[1,1,0]
	v_dot4_i32_iu8 v1, v88, v207, v1 neg_lo:[1,1,0]
	s_delay_alu instid0(VALU_DEP_1) | instskip(NEXT) | instid1(VALU_DEP_1)
	v_dot4_i32_iu8 v1, v7, v54, v1 neg_lo:[1,1,0]
	v_mul_lo_u32 v1, v1, v208
	s_delay_alu instid0(VALU_DEP_1) | instskip(NEXT) | instid1(VALU_DEP_1)
	v_mad_co_u64_u32 v[0:1], null, v0, v213, v[1:2]
	v_cvt_f32_i32_e32 v0, v0
	s_delay_alu instid0(VALU_DEP_1) | instskip(SKIP_1) | instid1(VALU_DEP_1)
	v_fma_f32 v6, v44, v0, 0
	v_mul_lo_u32 v0, v12, v215
	v_mad_co_u64_u32 v[0:1], null, v10, v214, v[0:1]
	v_dot4_i32_iu8 v1, v2, v47, 0 neg_lo:[1,1,0]
	s_delay_alu instid0(VALU_DEP_1) | instskip(NEXT) | instid1(VALU_DEP_3)
	v_dot4_i32_iu8 v1, v89, v201, v1 neg_lo:[1,1,0]
	v_cvt_f32_i32_e32 v0, v0
	s_delay_alu instid0(VALU_DEP_2) | instskip(NEXT) | instid1(VALU_DEP_2)
	v_dot4_i32_iu8 v1, v90, v202, v1 neg_lo:[1,1,0]
	v_fmac_f32_e32 v6, v45, v0
	v_dot4_i32_iu8 v0, v5, v59, 0 neg_lo:[1,1,0]
	s_delay_alu instid0(VALU_DEP_3) | instskip(NEXT) | instid1(VALU_DEP_3)
	v_dot4_i32_iu8 v1, v3, v48, v1 neg_lo:[1,1,0]
	v_fmac_f32_e32 v155, v187, v6
	s_delay_alu instid0(VALU_DEP_3) | instskip(NEXT) | instid1(VALU_DEP_1)
	v_dot4_i32_iu8 v0, v87, v67, v0 neg_lo:[1,1,0]
	v_dot4_i32_iu8 v0, v13, v217, v0 neg_lo:[1,1,0]
	s_delay_alu instid0(VALU_DEP_1) | instskip(SKIP_1) | instid1(VALU_DEP_1)
	v_dot4_i32_iu8 v6, v15, v60, v0 neg_lo:[1,1,0]
	v_dot4_i32_iu8 v0, v14, v61, 0 neg_lo:[1,1,0]
	;; [unrolled: 1-line block ×3, first 2 shown]
	s_delay_alu instid0(VALU_DEP_1) | instskip(NEXT) | instid1(VALU_DEP_1)
	v_dot4_i32_iu8 v0, v9, v218, v0 neg_lo:[1,1,0]
	v_dot4_i32_iu8 v10, v11, v62, v0 neg_lo:[1,1,0]
	;; [unrolled: 1-line block ×3, first 2 shown]
	s_delay_alu instid0(VALU_DEP_1) | instskip(NEXT) | instid1(VALU_DEP_1)
	v_dot4_i32_iu8 v0, v76, v198, v0 neg_lo:[1,1,0]
	v_dot4_i32_iu8 v0, v88, v199, v0 neg_lo:[1,1,0]
	s_delay_alu instid0(VALU_DEP_1) | instskip(NEXT) | instid1(VALU_DEP_1)
	v_dot4_i32_iu8 v0, v7, v50, v0 neg_lo:[1,1,0]
	v_mul_lo_u32 v0, v0, v200
	s_delay_alu instid0(VALU_DEP_1) | instskip(NEXT) | instid1(VALU_DEP_1)
	v_mad_co_u64_u32 v[0:1], null, v1, v203, v[0:1]
	v_cvt_f32_i32_e32 v0, v0
	s_delay_alu instid0(VALU_DEP_1) | instskip(SKIP_1) | instid1(VALU_DEP_1)
	v_fma_f32 v12, v44, v0, 0
	v_mul_lo_u32 v0, v6, v205
	v_mad_co_u64_u32 v[0:1], null, v10, v204, v[0:1]
	v_dot4_i32_iu8 v1, v2, v37, 0 neg_lo:[1,1,0]
	s_delay_alu instid0(VALU_DEP_1) | instskip(NEXT) | instid1(VALU_DEP_3)
	v_dot4_i32_iu8 v1, v89, v194, v1 neg_lo:[1,1,0]
	v_cvt_f32_i32_e32 v0, v0
	s_delay_alu instid0(VALU_DEP_2) | instskip(NEXT) | instid1(VALU_DEP_2)
	v_dot4_i32_iu8 v1, v90, v193, v1 neg_lo:[1,1,0]
	v_fmac_f32_e32 v12, v45, v0
	v_dot4_i32_iu8 v0, v5, v51, 0 neg_lo:[1,1,0]
	s_delay_alu instid0(VALU_DEP_3) | instskip(NEXT) | instid1(VALU_DEP_3)
	v_dot4_i32_iu8 v1, v3, v38, v1 neg_lo:[1,1,0]
	v_fmac_f32_e32 v168, v188, v12
	s_delay_alu instid0(VALU_DEP_3) | instskip(NEXT) | instid1(VALU_DEP_1)
	v_dot4_i32_iu8 v0, v87, v53, v0 neg_lo:[1,1,0]
	v_dot4_i32_iu8 v0, v13, v211, v0 neg_lo:[1,1,0]
	s_delay_alu instid0(VALU_DEP_1) | instskip(SKIP_1) | instid1(VALU_DEP_1)
	v_dot4_i32_iu8 v5, v15, v56, v0 neg_lo:[1,1,0]
	v_dot4_i32_iu8 v0, v14, v55, 0 neg_lo:[1,1,0]
	;; [unrolled: 1-line block ×3, first 2 shown]
	s_delay_alu instid0(VALU_DEP_1) | instskip(NEXT) | instid1(VALU_DEP_1)
	v_dot4_i32_iu8 v0, v9, v216, v0 neg_lo:[1,1,0]
	v_dot4_i32_iu8 v6, v11, v58, v0 neg_lo:[1,1,0]
	;; [unrolled: 1-line block ×3, first 2 shown]
	s_delay_alu instid0(VALU_DEP_1) | instskip(NEXT) | instid1(VALU_DEP_1)
	v_dot4_i32_iu8 v0, v76, v197, v0 neg_lo:[1,1,0]
	v_dot4_i32_iu8 v0, v88, v196, v0 neg_lo:[1,1,0]
	s_delay_alu instid0(VALU_DEP_1) | instskip(NEXT) | instid1(VALU_DEP_1)
	v_dot4_i32_iu8 v0, v7, v46, v0 neg_lo:[1,1,0]
	v_mul_lo_u32 v0, v0, v195
	s_delay_alu instid0(VALU_DEP_1) | instskip(NEXT) | instid1(VALU_DEP_1)
	v_mad_co_u64_u32 v[0:1], null, v1, v191, v[0:1]
	v_cvt_f32_i32_e32 v0, v0
	s_delay_alu instid0(VALU_DEP_1) | instskip(SKIP_1) | instid1(VALU_DEP_1)
	v_fma_f32 v2, v44, v0, 0
	v_mul_lo_u32 v0, v5, v192
	v_mad_co_u64_u32 v[0:1], null, v6, v190, v[0:1]
	s_delay_alu instid0(VALU_DEP_1) | instskip(NEXT) | instid1(VALU_DEP_1)
	v_cvt_f32_i32_e32 v0, v0
	v_fmac_f32_e32 v2, v45, v0
	v_or_b32_e32 v0, s11, v131
	s_delay_alu instid0(VALU_DEP_1)
	v_dual_fmac_f32 v175, v189, v2 :: v_dual_lshlrev_b32 v12, 2, v0
	v_lshrrev_b32_e32 v44, 1, v0
	ds_load_b128 v[0:3], v12 offset:33280
	ds_load_b128 v[4:7], v12 offset:33296
	;; [unrolled: 1-line block ×4, first 2 shown]
	ds_load_b64 v[44:45], v44 offset:43584
	s_wait_dscnt 0x4
	v_perm_b32 v89, v1, v0, 0x6040503
	s_wait_dscnt 0x3
	v_perm_b32 v88, v6, v5, 0x7060403
	s_wait_dscnt 0x2
	v_bfe_i32 v69, v10, 8, 8
	v_bfe_i32 v70, v8, 8, 8
	;; [unrolled: 1-line block ×3, first 2 shown]
	v_ashrrev_i32_e32 v76, 24, v10
	s_wait_dscnt 0x1
	v_perm_b32 v87, v14, v14, 0xc0c0c01
	v_mul_i32_i24_e32 v69, v69, v225
	v_perm_b32 v90, v2, v1, 0x7060403
	v_mul_i32_i24_e32 v72, v227, v72
	v_mul_i32_i24_e32 v76, v226, v76
	v_perm_b32 v80, v12, v68, 0x6040503
	v_mad_i32_i24 v69, v228, v70, v69
	v_perm_b32 v70, v9, v8, 0x5030200
	v_or_b32_e32 v87, v234, v87
	s_delay_alu instid0(VALU_DEP_2) | instskip(SKIP_1) | instid1(VALU_DEP_3)
	v_dot4_i32_iu8 v69, v237, v70, v69 neg_lo:[1,1,0]
	v_perm_b32 v70, v10, v9, 0x4030200
	v_dot4_i32_iu8 v80, v87, v80, 0 neg_lo:[1,1,0]
	v_perm_b32 v87, v13, v12, 0x6040503
	v_perm_b32 v13, v14, v13, 0x7060403
	s_delay_alu instid0(VALU_DEP_4) | instskip(SKIP_1) | instid1(VALU_DEP_4)
	v_dot4_i32_iu8 v69, v238, v70, v69 neg_lo:[1,1,0]
	v_perm_b32 v70, v11, v11, 0x3020001
	v_dot4_i32_iu8 v80, v87, v235, v80 neg_lo:[1,1,0]
	s_delay_alu instid0(VALU_DEP_3) | instskip(SKIP_1) | instid1(VALU_DEP_3)
	v_add3_u32 v69, v69, v72, v76
	v_perm_b32 v76, v5, v4, 0x6040503
	v_dot4_i32_iu8 v80, v236, v13, v80 neg_lo:[1,1,0]
	s_delay_alu instid0(VALU_DEP_3) | instskip(SKIP_2) | instid1(VALU_DEP_4)
	v_dot4_i32_iu8 v72, v239, v70, v69 neg_lo:[1,1,0]
	v_perm_b32 v69, v4, v39, 0x6050401
	v_perm_b32 v70, v43, v6, 0x6050401
	v_dot4_i32_iu8 v80, v224, v15, v80 neg_lo:[1,1,0]
	v_perm_b32 v4, v4, v6, 0x6050401
	s_delay_alu instid0(VALU_DEP_3) | instskip(SKIP_1) | instid1(VALU_DEP_2)
	v_dot4_i32_iu8 v69, v70, v69, 0 neg_lo:[1,1,0]
	v_perm_b32 v70, v41, v2, 0x6050401
	v_dot4_i32_iu8 v69, v229, v76, v69 neg_lo:[1,1,0]
	s_delay_alu instid0(VALU_DEP_1) | instskip(SKIP_1) | instid1(VALU_DEP_2)
	v_dot4_i32_iu8 v5, v230, v88, v69 neg_lo:[1,1,0]
	v_perm_b32 v69, v0, v35, 0x6050401
	v_dot4_i32_iu8 v5, v7, v40, v5 neg_lo:[1,1,0]
	s_delay_alu instid0(VALU_DEP_2) | instskip(NEXT) | instid1(VALU_DEP_2)
	v_dot4_i32_iu8 v69, v70, v69, 0 neg_lo:[1,1,0]
	v_mul_lo_u32 v5, v5, v209
	s_delay_alu instid0(VALU_DEP_2) | instskip(NEXT) | instid1(VALU_DEP_1)
	v_dot4_i32_iu8 v69, v231, v89, v69 neg_lo:[1,1,0]
	v_dot4_i32_iu8 v1, v232, v90, v69 neg_lo:[1,1,0]
	s_delay_alu instid0(VALU_DEP_1) | instskip(NEXT) | instid1(VALU_DEP_1)
	v_dot4_i32_iu8 v1, v3, v36, v1 neg_lo:[1,1,0]
	v_mad_co_u64_u32 v[69:70], null, v1, v219, v[5:6]
	s_delay_alu instid0(VALU_DEP_1) | instskip(SKIP_1) | instid1(VALU_DEP_1)
	v_cvt_f32_i32_e32 v1, v69
	s_wait_dscnt 0x0
	v_fma_f32 v5, v44, v1, 0
	v_mul_lo_u32 v1, v80, v221
	s_delay_alu instid0(VALU_DEP_1) | instskip(SKIP_1) | instid1(VALU_DEP_1)
	v_mad_co_u64_u32 v[69:70], null, v72, v220, v[1:2]
	v_perm_b32 v2, v0, v2, 0x6050401
	v_dot4_i32_iu8 v0, v2, v65, 0 neg_lo:[1,1,0]
	s_delay_alu instid0(VALU_DEP_3) | instskip(NEXT) | instid1(VALU_DEP_2)
	v_cvt_f32_i32_e32 v1, v69
	v_dot4_i32_iu8 v0, v89, v210, v0 neg_lo:[1,1,0]
	s_delay_alu instid0(VALU_DEP_2) | instskip(NEXT) | instid1(VALU_DEP_2)
	v_fmac_f32_e32 v5, v45, v1
	v_dot4_i32_iu8 v0, v90, v212, v0 neg_lo:[1,1,0]
	s_delay_alu instid0(VALU_DEP_2)
	v_fmac_f32_e32 v141, v78, v5
	v_perm_b32 v5, v12, v14, 0x6040501
	v_perm_b32 v14, v8, v10, 0x6040501
	;; [unrolled: 1-line block ×4, first 2 shown]
	v_dot4_i32_iu8 v0, v3, v52, v0 neg_lo:[1,1,0]
	v_dot4_i32_iu8 v1, v5, v233, 0 neg_lo:[1,1,0]
	s_delay_alu instid0(VALU_DEP_1) | instskip(NEXT) | instid1(VALU_DEP_1)
	v_dot4_i32_iu8 v1, v87, v73, v1 neg_lo:[1,1,0]
	v_dot4_i32_iu8 v1, v13, v222, v1 neg_lo:[1,1,0]
	s_delay_alu instid0(VALU_DEP_1) | instskip(SKIP_1) | instid1(VALU_DEP_1)
	v_dot4_i32_iu8 v12, v15, v64, v1 neg_lo:[1,1,0]
	v_dot4_i32_iu8 v1, v14, v74, 0 neg_lo:[1,1,0]
	;; [unrolled: 1-line block ×3, first 2 shown]
	s_delay_alu instid0(VALU_DEP_1) | instskip(NEXT) | instid1(VALU_DEP_1)
	v_dot4_i32_iu8 v1, v9, v223, v1 neg_lo:[1,1,0]
	v_dot4_i32_iu8 v10, v11, v66, v1 neg_lo:[1,1,0]
	;; [unrolled: 1-line block ×3, first 2 shown]
	s_delay_alu instid0(VALU_DEP_1) | instskip(NEXT) | instid1(VALU_DEP_1)
	v_dot4_i32_iu8 v1, v76, v206, v1 neg_lo:[1,1,0]
	v_dot4_i32_iu8 v1, v88, v207, v1 neg_lo:[1,1,0]
	s_delay_alu instid0(VALU_DEP_1) | instskip(NEXT) | instid1(VALU_DEP_1)
	v_dot4_i32_iu8 v1, v7, v54, v1 neg_lo:[1,1,0]
	v_mul_lo_u32 v1, v1, v208
	s_delay_alu instid0(VALU_DEP_1) | instskip(NEXT) | instid1(VALU_DEP_1)
	v_mad_co_u64_u32 v[0:1], null, v0, v213, v[1:2]
	v_cvt_f32_i32_e32 v0, v0
	s_delay_alu instid0(VALU_DEP_1) | instskip(SKIP_1) | instid1(VALU_DEP_1)
	v_fma_f32 v6, v44, v0, 0
	v_mul_lo_u32 v0, v12, v215
	v_mad_co_u64_u32 v[0:1], null, v10, v214, v[0:1]
	v_dot4_i32_iu8 v1, v2, v47, 0 neg_lo:[1,1,0]
	s_delay_alu instid0(VALU_DEP_1) | instskip(NEXT) | instid1(VALU_DEP_3)
	v_dot4_i32_iu8 v1, v89, v201, v1 neg_lo:[1,1,0]
	v_cvt_f32_i32_e32 v0, v0
	s_delay_alu instid0(VALU_DEP_2) | instskip(NEXT) | instid1(VALU_DEP_2)
	v_dot4_i32_iu8 v1, v90, v202, v1 neg_lo:[1,1,0]
	v_fmac_f32_e32 v6, v45, v0
	v_dot4_i32_iu8 v0, v5, v59, 0 neg_lo:[1,1,0]
	s_delay_alu instid0(VALU_DEP_3) | instskip(NEXT) | instid1(VALU_DEP_3)
	v_dot4_i32_iu8 v1, v3, v48, v1 neg_lo:[1,1,0]
	v_fmac_f32_e32 v149, v187, v6
	s_delay_alu instid0(VALU_DEP_3) | instskip(NEXT) | instid1(VALU_DEP_1)
	v_dot4_i32_iu8 v0, v87, v67, v0 neg_lo:[1,1,0]
	v_dot4_i32_iu8 v0, v13, v217, v0 neg_lo:[1,1,0]
	s_delay_alu instid0(VALU_DEP_1) | instskip(SKIP_1) | instid1(VALU_DEP_1)
	v_dot4_i32_iu8 v6, v15, v60, v0 neg_lo:[1,1,0]
	v_dot4_i32_iu8 v0, v14, v61, 0 neg_lo:[1,1,0]
	;; [unrolled: 1-line block ×3, first 2 shown]
	s_delay_alu instid0(VALU_DEP_1) | instskip(NEXT) | instid1(VALU_DEP_1)
	v_dot4_i32_iu8 v0, v9, v218, v0 neg_lo:[1,1,0]
	v_dot4_i32_iu8 v10, v11, v62, v0 neg_lo:[1,1,0]
	;; [unrolled: 1-line block ×3, first 2 shown]
	s_delay_alu instid0(VALU_DEP_1) | instskip(NEXT) | instid1(VALU_DEP_1)
	v_dot4_i32_iu8 v0, v76, v198, v0 neg_lo:[1,1,0]
	v_dot4_i32_iu8 v0, v88, v199, v0 neg_lo:[1,1,0]
	s_delay_alu instid0(VALU_DEP_1) | instskip(NEXT) | instid1(VALU_DEP_1)
	v_dot4_i32_iu8 v0, v7, v50, v0 neg_lo:[1,1,0]
	v_mul_lo_u32 v0, v0, v200
	s_delay_alu instid0(VALU_DEP_1) | instskip(NEXT) | instid1(VALU_DEP_1)
	v_mad_co_u64_u32 v[0:1], null, v1, v203, v[0:1]
	v_cvt_f32_i32_e32 v0, v0
	s_delay_alu instid0(VALU_DEP_1) | instskip(SKIP_1) | instid1(VALU_DEP_1)
	v_fma_f32 v12, v44, v0, 0
	v_mul_lo_u32 v0, v6, v205
	v_mad_co_u64_u32 v[0:1], null, v10, v204, v[0:1]
	v_dot4_i32_iu8 v1, v2, v37, 0 neg_lo:[1,1,0]
	s_delay_alu instid0(VALU_DEP_1) | instskip(NEXT) | instid1(VALU_DEP_3)
	v_dot4_i32_iu8 v1, v89, v194, v1 neg_lo:[1,1,0]
	v_cvt_f32_i32_e32 v0, v0
	s_delay_alu instid0(VALU_DEP_2) | instskip(NEXT) | instid1(VALU_DEP_2)
	v_dot4_i32_iu8 v1, v90, v193, v1 neg_lo:[1,1,0]
	v_fmac_f32_e32 v12, v45, v0
	v_dot4_i32_iu8 v0, v5, v51, 0 neg_lo:[1,1,0]
	s_delay_alu instid0(VALU_DEP_3) | instskip(NEXT) | instid1(VALU_DEP_3)
	v_dot4_i32_iu8 v1, v3, v38, v1 neg_lo:[1,1,0]
	v_fmac_f32_e32 v163, v188, v12
	s_delay_alu instid0(VALU_DEP_3) | instskip(NEXT) | instid1(VALU_DEP_1)
	v_dot4_i32_iu8 v0, v87, v53, v0 neg_lo:[1,1,0]
	v_dot4_i32_iu8 v0, v13, v211, v0 neg_lo:[1,1,0]
	s_delay_alu instid0(VALU_DEP_1) | instskip(SKIP_1) | instid1(VALU_DEP_1)
	v_dot4_i32_iu8 v5, v15, v56, v0 neg_lo:[1,1,0]
	v_dot4_i32_iu8 v0, v14, v55, 0 neg_lo:[1,1,0]
	;; [unrolled: 1-line block ×3, first 2 shown]
	s_delay_alu instid0(VALU_DEP_1) | instskip(NEXT) | instid1(VALU_DEP_1)
	v_dot4_i32_iu8 v0, v9, v216, v0 neg_lo:[1,1,0]
	v_dot4_i32_iu8 v6, v11, v58, v0 neg_lo:[1,1,0]
	;; [unrolled: 1-line block ×3, first 2 shown]
	s_delay_alu instid0(VALU_DEP_1) | instskip(NEXT) | instid1(VALU_DEP_1)
	v_dot4_i32_iu8 v0, v76, v197, v0 neg_lo:[1,1,0]
	v_dot4_i32_iu8 v0, v88, v196, v0 neg_lo:[1,1,0]
	s_delay_alu instid0(VALU_DEP_1) | instskip(NEXT) | instid1(VALU_DEP_1)
	v_dot4_i32_iu8 v0, v7, v46, v0 neg_lo:[1,1,0]
	v_mul_lo_u32 v0, v0, v195
	s_delay_alu instid0(VALU_DEP_1) | instskip(NEXT) | instid1(VALU_DEP_1)
	v_mad_co_u64_u32 v[0:1], null, v1, v191, v[0:1]
	v_cvt_f32_i32_e32 v0, v0
	s_delay_alu instid0(VALU_DEP_1) | instskip(SKIP_1) | instid1(VALU_DEP_1)
	v_fma_f32 v2, v44, v0, 0
	v_mul_lo_u32 v0, v5, v192
	v_mad_co_u64_u32 v[0:1], null, v6, v190, v[0:1]
	s_delay_alu instid0(VALU_DEP_1) | instskip(NEXT) | instid1(VALU_DEP_1)
	v_cvt_f32_i32_e32 v0, v0
	v_fmac_f32_e32 v2, v45, v0
	v_or_b32_e32 v0, s11, v132
	s_delay_alu instid0(VALU_DEP_2) | instskip(NEXT) | instid1(VALU_DEP_2)
	v_fmac_f32_e32 v172, v189, v2
	v_lshlrev_b32_e32 v12, 2, v0
	v_lshrrev_b32_e32 v44, 1, v0
	ds_load_b128 v[0:3], v12 offset:33280
	ds_load_b128 v[4:7], v12 offset:33296
	;; [unrolled: 1-line block ×4, first 2 shown]
	ds_load_b64 v[44:45], v44 offset:43584
	s_wait_dscnt 0x4
	v_perm_b32 v89, v1, v0, 0x6040503
	s_wait_dscnt 0x3
	v_perm_b32 v88, v6, v5, 0x7060403
	s_wait_dscnt 0x2
	v_bfe_i32 v69, v10, 8, 8
	v_bfe_i32 v70, v8, 8, 8
	;; [unrolled: 1-line block ×3, first 2 shown]
	v_ashrrev_i32_e32 v76, 24, v10
	s_wait_dscnt 0x1
	v_perm_b32 v87, v14, v14, 0xc0c0c01
	v_mul_i32_i24_e32 v69, v69, v225
	v_perm_b32 v90, v2, v1, 0x7060403
	v_mul_i32_i24_e32 v72, v227, v72
	v_mul_i32_i24_e32 v76, v226, v76
	v_perm_b32 v80, v12, v68, 0x6040503
	v_mad_i32_i24 v69, v228, v70, v69
	v_perm_b32 v70, v9, v8, 0x5030200
	v_or_b32_e32 v87, v234, v87
	s_delay_alu instid0(VALU_DEP_2) | instskip(SKIP_1) | instid1(VALU_DEP_3)
	v_dot4_i32_iu8 v69, v237, v70, v69 neg_lo:[1,1,0]
	v_perm_b32 v70, v10, v9, 0x4030200
	v_dot4_i32_iu8 v80, v87, v80, 0 neg_lo:[1,1,0]
	v_perm_b32 v87, v13, v12, 0x6040503
	v_perm_b32 v13, v14, v13, 0x7060403
	s_delay_alu instid0(VALU_DEP_4) | instskip(SKIP_1) | instid1(VALU_DEP_4)
	v_dot4_i32_iu8 v69, v238, v70, v69 neg_lo:[1,1,0]
	v_perm_b32 v70, v11, v11, 0x3020001
	v_dot4_i32_iu8 v80, v87, v235, v80 neg_lo:[1,1,0]
	s_delay_alu instid0(VALU_DEP_3) | instskip(SKIP_1) | instid1(VALU_DEP_3)
	v_add3_u32 v69, v69, v72, v76
	v_perm_b32 v76, v5, v4, 0x6040503
	v_dot4_i32_iu8 v80, v236, v13, v80 neg_lo:[1,1,0]
	s_delay_alu instid0(VALU_DEP_3) | instskip(SKIP_2) | instid1(VALU_DEP_4)
	v_dot4_i32_iu8 v72, v239, v70, v69 neg_lo:[1,1,0]
	v_perm_b32 v69, v4, v39, 0x6050401
	v_perm_b32 v70, v43, v6, 0x6050401
	v_dot4_i32_iu8 v80, v224, v15, v80 neg_lo:[1,1,0]
	v_perm_b32 v4, v4, v6, 0x6050401
	s_delay_alu instid0(VALU_DEP_3) | instskip(SKIP_1) | instid1(VALU_DEP_2)
	v_dot4_i32_iu8 v69, v70, v69, 0 neg_lo:[1,1,0]
	v_perm_b32 v70, v41, v2, 0x6050401
	v_dot4_i32_iu8 v69, v229, v76, v69 neg_lo:[1,1,0]
	s_delay_alu instid0(VALU_DEP_1) | instskip(SKIP_1) | instid1(VALU_DEP_2)
	v_dot4_i32_iu8 v5, v230, v88, v69 neg_lo:[1,1,0]
	v_perm_b32 v69, v0, v35, 0x6050401
	v_dot4_i32_iu8 v5, v7, v40, v5 neg_lo:[1,1,0]
	s_delay_alu instid0(VALU_DEP_2) | instskip(NEXT) | instid1(VALU_DEP_2)
	v_dot4_i32_iu8 v69, v70, v69, 0 neg_lo:[1,1,0]
	v_mul_lo_u32 v5, v5, v209
	s_delay_alu instid0(VALU_DEP_2) | instskip(NEXT) | instid1(VALU_DEP_1)
	v_dot4_i32_iu8 v69, v231, v89, v69 neg_lo:[1,1,0]
	v_dot4_i32_iu8 v1, v232, v90, v69 neg_lo:[1,1,0]
	s_delay_alu instid0(VALU_DEP_1) | instskip(NEXT) | instid1(VALU_DEP_1)
	v_dot4_i32_iu8 v1, v3, v36, v1 neg_lo:[1,1,0]
	v_mad_co_u64_u32 v[69:70], null, v1, v219, v[5:6]
	s_delay_alu instid0(VALU_DEP_1) | instskip(SKIP_1) | instid1(VALU_DEP_1)
	v_cvt_f32_i32_e32 v1, v69
	s_wait_dscnt 0x0
	v_fma_f32 v5, v44, v1, 0
	v_mul_lo_u32 v1, v80, v221
	s_delay_alu instid0(VALU_DEP_1) | instskip(SKIP_1) | instid1(VALU_DEP_1)
	v_mad_co_u64_u32 v[69:70], null, v72, v220, v[1:2]
	v_perm_b32 v2, v0, v2, 0x6050401
	v_dot4_i32_iu8 v0, v2, v65, 0 neg_lo:[1,1,0]
	s_delay_alu instid0(VALU_DEP_3) | instskip(NEXT) | instid1(VALU_DEP_2)
	v_cvt_f32_i32_e32 v1, v69
	v_dot4_i32_iu8 v0, v89, v210, v0 neg_lo:[1,1,0]
	s_delay_alu instid0(VALU_DEP_2) | instskip(NEXT) | instid1(VALU_DEP_2)
	v_fmac_f32_e32 v5, v45, v1
	v_dot4_i32_iu8 v0, v90, v212, v0 neg_lo:[1,1,0]
	s_delay_alu instid0(VALU_DEP_2)
	v_fmac_f32_e32 v139, v78, v5
	v_perm_b32 v5, v12, v14, 0x6040501
	v_perm_b32 v14, v8, v10, 0x6040501
	;; [unrolled: 1-line block ×4, first 2 shown]
	v_dot4_i32_iu8 v0, v3, v52, v0 neg_lo:[1,1,0]
	v_dot4_i32_iu8 v1, v5, v233, 0 neg_lo:[1,1,0]
	s_delay_alu instid0(VALU_DEP_1) | instskip(NEXT) | instid1(VALU_DEP_1)
	v_dot4_i32_iu8 v1, v87, v73, v1 neg_lo:[1,1,0]
	v_dot4_i32_iu8 v1, v13, v222, v1 neg_lo:[1,1,0]
	s_delay_alu instid0(VALU_DEP_1) | instskip(SKIP_1) | instid1(VALU_DEP_1)
	v_dot4_i32_iu8 v12, v15, v64, v1 neg_lo:[1,1,0]
	v_dot4_i32_iu8 v1, v14, v74, 0 neg_lo:[1,1,0]
	;; [unrolled: 1-line block ×3, first 2 shown]
	s_delay_alu instid0(VALU_DEP_1) | instskip(NEXT) | instid1(VALU_DEP_1)
	v_dot4_i32_iu8 v1, v9, v223, v1 neg_lo:[1,1,0]
	v_dot4_i32_iu8 v10, v11, v66, v1 neg_lo:[1,1,0]
	;; [unrolled: 1-line block ×3, first 2 shown]
	s_delay_alu instid0(VALU_DEP_1) | instskip(NEXT) | instid1(VALU_DEP_1)
	v_dot4_i32_iu8 v1, v76, v206, v1 neg_lo:[1,1,0]
	v_dot4_i32_iu8 v1, v88, v207, v1 neg_lo:[1,1,0]
	s_delay_alu instid0(VALU_DEP_1) | instskip(NEXT) | instid1(VALU_DEP_1)
	v_dot4_i32_iu8 v1, v7, v54, v1 neg_lo:[1,1,0]
	v_mul_lo_u32 v1, v1, v208
	s_delay_alu instid0(VALU_DEP_1) | instskip(NEXT) | instid1(VALU_DEP_1)
	v_mad_co_u64_u32 v[0:1], null, v0, v213, v[1:2]
	v_cvt_f32_i32_e32 v0, v0
	s_delay_alu instid0(VALU_DEP_1) | instskip(SKIP_1) | instid1(VALU_DEP_1)
	v_fma_f32 v6, v44, v0, 0
	v_mul_lo_u32 v0, v12, v215
	v_mad_co_u64_u32 v[0:1], null, v10, v214, v[0:1]
	v_dot4_i32_iu8 v1, v2, v47, 0 neg_lo:[1,1,0]
	s_delay_alu instid0(VALU_DEP_1) | instskip(NEXT) | instid1(VALU_DEP_3)
	v_dot4_i32_iu8 v1, v89, v201, v1 neg_lo:[1,1,0]
	v_cvt_f32_i32_e32 v0, v0
	s_delay_alu instid0(VALU_DEP_2) | instskip(NEXT) | instid1(VALU_DEP_2)
	v_dot4_i32_iu8 v1, v90, v202, v1 neg_lo:[1,1,0]
	v_fmac_f32_e32 v6, v45, v0
	v_dot4_i32_iu8 v0, v5, v59, 0 neg_lo:[1,1,0]
	s_delay_alu instid0(VALU_DEP_3) | instskip(NEXT) | instid1(VALU_DEP_3)
	v_dot4_i32_iu8 v1, v3, v48, v1 neg_lo:[1,1,0]
	v_fmac_f32_e32 v146, v187, v6
	s_delay_alu instid0(VALU_DEP_3) | instskip(NEXT) | instid1(VALU_DEP_1)
	v_dot4_i32_iu8 v0, v87, v67, v0 neg_lo:[1,1,0]
	v_dot4_i32_iu8 v0, v13, v217, v0 neg_lo:[1,1,0]
	s_delay_alu instid0(VALU_DEP_1) | instskip(SKIP_1) | instid1(VALU_DEP_1)
	v_dot4_i32_iu8 v6, v15, v60, v0 neg_lo:[1,1,0]
	v_dot4_i32_iu8 v0, v14, v61, 0 neg_lo:[1,1,0]
	;; [unrolled: 1-line block ×3, first 2 shown]
	s_delay_alu instid0(VALU_DEP_1) | instskip(NEXT) | instid1(VALU_DEP_1)
	v_dot4_i32_iu8 v0, v9, v218, v0 neg_lo:[1,1,0]
	v_dot4_i32_iu8 v10, v11, v62, v0 neg_lo:[1,1,0]
	;; [unrolled: 1-line block ×3, first 2 shown]
	s_delay_alu instid0(VALU_DEP_1) | instskip(NEXT) | instid1(VALU_DEP_1)
	v_dot4_i32_iu8 v0, v76, v198, v0 neg_lo:[1,1,0]
	v_dot4_i32_iu8 v0, v88, v199, v0 neg_lo:[1,1,0]
	s_delay_alu instid0(VALU_DEP_1) | instskip(NEXT) | instid1(VALU_DEP_1)
	v_dot4_i32_iu8 v0, v7, v50, v0 neg_lo:[1,1,0]
	v_mul_lo_u32 v0, v0, v200
	s_delay_alu instid0(VALU_DEP_1) | instskip(NEXT) | instid1(VALU_DEP_1)
	v_mad_co_u64_u32 v[0:1], null, v1, v203, v[0:1]
	v_cvt_f32_i32_e32 v0, v0
	s_delay_alu instid0(VALU_DEP_1) | instskip(SKIP_1) | instid1(VALU_DEP_1)
	v_fma_f32 v12, v44, v0, 0
	v_mul_lo_u32 v0, v6, v205
	v_mad_co_u64_u32 v[0:1], null, v10, v204, v[0:1]
	v_dot4_i32_iu8 v1, v2, v37, 0 neg_lo:[1,1,0]
	s_delay_alu instid0(VALU_DEP_1) | instskip(NEXT) | instid1(VALU_DEP_3)
	v_dot4_i32_iu8 v1, v89, v194, v1 neg_lo:[1,1,0]
	v_cvt_f32_i32_e32 v0, v0
	s_delay_alu instid0(VALU_DEP_2) | instskip(NEXT) | instid1(VALU_DEP_2)
	v_dot4_i32_iu8 v1, v90, v193, v1 neg_lo:[1,1,0]
	v_fmac_f32_e32 v12, v45, v0
	v_dot4_i32_iu8 v0, v5, v51, 0 neg_lo:[1,1,0]
	s_delay_alu instid0(VALU_DEP_3) | instskip(NEXT) | instid1(VALU_DEP_3)
	v_dot4_i32_iu8 v1, v3, v38, v1 neg_lo:[1,1,0]
	v_fmac_f32_e32 v157, v188, v12
	s_delay_alu instid0(VALU_DEP_3) | instskip(NEXT) | instid1(VALU_DEP_1)
	v_dot4_i32_iu8 v0, v87, v53, v0 neg_lo:[1,1,0]
	v_dot4_i32_iu8 v0, v13, v211, v0 neg_lo:[1,1,0]
	s_delay_alu instid0(VALU_DEP_1) | instskip(SKIP_1) | instid1(VALU_DEP_1)
	v_dot4_i32_iu8 v5, v15, v56, v0 neg_lo:[1,1,0]
	v_dot4_i32_iu8 v0, v14, v55, 0 neg_lo:[1,1,0]
	;; [unrolled: 1-line block ×3, first 2 shown]
	s_delay_alu instid0(VALU_DEP_1) | instskip(NEXT) | instid1(VALU_DEP_1)
	v_dot4_i32_iu8 v0, v9, v216, v0 neg_lo:[1,1,0]
	v_dot4_i32_iu8 v6, v11, v58, v0 neg_lo:[1,1,0]
	;; [unrolled: 1-line block ×3, first 2 shown]
	s_delay_alu instid0(VALU_DEP_1) | instskip(NEXT) | instid1(VALU_DEP_1)
	v_dot4_i32_iu8 v0, v76, v197, v0 neg_lo:[1,1,0]
	v_dot4_i32_iu8 v0, v88, v196, v0 neg_lo:[1,1,0]
	s_delay_alu instid0(VALU_DEP_1) | instskip(NEXT) | instid1(VALU_DEP_1)
	v_dot4_i32_iu8 v0, v7, v46, v0 neg_lo:[1,1,0]
	v_mul_lo_u32 v0, v0, v195
	s_delay_alu instid0(VALU_DEP_1) | instskip(NEXT) | instid1(VALU_DEP_1)
	v_mad_co_u64_u32 v[0:1], null, v1, v191, v[0:1]
	v_cvt_f32_i32_e32 v0, v0
	s_delay_alu instid0(VALU_DEP_1) | instskip(SKIP_1) | instid1(VALU_DEP_1)
	v_fma_f32 v2, v44, v0, 0
	v_mul_lo_u32 v0, v5, v192
	v_mad_co_u64_u32 v[0:1], null, v6, v190, v[0:1]
	s_delay_alu instid0(VALU_DEP_1) | instskip(NEXT) | instid1(VALU_DEP_1)
	v_cvt_f32_i32_e32 v0, v0
	v_fmac_f32_e32 v2, v45, v0
	v_or_b32_e32 v0, s11, v133
	s_delay_alu instid0(VALU_DEP_1)
	v_dual_fmac_f32 v169, v189, v2 :: v_dual_lshlrev_b32 v12, 2, v0
	v_lshrrev_b32_e32 v44, 1, v0
	ds_load_b128 v[0:3], v12 offset:33280
	ds_load_b128 v[4:7], v12 offset:33296
	;; [unrolled: 1-line block ×4, first 2 shown]
	ds_load_b64 v[44:45], v44 offset:43584
	s_wait_dscnt 0x4
	v_perm_b32 v35, v0, v35, 0x6050401
	s_wait_dscnt 0x3
	v_perm_b32 v39, v4, v39, 0x6050401
	s_wait_dscnt 0x2
	v_bfe_i32 v69, v10, 8, 8
	v_bfe_i32 v70, v8, 8, 8
	;; [unrolled: 1-line block ×3, first 2 shown]
	v_ashrrev_i32_e32 v76, 24, v10
	v_perm_b32 v43, v43, v6, 0x6050401
	v_mul_i32_i24_e32 v69, v69, v225
	s_wait_dscnt 0x1
	v_perm_b32 v80, v14, v14, 0xc0c0c01
	v_mul_i32_i24_e32 v72, v227, v72
	v_mul_i32_i24_e32 v76, v226, v76
	v_dot4_i32_iu8 v39, v43, v39, 0 neg_lo:[1,1,0]
	v_mad_i32_i24 v69, v228, v70, v69
	v_perm_b32 v70, v9, v8, 0x5030200
	v_perm_b32 v43, v5, v4, 0x6040503
	;; [unrolled: 1-line block ×3, first 2 shown]
	v_or_b32_e32 v80, v234, v80
	v_perm_b32 v4, v4, v6, 0x6050401
	v_dot4_i32_iu8 v69, v237, v70, v69 neg_lo:[1,1,0]
	v_perm_b32 v70, v10, v9, 0x4030200
	v_dot4_i32_iu8 v39, v229, v43, v39 neg_lo:[1,1,0]
	v_dot4_i32_iu8 v80, v80, v68, 0 neg_lo:[1,1,0]
	v_perm_b32 v68, v13, v12, 0x6040503
	v_perm_b32 v13, v14, v13, 0x7060403
	v_dot4_i32_iu8 v69, v238, v70, v69 neg_lo:[1,1,0]
	v_perm_b32 v70, v11, v11, 0x3020001
	s_delay_alu instid0(VALU_DEP_4) | instskip(NEXT) | instid1(VALU_DEP_3)
	v_dot4_i32_iu8 v80, v68, v235, v80 neg_lo:[1,1,0]
	v_add3_u32 v69, v69, v72, v76
	s_delay_alu instid0(VALU_DEP_2) | instskip(NEXT) | instid1(VALU_DEP_2)
	v_dot4_i32_iu8 v80, v236, v13, v80 neg_lo:[1,1,0]
	v_dot4_i32_iu8 v69, v239, v70, v69 neg_lo:[1,1,0]
	v_perm_b32 v70, v6, v5, 0x7060403
	s_delay_alu instid0(VALU_DEP_3) | instskip(NEXT) | instid1(VALU_DEP_2)
	v_dot4_i32_iu8 v80, v224, v15, v80 neg_lo:[1,1,0]
	v_dot4_i32_iu8 v5, v230, v70, v39 neg_lo:[1,1,0]
	v_perm_b32 v39, v41, v2, 0x6050401
	s_delay_alu instid0(VALU_DEP_2) | instskip(NEXT) | instid1(VALU_DEP_2)
	v_dot4_i32_iu8 v5, v7, v40, v5 neg_lo:[1,1,0]
	v_dot4_i32_iu8 v35, v39, v35, 0 neg_lo:[1,1,0]
	v_perm_b32 v39, v1, v0, 0x6040503
	v_perm_b32 v40, v2, v1, 0x7060403
	s_delay_alu instid0(VALU_DEP_4) | instskip(NEXT) | instid1(VALU_DEP_3)
	v_mul_lo_u32 v5, v5, v209
	v_dot4_i32_iu8 v35, v231, v39, v35 neg_lo:[1,1,0]
	s_delay_alu instid0(VALU_DEP_1) | instskip(NEXT) | instid1(VALU_DEP_1)
	v_dot4_i32_iu8 v1, v232, v40, v35 neg_lo:[1,1,0]
	v_dot4_i32_iu8 v1, v3, v36, v1 neg_lo:[1,1,0]
	s_delay_alu instid0(VALU_DEP_1) | instskip(SKIP_1) | instid1(VALU_DEP_1)
	v_mad_co_u64_u32 v[35:36], null, v1, v219, v[5:6]
	v_perm_b32 v6, v0, v2, 0x6050401
	v_dot4_i32_iu8 v0, v6, v65, 0 neg_lo:[1,1,0]
	s_delay_alu instid0(VALU_DEP_3) | instskip(NEXT) | instid1(VALU_DEP_2)
	v_cvt_f32_i32_e32 v1, v35
	v_dot4_i32_iu8 v0, v39, v210, v0 neg_lo:[1,1,0]
	s_wait_dscnt 0x0
	s_delay_alu instid0(VALU_DEP_2) | instskip(SKIP_1) | instid1(VALU_DEP_3)
	v_fma_f32 v5, v44, v1, 0
	v_mul_lo_u32 v1, v80, v221
	v_dot4_i32_iu8 v0, v40, v212, v0 neg_lo:[1,1,0]
	s_delay_alu instid0(VALU_DEP_2) | instskip(NEXT) | instid1(VALU_DEP_2)
	v_mad_co_u64_u32 v[35:36], null, v69, v220, v[1:2]
	v_dot4_i32_iu8 v0, v3, v52, v0 neg_lo:[1,1,0]
	s_delay_alu instid0(VALU_DEP_2) | instskip(NEXT) | instid1(VALU_DEP_1)
	v_cvt_f32_i32_e32 v1, v35
	v_fmac_f32_e32 v5, v45, v1
	s_delay_alu instid0(VALU_DEP_1) | instskip(SKIP_4) | instid1(VALU_DEP_4)
	v_fmac_f32_e32 v137, v78, v5
	v_perm_b32 v5, v12, v14, 0x6040501
	v_perm_b32 v14, v8, v10, 0x6040501
	;; [unrolled: 1-line block ×4, first 2 shown]
	v_dot4_i32_iu8 v1, v5, v233, 0 neg_lo:[1,1,0]
	s_delay_alu instid0(VALU_DEP_1) | instskip(NEXT) | instid1(VALU_DEP_1)
	v_dot4_i32_iu8 v1, v68, v73, v1 neg_lo:[1,1,0]
	v_dot4_i32_iu8 v1, v13, v222, v1 neg_lo:[1,1,0]
	s_delay_alu instid0(VALU_DEP_1) | instskip(SKIP_1) | instid1(VALU_DEP_1)
	v_dot4_i32_iu8 v12, v15, v64, v1 neg_lo:[1,1,0]
	v_dot4_i32_iu8 v1, v14, v74, 0 neg_lo:[1,1,0]
	;; [unrolled: 1-line block ×3, first 2 shown]
	s_delay_alu instid0(VALU_DEP_1) | instskip(NEXT) | instid1(VALU_DEP_1)
	v_dot4_i32_iu8 v1, v9, v223, v1 neg_lo:[1,1,0]
	v_dot4_i32_iu8 v10, v11, v66, v1 neg_lo:[1,1,0]
	;; [unrolled: 1-line block ×3, first 2 shown]
	s_delay_alu instid0(VALU_DEP_1) | instskip(NEXT) | instid1(VALU_DEP_1)
	v_dot4_i32_iu8 v1, v43, v206, v1 neg_lo:[1,1,0]
	v_dot4_i32_iu8 v1, v70, v207, v1 neg_lo:[1,1,0]
	s_delay_alu instid0(VALU_DEP_1) | instskip(NEXT) | instid1(VALU_DEP_1)
	v_dot4_i32_iu8 v1, v7, v54, v1 neg_lo:[1,1,0]
	v_mul_lo_u32 v1, v1, v208
	s_delay_alu instid0(VALU_DEP_1) | instskip(NEXT) | instid1(VALU_DEP_1)
	v_mad_co_u64_u32 v[0:1], null, v0, v213, v[1:2]
	v_cvt_f32_i32_e32 v0, v0
	s_delay_alu instid0(VALU_DEP_1) | instskip(SKIP_1) | instid1(VALU_DEP_1)
	v_fma_f32 v2, v44, v0, 0
	v_mul_lo_u32 v0, v12, v215
	v_mad_co_u64_u32 v[0:1], null, v10, v214, v[0:1]
	v_dot4_i32_iu8 v1, v6, v47, 0 neg_lo:[1,1,0]
	s_delay_alu instid0(VALU_DEP_1) | instskip(NEXT) | instid1(VALU_DEP_3)
	v_dot4_i32_iu8 v1, v39, v201, v1 neg_lo:[1,1,0]
	v_cvt_f32_i32_e32 v0, v0
	s_delay_alu instid0(VALU_DEP_2) | instskip(NEXT) | instid1(VALU_DEP_2)
	v_dot4_i32_iu8 v1, v40, v202, v1 neg_lo:[1,1,0]
	v_fmac_f32_e32 v2, v45, v0
	v_dot4_i32_iu8 v0, v5, v59, 0 neg_lo:[1,1,0]
	s_delay_alu instid0(VALU_DEP_3) | instskip(NEXT) | instid1(VALU_DEP_3)
	v_dot4_i32_iu8 v1, v3, v48, v1 neg_lo:[1,1,0]
	v_fmac_f32_e32 v143, v187, v2
	s_delay_alu instid0(VALU_DEP_3) | instskip(NEXT) | instid1(VALU_DEP_1)
	v_dot4_i32_iu8 v0, v68, v67, v0 neg_lo:[1,1,0]
	v_dot4_i32_iu8 v0, v13, v217, v0 neg_lo:[1,1,0]
	s_delay_alu instid0(VALU_DEP_1) | instskip(SKIP_1) | instid1(VALU_DEP_1)
	v_dot4_i32_iu8 v2, v15, v60, v0 neg_lo:[1,1,0]
	v_dot4_i32_iu8 v0, v14, v61, 0 neg_lo:[1,1,0]
	;; [unrolled: 1-line block ×3, first 2 shown]
	s_delay_alu instid0(VALU_DEP_1) | instskip(NEXT) | instid1(VALU_DEP_1)
	v_dot4_i32_iu8 v0, v9, v218, v0 neg_lo:[1,1,0]
	v_dot4_i32_iu8 v10, v11, v62, v0 neg_lo:[1,1,0]
	v_dot4_i32_iu8 v0, v4, v49, 0 neg_lo:[1,1,0]
	s_delay_alu instid0(VALU_DEP_1) | instskip(NEXT) | instid1(VALU_DEP_1)
	v_dot4_i32_iu8 v0, v43, v198, v0 neg_lo:[1,1,0]
	v_dot4_i32_iu8 v0, v70, v199, v0 neg_lo:[1,1,0]
	s_delay_alu instid0(VALU_DEP_1) | instskip(NEXT) | instid1(VALU_DEP_1)
	v_dot4_i32_iu8 v0, v7, v50, v0 neg_lo:[1,1,0]
	v_mul_lo_u32 v0, v0, v200
	s_delay_alu instid0(VALU_DEP_1) | instskip(NEXT) | instid1(VALU_DEP_1)
	v_mad_co_u64_u32 v[0:1], null, v1, v203, v[0:1]
	v_cvt_f32_i32_e32 v0, v0
	s_delay_alu instid0(VALU_DEP_1) | instskip(SKIP_1) | instid1(VALU_DEP_1)
	v_fma_f32 v12, v44, v0, 0
	v_mul_lo_u32 v0, v2, v205
	v_mad_co_u64_u32 v[0:1], null, v10, v204, v[0:1]
	s_delay_alu instid0(VALU_DEP_1) | instskip(NEXT) | instid1(VALU_DEP_1)
	v_cvt_f32_i32_e32 v0, v0
	v_fmac_f32_e32 v12, v45, v0
	v_dot4_i32_iu8 v0, v5, v51, 0 neg_lo:[1,1,0]
	s_delay_alu instid0(VALU_DEP_2) | instskip(NEXT) | instid1(VALU_DEP_2)
	v_fmac_f32_e32 v151, v188, v12
	v_dot4_i32_iu8 v0, v68, v53, v0 neg_lo:[1,1,0]
	s_delay_alu instid0(VALU_DEP_1) | instskip(NEXT) | instid1(VALU_DEP_1)
	v_dot4_i32_iu8 v0, v13, v211, v0 neg_lo:[1,1,0]
	v_dot4_i32_iu8 v1, v15, v56, v0 neg_lo:[1,1,0]
	;; [unrolled: 1-line block ×3, first 2 shown]
	s_delay_alu instid0(VALU_DEP_1) | instskip(NEXT) | instid1(VALU_DEP_1)
	v_dot4_i32_iu8 v0, v8, v57, v0 neg_lo:[1,1,0]
	v_dot4_i32_iu8 v0, v9, v216, v0 neg_lo:[1,1,0]
	s_delay_alu instid0(VALU_DEP_1) | instskip(SKIP_2) | instid1(VALU_DEP_2)
	v_dot4_i32_iu8 v2, v11, v58, v0 neg_lo:[1,1,0]
	v_dot4_i32_iu8 v0, v4, v42, 0 neg_lo:[1,1,0]
	;; [unrolled: 1-line block ×4, first 2 shown]
	s_delay_alu instid0(VALU_DEP_2) | instskip(NEXT) | instid1(VALU_DEP_2)
	v_dot4_i32_iu8 v4, v39, v194, v4 neg_lo:[1,1,0]
	v_dot4_i32_iu8 v0, v70, v196, v0 neg_lo:[1,1,0]
	s_delay_alu instid0(VALU_DEP_2) | instskip(NEXT) | instid1(VALU_DEP_2)
	v_dot4_i32_iu8 v4, v40, v193, v4 neg_lo:[1,1,0]
	v_dot4_i32_iu8 v0, v7, v46, v0 neg_lo:[1,1,0]
	s_delay_alu instid0(VALU_DEP_2) | instskip(NEXT) | instid1(VALU_DEP_2)
	v_dot4_i32_iu8 v3, v3, v38, v4 neg_lo:[1,1,0]
	v_mul_lo_u32 v0, v0, v195
	s_delay_alu instid0(VALU_DEP_1) | instskip(NEXT) | instid1(VALU_DEP_1)
	v_mad_co_u64_u32 v[3:4], null, v3, v191, v[0:1]
	v_cvt_f32_i32_e32 v0, v3
	s_delay_alu instid0(VALU_DEP_1) | instskip(SKIP_1) | instid1(VALU_DEP_1)
	v_fma_f32 v3, v44, v0, 0
	v_mul_lo_u32 v0, v1, v192
	v_mad_co_u64_u32 v[0:1], null, v2, v190, v[0:1]
	s_delay_alu instid0(VALU_DEP_1) | instskip(NEXT) | instid1(VALU_DEP_1)
	v_cvt_f32_i32_e32 v0, v0
	v_fmac_f32_e32 v3, v45, v0
	s_delay_alu instid0(VALU_DEP_1)
	v_fmac_f32_e32 v165, v189, v3
	s_wait_alu 0xfffe
	s_cbranch_vccnz .LBB156_6
; %bb.7:                                ;   in Loop: Header=BB156_5 Depth=1
	v_add_nc_u32_e32 v8, s7, v119
	v_add_nc_u32_e32 v9, 4, v77
	s_wait_loadcnt 0x0
	s_barrier_signal -1
	s_barrier_wait -1
	v_add_nc_u32_e32 v10, v8, v118
	v_add_nc_u32_e32 v0, v8, v111
	v_add_nc_u32_e32 v2, v8, v112
	v_add_nc_u32_e32 v4, v8, v113
	v_add_nc_u32_e32 v6, v8, v114
	v_add_nc_u32_e32 v12, v8, v115
	v_add_nc_u32_e32 v14, v8, v116
	v_add_nc_u32_e32 v35, v8, v117
	v_mad_co_u64_u32 v[8:9], null, v9, 36, s[2:3]
	v_mad_co_i64_i32 v[10:11], null, v10, 36, v[33:34]
	v_mad_co_i64_i32 v[0:1], null, v0, 36, v[33:34]
	;; [unrolled: 1-line block ×7, first 2 shown]
	global_inv scope:SCOPE_SE
	v_mad_co_i64_i32 v[35:36], null, v35, 36, v[33:34]
	s_clause 0x8
	global_load_b32 v8, v[8:9], off
	global_load_b32 v9, v[10:11], off offset:4
	global_load_b32 v0, v[0:1], off offset:4
	;; [unrolled: 1-line block ×8, first 2 shown]
	s_mov_b32 s7, 16
	s_wait_loadcnt 0x8
	v_cvt_f32_f16_e32 v7, v8
	s_wait_loadcnt 0x7
	ds_store_b32 v166, v9
	s_wait_loadcnt 0x6
	ds_store_b32 v152, v0
	;; [unrolled: 2-line block ×8, first 2 shown]
	ds_store_b32 v110, v7
	s_wait_dscnt 0x0
	s_barrier_signal -1
	s_barrier_wait -1
	global_inv scope:SCOPE_SE
	ds_load_b32 v187, v123
	ds_load_b32 v188, v124 offset:128
	ds_load_b32 v189, v125 offset:256
	;; [unrolled: 1-line block ×3, first 2 shown]
.LBB156_8:                              ;   Parent Loop BB156_5 Depth=1
                                        ; =>  This Inner Loop Header: Depth=2
	s_wait_alu 0xfffe
	s_lshl_b32 s10, s7, 1
	s_lshr_b32 s11, s7, 1
	s_wait_alu 0xfffe
	s_and_b32 s10, s10, 16
	s_add_co_i32 s11, s11, 0xa200
	s_wait_alu 0xfffe
	v_or_b32_e32 v0, s10, v99
	s_lshl_b32 s16, s7, 3
	s_delay_alu instid0(VALU_DEP_1)
	v_lshlrev_b32_e32 v1, 2, v0
	v_lshrrev_b32_e32 v0, 1, v0
	ds_load_b128 v[232:235], v1 offset:33280
	ds_load_b128 v[191:194], v1 offset:33296
	ds_load_b128 v[195:198], v1 offset:33312
	ds_load_b128 v[236:239], v1 offset:33328
	ds_load_b64 v[87:88], v0 offset:43584
	v_add3_u32 v0, s11, v182, v183
	s_wait_alu 0xfffe
	v_add_nc_u32_e32 v45, s16, v134
	ds_load_2addr_b32 v[39:40], v45 offset0:6 offset1:7
	ds_load_2addr_b32 v[43:44], v45 offset0:4 offset1:5
	;; [unrolled: 1-line block ×3, first 2 shown]
	ds_load_2addr_b32 v[41:42], v45 offset1:1
	ds_load_b32 v48, v0
	ds_load_u16 v230, v45 offset:32
	ds_load_b128 v[0:3], v45 offset:34
	ds_load_b64 v[67:68], v45 offset:50
	ds_load_u16 v231, v45 offset:58
	ds_load_b32 v225, v45 offset:60
	s_wait_dscnt 0xe
	v_lshrrev_b16 v5, 8, v233
	s_wait_dscnt 0xd
	v_lshrrev_b16 v4, 8, v192
	s_wait_dscnt 0xc
	v_bfe_i32 v9, v196, 16, 8
	s_wait_dscnt 0xb
	v_bfe_i32 v7, v237, 16, 8
	v_bfe_i32 v50, v238, 16, 8
	v_ashrrev_i32_e32 v52, 24, v237
	v_bfe_i32 v51, v238, 0, 8
	v_bfe_i32 v6, v238, 8, 8
	;; [unrolled: 1-line block ×4, first 2 shown]
	s_wait_dscnt 0x3
	v_bfe_i32 v228, v2, 0, 8
	s_wait_dscnt 0x2
	v_bfe_i32 v49, v68, 0, 8
	s_wait_dscnt 0x1
	v_lshrrev_b16 v53, 8, v231
	v_bfe_i32 v54, v231, 0, 8
	v_bfe_i32 v56, v68, 8, 8
	;; [unrolled: 1-line block ×3, first 2 shown]
	v_mul_i32_i24_e32 v7, v49, v7
	v_ashrrev_i32_e32 v49, 24, v238
	v_bfe_i32 v53, v53, 0, 8
	v_mul_i32_i24_e32 v50, v54, v50
	v_perm_b32 v54, v239, v237, 0xc0c0600
	v_mul_i32_i24_e32 v52, v56, v52
	v_mul_i32_i24_e32 v51, v55, v51
	;; [unrolled: 1-line block ×3, first 2 shown]
	s_wait_dscnt 0x0
	v_perm_b32 v53, v225, v67, 0xc0c0602
	v_ashrrev_i32_e32 v45, 24, v68
	v_bfe_i32 v227, v2, 8, 8
	v_ashrrev_i32_e32 v226, 24, v1
	v_lshrrev_b16 v46, 8, v44
	v_dot4_i32_iu8 v50, v53, v54, v50 neg_lo:[1,1,0]
	v_perm_b32 v53, v225, v67, 0xc0c0400
	v_perm_b32 v54, v239, v236, 0xc0c0402
	v_bfe_i32 v55, v194, 8, 8
	v_bfe_i32 v59, v40, 8, 8
	;; [unrolled: 1-line block ×4, first 2 shown]
	v_dot4_i32_iu8 v52, v53, v54, v52 neg_lo:[1,1,0]
	v_perm_b32 v53, v225, v67, 0xc0c0703
	v_perm_b32 v54, v239, v237, 0xc0c0701
	v_ashrrev_i32_e32 v57, 24, v193
	v_bfe_i32 v58, v193, 16, 8
	v_add_nc_u32_e32 v50, v52, v50
	v_bfe_i32 v52, v236, 0, 8
	v_dot4_i32_iu8 v49, v53, v54, v49 neg_lo:[1,1,0]
	v_perm_b32 v53, v225, v67, 0xc0c0501
	v_perm_b32 v54, v239, v236, 0xc0c0503
	v_bfe_i32 v60, v40, 0, 8
	v_ashrrev_i32_e32 v61, 24, v39
	v_bfe_i32 v62, v39, 16, 8
	v_mul_i32_i24_e32 v55, v59, v55
	v_dot4_i32_iu8 v51, v53, v54, v51 neg_lo:[1,1,0]
	v_ashrrev_i32_e32 v53, 24, v3
	v_bfe_i32 v54, v3, 16, 8
	v_mul_i32_i24_e32 v4, v46, v4
	v_mul_i32_i24_e32 v58, v62, v58
	v_add_nc_u32_e32 v49, v51, v49
	v_bfe_i32 v51, v236, 8, 8
	v_mul_i32_i24_e32 v52, v54, v52
	v_bfe_i32 v54, v44, 16, 8
	v_mul_i32_i24_e32 v57, v61, v57
	v_mul_i32_i24_e32 v56, v60, v56
	;; [unrolled: 1-line block ×3, first 2 shown]
	v_mad_i32_i24 v6, v45, v6, v52
	v_bfe_i32 v45, v197, 16, 8
	v_bfe_i32 v52, v1, 8, 8
	;; [unrolled: 1-line block ×3, first 2 shown]
	v_add3_u32 v49, v50, v49, v51
	v_ashrrev_i32_e32 v50, 24, v196
	v_bfe_i32 v51, v1, 16, 8
	v_mul_i32_i24_e32 v45, v228, v45
	v_bfe_i32 v12, v194, 16, 8
	v_add3_u32 v6, v49, v6, v7
	v_bfe_i32 v49, v197, 0, 8
	v_bfe_i32 v7, v1, 0, 8
	v_mul_i32_i24_e32 v50, v52, v50
	v_perm_b32 v52, v198, v196, 0xc0c0600
	v_bfe_i32 v59, v40, 16, 8
	v_mul_i32_i24_e32 v49, v51, v49
	v_perm_b32 v51, v3, v0, 0xc0c0402
	v_mul_i32_i24_e32 v7, v7, v9
	v_ashrrev_i32_e32 v9, 24, v197
	v_bfe_i32 v10, v193, 8, 8
	v_bfe_i32 v11, v193, 0, 8
	v_dot4_i32_iu8 v45, v51, v52, v45 neg_lo:[1,1,0]
	v_perm_b32 v51, v2, v0, 0xc0c0600
	v_perm_b32 v52, v198, v195, 0xc0c0402
	v_mul_i32_i24_e32 v9, v227, v9
	v_bfe_i32 v46, v39, 0, 8
	v_mul_i32_i24_e32 v12, v59, v12
	v_ashrrev_i32_e32 v13, 24, v194
	v_dot4_i32_iu8 v50, v51, v52, v50 neg_lo:[1,1,0]
	v_perm_b32 v51, v3, v0, 0xc0c0503
	v_perm_b32 v52, v198, v196, 0xc0c0701
	v_lshrrev_b16 v47, 8, v42
	v_ashrrev_i32_e32 v59, 24, v40
	v_add_nc_u32_e32 v45, v50, v45
	v_bfe_i32 v50, v195, 0, 8
	v_dot4_i32_iu8 v9, v51, v52, v9 neg_lo:[1,1,0]
	v_perm_b32 v51, v2, v0, 0xc0c0701
	v_perm_b32 v52, v198, v195, 0xc0c0503
	v_mul_i32_i24_e32 v13, v59, v13
	v_bfe_i32 v5, v5, 0, 8
	v_bfe_i32 v47, v47, 0, 8
	;; [unrolled: 1-line block ×3, first 2 shown]
	v_dot4_i32_iu8 v49, v51, v52, v49 neg_lo:[1,1,0]
	v_lshrrev_b16 v51, 8, v230
	v_ashrrev_i32_e32 v52, 24, v44
	v_mul_i32_i24_e32 v5, v47, v5
	v_bfe_i32 v14, v234, 8, 8
	v_add_nc_u32_e32 v9, v49, v9
	v_bfe_i32 v49, v195, 8, 8
	v_bfe_i32 v229, v51, 0, 8
	;; [unrolled: 1-line block ×5, first 2 shown]
	v_ashrrev_i32_e32 v36, 24, v235
	v_mul_i32_i24_e32 v49, v229, v49
	v_mul_i32_i24_e32 v50, v51, v50
	v_bfe_i32 v51, v192, 16, 8
	v_bfe_i32 v212, v48, 8, 8
	;; [unrolled: 1-line block ×3, first 2 shown]
	v_add3_u32 v9, v45, v9, v49
	v_mad_i32_i24 v8, v226, v8, v50
	v_ashrrev_i32_e32 v49, 24, v43
	v_bfe_i32 v45, v191, 16, 8
	v_bfe_i32 v50, v43, 16, 8
	v_mad_i32_i24 v51, v54, v51, v56
	v_add3_u32 v7, v9, v8, v7
	v_ashrrev_i32_e32 v9, 24, v191
	v_bfe_i32 v8, v39, 8, 8
	v_mul_i32_i24_e32 v45, v50, v45
	v_bfe_i32 v50, v192, 0, 8
	v_bfe_i32 v54, v38, 8, 8
	v_mul_i32_i24_e32 v9, v49, v9
	v_ashrrev_i32_e32 v49, 24, v192
	v_ashrrev_i32_e32 v56, 24, v37
	v_mad_i32_i24 v50, v53, v50, v58
	v_bfe_i32 v53, v234, 16, 8
	v_bfe_i32 v221, v48, 16, 8
	v_mad_i32_i24 v49, v52, v49, v55
	v_bfe_i32 v52, v43, 0, 8
	v_bfe_i32 v55, v38, 0, 8
	v_ashrrev_i32_e32 v222, 24, v48
	v_perm_b32 v80, v197, v196, 0x7060403
	v_add3_u32 v4, v4, v57, v49
	v_bfe_i32 v49, v191, 8, 8
	v_bfe_i32 v57, v37, 16, 8
	v_perm_b32 v89, v192, v191, 0x6040503
	v_perm_b32 v90, v193, v192, 0x7060403
	v_add3_u32 v4, v50, v51, v4
	v_bfe_i32 v51, v43, 8, 8
	v_bfe_i32 v50, v191, 0, 8
	v_mul_i32_i24_e32 v53, v57, v53
	v_perm_b32 v57, v238, v237, 0x7060403
	v_perm_b32 v192, v233, v232, 0x6040503
	v_mul_i32_i24_e32 v49, v51, v49
	v_mul_i32_i24_e32 v50, v52, v50
	v_bfe_i32 v51, v235, 0, 8
	v_ashrrev_i32_e32 v52, 24, v234
	v_perm_b32 v240, v3, v2, 0x5040203
	v_mad_i32_i24 v8, v8, v10, v49
	v_mad_i32_i24 v10, v46, v11, v12
	v_ashrrev_i32_e32 v11, 24, v41
	v_bfe_i32 v12, v41, 16, 8
	v_bfe_i32 v46, v42, 0, 8
	v_add3_u32 v4, v4, v50, v8
	v_add3_u32 v8, v45, v9, v10
	v_ashrrev_i32_e32 v9, 24, v232
	v_bfe_i32 v50, v235, 8, 8
	v_bfe_i32 v10, v232, 16, 8
	v_ashrrev_i32_e32 v45, 24, v42
	v_add3_u32 v4, v4, v8, v13
	v_mul_i32_i24_e32 v9, v11, v9
	v_ashrrev_i32_e32 v11, 24, v233
	v_mul_i32_i24_e32 v50, v54, v50
	v_mul_i32_i24_e32 v10, v12, v10
	v_bfe_i32 v12, v233, 0, 8
	v_bfe_i32 v13, v233, 16, 8
	;; [unrolled: 1-line block ×3, first 2 shown]
	v_mul_i32_i24_e32 v52, v56, v52
	v_mul_i32_i24_e32 v51, v55, v51
	v_mad_i32_i24 v11, v45, v11, v50
	v_mad_i32_i24 v12, v46, v12, v53
	v_bfe_i32 v54, v38, 16, 8
	v_bfe_i32 v8, v37, 8, 8
	v_mad_i32_i24 v13, v49, v13, v51
	v_add3_u32 v5, v5, v52, v11
	v_bfe_i32 v11, v232, 8, 8
	v_mul_i32_i24_e32 v35, v54, v35
	v_bfe_i32 v45, v41, 0, 8
	v_ashrrev_i32_e32 v54, 24, v38
	v_add3_u32 v5, v12, v13, v5
	v_bfe_i32 v13, v41, 8, 8
	v_bfe_i32 v12, v232, 0, 8
	v_mul_lo_u32 v4, v4, v212
	v_mul_i32_i24_e32 v36, v54, v36
	v_perm_b32 v233, v234, v233, 0x7060403
	v_mul_i32_i24_e32 v11, v13, v11
	v_mul_i32_i24_e32 v12, v45, v12
	s_delay_alu instid0(VALU_DEP_2) | instskip(SKIP_1) | instid1(VALU_DEP_2)
	v_mad_i32_i24 v8, v8, v14, v11
	v_mad_i32_i24 v11, v47, v15, v35
	v_add3_u32 v5, v5, v12, v8
	s_delay_alu instid0(VALU_DEP_2) | instskip(NEXT) | instid1(VALU_DEP_1)
	v_add3_u32 v8, v10, v9, v11
	v_add3_u32 v5, v5, v8, v36
	s_delay_alu instid0(VALU_DEP_1) | instskip(NEXT) | instid1(VALU_DEP_1)
	v_mad_co_u64_u32 v[4:5], null, v5, v220, v[4:5]
	v_cvt_f32_i32_e32 v4, v4
	s_delay_alu instid0(VALU_DEP_1) | instskip(SKIP_1) | instid1(VALU_DEP_1)
	v_fma_f32 v8, v87, v4, 0
	v_mul_lo_u32 v4, v7, v221
	v_mad_co_u64_u32 v[4:5], null, v6, v222, v[4:5]
	v_add_nc_u32_e32 v5, s16, v136
	s_delay_alu instid0(VALU_DEP_2) | instskip(NEXT) | instid1(VALU_DEP_1)
	v_cvt_f32_i32_e32 v4, v4
	v_fmac_f32_e32 v8, v88, v4
	v_add3_u32 v4, s11, v184, v135
	ds_load_2addr_b32 v[53:54], v5 offset0:6 offset1:7
	ds_load_2addr_b32 v[13:14], v5 offset0:4 offset1:5
	;; [unrolled: 1-line block ×3, first 2 shown]
	ds_load_2addr_b32 v[10:11], v5 offset1:1
	ds_load_b32 v6, v4
	ds_load_2addr_b32 v[63:64], v5 offset0:14 offset1:15
	ds_load_2addr_b32 v[75:76], v5 offset0:12 offset1:13
	ds_load_2addr_b32 v[65:66], v5 offset0:10 offset1:11
	ds_load_2addr_b32 v[77:78], v5 offset0:8 offset1:9
	v_fmac_f32_e32 v82, v187, v8
	s_wait_dscnt 0x7
	v_perm_b32 v207, v14, v13, 0x6040503
	s_wait_dscnt 0x6
	v_perm_b32 v9, v232, v51, 0x6050401
	v_perm_b32 v208, v53, v14, 0x7060403
	s_wait_dscnt 0x5
	v_perm_b32 v211, v11, v10, 0x6040503
	s_wait_dscnt 0x3
	;; [unrolled: 2-line block ×3, first 2 shown]
	v_perm_b32 v4, v75, v238, 0x6040501
	v_perm_b32 v8, v76, v236, 0x6040503
	;; [unrolled: 1-line block ×3, first 2 shown]
	s_wait_dscnt 0x1
	v_perm_b32 v5, v195, v65, 0x6040501
	s_wait_dscnt 0x0
	v_perm_b32 v224, v65, v78, 0x7060403
	v_dot4_i32_iu8 v4, v7, v4, 0 neg_lo:[1,1,0]
	v_perm_b32 v7, v237, v75, 0x6040503
	v_perm_b32 v213, v51, v11, 0x7060403
	v_bfe_i32 v209, v6, 8, 8
	v_bfe_i32 v214, v6, 0, 8
	;; [unrolled: 1-line block ×3, first 2 shown]
	v_dot4_i32_iu8 v4, v8, v7, v4 neg_lo:[1,1,0]
	v_perm_b32 v8, v78, v195, 0x6040503
	v_ashrrev_i32_e32 v217, 24, v6
	s_delay_alu instid0(VALU_DEP_3) | instskip(NEXT) | instid1(VALU_DEP_1)
	v_dot4_i32_iu8 v4, v57, v223, v4 neg_lo:[1,1,0]
	v_dot4_i32_iu8 v7, v239, v64, v4 neg_lo:[1,1,0]
	v_perm_b32 v4, v77, v197, 0x6040501
	s_delay_alu instid0(VALU_DEP_1) | instskip(SKIP_1) | instid1(VALU_DEP_1)
	v_dot4_i32_iu8 v4, v5, v4, 0 neg_lo:[1,1,0]
	v_perm_b32 v5, v196, v77, 0x6040503
	v_dot4_i32_iu8 v4, v8, v5, v4 neg_lo:[1,1,0]
	v_perm_b32 v5, v191, v53, 0x6050401
	s_delay_alu instid0(VALU_DEP_2) | instskip(NEXT) | instid1(VALU_DEP_1)
	v_dot4_i32_iu8 v4, v80, v224, v4 neg_lo:[1,1,0]
	v_dot4_i32_iu8 v8, v198, v66, v4 neg_lo:[1,1,0]
	v_perm_b32 v4, v13, v193, 0x6050401
	s_delay_alu instid0(VALU_DEP_1) | instskip(SKIP_1) | instid1(VALU_DEP_2)
	v_dot4_i32_iu8 v4, v5, v4, 0 neg_lo:[1,1,0]
	v_perm_b32 v5, v10, v234, 0x6050401
	v_dot4_i32_iu8 v4, v89, v207, v4 neg_lo:[1,1,0]
	s_delay_alu instid0(VALU_DEP_2) | instskip(NEXT) | instid1(VALU_DEP_2)
	v_dot4_i32_iu8 v5, v9, v5, 0 neg_lo:[1,1,0]
	v_dot4_i32_iu8 v4, v90, v208, v4 neg_lo:[1,1,0]
	s_delay_alu instid0(VALU_DEP_2) | instskip(NEXT) | instid1(VALU_DEP_2)
	v_dot4_i32_iu8 v5, v192, v211, v5 neg_lo:[1,1,0]
	;; [unrolled: 3-line block ×3, first 2 shown]
	v_mul_lo_u32 v4, v4, v209
	s_delay_alu instid0(VALU_DEP_2) | instskip(NEXT) | instid1(VALU_DEP_1)
	v_dot4_i32_iu8 v5, v52, v235, v5 neg_lo:[1,1,0]
	v_mad_co_u64_u32 v[4:5], null, v5, v214, v[4:5]
	s_delay_alu instid0(VALU_DEP_1) | instskip(NEXT) | instid1(VALU_DEP_1)
	v_cvt_f32_i32_e32 v4, v4
	v_fma_f32 v9, v87, v4, 0
	v_mul_lo_u32 v4, v8, v215
	s_delay_alu instid0(VALU_DEP_1) | instskip(SKIP_1) | instid1(VALU_DEP_2)
	v_mad_co_u64_u32 v[4:5], null, v7, v217, v[4:5]
	v_add_nc_u32_e32 v5, s16, v140
	v_cvt_f32_i32_e32 v4, v4
	s_delay_alu instid0(VALU_DEP_1) | instskip(SKIP_1) | instid1(VALU_DEP_2)
	v_fmac_f32_e32 v9, v88, v4
	v_add3_u32 v4, s11, v185, v138
	v_fmac_f32_e32 v173, v188, v9
	ds_load_2addr_b32 v[49:50], v5 offset0:6 offset1:7
	ds_load_2addr_b32 v[11:12], v5 offset0:4 offset1:5
	;; [unrolled: 1-line block ×3, first 2 shown]
	ds_load_2addr_b32 v[8:9], v5 offset1:1
	ds_load_b32 v6, v4
	ds_load_2addr_b32 v[59:60], v5 offset0:14 offset1:15
	ds_load_2addr_b32 v[71:72], v5 offset0:12 offset1:13
	;; [unrolled: 1-line block ×4, first 2 shown]
	s_wait_dscnt 0x7
	v_perm_b32 v199, v12, v11, 0x6040503
	v_perm_b32 v200, v49, v12, 0x7060403
	s_wait_dscnt 0x6
	v_perm_b32 v12, v232, v47, 0x6050401
	s_wait_dscnt 0x5
	;; [unrolled: 2-line block ×4, first 2 shown]
	v_perm_b32 v4, v71, v238, 0x6040501
	v_perm_b32 v14, v72, v236, 0x6040503
	;; [unrolled: 1-line block ×3, first 2 shown]
	s_wait_dscnt 0x1
	v_perm_b32 v5, v195, v61, 0x6040501
	s_wait_dscnt 0x0
	v_perm_b32 v219, v61, v74, 0x7060403
	v_dot4_i32_iu8 v4, v7, v4, 0 neg_lo:[1,1,0]
	v_perm_b32 v7, v237, v71, 0x6040503
	v_perm_b32 v203, v47, v9, 0x7060403
	v_bfe_i32 v201, v6, 8, 8
	v_bfe_i32 v204, v6, 0, 8
	;; [unrolled: 1-line block ×3, first 2 shown]
	v_dot4_i32_iu8 v4, v14, v7, v4 neg_lo:[1,1,0]
	v_perm_b32 v14, v74, v195, 0x6040503
	v_ashrrev_i32_e32 v206, 24, v6
	v_perm_b32 v59, v71, v59, 0x6040501
	v_perm_b32 v61, v73, v61, 0x6040501
	v_dot4_i32_iu8 v4, v57, v218, v4 neg_lo:[1,1,0]
	v_perm_b32 v47, v8, v47, 0x6050401
	s_delay_alu instid0(VALU_DEP_2) | instskip(SKIP_1) | instid1(VALU_DEP_1)
	v_dot4_i32_iu8 v7, v239, v60, v4 neg_lo:[1,1,0]
	v_perm_b32 v4, v73, v197, 0x6040501
	v_dot4_i32_iu8 v4, v5, v4, 0 neg_lo:[1,1,0]
	v_perm_b32 v5, v196, v73, 0x6040503
	s_delay_alu instid0(VALU_DEP_1) | instskip(SKIP_2) | instid1(VALU_DEP_3)
	v_dot4_i32_iu8 v4, v14, v5, v4 neg_lo:[1,1,0]
	v_perm_b32 v5, v191, v49, 0x6050401
	v_perm_b32 v49, v11, v49, 0x6050401
	v_dot4_i32_iu8 v4, v80, v219, v4 neg_lo:[1,1,0]
	s_delay_alu instid0(VALU_DEP_1) | instskip(SKIP_1) | instid1(VALU_DEP_1)
	v_dot4_i32_iu8 v14, v198, v62, v4 neg_lo:[1,1,0]
	v_perm_b32 v4, v11, v193, 0x6050401
	v_dot4_i32_iu8 v4, v5, v4, 0 neg_lo:[1,1,0]
	v_perm_b32 v5, v8, v234, 0x6050401
	s_delay_alu instid0(VALU_DEP_2) | instskip(NEXT) | instid1(VALU_DEP_2)
	v_dot4_i32_iu8 v4, v89, v199, v4 neg_lo:[1,1,0]
	v_dot4_i32_iu8 v5, v12, v5, 0 neg_lo:[1,1,0]
	v_add_nc_u32_e32 v12, s16, v144
	s_delay_alu instid0(VALU_DEP_3) | instskip(NEXT) | instid1(VALU_DEP_3)
	v_dot4_i32_iu8 v4, v90, v200, v4 neg_lo:[1,1,0]
	v_dot4_i32_iu8 v5, v192, v202, v5 neg_lo:[1,1,0]
	s_delay_alu instid0(VALU_DEP_2) | instskip(NEXT) | instid1(VALU_DEP_2)
	v_dot4_i32_iu8 v4, v50, v194, v4 neg_lo:[1,1,0]
	v_dot4_i32_iu8 v5, v233, v203, v5 neg_lo:[1,1,0]
	s_delay_alu instid0(VALU_DEP_2) | instskip(NEXT) | instid1(VALU_DEP_2)
	v_mul_lo_u32 v4, v4, v201
	v_dot4_i32_iu8 v5, v48, v235, v5 neg_lo:[1,1,0]
	s_delay_alu instid0(VALU_DEP_1) | instskip(NEXT) | instid1(VALU_DEP_1)
	v_mad_co_u64_u32 v[4:5], null, v5, v204, v[4:5]
	v_cvt_f32_i32_e32 v4, v4
	s_delay_alu instid0(VALU_DEP_1) | instskip(SKIP_1) | instid1(VALU_DEP_1)
	v_fma_f32 v9, v87, v4, 0
	v_mul_lo_u32 v4, v14, v205
	v_mad_co_u64_u32 v[4:5], null, v7, v206, v[4:5]
	s_delay_alu instid0(VALU_DEP_1) | instskip(NEXT) | instid1(VALU_DEP_1)
	v_cvt_f32_i32_e32 v4, v4
	v_fmac_f32_e32 v9, v88, v4
	s_delay_alu instid0(VALU_DEP_1)
	v_fmac_f32_e32 v178, v189, v9
	v_add3_u32 v9, s11, v186, v142
	ds_load_2addr_b32 v[45:46], v12 offset0:6 offset1:7
	ds_load_2addr_b32 v[6:7], v12 offset0:4 offset1:5
	;; [unrolled: 1-line block ×3, first 2 shown]
	ds_load_2addr_b32 v[4:5], v12 offset1:1
	ds_load_b32 v9, v9
	ds_load_2addr_b32 v[55:56], v12 offset0:14 offset1:15
	ds_load_2addr_b32 v[14:15], v12 offset0:12 offset1:13
	s_wait_dscnt 0x6
	v_perm_b32 v191, v191, v45, 0x6050401
	s_wait_dscnt 0x1
	v_perm_b32 v69, v236, v55, 0x6040501
	;; [unrolled: 2-line block ×3, first 2 shown]
	v_perm_b32 v70, v15, v236, 0x6040503
	v_perm_b32 v210, v55, v15, 0x7060403
	;; [unrolled: 1-line block ×4, first 2 shown]
	v_dot4_i32_iu8 v58, v69, v58, 0 neg_lo:[1,1,0]
	v_perm_b32 v69, v237, v14, 0x6040503
	v_perm_b32 v237, v231, v68, 0x5040201
	;; [unrolled: 1-line block ×3, first 2 shown]
	s_delay_alu instid0(VALU_DEP_3) | instskip(NEXT) | instid1(VALU_DEP_1)
	v_dot4_i32_iu8 v58, v70, v69, v58 neg_lo:[1,1,0]
	v_dot4_i32_iu8 v57, v57, v210, v58 neg_lo:[1,1,0]
	s_delay_alu instid0(VALU_DEP_1)
	v_dot4_i32_iu8 v236, v239, v56, v57 neg_lo:[1,1,0]
	ds_load_2addr_b32 v[57:58], v12 offset0:10 offset1:11
	ds_load_2addr_b32 v[69:70], v12 offset0:8 offset1:9
	v_perm_b32 v239, v1, v0, 0x6050402
	s_wait_dscnt 0x0
	v_perm_b32 v12, v69, v197, 0x6040501
	v_perm_b32 v197, v195, v57, 0x6040501
	;; [unrolled: 1-line block ×5, first 2 shown]
	s_delay_alu instid0(VALU_DEP_4) | instskip(SKIP_1) | instid1(VALU_DEP_2)
	v_dot4_i32_iu8 v12, v197, v12, 0 neg_lo:[1,1,0]
	v_perm_b32 v197, v45, v7, 0x7060403
	v_dot4_i32_iu8 v12, v195, v196, v12 neg_lo:[1,1,0]
	v_perm_b32 v195, v5, v4, 0x6040503
	v_bfe_i32 v196, v9, 8, 8
	s_delay_alu instid0(VALU_DEP_3) | instskip(SKIP_2) | instid1(VALU_DEP_3)
	v_dot4_i32_iu8 v12, v80, v216, v12 neg_lo:[1,1,0]
	v_perm_b32 v80, v6, v193, 0x6050401
	v_bfe_i32 v193, v9, 0, 8
	v_dot4_i32_iu8 v12, v198, v58, v12 neg_lo:[1,1,0]
	s_delay_alu instid0(VALU_DEP_3) | instskip(SKIP_2) | instid1(VALU_DEP_2)
	v_dot4_i32_iu8 v80, v191, v80, 0 neg_lo:[1,1,0]
	v_perm_b32 v198, v7, v6, 0x6040503
	v_bfe_i32 v191, v9, 16, 8
	v_dot4_i32_iu8 v80, v89, v198, v80 neg_lo:[1,1,0]
	v_perm_b32 v89, v232, v35, 0x6050401
	s_delay_alu instid0(VALU_DEP_2)
	v_dot4_i32_iu8 v7, v90, v197, v80 neg_lo:[1,1,0]
	v_perm_b32 v80, v4, v234, 0x6050401
	v_perm_b32 v234, v75, v63, 0x6040501
	v_perm_b32 v75, v76, v75, 0x6040503
	v_perm_b32 v76, v77, v65, 0x6040501
	v_dot4_i32_iu8 v7, v46, v194, v7 neg_lo:[1,1,0]
	v_dot4_i32_iu8 v80, v89, v80, 0 neg_lo:[1,1,0]
	v_perm_b32 v194, v35, v5, 0x7060403
	v_perm_b32 v77, v78, v77, 0x6040503
	;; [unrolled: 1-line block ×3, first 2 shown]
	v_mul_lo_u32 v7, v7, v196
	v_dot4_i32_iu8 v80, v192, v195, v80 neg_lo:[1,1,0]
	v_ashrrev_i32_e32 v192, 24, v9
	v_perm_b32 v65, v10, v51, 0x6050401
	v_perm_b32 v53, v15, v14, 0x6040503
	;; [unrolled: 1-line block ×3, first 2 shown]
	v_dot4_i32_iu8 v5, v233, v194, v80 neg_lo:[1,1,0]
	v_perm_b32 v233, v37, v42, 0x7060403
	s_delay_alu instid0(VALU_DEP_2) | instskip(SKIP_1) | instid1(VALU_DEP_2)
	v_dot4_i32_iu8 v5, v36, v235, v5 neg_lo:[1,1,0]
	v_perm_b32 v235, v67, v3, 0x402030c
	v_mad_co_u64_u32 v[89:90], null, v5, v193, v[7:8]
	s_delay_alu instid0(VALU_DEP_1) | instskip(NEXT) | instid1(VALU_DEP_1)
	v_cvt_f32_i32_e32 v5, v89
	v_fma_f32 v7, v87, v5, 0
	v_mul_lo_u32 v5, v12, v191
	s_delay_alu instid0(VALU_DEP_1) | instskip(SKIP_1) | instid1(VALU_DEP_2)
	v_mad_co_u64_u32 v[89:90], null, v236, v192, v[5:6]
	v_perm_b32 v236, v68, v67, 0x4020301
	v_cvt_f32_i32_e32 v5, v89
	s_delay_alu instid0(VALU_DEP_1) | instskip(SKIP_1) | instid1(VALU_DEP_2)
	v_fmac_f32_e32 v7, v88, v5
	v_or_b32_e32 v5, s10, v127
	v_fmac_f32_e32 v181, v190, v7
	s_delay_alu instid0(VALU_DEP_2)
	v_lshlrev_b32_e32 v7, 2, v5
	v_lshrrev_b32_e32 v5, 1, v5
	ds_load_b128 v[241:244], v7 offset:33280
	ds_load_b128 v[245:248], v7 offset:33296
	;; [unrolled: 1-line block ×4, first 2 shown]
	ds_load_b64 v[253:254], v5 offset:43584
	s_wait_dscnt 0x4
	v_perm_b32 v10, v241, v243, 0x6050401
	s_wait_dscnt 0x3
	v_perm_b32 v3, v246, v245, 0x6040503
	s_wait_dscnt 0x2
	v_bfe_i32 v5, v251, 8, 8
	v_bfe_i32 v7, v249, 8, 8
	;; [unrolled: 1-line block ×3, first 2 shown]
	v_ashrrev_i32_e32 v12, 24, v251
	v_perm_b32 v0, v251, v250, 0x4030200
	v_mul_i32_i24_e32 v5, v5, v226
	v_perm_b32 v1, v252, v252, 0x3020001
	v_mul_i32_i24_e32 v9, v228, v9
	v_mul_i32_i24_e32 v12, v227, v12
	s_wait_dscnt 0x1
	v_perm_b32 v232, v89, v89, 0xc0c0c01
	v_mad_i32_i24 v5, v229, v7, v5
	v_perm_b32 v7, v250, v249, 0x5030200
	v_perm_b32 v80, v87, v68, 0x6040503
	;; [unrolled: 1-line block ×3, first 2 shown]
	v_or_b32_e32 v232, v235, v232
	v_perm_b32 v44, v250, v249, 0x6040503
	v_dot4_i32_iu8 v5, v238, v7, v5 neg_lo:[1,1,0]
	v_perm_b32 v7, v41, v243, 0x6050401
	v_perm_b32 v78, v251, v250, 0x7060403
	v_dot4_i32_iu8 v80, v232, v80, 0 neg_lo:[1,1,0]
	v_perm_b32 v232, v42, v41, 0x6040503
	v_dot4_i32_iu8 v0, v239, v0, v5 neg_lo:[1,1,0]
	v_perm_b32 v5, v247, v246, 0x7060403
	v_perm_b32 v42, v249, v251, 0x6040501
	v_dot4_i32_iu8 v67, v255, v236, v80 neg_lo:[1,1,0]
	v_perm_b32 v80, v89, v88, 0x7060403
	v_add3_u32 v0, v0, v9, v12
	v_perm_b32 v9, v243, v242, 0x7060403
	v_perm_b32 v13, v245, v247, 0x6050401
	s_delay_alu instid0(VALU_DEP_4) | instskip(NEXT) | instid1(VALU_DEP_4)
	v_dot4_i32_iu8 v67, v237, v80, v67 neg_lo:[1,1,0]
	v_dot4_i32_iu8 v2, v240, v1, v0 neg_lo:[1,1,0]
	v_perm_b32 v0, v245, v39, 0x6050401
	v_perm_b32 v1, v43, v247, 0x6050401
	s_delay_alu instid0(VALU_DEP_4) | instskip(NEXT) | instid1(VALU_DEP_2)
	v_dot4_i32_iu8 v67, v225, v90, v67 neg_lo:[1,1,0]
	v_dot4_i32_iu8 v0, v1, v0, 0 neg_lo:[1,1,0]
	v_perm_b32 v1, v241, v37, 0x6050401
	s_delay_alu instid0(VALU_DEP_2) | instskip(NEXT) | instid1(VALU_DEP_2)
	v_dot4_i32_iu8 v0, v230, v3, v0 neg_lo:[1,1,0]
	v_dot4_i32_iu8 v1, v7, v1, 0 neg_lo:[1,1,0]
	v_perm_b32 v7, v242, v241, 0x6040503
	s_delay_alu instid0(VALU_DEP_3) | instskip(NEXT) | instid1(VALU_DEP_2)
	v_dot4_i32_iu8 v0, v231, v5, v0 neg_lo:[1,1,0]
	v_dot4_i32_iu8 v1, v232, v7, v1 neg_lo:[1,1,0]
	s_delay_alu instid0(VALU_DEP_2) | instskip(NEXT) | instid1(VALU_DEP_2)
	v_dot4_i32_iu8 v0, v248, v40, v0 neg_lo:[1,1,0]
	v_dot4_i32_iu8 v1, v233, v9, v1 neg_lo:[1,1,0]
	s_delay_alu instid0(VALU_DEP_2) | instskip(NEXT) | instid1(VALU_DEP_2)
	v_mul_lo_u32 v0, v0, v212
	v_dot4_i32_iu8 v1, v244, v38, v1 neg_lo:[1,1,0]
	s_delay_alu instid0(VALU_DEP_1) | instskip(NEXT) | instid1(VALU_DEP_1)
	v_mad_co_u64_u32 v[0:1], null, v1, v220, v[0:1]
	v_cvt_f32_i32_e32 v0, v0
	s_wait_dscnt 0x0
	s_delay_alu instid0(VALU_DEP_1) | instskip(SKIP_1) | instid1(VALU_DEP_1)
	v_fma_f32 v12, v253, v0, 0
	v_mul_lo_u32 v0, v67, v222
	v_mad_co_u64_u32 v[0:1], null, v2, v221, v[0:1]
	v_perm_b32 v2, v87, v89, 0x6040501
	v_dot4_i32_iu8 v1, v10, v65, 0 neg_lo:[1,1,0]
	s_delay_alu instid0(VALU_DEP_3) | instskip(NEXT) | instid1(VALU_DEP_2)
	v_cvt_f32_i32_e32 v0, v0
	v_dot4_i32_iu8 v1, v7, v211, v1 neg_lo:[1,1,0]
	s_delay_alu instid0(VALU_DEP_2) | instskip(SKIP_1) | instid1(VALU_DEP_3)
	v_fmac_f32_e32 v12, v254, v0
	v_dot4_i32_iu8 v0, v2, v234, 0 neg_lo:[1,1,0]
	v_dot4_i32_iu8 v1, v9, v213, v1 neg_lo:[1,1,0]
	s_delay_alu instid0(VALU_DEP_3) | instskip(NEXT) | instid1(VALU_DEP_3)
	v_fmac_f32_e32 v159, v187, v12
	v_dot4_i32_iu8 v0, v255, v75, v0 neg_lo:[1,1,0]
	s_delay_alu instid0(VALU_DEP_3) | instskip(NEXT) | instid1(VALU_DEP_2)
	v_dot4_i32_iu8 v1, v244, v52, v1 neg_lo:[1,1,0]
	v_dot4_i32_iu8 v0, v80, v223, v0 neg_lo:[1,1,0]
	s_delay_alu instid0(VALU_DEP_1) | instskip(SKIP_1) | instid1(VALU_DEP_1)
	v_dot4_i32_iu8 v12, v90, v64, v0 neg_lo:[1,1,0]
	v_dot4_i32_iu8 v0, v42, v76, 0 neg_lo:[1,1,0]
	;; [unrolled: 1-line block ×3, first 2 shown]
	s_delay_alu instid0(VALU_DEP_1) | instskip(NEXT) | instid1(VALU_DEP_1)
	v_dot4_i32_iu8 v0, v78, v224, v0 neg_lo:[1,1,0]
	v_dot4_i32_iu8 v67, v252, v66, v0 neg_lo:[1,1,0]
	;; [unrolled: 1-line block ×3, first 2 shown]
	s_delay_alu instid0(VALU_DEP_1) | instskip(NEXT) | instid1(VALU_DEP_1)
	v_dot4_i32_iu8 v0, v3, v207, v0 neg_lo:[1,1,0]
	v_dot4_i32_iu8 v0, v5, v208, v0 neg_lo:[1,1,0]
	s_delay_alu instid0(VALU_DEP_1) | instskip(NEXT) | instid1(VALU_DEP_1)
	v_dot4_i32_iu8 v0, v248, v54, v0 neg_lo:[1,1,0]
	v_mul_lo_u32 v0, v0, v209
	s_delay_alu instid0(VALU_DEP_1) | instskip(NEXT) | instid1(VALU_DEP_1)
	v_mad_co_u64_u32 v[0:1], null, v1, v214, v[0:1]
	v_cvt_f32_i32_e32 v0, v0
	s_delay_alu instid0(VALU_DEP_1) | instskip(SKIP_1) | instid1(VALU_DEP_1)
	v_fma_f32 v51, v253, v0, 0
	v_mul_lo_u32 v0, v12, v217
	v_mad_co_u64_u32 v[0:1], null, v67, v215, v[0:1]
	v_perm_b32 v67, v72, v71, 0x6040503
	v_perm_b32 v71, v74, v73, 0x6040503
	v_dot4_i32_iu8 v1, v10, v47, 0 neg_lo:[1,1,0]
	s_delay_alu instid0(VALU_DEP_4) | instskip(NEXT) | instid1(VALU_DEP_2)
	v_cvt_f32_i32_e32 v0, v0
	v_dot4_i32_iu8 v1, v7, v202, v1 neg_lo:[1,1,0]
	s_delay_alu instid0(VALU_DEP_2) | instskip(SKIP_1) | instid1(VALU_DEP_3)
	v_fmac_f32_e32 v51, v254, v0
	v_dot4_i32_iu8 v0, v2, v59, 0 neg_lo:[1,1,0]
	v_dot4_i32_iu8 v1, v9, v203, v1 neg_lo:[1,1,0]
	s_delay_alu instid0(VALU_DEP_3) | instskip(NEXT) | instid1(VALU_DEP_3)
	v_fmac_f32_e32 v170, v188, v51
	v_dot4_i32_iu8 v0, v255, v67, v0 neg_lo:[1,1,0]
	s_delay_alu instid0(VALU_DEP_3) | instskip(NEXT) | instid1(VALU_DEP_2)
	v_dot4_i32_iu8 v1, v244, v48, v1 neg_lo:[1,1,0]
	v_dot4_i32_iu8 v0, v80, v218, v0 neg_lo:[1,1,0]
	s_delay_alu instid0(VALU_DEP_1) | instskip(SKIP_1) | instid1(VALU_DEP_1)
	v_dot4_i32_iu8 v12, v90, v60, v0 neg_lo:[1,1,0]
	v_dot4_i32_iu8 v0, v42, v61, 0 neg_lo:[1,1,0]
	;; [unrolled: 1-line block ×3, first 2 shown]
	s_delay_alu instid0(VALU_DEP_1) | instskip(NEXT) | instid1(VALU_DEP_1)
	v_dot4_i32_iu8 v0, v78, v219, v0 neg_lo:[1,1,0]
	v_dot4_i32_iu8 v51, v252, v62, v0 neg_lo:[1,1,0]
	;; [unrolled: 1-line block ×3, first 2 shown]
	s_delay_alu instid0(VALU_DEP_1) | instskip(NEXT) | instid1(VALU_DEP_1)
	v_dot4_i32_iu8 v0, v3, v199, v0 neg_lo:[1,1,0]
	v_dot4_i32_iu8 v0, v5, v200, v0 neg_lo:[1,1,0]
	s_delay_alu instid0(VALU_DEP_1) | instskip(NEXT) | instid1(VALU_DEP_1)
	v_dot4_i32_iu8 v0, v248, v50, v0 neg_lo:[1,1,0]
	v_mul_lo_u32 v0, v0, v201
	s_delay_alu instid0(VALU_DEP_1) | instskip(NEXT) | instid1(VALU_DEP_1)
	v_mad_co_u64_u32 v[0:1], null, v1, v204, v[0:1]
	v_cvt_f32_i32_e32 v0, v0
	s_delay_alu instid0(VALU_DEP_1) | instskip(SKIP_1) | instid1(VALU_DEP_1)
	v_fma_f32 v8, v253, v0, 0
	v_mul_lo_u32 v0, v12, v206
	v_mad_co_u64_u32 v[0:1], null, v51, v205, v[0:1]
	v_perm_b32 v51, v14, v55, 0x6040501
	v_perm_b32 v55, v69, v57, 0x6040501
	;; [unrolled: 1-line block ×3, first 2 shown]
	v_dot4_i32_iu8 v1, v10, v35, 0 neg_lo:[1,1,0]
	v_cvt_f32_i32_e32 v0, v0
	s_delay_alu instid0(VALU_DEP_2) | instskip(NEXT) | instid1(VALU_DEP_2)
	v_dot4_i32_iu8 v1, v7, v195, v1 neg_lo:[1,1,0]
	v_fmac_f32_e32 v8, v254, v0
	v_dot4_i32_iu8 v0, v2, v51, 0 neg_lo:[1,1,0]
	s_delay_alu instid0(VALU_DEP_3) | instskip(NEXT) | instid1(VALU_DEP_3)
	v_dot4_i32_iu8 v1, v9, v194, v1 neg_lo:[1,1,0]
	v_fmac_f32_e32 v176, v189, v8
	s_delay_alu instid0(VALU_DEP_3) | instskip(NEXT) | instid1(VALU_DEP_3)
	v_dot4_i32_iu8 v0, v255, v53, v0 neg_lo:[1,1,0]
	v_dot4_i32_iu8 v1, v244, v36, v1 neg_lo:[1,1,0]
	s_delay_alu instid0(VALU_DEP_2) | instskip(NEXT) | instid1(VALU_DEP_1)
	v_dot4_i32_iu8 v0, v80, v210, v0 neg_lo:[1,1,0]
	v_dot4_i32_iu8 v2, v90, v56, v0 neg_lo:[1,1,0]
	v_dot4_i32_iu8 v0, v42, v55, 0 neg_lo:[1,1,0]
	v_perm_b32 v42, v6, v45, 0x6050401
	s_delay_alu instid0(VALU_DEP_2) | instskip(NEXT) | instid1(VALU_DEP_1)
	v_dot4_i32_iu8 v0, v44, v57, v0 neg_lo:[1,1,0]
	v_dot4_i32_iu8 v0, v78, v216, v0 neg_lo:[1,1,0]
	s_delay_alu instid0(VALU_DEP_1) | instskip(NEXT) | instid1(VALU_DEP_4)
	v_dot4_i32_iu8 v8, v252, v58, v0 neg_lo:[1,1,0]
	v_dot4_i32_iu8 v0, v13, v42, 0 neg_lo:[1,1,0]
	s_delay_alu instid0(VALU_DEP_1) | instskip(NEXT) | instid1(VALU_DEP_1)
	v_dot4_i32_iu8 v0, v3, v198, v0 neg_lo:[1,1,0]
	v_dot4_i32_iu8 v0, v5, v197, v0 neg_lo:[1,1,0]
	s_delay_alu instid0(VALU_DEP_1) | instskip(NEXT) | instid1(VALU_DEP_1)
	v_dot4_i32_iu8 v0, v248, v46, v0 neg_lo:[1,1,0]
	v_mul_lo_u32 v0, v0, v196
	s_delay_alu instid0(VALU_DEP_1) | instskip(NEXT) | instid1(VALU_DEP_1)
	v_mad_co_u64_u32 v[0:1], null, v1, v193, v[0:1]
	v_cvt_f32_i32_e32 v0, v0
	s_delay_alu instid0(VALU_DEP_1) | instskip(SKIP_1) | instid1(VALU_DEP_1)
	v_fma_f32 v3, v253, v0, 0
	v_mul_lo_u32 v0, v2, v192
	v_mad_co_u64_u32 v[0:1], null, v8, v191, v[0:1]
	s_delay_alu instid0(VALU_DEP_1) | instskip(NEXT) | instid1(VALU_DEP_1)
	v_cvt_f32_i32_e32 v0, v0
	v_fmac_f32_e32 v3, v254, v0
	v_or_b32_e32 v0, s10, v128
	s_delay_alu instid0(VALU_DEP_2) | instskip(NEXT) | instid1(VALU_DEP_2)
	v_fmac_f32_e32 v180, v190, v3
	v_lshlrev_b32_e32 v12, 2, v0
	v_lshrrev_b32_e32 v44, 1, v0
	ds_load_b128 v[0:3], v12 offset:33280
	ds_load_b128 v[4:7], v12 offset:33296
	ds_load_b128 v[8:11], v12 offset:33312
	ds_load_b128 v[12:15], v12 offset:33328
	ds_load_b64 v[44:45], v44 offset:43584
	s_wait_dscnt 0x4
	v_perm_b32 v87, v1, v0, 0x6040503
	s_wait_dscnt 0x3
	v_perm_b32 v80, v6, v5, 0x7060403
	s_wait_dscnt 0x2
	v_bfe_i32 v69, v10, 8, 8
	v_bfe_i32 v70, v8, 8, 8
	;; [unrolled: 1-line block ×3, first 2 shown]
	v_ashrrev_i32_e32 v73, 24, v10
	s_wait_dscnt 0x1
	v_perm_b32 v78, v14, v14, 0xc0c0c01
	v_mul_i32_i24_e32 v69, v69, v226
	v_perm_b32 v88, v2, v1, 0x7060403
	v_mul_i32_i24_e32 v72, v228, v72
	v_mul_i32_i24_e32 v73, v227, v73
	v_perm_b32 v74, v12, v68, 0x6040503
	v_mad_i32_i24 v69, v229, v70, v69
	v_perm_b32 v70, v9, v8, 0x5030200
	v_or_b32_e32 v78, v235, v78
	s_delay_alu instid0(VALU_DEP_2) | instskip(SKIP_1) | instid1(VALU_DEP_3)
	v_dot4_i32_iu8 v69, v238, v70, v69 neg_lo:[1,1,0]
	v_perm_b32 v70, v10, v9, 0x4030200
	v_dot4_i32_iu8 v74, v78, v74, 0 neg_lo:[1,1,0]
	v_perm_b32 v78, v13, v12, 0x6040503
	v_perm_b32 v13, v14, v13, 0x7060403
	s_delay_alu instid0(VALU_DEP_4) | instskip(SKIP_1) | instid1(VALU_DEP_4)
	v_dot4_i32_iu8 v69, v239, v70, v69 neg_lo:[1,1,0]
	v_perm_b32 v70, v11, v11, 0x3020001
	v_dot4_i32_iu8 v74, v78, v236, v74 neg_lo:[1,1,0]
	s_delay_alu instid0(VALU_DEP_3) | instskip(SKIP_1) | instid1(VALU_DEP_3)
	v_add3_u32 v69, v69, v72, v73
	v_perm_b32 v73, v5, v4, 0x6040503
	v_dot4_i32_iu8 v74, v237, v13, v74 neg_lo:[1,1,0]
	s_delay_alu instid0(VALU_DEP_3) | instskip(SKIP_2) | instid1(VALU_DEP_4)
	v_dot4_i32_iu8 v72, v240, v70, v69 neg_lo:[1,1,0]
	v_perm_b32 v69, v4, v39, 0x6050401
	v_perm_b32 v70, v43, v6, 0x6050401
	v_dot4_i32_iu8 v74, v225, v15, v74 neg_lo:[1,1,0]
	v_perm_b32 v4, v4, v6, 0x6050401
	s_delay_alu instid0(VALU_DEP_3) | instskip(SKIP_1) | instid1(VALU_DEP_2)
	v_dot4_i32_iu8 v69, v70, v69, 0 neg_lo:[1,1,0]
	v_perm_b32 v70, v41, v2, 0x6050401
	v_dot4_i32_iu8 v69, v230, v73, v69 neg_lo:[1,1,0]
	s_delay_alu instid0(VALU_DEP_1) | instskip(SKIP_1) | instid1(VALU_DEP_2)
	v_dot4_i32_iu8 v5, v231, v80, v69 neg_lo:[1,1,0]
	v_perm_b32 v69, v0, v37, 0x6050401
	v_dot4_i32_iu8 v5, v7, v40, v5 neg_lo:[1,1,0]
	s_delay_alu instid0(VALU_DEP_2) | instskip(NEXT) | instid1(VALU_DEP_2)
	v_dot4_i32_iu8 v69, v70, v69, 0 neg_lo:[1,1,0]
	v_mul_lo_u32 v5, v5, v212
	s_delay_alu instid0(VALU_DEP_2) | instskip(NEXT) | instid1(VALU_DEP_1)
	v_dot4_i32_iu8 v69, v232, v87, v69 neg_lo:[1,1,0]
	v_dot4_i32_iu8 v1, v233, v88, v69 neg_lo:[1,1,0]
	s_delay_alu instid0(VALU_DEP_1) | instskip(NEXT) | instid1(VALU_DEP_1)
	v_dot4_i32_iu8 v1, v3, v38, v1 neg_lo:[1,1,0]
	v_mad_co_u64_u32 v[69:70], null, v1, v220, v[5:6]
	s_delay_alu instid0(VALU_DEP_1) | instskip(SKIP_1) | instid1(VALU_DEP_1)
	v_cvt_f32_i32_e32 v1, v69
	s_wait_dscnt 0x0
	v_fma_f32 v5, v44, v1, 0
	v_mul_lo_u32 v1, v74, v222
	s_delay_alu instid0(VALU_DEP_1) | instskip(SKIP_1) | instid1(VALU_DEP_1)
	v_mad_co_u64_u32 v[69:70], null, v72, v221, v[1:2]
	v_perm_b32 v2, v0, v2, 0x6050401
	v_dot4_i32_iu8 v0, v2, v65, 0 neg_lo:[1,1,0]
	s_delay_alu instid0(VALU_DEP_3) | instskip(NEXT) | instid1(VALU_DEP_2)
	v_cvt_f32_i32_e32 v1, v69
	v_dot4_i32_iu8 v0, v87, v211, v0 neg_lo:[1,1,0]
	s_delay_alu instid0(VALU_DEP_2) | instskip(NEXT) | instid1(VALU_DEP_2)
	v_fmac_f32_e32 v5, v45, v1
	v_dot4_i32_iu8 v0, v88, v213, v0 neg_lo:[1,1,0]
	s_delay_alu instid0(VALU_DEP_2)
	v_fmac_f32_e32 v153, v187, v5
	v_perm_b32 v5, v12, v14, 0x6040501
	v_perm_b32 v14, v8, v10, 0x6040501
	;; [unrolled: 1-line block ×4, first 2 shown]
	v_dot4_i32_iu8 v0, v3, v52, v0 neg_lo:[1,1,0]
	v_dot4_i32_iu8 v1, v5, v234, 0 neg_lo:[1,1,0]
	s_delay_alu instid0(VALU_DEP_1) | instskip(NEXT) | instid1(VALU_DEP_1)
	v_dot4_i32_iu8 v1, v78, v75, v1 neg_lo:[1,1,0]
	v_dot4_i32_iu8 v1, v13, v223, v1 neg_lo:[1,1,0]
	s_delay_alu instid0(VALU_DEP_1) | instskip(SKIP_1) | instid1(VALU_DEP_1)
	v_dot4_i32_iu8 v12, v15, v64, v1 neg_lo:[1,1,0]
	v_dot4_i32_iu8 v1, v14, v76, 0 neg_lo:[1,1,0]
	v_dot4_i32_iu8 v1, v8, v77, v1 neg_lo:[1,1,0]
	s_delay_alu instid0(VALU_DEP_1) | instskip(NEXT) | instid1(VALU_DEP_1)
	v_dot4_i32_iu8 v1, v9, v224, v1 neg_lo:[1,1,0]
	v_dot4_i32_iu8 v10, v11, v66, v1 neg_lo:[1,1,0]
	;; [unrolled: 1-line block ×3, first 2 shown]
	s_delay_alu instid0(VALU_DEP_1) | instskip(NEXT) | instid1(VALU_DEP_1)
	v_dot4_i32_iu8 v1, v73, v207, v1 neg_lo:[1,1,0]
	v_dot4_i32_iu8 v1, v80, v208, v1 neg_lo:[1,1,0]
	s_delay_alu instid0(VALU_DEP_1) | instskip(NEXT) | instid1(VALU_DEP_1)
	v_dot4_i32_iu8 v1, v7, v54, v1 neg_lo:[1,1,0]
	v_mul_lo_u32 v1, v1, v209
	s_delay_alu instid0(VALU_DEP_1) | instskip(NEXT) | instid1(VALU_DEP_1)
	v_mad_co_u64_u32 v[0:1], null, v0, v214, v[1:2]
	v_cvt_f32_i32_e32 v0, v0
	s_delay_alu instid0(VALU_DEP_1) | instskip(SKIP_1) | instid1(VALU_DEP_1)
	v_fma_f32 v6, v44, v0, 0
	v_mul_lo_u32 v0, v12, v217
	v_mad_co_u64_u32 v[0:1], null, v10, v215, v[0:1]
	v_dot4_i32_iu8 v1, v2, v47, 0 neg_lo:[1,1,0]
	s_delay_alu instid0(VALU_DEP_1) | instskip(NEXT) | instid1(VALU_DEP_3)
	v_dot4_i32_iu8 v1, v87, v202, v1 neg_lo:[1,1,0]
	v_cvt_f32_i32_e32 v0, v0
	s_delay_alu instid0(VALU_DEP_2) | instskip(NEXT) | instid1(VALU_DEP_2)
	v_dot4_i32_iu8 v1, v88, v203, v1 neg_lo:[1,1,0]
	v_fmac_f32_e32 v6, v45, v0
	v_dot4_i32_iu8 v0, v5, v59, 0 neg_lo:[1,1,0]
	s_delay_alu instid0(VALU_DEP_3) | instskip(NEXT) | instid1(VALU_DEP_3)
	v_dot4_i32_iu8 v1, v3, v48, v1 neg_lo:[1,1,0]
	v_fmac_f32_e32 v167, v188, v6
	s_delay_alu instid0(VALU_DEP_3) | instskip(NEXT) | instid1(VALU_DEP_1)
	v_dot4_i32_iu8 v0, v78, v67, v0 neg_lo:[1,1,0]
	v_dot4_i32_iu8 v0, v13, v218, v0 neg_lo:[1,1,0]
	s_delay_alu instid0(VALU_DEP_1) | instskip(SKIP_1) | instid1(VALU_DEP_1)
	v_dot4_i32_iu8 v6, v15, v60, v0 neg_lo:[1,1,0]
	v_dot4_i32_iu8 v0, v14, v61, 0 neg_lo:[1,1,0]
	;; [unrolled: 1-line block ×3, first 2 shown]
	s_delay_alu instid0(VALU_DEP_1) | instskip(NEXT) | instid1(VALU_DEP_1)
	v_dot4_i32_iu8 v0, v9, v219, v0 neg_lo:[1,1,0]
	v_dot4_i32_iu8 v10, v11, v62, v0 neg_lo:[1,1,0]
	;; [unrolled: 1-line block ×3, first 2 shown]
	s_delay_alu instid0(VALU_DEP_1) | instskip(NEXT) | instid1(VALU_DEP_1)
	v_dot4_i32_iu8 v0, v73, v199, v0 neg_lo:[1,1,0]
	v_dot4_i32_iu8 v0, v80, v200, v0 neg_lo:[1,1,0]
	s_delay_alu instid0(VALU_DEP_1) | instskip(NEXT) | instid1(VALU_DEP_1)
	v_dot4_i32_iu8 v0, v7, v50, v0 neg_lo:[1,1,0]
	v_mul_lo_u32 v0, v0, v201
	s_delay_alu instid0(VALU_DEP_1) | instskip(NEXT) | instid1(VALU_DEP_1)
	v_mad_co_u64_u32 v[0:1], null, v1, v204, v[0:1]
	v_cvt_f32_i32_e32 v0, v0
	s_delay_alu instid0(VALU_DEP_1) | instskip(SKIP_1) | instid1(VALU_DEP_1)
	v_fma_f32 v12, v44, v0, 0
	v_mul_lo_u32 v0, v6, v206
	v_mad_co_u64_u32 v[0:1], null, v10, v205, v[0:1]
	v_dot4_i32_iu8 v1, v2, v35, 0 neg_lo:[1,1,0]
	s_delay_alu instid0(VALU_DEP_1) | instskip(NEXT) | instid1(VALU_DEP_3)
	v_dot4_i32_iu8 v1, v87, v195, v1 neg_lo:[1,1,0]
	v_cvt_f32_i32_e32 v0, v0
	s_delay_alu instid0(VALU_DEP_2) | instskip(NEXT) | instid1(VALU_DEP_2)
	v_dot4_i32_iu8 v1, v88, v194, v1 neg_lo:[1,1,0]
	v_fmac_f32_e32 v12, v45, v0
	v_dot4_i32_iu8 v0, v5, v51, 0 neg_lo:[1,1,0]
	s_delay_alu instid0(VALU_DEP_3) | instskip(NEXT) | instid1(VALU_DEP_2)
	v_dot4_i32_iu8 v1, v3, v36, v1 neg_lo:[1,1,0]
	v_dot4_i32_iu8 v0, v78, v53, v0 neg_lo:[1,1,0]
	s_delay_alu instid0(VALU_DEP_1) | instskip(NEXT) | instid1(VALU_DEP_1)
	v_dot4_i32_iu8 v0, v13, v210, v0 neg_lo:[1,1,0]
	v_dot4_i32_iu8 v5, v15, v56, v0 neg_lo:[1,1,0]
	;; [unrolled: 1-line block ×3, first 2 shown]
	s_delay_alu instid0(VALU_DEP_1) | instskip(NEXT) | instid1(VALU_DEP_1)
	v_dot4_i32_iu8 v0, v8, v57, v0 neg_lo:[1,1,0]
	v_dot4_i32_iu8 v0, v9, v216, v0 neg_lo:[1,1,0]
	s_delay_alu instid0(VALU_DEP_1) | instskip(SKIP_1) | instid1(VALU_DEP_1)
	v_dot4_i32_iu8 v6, v11, v58, v0 neg_lo:[1,1,0]
	v_dot4_i32_iu8 v0, v4, v42, 0 neg_lo:[1,1,0]
	;; [unrolled: 1-line block ×3, first 2 shown]
	s_delay_alu instid0(VALU_DEP_1) | instskip(NEXT) | instid1(VALU_DEP_1)
	v_dot4_i32_iu8 v0, v80, v197, v0 neg_lo:[1,1,0]
	v_dot4_i32_iu8 v0, v7, v46, v0 neg_lo:[1,1,0]
	s_delay_alu instid0(VALU_DEP_1) | instskip(NEXT) | instid1(VALU_DEP_1)
	v_mul_lo_u32 v0, v0, v196
	v_mad_co_u64_u32 v[0:1], null, v1, v193, v[0:1]
	s_delay_alu instid0(VALU_DEP_1) | instskip(NEXT) | instid1(VALU_DEP_1)
	v_cvt_f32_i32_e32 v0, v0
	v_fma_f32 v2, v44, v0, 0
	v_mul_lo_u32 v0, v5, v192
	s_delay_alu instid0(VALU_DEP_1) | instskip(NEXT) | instid1(VALU_DEP_1)
	v_mad_co_u64_u32 v[0:1], null, v6, v191, v[0:1]
	v_cvt_f32_i32_e32 v0, v0
	s_delay_alu instid0(VALU_DEP_1) | instskip(SKIP_1) | instid1(VALU_DEP_2)
	v_fmac_f32_e32 v2, v45, v0
	v_or_b32_e32 v0, s10, v129
	v_dual_fmac_f32 v174, v189, v12 :: v_dual_fmac_f32 v179, v190, v2
	s_delay_alu instid0(VALU_DEP_2)
	v_lshlrev_b32_e32 v12, 2, v0
	v_lshrrev_b32_e32 v44, 1, v0
	ds_load_b128 v[0:3], v12 offset:33280
	ds_load_b128 v[4:7], v12 offset:33296
	;; [unrolled: 1-line block ×4, first 2 shown]
	ds_load_b64 v[44:45], v44 offset:43584
	s_wait_dscnt 0x4
	v_perm_b32 v87, v1, v0, 0x6040503
	s_wait_dscnt 0x3
	v_perm_b32 v80, v6, v5, 0x7060403
	s_wait_dscnt 0x2
	v_bfe_i32 v69, v10, 8, 8
	v_bfe_i32 v70, v8, 8, 8
	;; [unrolled: 1-line block ×3, first 2 shown]
	v_ashrrev_i32_e32 v73, 24, v10
	s_wait_dscnt 0x1
	v_perm_b32 v78, v14, v14, 0xc0c0c01
	v_mul_i32_i24_e32 v69, v69, v226
	v_perm_b32 v88, v2, v1, 0x7060403
	v_mul_i32_i24_e32 v72, v228, v72
	v_mul_i32_i24_e32 v73, v227, v73
	v_perm_b32 v74, v12, v68, 0x6040503
	v_mad_i32_i24 v69, v229, v70, v69
	v_perm_b32 v70, v9, v8, 0x5030200
	v_or_b32_e32 v78, v235, v78
	s_delay_alu instid0(VALU_DEP_2) | instskip(SKIP_1) | instid1(VALU_DEP_3)
	v_dot4_i32_iu8 v69, v238, v70, v69 neg_lo:[1,1,0]
	v_perm_b32 v70, v10, v9, 0x4030200
	v_dot4_i32_iu8 v74, v78, v74, 0 neg_lo:[1,1,0]
	v_perm_b32 v78, v13, v12, 0x6040503
	v_perm_b32 v13, v14, v13, 0x7060403
	s_delay_alu instid0(VALU_DEP_4) | instskip(SKIP_1) | instid1(VALU_DEP_4)
	v_dot4_i32_iu8 v69, v239, v70, v69 neg_lo:[1,1,0]
	v_perm_b32 v70, v11, v11, 0x3020001
	v_dot4_i32_iu8 v74, v78, v236, v74 neg_lo:[1,1,0]
	s_delay_alu instid0(VALU_DEP_3) | instskip(SKIP_1) | instid1(VALU_DEP_3)
	v_add3_u32 v69, v69, v72, v73
	v_perm_b32 v73, v5, v4, 0x6040503
	v_dot4_i32_iu8 v74, v237, v13, v74 neg_lo:[1,1,0]
	s_delay_alu instid0(VALU_DEP_3) | instskip(SKIP_2) | instid1(VALU_DEP_4)
	v_dot4_i32_iu8 v72, v240, v70, v69 neg_lo:[1,1,0]
	v_perm_b32 v69, v4, v39, 0x6050401
	v_perm_b32 v70, v43, v6, 0x6050401
	v_dot4_i32_iu8 v74, v225, v15, v74 neg_lo:[1,1,0]
	v_perm_b32 v4, v4, v6, 0x6050401
	s_delay_alu instid0(VALU_DEP_3) | instskip(SKIP_1) | instid1(VALU_DEP_2)
	v_dot4_i32_iu8 v69, v70, v69, 0 neg_lo:[1,1,0]
	v_perm_b32 v70, v41, v2, 0x6050401
	v_dot4_i32_iu8 v69, v230, v73, v69 neg_lo:[1,1,0]
	s_delay_alu instid0(VALU_DEP_1) | instskip(SKIP_1) | instid1(VALU_DEP_2)
	v_dot4_i32_iu8 v5, v231, v80, v69 neg_lo:[1,1,0]
	v_perm_b32 v69, v0, v37, 0x6050401
	v_dot4_i32_iu8 v5, v7, v40, v5 neg_lo:[1,1,0]
	s_delay_alu instid0(VALU_DEP_2) | instskip(NEXT) | instid1(VALU_DEP_2)
	v_dot4_i32_iu8 v69, v70, v69, 0 neg_lo:[1,1,0]
	v_mul_lo_u32 v5, v5, v212
	s_delay_alu instid0(VALU_DEP_2) | instskip(NEXT) | instid1(VALU_DEP_1)
	v_dot4_i32_iu8 v69, v232, v87, v69 neg_lo:[1,1,0]
	v_dot4_i32_iu8 v1, v233, v88, v69 neg_lo:[1,1,0]
	s_delay_alu instid0(VALU_DEP_1) | instskip(NEXT) | instid1(VALU_DEP_1)
	v_dot4_i32_iu8 v1, v3, v38, v1 neg_lo:[1,1,0]
	v_mad_co_u64_u32 v[69:70], null, v1, v220, v[5:6]
	s_delay_alu instid0(VALU_DEP_1) | instskip(SKIP_1) | instid1(VALU_DEP_1)
	v_cvt_f32_i32_e32 v1, v69
	s_wait_dscnt 0x0
	v_fma_f32 v5, v44, v1, 0
	v_mul_lo_u32 v1, v74, v222
	s_delay_alu instid0(VALU_DEP_1) | instskip(SKIP_1) | instid1(VALU_DEP_1)
	v_mad_co_u64_u32 v[69:70], null, v72, v221, v[1:2]
	v_perm_b32 v2, v0, v2, 0x6050401
	v_dot4_i32_iu8 v0, v2, v65, 0 neg_lo:[1,1,0]
	s_delay_alu instid0(VALU_DEP_3) | instskip(NEXT) | instid1(VALU_DEP_2)
	v_cvt_f32_i32_e32 v1, v69
	v_dot4_i32_iu8 v0, v87, v211, v0 neg_lo:[1,1,0]
	s_delay_alu instid0(VALU_DEP_2) | instskip(NEXT) | instid1(VALU_DEP_2)
	v_fmac_f32_e32 v5, v45, v1
	v_dot4_i32_iu8 v0, v88, v213, v0 neg_lo:[1,1,0]
	s_delay_alu instid0(VALU_DEP_2)
	v_fmac_f32_e32 v147, v187, v5
	v_perm_b32 v5, v12, v14, 0x6040501
	v_perm_b32 v14, v8, v10, 0x6040501
	;; [unrolled: 1-line block ×4, first 2 shown]
	v_dot4_i32_iu8 v0, v3, v52, v0 neg_lo:[1,1,0]
	v_dot4_i32_iu8 v1, v5, v234, 0 neg_lo:[1,1,0]
	s_delay_alu instid0(VALU_DEP_1) | instskip(NEXT) | instid1(VALU_DEP_1)
	v_dot4_i32_iu8 v1, v78, v75, v1 neg_lo:[1,1,0]
	v_dot4_i32_iu8 v1, v13, v223, v1 neg_lo:[1,1,0]
	s_delay_alu instid0(VALU_DEP_1) | instskip(SKIP_1) | instid1(VALU_DEP_1)
	v_dot4_i32_iu8 v12, v15, v64, v1 neg_lo:[1,1,0]
	v_dot4_i32_iu8 v1, v14, v76, 0 neg_lo:[1,1,0]
	;; [unrolled: 1-line block ×3, first 2 shown]
	s_delay_alu instid0(VALU_DEP_1) | instskip(NEXT) | instid1(VALU_DEP_1)
	v_dot4_i32_iu8 v1, v9, v224, v1 neg_lo:[1,1,0]
	v_dot4_i32_iu8 v10, v11, v66, v1 neg_lo:[1,1,0]
	;; [unrolled: 1-line block ×3, first 2 shown]
	s_delay_alu instid0(VALU_DEP_1) | instskip(NEXT) | instid1(VALU_DEP_1)
	v_dot4_i32_iu8 v1, v73, v207, v1 neg_lo:[1,1,0]
	v_dot4_i32_iu8 v1, v80, v208, v1 neg_lo:[1,1,0]
	s_delay_alu instid0(VALU_DEP_1) | instskip(NEXT) | instid1(VALU_DEP_1)
	v_dot4_i32_iu8 v1, v7, v54, v1 neg_lo:[1,1,0]
	v_mul_lo_u32 v1, v1, v209
	s_delay_alu instid0(VALU_DEP_1) | instskip(NEXT) | instid1(VALU_DEP_1)
	v_mad_co_u64_u32 v[0:1], null, v0, v214, v[1:2]
	v_cvt_f32_i32_e32 v0, v0
	s_delay_alu instid0(VALU_DEP_1) | instskip(SKIP_1) | instid1(VALU_DEP_1)
	v_fma_f32 v6, v44, v0, 0
	v_mul_lo_u32 v0, v12, v217
	v_mad_co_u64_u32 v[0:1], null, v10, v215, v[0:1]
	v_dot4_i32_iu8 v1, v2, v47, 0 neg_lo:[1,1,0]
	s_delay_alu instid0(VALU_DEP_1) | instskip(NEXT) | instid1(VALU_DEP_3)
	v_dot4_i32_iu8 v1, v87, v202, v1 neg_lo:[1,1,0]
	v_cvt_f32_i32_e32 v0, v0
	s_delay_alu instid0(VALU_DEP_2) | instskip(NEXT) | instid1(VALU_DEP_2)
	v_dot4_i32_iu8 v1, v88, v203, v1 neg_lo:[1,1,0]
	v_fmac_f32_e32 v6, v45, v0
	v_dot4_i32_iu8 v0, v5, v59, 0 neg_lo:[1,1,0]
	s_delay_alu instid0(VALU_DEP_3) | instskip(NEXT) | instid1(VALU_DEP_3)
	v_dot4_i32_iu8 v1, v3, v48, v1 neg_lo:[1,1,0]
	v_fmac_f32_e32 v161, v188, v6
	s_delay_alu instid0(VALU_DEP_3) | instskip(NEXT) | instid1(VALU_DEP_1)
	v_dot4_i32_iu8 v0, v78, v67, v0 neg_lo:[1,1,0]
	v_dot4_i32_iu8 v0, v13, v218, v0 neg_lo:[1,1,0]
	s_delay_alu instid0(VALU_DEP_1) | instskip(SKIP_1) | instid1(VALU_DEP_1)
	v_dot4_i32_iu8 v6, v15, v60, v0 neg_lo:[1,1,0]
	v_dot4_i32_iu8 v0, v14, v61, 0 neg_lo:[1,1,0]
	;; [unrolled: 1-line block ×3, first 2 shown]
	s_delay_alu instid0(VALU_DEP_1) | instskip(NEXT) | instid1(VALU_DEP_1)
	v_dot4_i32_iu8 v0, v9, v219, v0 neg_lo:[1,1,0]
	v_dot4_i32_iu8 v10, v11, v62, v0 neg_lo:[1,1,0]
	;; [unrolled: 1-line block ×3, first 2 shown]
	s_delay_alu instid0(VALU_DEP_1) | instskip(NEXT) | instid1(VALU_DEP_1)
	v_dot4_i32_iu8 v0, v73, v199, v0 neg_lo:[1,1,0]
	v_dot4_i32_iu8 v0, v80, v200, v0 neg_lo:[1,1,0]
	s_delay_alu instid0(VALU_DEP_1) | instskip(NEXT) | instid1(VALU_DEP_1)
	v_dot4_i32_iu8 v0, v7, v50, v0 neg_lo:[1,1,0]
	v_mul_lo_u32 v0, v0, v201
	s_delay_alu instid0(VALU_DEP_1) | instskip(NEXT) | instid1(VALU_DEP_1)
	v_mad_co_u64_u32 v[0:1], null, v1, v204, v[0:1]
	v_cvt_f32_i32_e32 v0, v0
	s_delay_alu instid0(VALU_DEP_1) | instskip(SKIP_1) | instid1(VALU_DEP_1)
	v_fma_f32 v12, v44, v0, 0
	v_mul_lo_u32 v0, v6, v206
	v_mad_co_u64_u32 v[0:1], null, v10, v205, v[0:1]
	v_dot4_i32_iu8 v1, v2, v35, 0 neg_lo:[1,1,0]
	s_delay_alu instid0(VALU_DEP_1) | instskip(NEXT) | instid1(VALU_DEP_3)
	v_dot4_i32_iu8 v1, v87, v195, v1 neg_lo:[1,1,0]
	v_cvt_f32_i32_e32 v0, v0
	s_delay_alu instid0(VALU_DEP_2) | instskip(NEXT) | instid1(VALU_DEP_2)
	v_dot4_i32_iu8 v1, v88, v194, v1 neg_lo:[1,1,0]
	v_fmac_f32_e32 v12, v45, v0
	v_dot4_i32_iu8 v0, v5, v51, 0 neg_lo:[1,1,0]
	s_delay_alu instid0(VALU_DEP_3) | instskip(NEXT) | instid1(VALU_DEP_3)
	v_dot4_i32_iu8 v1, v3, v36, v1 neg_lo:[1,1,0]
	v_fmac_f32_e32 v171, v189, v12
	s_delay_alu instid0(VALU_DEP_3) | instskip(NEXT) | instid1(VALU_DEP_1)
	v_dot4_i32_iu8 v0, v78, v53, v0 neg_lo:[1,1,0]
	v_dot4_i32_iu8 v0, v13, v210, v0 neg_lo:[1,1,0]
	s_delay_alu instid0(VALU_DEP_1) | instskip(SKIP_1) | instid1(VALU_DEP_1)
	v_dot4_i32_iu8 v5, v15, v56, v0 neg_lo:[1,1,0]
	v_dot4_i32_iu8 v0, v14, v55, 0 neg_lo:[1,1,0]
	;; [unrolled: 1-line block ×3, first 2 shown]
	s_delay_alu instid0(VALU_DEP_1) | instskip(NEXT) | instid1(VALU_DEP_1)
	v_dot4_i32_iu8 v0, v9, v216, v0 neg_lo:[1,1,0]
	v_dot4_i32_iu8 v6, v11, v58, v0 neg_lo:[1,1,0]
	;; [unrolled: 1-line block ×3, first 2 shown]
	s_delay_alu instid0(VALU_DEP_1) | instskip(NEXT) | instid1(VALU_DEP_1)
	v_dot4_i32_iu8 v0, v73, v198, v0 neg_lo:[1,1,0]
	v_dot4_i32_iu8 v0, v80, v197, v0 neg_lo:[1,1,0]
	s_delay_alu instid0(VALU_DEP_1) | instskip(NEXT) | instid1(VALU_DEP_1)
	v_dot4_i32_iu8 v0, v7, v46, v0 neg_lo:[1,1,0]
	v_mul_lo_u32 v0, v0, v196
	s_delay_alu instid0(VALU_DEP_1) | instskip(NEXT) | instid1(VALU_DEP_1)
	v_mad_co_u64_u32 v[0:1], null, v1, v193, v[0:1]
	v_cvt_f32_i32_e32 v0, v0
	s_delay_alu instid0(VALU_DEP_1) | instskip(SKIP_1) | instid1(VALU_DEP_1)
	v_fma_f32 v2, v44, v0, 0
	v_mul_lo_u32 v0, v5, v192
	v_mad_co_u64_u32 v[0:1], null, v6, v191, v[0:1]
	s_delay_alu instid0(VALU_DEP_1) | instskip(NEXT) | instid1(VALU_DEP_1)
	v_cvt_f32_i32_e32 v0, v0
	v_fmac_f32_e32 v2, v45, v0
	v_or_b32_e32 v0, s10, v130
	s_delay_alu instid0(VALU_DEP_1)
	v_dual_fmac_f32 v177, v190, v2 :: v_dual_lshlrev_b32 v12, 2, v0
	v_lshrrev_b32_e32 v44, 1, v0
	ds_load_b128 v[0:3], v12 offset:33280
	ds_load_b128 v[4:7], v12 offset:33296
	;; [unrolled: 1-line block ×4, first 2 shown]
	ds_load_b64 v[44:45], v44 offset:43584
	s_wait_dscnt 0x4
	v_perm_b32 v87, v1, v0, 0x6040503
	s_wait_dscnt 0x3
	v_perm_b32 v80, v6, v5, 0x7060403
	s_wait_dscnt 0x2
	v_bfe_i32 v69, v10, 8, 8
	v_bfe_i32 v70, v8, 8, 8
	;; [unrolled: 1-line block ×3, first 2 shown]
	v_ashrrev_i32_e32 v73, 24, v10
	s_wait_dscnt 0x1
	v_perm_b32 v78, v14, v14, 0xc0c0c01
	v_mul_i32_i24_e32 v69, v69, v226
	v_perm_b32 v88, v2, v1, 0x7060403
	v_mul_i32_i24_e32 v72, v228, v72
	v_mul_i32_i24_e32 v73, v227, v73
	v_perm_b32 v74, v12, v68, 0x6040503
	v_mad_i32_i24 v69, v229, v70, v69
	v_perm_b32 v70, v9, v8, 0x5030200
	v_or_b32_e32 v78, v235, v78
	s_delay_alu instid0(VALU_DEP_2) | instskip(SKIP_1) | instid1(VALU_DEP_3)
	v_dot4_i32_iu8 v69, v238, v70, v69 neg_lo:[1,1,0]
	v_perm_b32 v70, v10, v9, 0x4030200
	v_dot4_i32_iu8 v74, v78, v74, 0 neg_lo:[1,1,0]
	v_perm_b32 v78, v13, v12, 0x6040503
	v_perm_b32 v13, v14, v13, 0x7060403
	s_delay_alu instid0(VALU_DEP_4) | instskip(SKIP_1) | instid1(VALU_DEP_4)
	v_dot4_i32_iu8 v69, v239, v70, v69 neg_lo:[1,1,0]
	v_perm_b32 v70, v11, v11, 0x3020001
	v_dot4_i32_iu8 v74, v78, v236, v74 neg_lo:[1,1,0]
	s_delay_alu instid0(VALU_DEP_3) | instskip(SKIP_1) | instid1(VALU_DEP_3)
	v_add3_u32 v69, v69, v72, v73
	v_perm_b32 v73, v5, v4, 0x6040503
	v_dot4_i32_iu8 v74, v237, v13, v74 neg_lo:[1,1,0]
	s_delay_alu instid0(VALU_DEP_3) | instskip(SKIP_2) | instid1(VALU_DEP_4)
	v_dot4_i32_iu8 v72, v240, v70, v69 neg_lo:[1,1,0]
	v_perm_b32 v69, v4, v39, 0x6050401
	v_perm_b32 v70, v43, v6, 0x6050401
	v_dot4_i32_iu8 v74, v225, v15, v74 neg_lo:[1,1,0]
	v_perm_b32 v4, v4, v6, 0x6050401
	s_delay_alu instid0(VALU_DEP_3) | instskip(SKIP_1) | instid1(VALU_DEP_2)
	v_dot4_i32_iu8 v69, v70, v69, 0 neg_lo:[1,1,0]
	v_perm_b32 v70, v41, v2, 0x6050401
	v_dot4_i32_iu8 v69, v230, v73, v69 neg_lo:[1,1,0]
	s_delay_alu instid0(VALU_DEP_1) | instskip(SKIP_1) | instid1(VALU_DEP_2)
	v_dot4_i32_iu8 v5, v231, v80, v69 neg_lo:[1,1,0]
	v_perm_b32 v69, v0, v37, 0x6050401
	v_dot4_i32_iu8 v5, v7, v40, v5 neg_lo:[1,1,0]
	s_delay_alu instid0(VALU_DEP_2) | instskip(NEXT) | instid1(VALU_DEP_2)
	v_dot4_i32_iu8 v69, v70, v69, 0 neg_lo:[1,1,0]
	v_mul_lo_u32 v5, v5, v212
	s_delay_alu instid0(VALU_DEP_2) | instskip(NEXT) | instid1(VALU_DEP_1)
	v_dot4_i32_iu8 v69, v232, v87, v69 neg_lo:[1,1,0]
	v_dot4_i32_iu8 v1, v233, v88, v69 neg_lo:[1,1,0]
	s_delay_alu instid0(VALU_DEP_1) | instskip(NEXT) | instid1(VALU_DEP_1)
	v_dot4_i32_iu8 v1, v3, v38, v1 neg_lo:[1,1,0]
	v_mad_co_u64_u32 v[69:70], null, v1, v220, v[5:6]
	s_delay_alu instid0(VALU_DEP_1) | instskip(SKIP_1) | instid1(VALU_DEP_1)
	v_cvt_f32_i32_e32 v1, v69
	s_wait_dscnt 0x0
	v_fma_f32 v5, v44, v1, 0
	v_mul_lo_u32 v1, v74, v222
	s_delay_alu instid0(VALU_DEP_1) | instskip(SKIP_1) | instid1(VALU_DEP_1)
	v_mad_co_u64_u32 v[69:70], null, v72, v221, v[1:2]
	v_perm_b32 v2, v0, v2, 0x6050401
	v_dot4_i32_iu8 v0, v2, v65, 0 neg_lo:[1,1,0]
	s_delay_alu instid0(VALU_DEP_3) | instskip(NEXT) | instid1(VALU_DEP_2)
	v_cvt_f32_i32_e32 v1, v69
	v_dot4_i32_iu8 v0, v87, v211, v0 neg_lo:[1,1,0]
	s_delay_alu instid0(VALU_DEP_2) | instskip(NEXT) | instid1(VALU_DEP_2)
	v_fmac_f32_e32 v5, v45, v1
	v_dot4_i32_iu8 v0, v88, v213, v0 neg_lo:[1,1,0]
	s_delay_alu instid0(VALU_DEP_2)
	v_fmac_f32_e32 v145, v187, v5
	v_perm_b32 v5, v12, v14, 0x6040501
	v_perm_b32 v14, v8, v10, 0x6040501
	;; [unrolled: 1-line block ×4, first 2 shown]
	v_dot4_i32_iu8 v0, v3, v52, v0 neg_lo:[1,1,0]
	v_dot4_i32_iu8 v1, v5, v234, 0 neg_lo:[1,1,0]
	s_delay_alu instid0(VALU_DEP_1) | instskip(NEXT) | instid1(VALU_DEP_1)
	v_dot4_i32_iu8 v1, v78, v75, v1 neg_lo:[1,1,0]
	v_dot4_i32_iu8 v1, v13, v223, v1 neg_lo:[1,1,0]
	s_delay_alu instid0(VALU_DEP_1) | instskip(SKIP_1) | instid1(VALU_DEP_1)
	v_dot4_i32_iu8 v12, v15, v64, v1 neg_lo:[1,1,0]
	v_dot4_i32_iu8 v1, v14, v76, 0 neg_lo:[1,1,0]
	;; [unrolled: 1-line block ×3, first 2 shown]
	s_delay_alu instid0(VALU_DEP_1) | instskip(NEXT) | instid1(VALU_DEP_1)
	v_dot4_i32_iu8 v1, v9, v224, v1 neg_lo:[1,1,0]
	v_dot4_i32_iu8 v10, v11, v66, v1 neg_lo:[1,1,0]
	;; [unrolled: 1-line block ×3, first 2 shown]
	s_delay_alu instid0(VALU_DEP_1) | instskip(NEXT) | instid1(VALU_DEP_1)
	v_dot4_i32_iu8 v1, v73, v207, v1 neg_lo:[1,1,0]
	v_dot4_i32_iu8 v1, v80, v208, v1 neg_lo:[1,1,0]
	s_delay_alu instid0(VALU_DEP_1) | instskip(NEXT) | instid1(VALU_DEP_1)
	v_dot4_i32_iu8 v1, v7, v54, v1 neg_lo:[1,1,0]
	v_mul_lo_u32 v1, v1, v209
	s_delay_alu instid0(VALU_DEP_1) | instskip(NEXT) | instid1(VALU_DEP_1)
	v_mad_co_u64_u32 v[0:1], null, v0, v214, v[1:2]
	v_cvt_f32_i32_e32 v0, v0
	s_delay_alu instid0(VALU_DEP_1) | instskip(SKIP_1) | instid1(VALU_DEP_1)
	v_fma_f32 v6, v44, v0, 0
	v_mul_lo_u32 v0, v12, v217
	v_mad_co_u64_u32 v[0:1], null, v10, v215, v[0:1]
	v_dot4_i32_iu8 v1, v2, v47, 0 neg_lo:[1,1,0]
	s_delay_alu instid0(VALU_DEP_1) | instskip(NEXT) | instid1(VALU_DEP_3)
	v_dot4_i32_iu8 v1, v87, v202, v1 neg_lo:[1,1,0]
	v_cvt_f32_i32_e32 v0, v0
	s_delay_alu instid0(VALU_DEP_2) | instskip(NEXT) | instid1(VALU_DEP_2)
	v_dot4_i32_iu8 v1, v88, v203, v1 neg_lo:[1,1,0]
	v_fmac_f32_e32 v6, v45, v0
	v_dot4_i32_iu8 v0, v5, v59, 0 neg_lo:[1,1,0]
	s_delay_alu instid0(VALU_DEP_3) | instskip(NEXT) | instid1(VALU_DEP_3)
	v_dot4_i32_iu8 v1, v3, v48, v1 neg_lo:[1,1,0]
	v_fmac_f32_e32 v155, v188, v6
	s_delay_alu instid0(VALU_DEP_3) | instskip(NEXT) | instid1(VALU_DEP_1)
	v_dot4_i32_iu8 v0, v78, v67, v0 neg_lo:[1,1,0]
	v_dot4_i32_iu8 v0, v13, v218, v0 neg_lo:[1,1,0]
	s_delay_alu instid0(VALU_DEP_1) | instskip(SKIP_1) | instid1(VALU_DEP_1)
	v_dot4_i32_iu8 v6, v15, v60, v0 neg_lo:[1,1,0]
	v_dot4_i32_iu8 v0, v14, v61, 0 neg_lo:[1,1,0]
	;; [unrolled: 1-line block ×3, first 2 shown]
	s_delay_alu instid0(VALU_DEP_1) | instskip(NEXT) | instid1(VALU_DEP_1)
	v_dot4_i32_iu8 v0, v9, v219, v0 neg_lo:[1,1,0]
	v_dot4_i32_iu8 v10, v11, v62, v0 neg_lo:[1,1,0]
	v_dot4_i32_iu8 v0, v4, v49, 0 neg_lo:[1,1,0]
	s_delay_alu instid0(VALU_DEP_1) | instskip(NEXT) | instid1(VALU_DEP_1)
	v_dot4_i32_iu8 v0, v73, v199, v0 neg_lo:[1,1,0]
	v_dot4_i32_iu8 v0, v80, v200, v0 neg_lo:[1,1,0]
	s_delay_alu instid0(VALU_DEP_1) | instskip(NEXT) | instid1(VALU_DEP_1)
	v_dot4_i32_iu8 v0, v7, v50, v0 neg_lo:[1,1,0]
	v_mul_lo_u32 v0, v0, v201
	s_delay_alu instid0(VALU_DEP_1) | instskip(NEXT) | instid1(VALU_DEP_1)
	v_mad_co_u64_u32 v[0:1], null, v1, v204, v[0:1]
	v_cvt_f32_i32_e32 v0, v0
	s_delay_alu instid0(VALU_DEP_1) | instskip(SKIP_1) | instid1(VALU_DEP_1)
	v_fma_f32 v12, v44, v0, 0
	v_mul_lo_u32 v0, v6, v206
	v_mad_co_u64_u32 v[0:1], null, v10, v205, v[0:1]
	v_dot4_i32_iu8 v1, v2, v35, 0 neg_lo:[1,1,0]
	s_delay_alu instid0(VALU_DEP_1) | instskip(NEXT) | instid1(VALU_DEP_3)
	v_dot4_i32_iu8 v1, v87, v195, v1 neg_lo:[1,1,0]
	v_cvt_f32_i32_e32 v0, v0
	s_delay_alu instid0(VALU_DEP_2) | instskip(NEXT) | instid1(VALU_DEP_2)
	v_dot4_i32_iu8 v1, v88, v194, v1 neg_lo:[1,1,0]
	v_fmac_f32_e32 v12, v45, v0
	v_dot4_i32_iu8 v0, v5, v51, 0 neg_lo:[1,1,0]
	s_delay_alu instid0(VALU_DEP_3) | instskip(NEXT) | instid1(VALU_DEP_3)
	v_dot4_i32_iu8 v1, v3, v36, v1 neg_lo:[1,1,0]
	v_fmac_f32_e32 v168, v189, v12
	s_delay_alu instid0(VALU_DEP_3) | instskip(NEXT) | instid1(VALU_DEP_1)
	v_dot4_i32_iu8 v0, v78, v53, v0 neg_lo:[1,1,0]
	v_dot4_i32_iu8 v0, v13, v210, v0 neg_lo:[1,1,0]
	s_delay_alu instid0(VALU_DEP_1) | instskip(SKIP_1) | instid1(VALU_DEP_1)
	v_dot4_i32_iu8 v5, v15, v56, v0 neg_lo:[1,1,0]
	v_dot4_i32_iu8 v0, v14, v55, 0 neg_lo:[1,1,0]
	;; [unrolled: 1-line block ×3, first 2 shown]
	s_delay_alu instid0(VALU_DEP_1) | instskip(NEXT) | instid1(VALU_DEP_1)
	v_dot4_i32_iu8 v0, v9, v216, v0 neg_lo:[1,1,0]
	v_dot4_i32_iu8 v6, v11, v58, v0 neg_lo:[1,1,0]
	;; [unrolled: 1-line block ×3, first 2 shown]
	s_delay_alu instid0(VALU_DEP_1) | instskip(NEXT) | instid1(VALU_DEP_1)
	v_dot4_i32_iu8 v0, v73, v198, v0 neg_lo:[1,1,0]
	v_dot4_i32_iu8 v0, v80, v197, v0 neg_lo:[1,1,0]
	s_delay_alu instid0(VALU_DEP_1) | instskip(NEXT) | instid1(VALU_DEP_1)
	v_dot4_i32_iu8 v0, v7, v46, v0 neg_lo:[1,1,0]
	v_mul_lo_u32 v0, v0, v196
	s_delay_alu instid0(VALU_DEP_1) | instskip(NEXT) | instid1(VALU_DEP_1)
	v_mad_co_u64_u32 v[0:1], null, v1, v193, v[0:1]
	v_cvt_f32_i32_e32 v0, v0
	s_delay_alu instid0(VALU_DEP_1) | instskip(SKIP_1) | instid1(VALU_DEP_1)
	v_fma_f32 v2, v44, v0, 0
	v_mul_lo_u32 v0, v5, v192
	v_mad_co_u64_u32 v[0:1], null, v6, v191, v[0:1]
	s_delay_alu instid0(VALU_DEP_1) | instskip(NEXT) | instid1(VALU_DEP_1)
	v_cvt_f32_i32_e32 v0, v0
	v_fmac_f32_e32 v2, v45, v0
	v_or_b32_e32 v0, s10, v131
	s_delay_alu instid0(VALU_DEP_1)
	v_dual_fmac_f32 v175, v190, v2 :: v_dual_lshlrev_b32 v12, 2, v0
	v_lshrrev_b32_e32 v44, 1, v0
	ds_load_b128 v[0:3], v12 offset:33280
	ds_load_b128 v[4:7], v12 offset:33296
	;; [unrolled: 1-line block ×4, first 2 shown]
	ds_load_b64 v[44:45], v44 offset:43584
	s_wait_dscnt 0x4
	v_perm_b32 v87, v1, v0, 0x6040503
	s_wait_dscnt 0x3
	v_perm_b32 v80, v6, v5, 0x7060403
	s_wait_dscnt 0x2
	v_bfe_i32 v69, v10, 8, 8
	v_bfe_i32 v70, v8, 8, 8
	;; [unrolled: 1-line block ×3, first 2 shown]
	v_ashrrev_i32_e32 v73, 24, v10
	s_wait_dscnt 0x1
	v_perm_b32 v78, v14, v14, 0xc0c0c01
	v_mul_i32_i24_e32 v69, v69, v226
	v_perm_b32 v88, v2, v1, 0x7060403
	v_mul_i32_i24_e32 v72, v228, v72
	v_mul_i32_i24_e32 v73, v227, v73
	v_perm_b32 v74, v12, v68, 0x6040503
	v_mad_i32_i24 v69, v229, v70, v69
	v_perm_b32 v70, v9, v8, 0x5030200
	v_or_b32_e32 v78, v235, v78
	s_delay_alu instid0(VALU_DEP_2) | instskip(SKIP_1) | instid1(VALU_DEP_3)
	v_dot4_i32_iu8 v69, v238, v70, v69 neg_lo:[1,1,0]
	v_perm_b32 v70, v10, v9, 0x4030200
	v_dot4_i32_iu8 v74, v78, v74, 0 neg_lo:[1,1,0]
	v_perm_b32 v78, v13, v12, 0x6040503
	v_perm_b32 v13, v14, v13, 0x7060403
	s_delay_alu instid0(VALU_DEP_4) | instskip(SKIP_1) | instid1(VALU_DEP_4)
	v_dot4_i32_iu8 v69, v239, v70, v69 neg_lo:[1,1,0]
	v_perm_b32 v70, v11, v11, 0x3020001
	v_dot4_i32_iu8 v74, v78, v236, v74 neg_lo:[1,1,0]
	s_delay_alu instid0(VALU_DEP_3) | instskip(SKIP_1) | instid1(VALU_DEP_3)
	v_add3_u32 v69, v69, v72, v73
	v_perm_b32 v73, v5, v4, 0x6040503
	v_dot4_i32_iu8 v74, v237, v13, v74 neg_lo:[1,1,0]
	s_delay_alu instid0(VALU_DEP_3) | instskip(SKIP_2) | instid1(VALU_DEP_4)
	v_dot4_i32_iu8 v72, v240, v70, v69 neg_lo:[1,1,0]
	v_perm_b32 v69, v4, v39, 0x6050401
	v_perm_b32 v70, v43, v6, 0x6050401
	v_dot4_i32_iu8 v74, v225, v15, v74 neg_lo:[1,1,0]
	v_perm_b32 v4, v4, v6, 0x6050401
	s_delay_alu instid0(VALU_DEP_3) | instskip(SKIP_1) | instid1(VALU_DEP_2)
	v_dot4_i32_iu8 v69, v70, v69, 0 neg_lo:[1,1,0]
	v_perm_b32 v70, v41, v2, 0x6050401
	v_dot4_i32_iu8 v69, v230, v73, v69 neg_lo:[1,1,0]
	s_delay_alu instid0(VALU_DEP_1) | instskip(SKIP_1) | instid1(VALU_DEP_2)
	v_dot4_i32_iu8 v5, v231, v80, v69 neg_lo:[1,1,0]
	v_perm_b32 v69, v0, v37, 0x6050401
	v_dot4_i32_iu8 v5, v7, v40, v5 neg_lo:[1,1,0]
	s_delay_alu instid0(VALU_DEP_2) | instskip(NEXT) | instid1(VALU_DEP_2)
	v_dot4_i32_iu8 v69, v70, v69, 0 neg_lo:[1,1,0]
	v_mul_lo_u32 v5, v5, v212
	s_delay_alu instid0(VALU_DEP_2) | instskip(NEXT) | instid1(VALU_DEP_1)
	v_dot4_i32_iu8 v69, v232, v87, v69 neg_lo:[1,1,0]
	v_dot4_i32_iu8 v1, v233, v88, v69 neg_lo:[1,1,0]
	s_delay_alu instid0(VALU_DEP_1) | instskip(NEXT) | instid1(VALU_DEP_1)
	v_dot4_i32_iu8 v1, v3, v38, v1 neg_lo:[1,1,0]
	v_mad_co_u64_u32 v[69:70], null, v1, v220, v[5:6]
	s_delay_alu instid0(VALU_DEP_1) | instskip(SKIP_1) | instid1(VALU_DEP_1)
	v_cvt_f32_i32_e32 v1, v69
	s_wait_dscnt 0x0
	v_fma_f32 v5, v44, v1, 0
	v_mul_lo_u32 v1, v74, v222
	s_delay_alu instid0(VALU_DEP_1) | instskip(SKIP_1) | instid1(VALU_DEP_1)
	v_mad_co_u64_u32 v[69:70], null, v72, v221, v[1:2]
	v_perm_b32 v2, v0, v2, 0x6050401
	v_dot4_i32_iu8 v0, v2, v65, 0 neg_lo:[1,1,0]
	s_delay_alu instid0(VALU_DEP_3) | instskip(NEXT) | instid1(VALU_DEP_2)
	v_cvt_f32_i32_e32 v1, v69
	v_dot4_i32_iu8 v0, v87, v211, v0 neg_lo:[1,1,0]
	s_delay_alu instid0(VALU_DEP_2) | instskip(NEXT) | instid1(VALU_DEP_2)
	v_fmac_f32_e32 v5, v45, v1
	v_dot4_i32_iu8 v0, v88, v213, v0 neg_lo:[1,1,0]
	s_delay_alu instid0(VALU_DEP_2)
	v_fmac_f32_e32 v141, v187, v5
	v_perm_b32 v5, v12, v14, 0x6040501
	v_perm_b32 v14, v8, v10, 0x6040501
	;; [unrolled: 1-line block ×4, first 2 shown]
	v_dot4_i32_iu8 v0, v3, v52, v0 neg_lo:[1,1,0]
	v_dot4_i32_iu8 v1, v5, v234, 0 neg_lo:[1,1,0]
	s_delay_alu instid0(VALU_DEP_1) | instskip(NEXT) | instid1(VALU_DEP_1)
	v_dot4_i32_iu8 v1, v78, v75, v1 neg_lo:[1,1,0]
	v_dot4_i32_iu8 v1, v13, v223, v1 neg_lo:[1,1,0]
	s_delay_alu instid0(VALU_DEP_1) | instskip(SKIP_1) | instid1(VALU_DEP_1)
	v_dot4_i32_iu8 v12, v15, v64, v1 neg_lo:[1,1,0]
	v_dot4_i32_iu8 v1, v14, v76, 0 neg_lo:[1,1,0]
	;; [unrolled: 1-line block ×3, first 2 shown]
	s_delay_alu instid0(VALU_DEP_1) | instskip(NEXT) | instid1(VALU_DEP_1)
	v_dot4_i32_iu8 v1, v9, v224, v1 neg_lo:[1,1,0]
	v_dot4_i32_iu8 v10, v11, v66, v1 neg_lo:[1,1,0]
	v_dot4_i32_iu8 v1, v4, v63, 0 neg_lo:[1,1,0]
	s_delay_alu instid0(VALU_DEP_1) | instskip(NEXT) | instid1(VALU_DEP_1)
	v_dot4_i32_iu8 v1, v73, v207, v1 neg_lo:[1,1,0]
	v_dot4_i32_iu8 v1, v80, v208, v1 neg_lo:[1,1,0]
	s_delay_alu instid0(VALU_DEP_1) | instskip(NEXT) | instid1(VALU_DEP_1)
	v_dot4_i32_iu8 v1, v7, v54, v1 neg_lo:[1,1,0]
	v_mul_lo_u32 v1, v1, v209
	s_delay_alu instid0(VALU_DEP_1) | instskip(NEXT) | instid1(VALU_DEP_1)
	v_mad_co_u64_u32 v[0:1], null, v0, v214, v[1:2]
	v_cvt_f32_i32_e32 v0, v0
	s_delay_alu instid0(VALU_DEP_1) | instskip(SKIP_1) | instid1(VALU_DEP_1)
	v_fma_f32 v6, v44, v0, 0
	v_mul_lo_u32 v0, v12, v217
	v_mad_co_u64_u32 v[0:1], null, v10, v215, v[0:1]
	v_dot4_i32_iu8 v1, v2, v47, 0 neg_lo:[1,1,0]
	s_delay_alu instid0(VALU_DEP_1) | instskip(NEXT) | instid1(VALU_DEP_3)
	v_dot4_i32_iu8 v1, v87, v202, v1 neg_lo:[1,1,0]
	v_cvt_f32_i32_e32 v0, v0
	s_delay_alu instid0(VALU_DEP_2) | instskip(NEXT) | instid1(VALU_DEP_2)
	v_dot4_i32_iu8 v1, v88, v203, v1 neg_lo:[1,1,0]
	v_fmac_f32_e32 v6, v45, v0
	v_dot4_i32_iu8 v0, v5, v59, 0 neg_lo:[1,1,0]
	s_delay_alu instid0(VALU_DEP_3) | instskip(NEXT) | instid1(VALU_DEP_3)
	v_dot4_i32_iu8 v1, v3, v48, v1 neg_lo:[1,1,0]
	v_fmac_f32_e32 v149, v188, v6
	s_delay_alu instid0(VALU_DEP_3) | instskip(NEXT) | instid1(VALU_DEP_1)
	v_dot4_i32_iu8 v0, v78, v67, v0 neg_lo:[1,1,0]
	v_dot4_i32_iu8 v0, v13, v218, v0 neg_lo:[1,1,0]
	s_delay_alu instid0(VALU_DEP_1) | instskip(SKIP_1) | instid1(VALU_DEP_1)
	v_dot4_i32_iu8 v6, v15, v60, v0 neg_lo:[1,1,0]
	v_dot4_i32_iu8 v0, v14, v61, 0 neg_lo:[1,1,0]
	;; [unrolled: 1-line block ×3, first 2 shown]
	s_delay_alu instid0(VALU_DEP_1) | instskip(NEXT) | instid1(VALU_DEP_1)
	v_dot4_i32_iu8 v0, v9, v219, v0 neg_lo:[1,1,0]
	v_dot4_i32_iu8 v10, v11, v62, v0 neg_lo:[1,1,0]
	;; [unrolled: 1-line block ×3, first 2 shown]
	s_delay_alu instid0(VALU_DEP_1) | instskip(NEXT) | instid1(VALU_DEP_1)
	v_dot4_i32_iu8 v0, v73, v199, v0 neg_lo:[1,1,0]
	v_dot4_i32_iu8 v0, v80, v200, v0 neg_lo:[1,1,0]
	s_delay_alu instid0(VALU_DEP_1) | instskip(NEXT) | instid1(VALU_DEP_1)
	v_dot4_i32_iu8 v0, v7, v50, v0 neg_lo:[1,1,0]
	v_mul_lo_u32 v0, v0, v201
	s_delay_alu instid0(VALU_DEP_1) | instskip(NEXT) | instid1(VALU_DEP_1)
	v_mad_co_u64_u32 v[0:1], null, v1, v204, v[0:1]
	v_cvt_f32_i32_e32 v0, v0
	s_delay_alu instid0(VALU_DEP_1) | instskip(SKIP_1) | instid1(VALU_DEP_1)
	v_fma_f32 v12, v44, v0, 0
	v_mul_lo_u32 v0, v6, v206
	v_mad_co_u64_u32 v[0:1], null, v10, v205, v[0:1]
	v_dot4_i32_iu8 v1, v2, v35, 0 neg_lo:[1,1,0]
	s_delay_alu instid0(VALU_DEP_1) | instskip(NEXT) | instid1(VALU_DEP_3)
	v_dot4_i32_iu8 v1, v87, v195, v1 neg_lo:[1,1,0]
	v_cvt_f32_i32_e32 v0, v0
	s_delay_alu instid0(VALU_DEP_2) | instskip(NEXT) | instid1(VALU_DEP_2)
	v_dot4_i32_iu8 v1, v88, v194, v1 neg_lo:[1,1,0]
	v_fmac_f32_e32 v12, v45, v0
	v_dot4_i32_iu8 v0, v5, v51, 0 neg_lo:[1,1,0]
	s_delay_alu instid0(VALU_DEP_3) | instskip(NEXT) | instid1(VALU_DEP_3)
	v_dot4_i32_iu8 v1, v3, v36, v1 neg_lo:[1,1,0]
	v_fmac_f32_e32 v163, v189, v12
	s_delay_alu instid0(VALU_DEP_3) | instskip(NEXT) | instid1(VALU_DEP_1)
	v_dot4_i32_iu8 v0, v78, v53, v0 neg_lo:[1,1,0]
	v_dot4_i32_iu8 v0, v13, v210, v0 neg_lo:[1,1,0]
	s_delay_alu instid0(VALU_DEP_1) | instskip(SKIP_1) | instid1(VALU_DEP_1)
	v_dot4_i32_iu8 v5, v15, v56, v0 neg_lo:[1,1,0]
	v_dot4_i32_iu8 v0, v14, v55, 0 neg_lo:[1,1,0]
	;; [unrolled: 1-line block ×3, first 2 shown]
	s_delay_alu instid0(VALU_DEP_1) | instskip(NEXT) | instid1(VALU_DEP_1)
	v_dot4_i32_iu8 v0, v9, v216, v0 neg_lo:[1,1,0]
	v_dot4_i32_iu8 v6, v11, v58, v0 neg_lo:[1,1,0]
	;; [unrolled: 1-line block ×3, first 2 shown]
	s_delay_alu instid0(VALU_DEP_1) | instskip(NEXT) | instid1(VALU_DEP_1)
	v_dot4_i32_iu8 v0, v73, v198, v0 neg_lo:[1,1,0]
	v_dot4_i32_iu8 v0, v80, v197, v0 neg_lo:[1,1,0]
	s_delay_alu instid0(VALU_DEP_1) | instskip(NEXT) | instid1(VALU_DEP_1)
	v_dot4_i32_iu8 v0, v7, v46, v0 neg_lo:[1,1,0]
	v_mul_lo_u32 v0, v0, v196
	s_delay_alu instid0(VALU_DEP_1) | instskip(NEXT) | instid1(VALU_DEP_1)
	v_mad_co_u64_u32 v[0:1], null, v1, v193, v[0:1]
	v_cvt_f32_i32_e32 v0, v0
	s_delay_alu instid0(VALU_DEP_1) | instskip(SKIP_1) | instid1(VALU_DEP_1)
	v_fma_f32 v2, v44, v0, 0
	v_mul_lo_u32 v0, v5, v192
	v_mad_co_u64_u32 v[0:1], null, v6, v191, v[0:1]
	s_delay_alu instid0(VALU_DEP_1) | instskip(NEXT) | instid1(VALU_DEP_1)
	v_cvt_f32_i32_e32 v0, v0
	v_fmac_f32_e32 v2, v45, v0
	v_or_b32_e32 v0, s10, v132
	s_delay_alu instid0(VALU_DEP_2) | instskip(NEXT) | instid1(VALU_DEP_2)
	v_fmac_f32_e32 v172, v190, v2
	v_lshlrev_b32_e32 v12, 2, v0
	v_lshrrev_b32_e32 v44, 1, v0
	ds_load_b128 v[0:3], v12 offset:33280
	ds_load_b128 v[4:7], v12 offset:33296
	;; [unrolled: 1-line block ×4, first 2 shown]
	ds_load_b64 v[44:45], v44 offset:43584
	s_wait_dscnt 0x4
	v_perm_b32 v87, v1, v0, 0x6040503
	s_wait_dscnt 0x3
	v_perm_b32 v80, v6, v5, 0x7060403
	s_wait_dscnt 0x2
	v_bfe_i32 v69, v10, 8, 8
	v_bfe_i32 v70, v8, 8, 8
	;; [unrolled: 1-line block ×3, first 2 shown]
	v_ashrrev_i32_e32 v73, 24, v10
	s_wait_dscnt 0x1
	v_perm_b32 v78, v14, v14, 0xc0c0c01
	v_mul_i32_i24_e32 v69, v69, v226
	v_perm_b32 v88, v2, v1, 0x7060403
	v_mul_i32_i24_e32 v72, v228, v72
	v_mul_i32_i24_e32 v73, v227, v73
	v_perm_b32 v74, v12, v68, 0x6040503
	v_mad_i32_i24 v69, v229, v70, v69
	v_perm_b32 v70, v9, v8, 0x5030200
	v_or_b32_e32 v78, v235, v78
	s_delay_alu instid0(VALU_DEP_2) | instskip(SKIP_1) | instid1(VALU_DEP_3)
	v_dot4_i32_iu8 v69, v238, v70, v69 neg_lo:[1,1,0]
	v_perm_b32 v70, v10, v9, 0x4030200
	v_dot4_i32_iu8 v74, v78, v74, 0 neg_lo:[1,1,0]
	v_perm_b32 v78, v13, v12, 0x6040503
	v_perm_b32 v13, v14, v13, 0x7060403
	s_delay_alu instid0(VALU_DEP_4) | instskip(SKIP_1) | instid1(VALU_DEP_4)
	v_dot4_i32_iu8 v69, v239, v70, v69 neg_lo:[1,1,0]
	v_perm_b32 v70, v11, v11, 0x3020001
	v_dot4_i32_iu8 v74, v78, v236, v74 neg_lo:[1,1,0]
	s_delay_alu instid0(VALU_DEP_3) | instskip(SKIP_1) | instid1(VALU_DEP_3)
	v_add3_u32 v69, v69, v72, v73
	v_perm_b32 v73, v5, v4, 0x6040503
	v_dot4_i32_iu8 v74, v237, v13, v74 neg_lo:[1,1,0]
	s_delay_alu instid0(VALU_DEP_3) | instskip(SKIP_2) | instid1(VALU_DEP_4)
	v_dot4_i32_iu8 v72, v240, v70, v69 neg_lo:[1,1,0]
	v_perm_b32 v69, v4, v39, 0x6050401
	v_perm_b32 v70, v43, v6, 0x6050401
	v_dot4_i32_iu8 v74, v225, v15, v74 neg_lo:[1,1,0]
	v_perm_b32 v4, v4, v6, 0x6050401
	s_delay_alu instid0(VALU_DEP_3) | instskip(SKIP_1) | instid1(VALU_DEP_2)
	v_dot4_i32_iu8 v69, v70, v69, 0 neg_lo:[1,1,0]
	v_perm_b32 v70, v41, v2, 0x6050401
	v_dot4_i32_iu8 v69, v230, v73, v69 neg_lo:[1,1,0]
	s_delay_alu instid0(VALU_DEP_1) | instskip(SKIP_1) | instid1(VALU_DEP_2)
	v_dot4_i32_iu8 v5, v231, v80, v69 neg_lo:[1,1,0]
	v_perm_b32 v69, v0, v37, 0x6050401
	v_dot4_i32_iu8 v5, v7, v40, v5 neg_lo:[1,1,0]
	s_delay_alu instid0(VALU_DEP_2) | instskip(NEXT) | instid1(VALU_DEP_2)
	v_dot4_i32_iu8 v69, v70, v69, 0 neg_lo:[1,1,0]
	v_mul_lo_u32 v5, v5, v212
	s_delay_alu instid0(VALU_DEP_2) | instskip(NEXT) | instid1(VALU_DEP_1)
	v_dot4_i32_iu8 v69, v232, v87, v69 neg_lo:[1,1,0]
	v_dot4_i32_iu8 v1, v233, v88, v69 neg_lo:[1,1,0]
	s_delay_alu instid0(VALU_DEP_1) | instskip(NEXT) | instid1(VALU_DEP_1)
	v_dot4_i32_iu8 v1, v3, v38, v1 neg_lo:[1,1,0]
	v_mad_co_u64_u32 v[69:70], null, v1, v220, v[5:6]
	s_delay_alu instid0(VALU_DEP_1) | instskip(SKIP_1) | instid1(VALU_DEP_1)
	v_cvt_f32_i32_e32 v1, v69
	s_wait_dscnt 0x0
	v_fma_f32 v5, v44, v1, 0
	v_mul_lo_u32 v1, v74, v222
	s_delay_alu instid0(VALU_DEP_1) | instskip(SKIP_1) | instid1(VALU_DEP_1)
	v_mad_co_u64_u32 v[69:70], null, v72, v221, v[1:2]
	v_perm_b32 v2, v0, v2, 0x6050401
	v_dot4_i32_iu8 v0, v2, v65, 0 neg_lo:[1,1,0]
	s_delay_alu instid0(VALU_DEP_3) | instskip(NEXT) | instid1(VALU_DEP_2)
	v_cvt_f32_i32_e32 v1, v69
	v_dot4_i32_iu8 v0, v87, v211, v0 neg_lo:[1,1,0]
	s_delay_alu instid0(VALU_DEP_2) | instskip(NEXT) | instid1(VALU_DEP_2)
	v_fmac_f32_e32 v5, v45, v1
	v_dot4_i32_iu8 v0, v88, v213, v0 neg_lo:[1,1,0]
	s_delay_alu instid0(VALU_DEP_2)
	v_fmac_f32_e32 v139, v187, v5
	v_perm_b32 v5, v12, v14, 0x6040501
	v_perm_b32 v14, v8, v10, 0x6040501
	;; [unrolled: 1-line block ×4, first 2 shown]
	v_dot4_i32_iu8 v0, v3, v52, v0 neg_lo:[1,1,0]
	v_dot4_i32_iu8 v1, v5, v234, 0 neg_lo:[1,1,0]
	s_delay_alu instid0(VALU_DEP_1) | instskip(NEXT) | instid1(VALU_DEP_1)
	v_dot4_i32_iu8 v1, v78, v75, v1 neg_lo:[1,1,0]
	v_dot4_i32_iu8 v1, v13, v223, v1 neg_lo:[1,1,0]
	s_delay_alu instid0(VALU_DEP_1) | instskip(SKIP_1) | instid1(VALU_DEP_1)
	v_dot4_i32_iu8 v12, v15, v64, v1 neg_lo:[1,1,0]
	v_dot4_i32_iu8 v1, v14, v76, 0 neg_lo:[1,1,0]
	;; [unrolled: 1-line block ×3, first 2 shown]
	s_delay_alu instid0(VALU_DEP_1) | instskip(NEXT) | instid1(VALU_DEP_1)
	v_dot4_i32_iu8 v1, v9, v224, v1 neg_lo:[1,1,0]
	v_dot4_i32_iu8 v10, v11, v66, v1 neg_lo:[1,1,0]
	;; [unrolled: 1-line block ×3, first 2 shown]
	s_delay_alu instid0(VALU_DEP_1) | instskip(NEXT) | instid1(VALU_DEP_1)
	v_dot4_i32_iu8 v1, v73, v207, v1 neg_lo:[1,1,0]
	v_dot4_i32_iu8 v1, v80, v208, v1 neg_lo:[1,1,0]
	s_delay_alu instid0(VALU_DEP_1) | instskip(NEXT) | instid1(VALU_DEP_1)
	v_dot4_i32_iu8 v1, v7, v54, v1 neg_lo:[1,1,0]
	v_mul_lo_u32 v1, v1, v209
	s_delay_alu instid0(VALU_DEP_1) | instskip(NEXT) | instid1(VALU_DEP_1)
	v_mad_co_u64_u32 v[0:1], null, v0, v214, v[1:2]
	v_cvt_f32_i32_e32 v0, v0
	s_delay_alu instid0(VALU_DEP_1) | instskip(SKIP_1) | instid1(VALU_DEP_1)
	v_fma_f32 v6, v44, v0, 0
	v_mul_lo_u32 v0, v12, v217
	v_mad_co_u64_u32 v[0:1], null, v10, v215, v[0:1]
	v_dot4_i32_iu8 v1, v2, v47, 0 neg_lo:[1,1,0]
	s_delay_alu instid0(VALU_DEP_1) | instskip(NEXT) | instid1(VALU_DEP_3)
	v_dot4_i32_iu8 v1, v87, v202, v1 neg_lo:[1,1,0]
	v_cvt_f32_i32_e32 v0, v0
	s_delay_alu instid0(VALU_DEP_2) | instskip(NEXT) | instid1(VALU_DEP_2)
	v_dot4_i32_iu8 v1, v88, v203, v1 neg_lo:[1,1,0]
	v_fmac_f32_e32 v6, v45, v0
	v_dot4_i32_iu8 v0, v5, v59, 0 neg_lo:[1,1,0]
	s_delay_alu instid0(VALU_DEP_3) | instskip(NEXT) | instid1(VALU_DEP_3)
	v_dot4_i32_iu8 v1, v3, v48, v1 neg_lo:[1,1,0]
	v_fmac_f32_e32 v146, v188, v6
	s_delay_alu instid0(VALU_DEP_3) | instskip(NEXT) | instid1(VALU_DEP_1)
	v_dot4_i32_iu8 v0, v78, v67, v0 neg_lo:[1,1,0]
	v_dot4_i32_iu8 v0, v13, v218, v0 neg_lo:[1,1,0]
	s_delay_alu instid0(VALU_DEP_1) | instskip(SKIP_1) | instid1(VALU_DEP_1)
	v_dot4_i32_iu8 v6, v15, v60, v0 neg_lo:[1,1,0]
	v_dot4_i32_iu8 v0, v14, v61, 0 neg_lo:[1,1,0]
	;; [unrolled: 1-line block ×3, first 2 shown]
	s_delay_alu instid0(VALU_DEP_1) | instskip(NEXT) | instid1(VALU_DEP_1)
	v_dot4_i32_iu8 v0, v9, v219, v0 neg_lo:[1,1,0]
	v_dot4_i32_iu8 v10, v11, v62, v0 neg_lo:[1,1,0]
	;; [unrolled: 1-line block ×3, first 2 shown]
	s_delay_alu instid0(VALU_DEP_1) | instskip(NEXT) | instid1(VALU_DEP_1)
	v_dot4_i32_iu8 v0, v73, v199, v0 neg_lo:[1,1,0]
	v_dot4_i32_iu8 v0, v80, v200, v0 neg_lo:[1,1,0]
	s_delay_alu instid0(VALU_DEP_1) | instskip(NEXT) | instid1(VALU_DEP_1)
	v_dot4_i32_iu8 v0, v7, v50, v0 neg_lo:[1,1,0]
	v_mul_lo_u32 v0, v0, v201
	s_delay_alu instid0(VALU_DEP_1) | instskip(NEXT) | instid1(VALU_DEP_1)
	v_mad_co_u64_u32 v[0:1], null, v1, v204, v[0:1]
	v_cvt_f32_i32_e32 v0, v0
	s_delay_alu instid0(VALU_DEP_1) | instskip(SKIP_1) | instid1(VALU_DEP_1)
	v_fma_f32 v12, v44, v0, 0
	v_mul_lo_u32 v0, v6, v206
	v_mad_co_u64_u32 v[0:1], null, v10, v205, v[0:1]
	v_dot4_i32_iu8 v1, v2, v35, 0 neg_lo:[1,1,0]
	s_delay_alu instid0(VALU_DEP_1) | instskip(NEXT) | instid1(VALU_DEP_3)
	v_dot4_i32_iu8 v1, v87, v195, v1 neg_lo:[1,1,0]
	v_cvt_f32_i32_e32 v0, v0
	s_delay_alu instid0(VALU_DEP_2) | instskip(NEXT) | instid1(VALU_DEP_2)
	v_dot4_i32_iu8 v1, v88, v194, v1 neg_lo:[1,1,0]
	v_fmac_f32_e32 v12, v45, v0
	v_dot4_i32_iu8 v0, v5, v51, 0 neg_lo:[1,1,0]
	s_delay_alu instid0(VALU_DEP_3) | instskip(NEXT) | instid1(VALU_DEP_3)
	v_dot4_i32_iu8 v1, v3, v36, v1 neg_lo:[1,1,0]
	v_fmac_f32_e32 v157, v189, v12
	s_delay_alu instid0(VALU_DEP_3) | instskip(NEXT) | instid1(VALU_DEP_1)
	v_dot4_i32_iu8 v0, v78, v53, v0 neg_lo:[1,1,0]
	v_dot4_i32_iu8 v0, v13, v210, v0 neg_lo:[1,1,0]
	s_delay_alu instid0(VALU_DEP_1) | instskip(SKIP_1) | instid1(VALU_DEP_1)
	v_dot4_i32_iu8 v5, v15, v56, v0 neg_lo:[1,1,0]
	v_dot4_i32_iu8 v0, v14, v55, 0 neg_lo:[1,1,0]
	;; [unrolled: 1-line block ×3, first 2 shown]
	s_delay_alu instid0(VALU_DEP_1) | instskip(NEXT) | instid1(VALU_DEP_1)
	v_dot4_i32_iu8 v0, v9, v216, v0 neg_lo:[1,1,0]
	v_dot4_i32_iu8 v6, v11, v58, v0 neg_lo:[1,1,0]
	;; [unrolled: 1-line block ×3, first 2 shown]
	s_delay_alu instid0(VALU_DEP_1) | instskip(NEXT) | instid1(VALU_DEP_1)
	v_dot4_i32_iu8 v0, v73, v198, v0 neg_lo:[1,1,0]
	v_dot4_i32_iu8 v0, v80, v197, v0 neg_lo:[1,1,0]
	s_delay_alu instid0(VALU_DEP_1) | instskip(NEXT) | instid1(VALU_DEP_1)
	v_dot4_i32_iu8 v0, v7, v46, v0 neg_lo:[1,1,0]
	v_mul_lo_u32 v0, v0, v196
	s_delay_alu instid0(VALU_DEP_1) | instskip(NEXT) | instid1(VALU_DEP_1)
	v_mad_co_u64_u32 v[0:1], null, v1, v193, v[0:1]
	v_cvt_f32_i32_e32 v0, v0
	s_delay_alu instid0(VALU_DEP_1) | instskip(SKIP_1) | instid1(VALU_DEP_1)
	v_fma_f32 v2, v44, v0, 0
	v_mul_lo_u32 v0, v5, v192
	v_mad_co_u64_u32 v[0:1], null, v6, v191, v[0:1]
	s_delay_alu instid0(VALU_DEP_1) | instskip(NEXT) | instid1(VALU_DEP_1)
	v_cvt_f32_i32_e32 v0, v0
	v_fmac_f32_e32 v2, v45, v0
	v_or_b32_e32 v0, s10, v133
	s_add_co_i32 s10, s7, 8
	s_cmp_lt_u32 s7, 24
	s_wait_alu 0xfffe
	s_mov_b32 s7, s10
	v_dual_fmac_f32 v169, v190, v2 :: v_dual_lshlrev_b32 v12, 2, v0
	v_lshrrev_b32_e32 v44, 1, v0
	ds_load_b128 v[0:3], v12 offset:33280
	ds_load_b128 v[4:7], v12 offset:33296
	;; [unrolled: 1-line block ×4, first 2 shown]
	ds_load_b64 v[44:45], v44 offset:43584
	s_wait_dscnt 0x4
	v_perm_b32 v37, v0, v37, 0x6050401
	s_wait_dscnt 0x3
	v_perm_b32 v39, v4, v39, 0x6050401
	s_wait_dscnt 0x2
	v_bfe_i32 v69, v10, 8, 8
	v_bfe_i32 v70, v8, 8, 8
	v_bfe_i32 v72, v10, 16, 8
	v_ashrrev_i32_e32 v73, 24, v10
	v_perm_b32 v43, v43, v6, 0x6050401
	v_mul_i32_i24_e32 v69, v69, v226
	s_wait_dscnt 0x1
	v_perm_b32 v74, v14, v14, 0xc0c0c01
	v_mul_i32_i24_e32 v72, v228, v72
	v_mul_i32_i24_e32 v73, v227, v73
	v_dot4_i32_iu8 v39, v43, v39, 0 neg_lo:[1,1,0]
	v_mad_i32_i24 v69, v229, v70, v69
	v_perm_b32 v70, v9, v8, 0x5030200
	v_perm_b32 v43, v5, v4, 0x6040503
	v_perm_b32 v68, v12, v68, 0x6040503
	v_or_b32_e32 v74, v235, v74
	v_perm_b32 v4, v4, v6, 0x6050401
	v_dot4_i32_iu8 v69, v238, v70, v69 neg_lo:[1,1,0]
	v_perm_b32 v70, v10, v9, 0x4030200
	v_dot4_i32_iu8 v39, v230, v43, v39 neg_lo:[1,1,0]
	v_dot4_i32_iu8 v74, v74, v68, 0 neg_lo:[1,1,0]
	v_perm_b32 v68, v13, v12, 0x6040503
	v_perm_b32 v13, v14, v13, 0x7060403
	v_dot4_i32_iu8 v69, v239, v70, v69 neg_lo:[1,1,0]
	v_perm_b32 v70, v11, v11, 0x3020001
	s_delay_alu instid0(VALU_DEP_4) | instskip(NEXT) | instid1(VALU_DEP_3)
	v_dot4_i32_iu8 v74, v68, v236, v74 neg_lo:[1,1,0]
	v_add3_u32 v69, v69, v72, v73
	s_delay_alu instid0(VALU_DEP_2) | instskip(NEXT) | instid1(VALU_DEP_2)
	v_dot4_i32_iu8 v74, v237, v13, v74 neg_lo:[1,1,0]
	v_dot4_i32_iu8 v69, v240, v70, v69 neg_lo:[1,1,0]
	v_perm_b32 v70, v6, v5, 0x7060403
	s_delay_alu instid0(VALU_DEP_3) | instskip(NEXT) | instid1(VALU_DEP_2)
	v_dot4_i32_iu8 v74, v225, v15, v74 neg_lo:[1,1,0]
	v_dot4_i32_iu8 v5, v231, v70, v39 neg_lo:[1,1,0]
	v_perm_b32 v39, v41, v2, 0x6050401
	s_delay_alu instid0(VALU_DEP_2) | instskip(NEXT) | instid1(VALU_DEP_2)
	v_dot4_i32_iu8 v5, v7, v40, v5 neg_lo:[1,1,0]
	v_dot4_i32_iu8 v37, v39, v37, 0 neg_lo:[1,1,0]
	v_perm_b32 v39, v1, v0, 0x6040503
	v_perm_b32 v40, v2, v1, 0x7060403
	s_delay_alu instid0(VALU_DEP_4) | instskip(NEXT) | instid1(VALU_DEP_3)
	v_mul_lo_u32 v5, v5, v212
	v_dot4_i32_iu8 v37, v232, v39, v37 neg_lo:[1,1,0]
	s_delay_alu instid0(VALU_DEP_1) | instskip(NEXT) | instid1(VALU_DEP_1)
	v_dot4_i32_iu8 v1, v233, v40, v37 neg_lo:[1,1,0]
	v_dot4_i32_iu8 v1, v3, v38, v1 neg_lo:[1,1,0]
	s_delay_alu instid0(VALU_DEP_1) | instskip(SKIP_1) | instid1(VALU_DEP_1)
	v_mad_co_u64_u32 v[37:38], null, v1, v220, v[5:6]
	v_perm_b32 v6, v0, v2, 0x6050401
	v_dot4_i32_iu8 v0, v6, v65, 0 neg_lo:[1,1,0]
	s_delay_alu instid0(VALU_DEP_3) | instskip(NEXT) | instid1(VALU_DEP_2)
	v_cvt_f32_i32_e32 v1, v37
	v_dot4_i32_iu8 v0, v39, v211, v0 neg_lo:[1,1,0]
	s_wait_dscnt 0x0
	s_delay_alu instid0(VALU_DEP_2) | instskip(SKIP_1) | instid1(VALU_DEP_3)
	v_fma_f32 v5, v44, v1, 0
	v_mul_lo_u32 v1, v74, v222
	v_dot4_i32_iu8 v0, v40, v213, v0 neg_lo:[1,1,0]
	s_delay_alu instid0(VALU_DEP_2) | instskip(NEXT) | instid1(VALU_DEP_2)
	v_mad_co_u64_u32 v[37:38], null, v69, v221, v[1:2]
	v_dot4_i32_iu8 v0, v3, v52, v0 neg_lo:[1,1,0]
	s_delay_alu instid0(VALU_DEP_2) | instskip(NEXT) | instid1(VALU_DEP_1)
	v_cvt_f32_i32_e32 v1, v37
	v_fmac_f32_e32 v5, v45, v1
	s_delay_alu instid0(VALU_DEP_1) | instskip(SKIP_4) | instid1(VALU_DEP_4)
	v_fmac_f32_e32 v137, v187, v5
	v_perm_b32 v5, v12, v14, 0x6040501
	v_perm_b32 v14, v8, v10, 0x6040501
	;; [unrolled: 1-line block ×4, first 2 shown]
	v_dot4_i32_iu8 v1, v5, v234, 0 neg_lo:[1,1,0]
	s_delay_alu instid0(VALU_DEP_1) | instskip(NEXT) | instid1(VALU_DEP_1)
	v_dot4_i32_iu8 v1, v68, v75, v1 neg_lo:[1,1,0]
	v_dot4_i32_iu8 v1, v13, v223, v1 neg_lo:[1,1,0]
	s_delay_alu instid0(VALU_DEP_1) | instskip(SKIP_1) | instid1(VALU_DEP_1)
	v_dot4_i32_iu8 v12, v15, v64, v1 neg_lo:[1,1,0]
	v_dot4_i32_iu8 v1, v14, v76, 0 neg_lo:[1,1,0]
	;; [unrolled: 1-line block ×3, first 2 shown]
	s_delay_alu instid0(VALU_DEP_1) | instskip(NEXT) | instid1(VALU_DEP_1)
	v_dot4_i32_iu8 v1, v9, v224, v1 neg_lo:[1,1,0]
	v_dot4_i32_iu8 v10, v11, v66, v1 neg_lo:[1,1,0]
	;; [unrolled: 1-line block ×3, first 2 shown]
	s_delay_alu instid0(VALU_DEP_1) | instskip(NEXT) | instid1(VALU_DEP_1)
	v_dot4_i32_iu8 v1, v43, v207, v1 neg_lo:[1,1,0]
	v_dot4_i32_iu8 v1, v70, v208, v1 neg_lo:[1,1,0]
	s_delay_alu instid0(VALU_DEP_1) | instskip(NEXT) | instid1(VALU_DEP_1)
	v_dot4_i32_iu8 v1, v7, v54, v1 neg_lo:[1,1,0]
	v_mul_lo_u32 v1, v1, v209
	s_delay_alu instid0(VALU_DEP_1) | instskip(NEXT) | instid1(VALU_DEP_1)
	v_mad_co_u64_u32 v[0:1], null, v0, v214, v[1:2]
	v_cvt_f32_i32_e32 v0, v0
	s_delay_alu instid0(VALU_DEP_1) | instskip(SKIP_1) | instid1(VALU_DEP_1)
	v_fma_f32 v2, v44, v0, 0
	v_mul_lo_u32 v0, v12, v217
	v_mad_co_u64_u32 v[0:1], null, v10, v215, v[0:1]
	v_dot4_i32_iu8 v1, v6, v47, 0 neg_lo:[1,1,0]
	s_delay_alu instid0(VALU_DEP_1) | instskip(NEXT) | instid1(VALU_DEP_3)
	v_dot4_i32_iu8 v1, v39, v202, v1 neg_lo:[1,1,0]
	v_cvt_f32_i32_e32 v0, v0
	s_delay_alu instid0(VALU_DEP_2) | instskip(NEXT) | instid1(VALU_DEP_2)
	v_dot4_i32_iu8 v1, v40, v203, v1 neg_lo:[1,1,0]
	v_fmac_f32_e32 v2, v45, v0
	v_dot4_i32_iu8 v0, v5, v59, 0 neg_lo:[1,1,0]
	s_delay_alu instid0(VALU_DEP_3) | instskip(NEXT) | instid1(VALU_DEP_3)
	v_dot4_i32_iu8 v1, v3, v48, v1 neg_lo:[1,1,0]
	v_fmac_f32_e32 v143, v188, v2
	s_delay_alu instid0(VALU_DEP_3) | instskip(NEXT) | instid1(VALU_DEP_1)
	v_dot4_i32_iu8 v0, v68, v67, v0 neg_lo:[1,1,0]
	v_dot4_i32_iu8 v0, v13, v218, v0 neg_lo:[1,1,0]
	s_delay_alu instid0(VALU_DEP_1) | instskip(SKIP_1) | instid1(VALU_DEP_1)
	v_dot4_i32_iu8 v2, v15, v60, v0 neg_lo:[1,1,0]
	v_dot4_i32_iu8 v0, v14, v61, 0 neg_lo:[1,1,0]
	;; [unrolled: 1-line block ×3, first 2 shown]
	s_delay_alu instid0(VALU_DEP_1) | instskip(NEXT) | instid1(VALU_DEP_1)
	v_dot4_i32_iu8 v0, v9, v219, v0 neg_lo:[1,1,0]
	v_dot4_i32_iu8 v10, v11, v62, v0 neg_lo:[1,1,0]
	;; [unrolled: 1-line block ×3, first 2 shown]
	s_delay_alu instid0(VALU_DEP_1) | instskip(NEXT) | instid1(VALU_DEP_1)
	v_dot4_i32_iu8 v0, v43, v199, v0 neg_lo:[1,1,0]
	v_dot4_i32_iu8 v0, v70, v200, v0 neg_lo:[1,1,0]
	s_delay_alu instid0(VALU_DEP_1) | instskip(NEXT) | instid1(VALU_DEP_1)
	v_dot4_i32_iu8 v0, v7, v50, v0 neg_lo:[1,1,0]
	v_mul_lo_u32 v0, v0, v201
	s_delay_alu instid0(VALU_DEP_1) | instskip(NEXT) | instid1(VALU_DEP_1)
	v_mad_co_u64_u32 v[0:1], null, v1, v204, v[0:1]
	v_cvt_f32_i32_e32 v0, v0
	s_delay_alu instid0(VALU_DEP_1) | instskip(SKIP_1) | instid1(VALU_DEP_1)
	v_fma_f32 v12, v44, v0, 0
	v_mul_lo_u32 v0, v2, v206
	v_mad_co_u64_u32 v[0:1], null, v10, v205, v[0:1]
	s_delay_alu instid0(VALU_DEP_1) | instskip(NEXT) | instid1(VALU_DEP_1)
	v_cvt_f32_i32_e32 v0, v0
	v_fmac_f32_e32 v12, v45, v0
	v_dot4_i32_iu8 v0, v5, v51, 0 neg_lo:[1,1,0]
	s_delay_alu instid0(VALU_DEP_2) | instskip(NEXT) | instid1(VALU_DEP_2)
	v_fmac_f32_e32 v151, v189, v12
	v_dot4_i32_iu8 v0, v68, v53, v0 neg_lo:[1,1,0]
	s_delay_alu instid0(VALU_DEP_1) | instskip(NEXT) | instid1(VALU_DEP_1)
	v_dot4_i32_iu8 v0, v13, v210, v0 neg_lo:[1,1,0]
	v_dot4_i32_iu8 v2, v15, v56, v0 neg_lo:[1,1,0]
	v_dot4_i32_iu8 v0, v14, v55, 0 neg_lo:[1,1,0]
	s_delay_alu instid0(VALU_DEP_2) | instskip(NEXT) | instid1(VALU_DEP_2)
	v_mul_lo_u32 v2, v2, v192
	v_dot4_i32_iu8 v0, v8, v57, v0 neg_lo:[1,1,0]
	s_delay_alu instid0(VALU_DEP_1) | instskip(NEXT) | instid1(VALU_DEP_1)
	v_dot4_i32_iu8 v0, v9, v216, v0 neg_lo:[1,1,0]
	v_dot4_i32_iu8 v1, v11, v58, v0 neg_lo:[1,1,0]
	;; [unrolled: 1-line block ×4, first 2 shown]
	s_delay_alu instid0(VALU_DEP_2) | instskip(NEXT) | instid1(VALU_DEP_2)
	v_dot4_i32_iu8 v0, v43, v198, v0 neg_lo:[1,1,0]
	v_dot4_i32_iu8 v4, v39, v195, v4 neg_lo:[1,1,0]
	s_delay_alu instid0(VALU_DEP_2) | instskip(NEXT) | instid1(VALU_DEP_2)
	v_dot4_i32_iu8 v0, v70, v197, v0 neg_lo:[1,1,0]
	v_dot4_i32_iu8 v4, v40, v194, v4 neg_lo:[1,1,0]
	s_delay_alu instid0(VALU_DEP_2) | instskip(NEXT) | instid1(VALU_DEP_2)
	v_dot4_i32_iu8 v0, v7, v46, v0 neg_lo:[1,1,0]
	v_dot4_i32_iu8 v3, v3, v36, v4 neg_lo:[1,1,0]
	s_delay_alu instid0(VALU_DEP_2) | instskip(NEXT) | instid1(VALU_DEP_1)
	v_mul_lo_u32 v0, v0, v196
	v_mad_co_u64_u32 v[3:4], null, v3, v193, v[0:1]
	s_delay_alu instid0(VALU_DEP_1) | instskip(SKIP_1) | instid1(VALU_DEP_1)
	v_mad_co_u64_u32 v[1:2], null, v1, v191, v[2:3]
	v_cvt_f32_i32_e32 v0, v3
	v_fma_f32 v0, v44, v0, 0
	s_delay_alu instid0(VALU_DEP_3) | instskip(NEXT) | instid1(VALU_DEP_1)
	v_cvt_f32_i32_e32 v1, v1
	v_fmac_f32_e32 v0, v45, v1
	s_delay_alu instid0(VALU_DEP_1)
	v_fmac_f32_e32 v165, v190, v0
	s_cbranch_scc1 .LBB156_8
; %bb.9:                                ;   in Loop: Header=BB156_5 Depth=1
	s_add_co_i32 s4, s4, 1
	s_wait_loadcnt 0x0
	s_wait_alu 0xfffe
	s_cmp_eq_u32 s4, s15
	s_barrier_signal -1
	s_barrier_wait -1
	global_inv scope:SCOPE_SE
	s_cbranch_scc0 .LBB156_5
; %bb.10:
	s_clause 0x2
	scratch_load_b32 v6, off, off offset:12 th:TH_LOAD_LU
	scratch_load_b32 v34, off, off offset:16 th:TH_LOAD_LU
	scratch_load_b32 v35, off, off offset:20
	v_cvt_f16_f32_e32 v12, v82
	v_cvt_f16_f32_e64 v13, v173
	v_cvt_f16_f32_e64 v14, v178
	v_cvt_f16_f32_e64 v33, v181
	v_cvt_f16_f32_e64 v32, v159
	v_cvt_f16_f32_e64 v31, v170
	v_cvt_f16_f32_e64 v30, v176
	v_cvt_f16_f32_e64 v29, v180
	v_cvt_f16_f32_e64 v28, v153
	v_cvt_f16_f32_e64 v27, v167
	v_cvt_f16_f32_e64 v26, v174
	v_cvt_f16_f32_e64 v25, v179
	v_cvt_f16_f32_e64 v24, v147
	v_cvt_f16_f32_e64 v23, v161
	v_cvt_f16_f32_e64 v22, v171
	v_cvt_f16_f32_e64 v21, v177
	v_cvt_f16_f32_e64 v20, v145
	v_cvt_f16_f32_e64 v19, v155
	v_cvt_f16_f32_e64 v18, v168
	v_cvt_f16_f32_e64 v17, v175
	v_cvt_f16_f32_e64 v16, v141
	v_cvt_f16_f32_e64 v15, v149
	v_cvt_f16_f32_e64 v11, v163
	v_cvt_f16_f32_e64 v10, v172
	v_cvt_f16_f32_e64 v9, v139
	v_cvt_f16_f32_e64 v8, v146
	v_cvt_f16_f32_e64 v7, v157
	v_cvt_f16_f32_e64 v5, v169
	v_cvt_f16_f32_e64 v4, v137
	v_cvt_f16_f32_e64 v3, v143
	v_cvt_f16_f32_e64 v2, v151
	v_cvt_f16_f32_e64 v1, v165
.LBB156_11:
	s_mov_b32 s0, exec_lo
	s_wait_loadcnt 0x0
	v_cmpx_gt_u32_e64 s6, v35
	s_cbranch_execz .LBB156_62
; %bb.12:
	v_add_nc_u32_e32 v0, s14, v34
	v_mul_lo_u32 v34, v35, s12
	s_delay_alu instid0(VALU_DEP_2)
	v_cmp_gt_u32_e32 vcc_lo, s12, v0
	s_and_saveexec_b32 s1, vcc_lo
	s_cbranch_execz .LBB156_14
; %bb.13:
	s_delay_alu instid0(VALU_DEP_2) | instskip(NEXT) | instid1(VALU_DEP_1)
	v_dual_mov_b32 v36, 0 :: v_dual_add_nc_u32 v35, v0, v34
	v_lshlrev_b64_e32 v[35:36], 1, v[35:36]
	s_wait_kmcnt 0x0
	s_delay_alu instid0(VALU_DEP_1) | instskip(NEXT) | instid1(VALU_DEP_1)
	v_add_co_u32 v35, s0, s8, v35
	v_add_co_ci_u32_e64 v36, null, s9, v36, s0
	global_store_b16 v[35:36], v12, off
.LBB156_14:
	s_or_b32 exec_lo, exec_lo, s1
	v_add_nc_u32_e32 v12, 32, v0
	s_delay_alu instid0(VALU_DEP_1)
	v_cmp_gt_u32_e64 s0, s12, v12
	s_and_saveexec_b32 s2, s0
	s_cbranch_execz .LBB156_16
; %bb.15:
	v_dual_mov_b32 v36, 0 :: v_dual_add_nc_u32 v35, v12, v34
	s_delay_alu instid0(VALU_DEP_1) | instskip(SKIP_1) | instid1(VALU_DEP_1)
	v_lshlrev_b64_e32 v[35:36], 1, v[35:36]
	s_wait_kmcnt 0x0
	v_add_co_u32 v35, s1, s8, v35
	s_wait_alu 0xf1ff
	s_delay_alu instid0(VALU_DEP_2)
	v_add_co_ci_u32_e64 v36, null, s9, v36, s1
	global_store_b16 v[35:36], v13, off
.LBB156_16:
	s_wait_alu 0xfffe
	s_or_b32 exec_lo, exec_lo, s2
	v_add_nc_u32_e32 v13, 64, v0
	s_delay_alu instid0(VALU_DEP_1)
	v_cmp_gt_u32_e64 s1, s12, v13
	s_and_saveexec_b32 s3, s1
	s_cbranch_execz .LBB156_18
; %bb.17:
	v_dual_mov_b32 v36, 0 :: v_dual_add_nc_u32 v35, v13, v34
	s_delay_alu instid0(VALU_DEP_1) | instskip(SKIP_1) | instid1(VALU_DEP_1)
	v_lshlrev_b64_e32 v[35:36], 1, v[35:36]
	s_wait_kmcnt 0x0
	v_add_co_u32 v35, s2, s8, v35
	s_wait_alu 0xf1ff
	s_delay_alu instid0(VALU_DEP_2)
	v_add_co_ci_u32_e64 v36, null, s9, v36, s2
	global_store_b16 v[35:36], v14, off
.LBB156_18:
	s_wait_alu 0xfffe
	;; [unrolled: 18-line block ×3, first 2 shown]
	s_or_b32 exec_lo, exec_lo, s4
	v_add3_u32 v33, v6, s13, 8
	s_delay_alu instid0(VALU_DEP_1)
	v_cmp_gt_u32_e64 s3, s6, v33
	s_and_b32 exec_lo, exec_lo, s3
	s_cbranch_execz .LBB156_62
; %bb.21:
	v_mul_lo_u32 v33, v33, s12
	s_and_saveexec_b32 s4, vcc_lo
	s_cbranch_execnz .LBB156_63
; %bb.22:
	s_wait_alu 0xfffe
	s_or_b32 exec_lo, exec_lo, s4
	s_and_saveexec_b32 s4, s0
	s_cbranch_execnz .LBB156_64
.LBB156_23:
	s_wait_alu 0xfffe
	s_or_b32 exec_lo, exec_lo, s4
	s_and_saveexec_b32 s4, s1
	s_cbranch_execnz .LBB156_65
.LBB156_24:
	s_wait_alu 0xfffe
	s_or_b32 exec_lo, exec_lo, s4
	s_and_saveexec_b32 s4, s2
	s_cbranch_execz .LBB156_26
.LBB156_25:
	v_dual_mov_b32 v31, 0 :: v_dual_add_nc_u32 v30, v33, v14
	s_delay_alu instid0(VALU_DEP_1) | instskip(SKIP_1) | instid1(VALU_DEP_1)
	v_lshlrev_b64_e32 v[30:31], 1, v[30:31]
	s_wait_kmcnt 0x0
	v_add_co_u32 v30, s3, s8, v30
	s_wait_alu 0xf1ff
	s_delay_alu instid0(VALU_DEP_2)
	v_add_co_ci_u32_e64 v31, null, s9, v31, s3
	global_store_b16 v[30:31], v29, off
.LBB156_26:
	s_wait_alu 0xfffe
	s_or_b32 exec_lo, exec_lo, s4
	v_add3_u32 v29, v6, s13, 16
	s_delay_alu instid0(VALU_DEP_1)
	v_cmp_gt_u32_e64 s3, s6, v29
	s_and_b32 exec_lo, exec_lo, s3
	s_cbranch_execz .LBB156_62
; %bb.27:
	v_mul_lo_u32 v29, v29, s12
	s_and_saveexec_b32 s4, vcc_lo
	s_cbranch_execnz .LBB156_66
; %bb.28:
	s_wait_alu 0xfffe
	s_or_b32 exec_lo, exec_lo, s4
	s_and_saveexec_b32 s4, s0
	s_cbranch_execnz .LBB156_67
.LBB156_29:
	s_wait_alu 0xfffe
	s_or_b32 exec_lo, exec_lo, s4
	s_and_saveexec_b32 s4, s1
	s_cbranch_execnz .LBB156_68
.LBB156_30:
	s_wait_alu 0xfffe
	s_or_b32 exec_lo, exec_lo, s4
	s_and_saveexec_b32 s4, s2
	s_cbranch_execz .LBB156_32
.LBB156_31:
	v_dual_mov_b32 v27, 0 :: v_dual_add_nc_u32 v26, v29, v14
	s_delay_alu instid0(VALU_DEP_1) | instskip(SKIP_1) | instid1(VALU_DEP_1)
	v_lshlrev_b64_e32 v[26:27], 1, v[26:27]
	s_wait_kmcnt 0x0
	v_add_co_u32 v26, s3, s8, v26
	s_wait_alu 0xf1ff
	s_delay_alu instid0(VALU_DEP_2)
	v_add_co_ci_u32_e64 v27, null, s9, v27, s3
	global_store_b16 v[26:27], v25, off
.LBB156_32:
	s_wait_alu 0xfffe
	s_or_b32 exec_lo, exec_lo, s4
	v_add3_u32 v25, v6, s13, 24
	s_delay_alu instid0(VALU_DEP_1)
	v_cmp_gt_u32_e64 s3, s6, v25
	s_and_b32 exec_lo, exec_lo, s3
	s_cbranch_execz .LBB156_62
; %bb.33:
	v_mul_lo_u32 v25, v25, s12
	s_and_saveexec_b32 s4, vcc_lo
	s_cbranch_execnz .LBB156_69
; %bb.34:
	s_wait_alu 0xfffe
	s_or_b32 exec_lo, exec_lo, s4
	s_and_saveexec_b32 s4, s0
	s_cbranch_execnz .LBB156_70
.LBB156_35:
	s_wait_alu 0xfffe
	s_or_b32 exec_lo, exec_lo, s4
	s_and_saveexec_b32 s4, s1
	s_cbranch_execnz .LBB156_71
.LBB156_36:
	s_wait_alu 0xfffe
	s_or_b32 exec_lo, exec_lo, s4
	s_and_saveexec_b32 s4, s2
	s_cbranch_execz .LBB156_38
.LBB156_37:
	v_dual_mov_b32 v23, 0 :: v_dual_add_nc_u32 v22, v25, v14
	s_delay_alu instid0(VALU_DEP_1) | instskip(SKIP_1) | instid1(VALU_DEP_1)
	v_lshlrev_b64_e32 v[22:23], 1, v[22:23]
	s_wait_kmcnt 0x0
	v_add_co_u32 v22, s3, s8, v22
	s_wait_alu 0xf1ff
	s_delay_alu instid0(VALU_DEP_2)
	v_add_co_ci_u32_e64 v23, null, s9, v23, s3
	global_store_b16 v[22:23], v21, off
.LBB156_38:
	s_wait_alu 0xfffe
	s_or_b32 exec_lo, exec_lo, s4
	v_add3_u32 v21, v6, s13, 32
	s_delay_alu instid0(VALU_DEP_1)
	v_cmp_gt_u32_e64 s3, s6, v21
	s_and_b32 exec_lo, exec_lo, s3
	s_cbranch_execz .LBB156_62
; %bb.39:
	v_mul_lo_u32 v21, v21, s12
	s_and_saveexec_b32 s4, vcc_lo
	s_cbranch_execnz .LBB156_72
; %bb.40:
	s_wait_alu 0xfffe
	s_or_b32 exec_lo, exec_lo, s4
	s_and_saveexec_b32 s4, s0
	s_cbranch_execnz .LBB156_73
.LBB156_41:
	s_wait_alu 0xfffe
	s_or_b32 exec_lo, exec_lo, s4
	s_and_saveexec_b32 s4, s1
	s_cbranch_execnz .LBB156_74
.LBB156_42:
	s_wait_alu 0xfffe
	s_or_b32 exec_lo, exec_lo, s4
	s_and_saveexec_b32 s4, s2
	s_cbranch_execz .LBB156_44
.LBB156_43:
	v_dual_mov_b32 v19, 0 :: v_dual_add_nc_u32 v18, v21, v14
	s_delay_alu instid0(VALU_DEP_1) | instskip(SKIP_1) | instid1(VALU_DEP_1)
	v_lshlrev_b64_e32 v[18:19], 1, v[18:19]
	s_wait_kmcnt 0x0
	v_add_co_u32 v18, s3, s8, v18
	s_wait_alu 0xf1ff
	s_delay_alu instid0(VALU_DEP_2)
	v_add_co_ci_u32_e64 v19, null, s9, v19, s3
	global_store_b16 v[18:19], v17, off
.LBB156_44:
	s_wait_alu 0xfffe
	s_or_b32 exec_lo, exec_lo, s4
	v_add3_u32 v17, v6, s13, 40
	s_delay_alu instid0(VALU_DEP_1)
	v_cmp_gt_u32_e64 s3, s6, v17
	s_and_b32 exec_lo, exec_lo, s3
	s_cbranch_execz .LBB156_62
; %bb.45:
	v_mul_lo_u32 v17, v17, s12
	s_and_saveexec_b32 s4, vcc_lo
	s_cbranch_execnz .LBB156_75
; %bb.46:
	s_wait_alu 0xfffe
	s_or_b32 exec_lo, exec_lo, s4
	s_and_saveexec_b32 s4, s0
	s_cbranch_execnz .LBB156_76
.LBB156_47:
	s_wait_alu 0xfffe
	s_or_b32 exec_lo, exec_lo, s4
	s_and_saveexec_b32 s4, s1
	s_cbranch_execnz .LBB156_77
.LBB156_48:
	s_wait_alu 0xfffe
	s_or_b32 exec_lo, exec_lo, s4
	s_and_saveexec_b32 s4, s2
	s_cbranch_execz .LBB156_50
.LBB156_49:
	v_dual_mov_b32 v16, 0 :: v_dual_add_nc_u32 v15, v17, v14
	s_delay_alu instid0(VALU_DEP_1) | instskip(SKIP_1) | instid1(VALU_DEP_1)
	v_lshlrev_b64_e32 v[15:16], 1, v[15:16]
	s_wait_kmcnt 0x0
	v_add_co_u32 v15, s3, s8, v15
	s_wait_alu 0xf1ff
	s_delay_alu instid0(VALU_DEP_2)
	v_add_co_ci_u32_e64 v16, null, s9, v16, s3
	global_store_b16 v[15:16], v10, off
.LBB156_50:
	s_wait_alu 0xfffe
	s_or_b32 exec_lo, exec_lo, s4
	v_add3_u32 v10, v6, s13, 48
	s_delay_alu instid0(VALU_DEP_1)
	v_cmp_gt_u32_e64 s3, s6, v10
	s_and_b32 exec_lo, exec_lo, s3
	s_cbranch_execz .LBB156_62
; %bb.51:
	v_mul_lo_u32 v10, v10, s12
	s_and_saveexec_b32 s4, vcc_lo
	s_cbranch_execnz .LBB156_78
; %bb.52:
	s_wait_alu 0xfffe
	s_or_b32 exec_lo, exec_lo, s4
	s_and_saveexec_b32 s4, s0
	s_cbranch_execnz .LBB156_79
.LBB156_53:
	s_wait_alu 0xfffe
	s_or_b32 exec_lo, exec_lo, s4
	s_and_saveexec_b32 s4, s1
	s_cbranch_execnz .LBB156_80
.LBB156_54:
	s_wait_alu 0xfffe
	s_or_b32 exec_lo, exec_lo, s4
	s_and_saveexec_b32 s4, s2
	s_cbranch_execz .LBB156_56
.LBB156_55:
	v_dual_mov_b32 v8, 0 :: v_dual_add_nc_u32 v7, v10, v14
	s_delay_alu instid0(VALU_DEP_1) | instskip(SKIP_1) | instid1(VALU_DEP_1)
	v_lshlrev_b64_e32 v[7:8], 1, v[7:8]
	s_wait_kmcnt 0x0
	v_add_co_u32 v7, s3, s8, v7
	s_wait_alu 0xf1ff
	s_delay_alu instid0(VALU_DEP_2)
	v_add_co_ci_u32_e64 v8, null, s9, v8, s3
	global_store_b16 v[7:8], v5, off
.LBB156_56:
	s_wait_alu 0xfffe
	s_or_b32 exec_lo, exec_lo, s4
	v_add3_u32 v5, v6, s13, 56
	s_delay_alu instid0(VALU_DEP_1)
	v_cmp_gt_u32_e64 s3, s6, v5
	s_and_b32 exec_lo, exec_lo, s3
	s_cbranch_execz .LBB156_62
; %bb.57:
	v_mul_lo_u32 v5, v5, s12
	s_and_saveexec_b32 s3, vcc_lo
	s_cbranch_execnz .LBB156_81
; %bb.58:
	s_wait_alu 0xfffe
	s_or_b32 exec_lo, exec_lo, s3
	s_and_saveexec_b32 s3, s0
	s_cbranch_execnz .LBB156_82
.LBB156_59:
	s_wait_alu 0xfffe
	s_or_b32 exec_lo, exec_lo, s3
	s_and_saveexec_b32 s0, s1
	s_cbranch_execnz .LBB156_83
.LBB156_60:
	s_wait_alu 0xfffe
	s_or_b32 exec_lo, exec_lo, s0
	s_delay_alu instid0(SALU_CYCLE_1)
	s_and_b32 exec_lo, exec_lo, s2
	s_cbranch_execz .LBB156_62
.LBB156_61:
	v_dual_mov_b32 v3, 0 :: v_dual_add_nc_u32 v2, v5, v14
	s_delay_alu instid0(VALU_DEP_1) | instskip(SKIP_1) | instid1(VALU_DEP_1)
	v_lshlrev_b64_e32 v[2:3], 1, v[2:3]
	s_wait_kmcnt 0x0
	v_add_co_u32 v2, vcc_lo, s8, v2
	s_wait_alu 0xfffd
	s_delay_alu instid0(VALU_DEP_2)
	v_add_co_ci_u32_e64 v3, null, s9, v3, vcc_lo
	global_store_b16 v[2:3], v1, off
.LBB156_62:
	s_nop 0
	s_sendmsg sendmsg(MSG_DEALLOC_VGPRS)
	s_endpgm
.LBB156_63:
	s_delay_alu instid0(VALU_DEP_1) | instskip(NEXT) | instid1(VALU_DEP_1)
	v_dual_mov_b32 v35, 0 :: v_dual_add_nc_u32 v34, v33, v0
	v_lshlrev_b64_e32 v[34:35], 1, v[34:35]
	s_wait_kmcnt 0x0
	s_delay_alu instid0(VALU_DEP_1) | instskip(SKIP_1) | instid1(VALU_DEP_2)
	v_add_co_u32 v34, s3, s8, v34
	s_wait_alu 0xf1ff
	v_add_co_ci_u32_e64 v35, null, s9, v35, s3
	global_store_b16 v[34:35], v32, off
	s_wait_alu 0xfffe
	s_or_b32 exec_lo, exec_lo, s4
	s_and_saveexec_b32 s4, s0
	s_cbranch_execz .LBB156_23
.LBB156_64:
	s_delay_alu instid0(VALU_DEP_1) | instskip(NEXT) | instid1(VALU_DEP_1)
	v_dual_mov_b32 v35, 0 :: v_dual_add_nc_u32 v34, v33, v12
	v_lshlrev_b64_e32 v[34:35], 1, v[34:35]
	s_wait_kmcnt 0x0
	s_delay_alu instid0(VALU_DEP_1) | instskip(SKIP_1) | instid1(VALU_DEP_2)
	v_add_co_u32 v34, s3, s8, v34
	s_wait_alu 0xf1ff
	v_add_co_ci_u32_e64 v35, null, s9, v35, s3
	global_store_b16 v[34:35], v31, off
	s_wait_alu 0xfffe
	s_or_b32 exec_lo, exec_lo, s4
	s_and_saveexec_b32 s4, s1
	s_cbranch_execz .LBB156_24
.LBB156_65:
	v_dual_mov_b32 v32, 0 :: v_dual_add_nc_u32 v31, v33, v13
	s_delay_alu instid0(VALU_DEP_1) | instskip(SKIP_1) | instid1(VALU_DEP_1)
	v_lshlrev_b64_e32 v[31:32], 1, v[31:32]
	s_wait_kmcnt 0x0
	v_add_co_u32 v31, s3, s8, v31
	s_wait_alu 0xf1ff
	s_delay_alu instid0(VALU_DEP_2)
	v_add_co_ci_u32_e64 v32, null, s9, v32, s3
	global_store_b16 v[31:32], v30, off
	s_wait_alu 0xfffe
	s_or_b32 exec_lo, exec_lo, s4
	s_and_saveexec_b32 s4, s2
	s_cbranch_execnz .LBB156_25
	s_branch .LBB156_26
.LBB156_66:
	s_delay_alu instid0(VALU_DEP_1) | instskip(NEXT) | instid1(VALU_DEP_1)
	v_dual_mov_b32 v31, 0 :: v_dual_add_nc_u32 v30, v29, v0
	v_lshlrev_b64_e32 v[30:31], 1, v[30:31]
	s_wait_kmcnt 0x0
	s_delay_alu instid0(VALU_DEP_1) | instskip(SKIP_1) | instid1(VALU_DEP_2)
	v_add_co_u32 v30, s3, s8, v30
	s_wait_alu 0xf1ff
	v_add_co_ci_u32_e64 v31, null, s9, v31, s3
	global_store_b16 v[30:31], v28, off
	s_wait_alu 0xfffe
	s_or_b32 exec_lo, exec_lo, s4
	s_and_saveexec_b32 s4, s0
	s_cbranch_execz .LBB156_29
.LBB156_67:
	s_delay_alu instid0(VALU_DEP_1) | instskip(NEXT) | instid1(VALU_DEP_1)
	v_dual_mov_b32 v31, 0 :: v_dual_add_nc_u32 v30, v29, v12
	v_lshlrev_b64_e32 v[30:31], 1, v[30:31]
	s_wait_kmcnt 0x0
	s_delay_alu instid0(VALU_DEP_1) | instskip(SKIP_1) | instid1(VALU_DEP_2)
	v_add_co_u32 v30, s3, s8, v30
	s_wait_alu 0xf1ff
	v_add_co_ci_u32_e64 v31, null, s9, v31, s3
	global_store_b16 v[30:31], v27, off
	s_wait_alu 0xfffe
	s_or_b32 exec_lo, exec_lo, s4
	s_and_saveexec_b32 s4, s1
	s_cbranch_execz .LBB156_30
.LBB156_68:
	v_dual_mov_b32 v28, 0 :: v_dual_add_nc_u32 v27, v29, v13
	s_delay_alu instid0(VALU_DEP_1) | instskip(SKIP_1) | instid1(VALU_DEP_1)
	v_lshlrev_b64_e32 v[27:28], 1, v[27:28]
	s_wait_kmcnt 0x0
	v_add_co_u32 v27, s3, s8, v27
	s_wait_alu 0xf1ff
	s_delay_alu instid0(VALU_DEP_2)
	v_add_co_ci_u32_e64 v28, null, s9, v28, s3
	global_store_b16 v[27:28], v26, off
	s_wait_alu 0xfffe
	s_or_b32 exec_lo, exec_lo, s4
	s_and_saveexec_b32 s4, s2
	s_cbranch_execnz .LBB156_31
	s_branch .LBB156_32
.LBB156_69:
	s_delay_alu instid0(VALU_DEP_1) | instskip(NEXT) | instid1(VALU_DEP_1)
	v_dual_mov_b32 v27, 0 :: v_dual_add_nc_u32 v26, v25, v0
	v_lshlrev_b64_e32 v[26:27], 1, v[26:27]
	s_wait_kmcnt 0x0
	s_delay_alu instid0(VALU_DEP_1) | instskip(SKIP_1) | instid1(VALU_DEP_2)
	v_add_co_u32 v26, s3, s8, v26
	s_wait_alu 0xf1ff
	v_add_co_ci_u32_e64 v27, null, s9, v27, s3
	global_store_b16 v[26:27], v24, off
	s_wait_alu 0xfffe
	s_or_b32 exec_lo, exec_lo, s4
	s_and_saveexec_b32 s4, s0
	s_cbranch_execz .LBB156_35
.LBB156_70:
	s_delay_alu instid0(VALU_DEP_1) | instskip(NEXT) | instid1(VALU_DEP_1)
	v_dual_mov_b32 v27, 0 :: v_dual_add_nc_u32 v26, v25, v12
	v_lshlrev_b64_e32 v[26:27], 1, v[26:27]
	s_wait_kmcnt 0x0
	s_delay_alu instid0(VALU_DEP_1) | instskip(SKIP_1) | instid1(VALU_DEP_2)
	v_add_co_u32 v26, s3, s8, v26
	s_wait_alu 0xf1ff
	v_add_co_ci_u32_e64 v27, null, s9, v27, s3
	global_store_b16 v[26:27], v23, off
	s_wait_alu 0xfffe
	s_or_b32 exec_lo, exec_lo, s4
	s_and_saveexec_b32 s4, s1
	s_cbranch_execz .LBB156_36
.LBB156_71:
	v_dual_mov_b32 v24, 0 :: v_dual_add_nc_u32 v23, v25, v13
	s_delay_alu instid0(VALU_DEP_1) | instskip(SKIP_1) | instid1(VALU_DEP_1)
	v_lshlrev_b64_e32 v[23:24], 1, v[23:24]
	s_wait_kmcnt 0x0
	v_add_co_u32 v23, s3, s8, v23
	s_wait_alu 0xf1ff
	s_delay_alu instid0(VALU_DEP_2)
	v_add_co_ci_u32_e64 v24, null, s9, v24, s3
	global_store_b16 v[23:24], v22, off
	s_wait_alu 0xfffe
	s_or_b32 exec_lo, exec_lo, s4
	s_and_saveexec_b32 s4, s2
	s_cbranch_execnz .LBB156_37
	s_branch .LBB156_38
.LBB156_72:
	s_delay_alu instid0(VALU_DEP_1) | instskip(NEXT) | instid1(VALU_DEP_1)
	v_dual_mov_b32 v23, 0 :: v_dual_add_nc_u32 v22, v21, v0
	v_lshlrev_b64_e32 v[22:23], 1, v[22:23]
	s_wait_kmcnt 0x0
	s_delay_alu instid0(VALU_DEP_1) | instskip(SKIP_1) | instid1(VALU_DEP_2)
	v_add_co_u32 v22, s3, s8, v22
	s_wait_alu 0xf1ff
	v_add_co_ci_u32_e64 v23, null, s9, v23, s3
	global_store_b16 v[22:23], v20, off
	s_wait_alu 0xfffe
	s_or_b32 exec_lo, exec_lo, s4
	s_and_saveexec_b32 s4, s0
	s_cbranch_execz .LBB156_41
.LBB156_73:
	s_delay_alu instid0(VALU_DEP_1) | instskip(NEXT) | instid1(VALU_DEP_1)
	v_dual_mov_b32 v23, 0 :: v_dual_add_nc_u32 v22, v21, v12
	v_lshlrev_b64_e32 v[22:23], 1, v[22:23]
	s_wait_kmcnt 0x0
	s_delay_alu instid0(VALU_DEP_1) | instskip(SKIP_1) | instid1(VALU_DEP_2)
	v_add_co_u32 v22, s3, s8, v22
	s_wait_alu 0xf1ff
	v_add_co_ci_u32_e64 v23, null, s9, v23, s3
	global_store_b16 v[22:23], v19, off
	s_wait_alu 0xfffe
	s_or_b32 exec_lo, exec_lo, s4
	s_and_saveexec_b32 s4, s1
	s_cbranch_execz .LBB156_42
.LBB156_74:
	v_dual_mov_b32 v20, 0 :: v_dual_add_nc_u32 v19, v21, v13
	s_delay_alu instid0(VALU_DEP_1) | instskip(SKIP_1) | instid1(VALU_DEP_1)
	v_lshlrev_b64_e32 v[19:20], 1, v[19:20]
	s_wait_kmcnt 0x0
	v_add_co_u32 v19, s3, s8, v19
	s_wait_alu 0xf1ff
	s_delay_alu instid0(VALU_DEP_2)
	v_add_co_ci_u32_e64 v20, null, s9, v20, s3
	global_store_b16 v[19:20], v18, off
	s_wait_alu 0xfffe
	s_or_b32 exec_lo, exec_lo, s4
	s_and_saveexec_b32 s4, s2
	s_cbranch_execnz .LBB156_43
	s_branch .LBB156_44
.LBB156_75:
	s_delay_alu instid0(VALU_DEP_1) | instskip(NEXT) | instid1(VALU_DEP_1)
	v_dual_mov_b32 v19, 0 :: v_dual_add_nc_u32 v18, v17, v0
	v_lshlrev_b64_e32 v[18:19], 1, v[18:19]
	s_wait_kmcnt 0x0
	s_delay_alu instid0(VALU_DEP_1) | instskip(SKIP_1) | instid1(VALU_DEP_2)
	v_add_co_u32 v18, s3, s8, v18
	s_wait_alu 0xf1ff
	v_add_co_ci_u32_e64 v19, null, s9, v19, s3
	global_store_b16 v[18:19], v16, off
	s_wait_alu 0xfffe
	s_or_b32 exec_lo, exec_lo, s4
	s_and_saveexec_b32 s4, s0
	s_cbranch_execz .LBB156_47
.LBB156_76:
	s_delay_alu instid0(VALU_DEP_1) | instskip(NEXT) | instid1(VALU_DEP_1)
	v_dual_mov_b32 v19, 0 :: v_dual_add_nc_u32 v18, v17, v12
	v_lshlrev_b64_e32 v[18:19], 1, v[18:19]
	s_wait_kmcnt 0x0
	s_delay_alu instid0(VALU_DEP_1) | instskip(SKIP_1) | instid1(VALU_DEP_2)
	v_add_co_u32 v18, s3, s8, v18
	s_wait_alu 0xf1ff
	v_add_co_ci_u32_e64 v19, null, s9, v19, s3
	global_store_b16 v[18:19], v15, off
	s_wait_alu 0xfffe
	s_or_b32 exec_lo, exec_lo, s4
	s_and_saveexec_b32 s4, s1
	s_cbranch_execz .LBB156_48
.LBB156_77:
	v_dual_mov_b32 v16, 0 :: v_dual_add_nc_u32 v15, v17, v13
	s_delay_alu instid0(VALU_DEP_1) | instskip(SKIP_1) | instid1(VALU_DEP_1)
	v_lshlrev_b64_e32 v[15:16], 1, v[15:16]
	s_wait_kmcnt 0x0
	v_add_co_u32 v15, s3, s8, v15
	s_wait_alu 0xf1ff
	s_delay_alu instid0(VALU_DEP_2)
	v_add_co_ci_u32_e64 v16, null, s9, v16, s3
	global_store_b16 v[15:16], v11, off
	s_wait_alu 0xfffe
	s_or_b32 exec_lo, exec_lo, s4
	s_and_saveexec_b32 s4, s2
	s_cbranch_execnz .LBB156_49
	s_branch .LBB156_50
.LBB156_78:
	s_delay_alu instid0(VALU_DEP_1) | instskip(NEXT) | instid1(VALU_DEP_1)
	v_dual_mov_b32 v16, 0 :: v_dual_add_nc_u32 v15, v10, v0
	v_lshlrev_b64_e32 v[15:16], 1, v[15:16]
	s_wait_kmcnt 0x0
	s_delay_alu instid0(VALU_DEP_1) | instskip(SKIP_1) | instid1(VALU_DEP_2)
	v_add_co_u32 v15, s3, s8, v15
	s_wait_alu 0xf1ff
	v_add_co_ci_u32_e64 v16, null, s9, v16, s3
	global_store_b16 v[15:16], v9, off
	s_wait_alu 0xfffe
	s_or_b32 exec_lo, exec_lo, s4
	s_and_saveexec_b32 s4, s0
	s_cbranch_execz .LBB156_53
.LBB156_79:
	s_delay_alu instid0(VALU_DEP_1) | instskip(NEXT) | instid1(VALU_DEP_1)
	v_dual_mov_b32 v16, 0 :: v_dual_add_nc_u32 v15, v10, v12
	v_lshlrev_b64_e32 v[15:16], 1, v[15:16]
	s_wait_kmcnt 0x0
	s_delay_alu instid0(VALU_DEP_1) | instskip(SKIP_1) | instid1(VALU_DEP_2)
	v_add_co_u32 v15, s3, s8, v15
	s_wait_alu 0xf1ff
	v_add_co_ci_u32_e64 v16, null, s9, v16, s3
	global_store_b16 v[15:16], v8, off
	s_wait_alu 0xfffe
	s_or_b32 exec_lo, exec_lo, s4
	s_and_saveexec_b32 s4, s1
	s_cbranch_execz .LBB156_54
.LBB156_80:
	v_dual_mov_b32 v9, 0 :: v_dual_add_nc_u32 v8, v10, v13
	s_delay_alu instid0(VALU_DEP_1) | instskip(SKIP_1) | instid1(VALU_DEP_1)
	v_lshlrev_b64_e32 v[8:9], 1, v[8:9]
	s_wait_kmcnt 0x0
	v_add_co_u32 v8, s3, s8, v8
	s_wait_alu 0xf1ff
	s_delay_alu instid0(VALU_DEP_2)
	v_add_co_ci_u32_e64 v9, null, s9, v9, s3
	global_store_b16 v[8:9], v7, off
	s_wait_alu 0xfffe
	s_or_b32 exec_lo, exec_lo, s4
	s_and_saveexec_b32 s4, s2
	s_cbranch_execnz .LBB156_55
	s_branch .LBB156_56
.LBB156_81:
	s_delay_alu instid0(VALU_DEP_1) | instskip(NEXT) | instid1(VALU_DEP_1)
	v_dual_mov_b32 v7, 0 :: v_dual_add_nc_u32 v6, v5, v0
	v_lshlrev_b64_e32 v[6:7], 1, v[6:7]
	s_wait_kmcnt 0x0
	s_delay_alu instid0(VALU_DEP_1) | instskip(SKIP_1) | instid1(VALU_DEP_2)
	v_add_co_u32 v6, vcc_lo, s8, v6
	s_wait_alu 0xfffd
	v_add_co_ci_u32_e64 v7, null, s9, v7, vcc_lo
	global_store_b16 v[6:7], v4, off
	s_wait_alu 0xfffe
	s_or_b32 exec_lo, exec_lo, s3
	s_and_saveexec_b32 s3, s0
	s_cbranch_execz .LBB156_59
.LBB156_82:
	s_delay_alu instid0(VALU_DEP_1) | instskip(NEXT) | instid1(VALU_DEP_1)
	v_dual_mov_b32 v7, 0 :: v_dual_add_nc_u32 v6, v5, v12
	v_lshlrev_b64_e32 v[6:7], 1, v[6:7]
	s_wait_kmcnt 0x0
	s_delay_alu instid0(VALU_DEP_1) | instskip(SKIP_1) | instid1(VALU_DEP_2)
	v_add_co_u32 v6, vcc_lo, s8, v6
	s_wait_alu 0xfffd
	v_add_co_ci_u32_e64 v7, null, s9, v7, vcc_lo
	global_store_b16 v[6:7], v3, off
	s_wait_alu 0xfffe
	s_or_b32 exec_lo, exec_lo, s3
	s_and_saveexec_b32 s0, s1
	s_cbranch_execz .LBB156_60
.LBB156_83:
	v_dual_mov_b32 v4, 0 :: v_dual_add_nc_u32 v3, v5, v13
	s_delay_alu instid0(VALU_DEP_1) | instskip(SKIP_1) | instid1(VALU_DEP_1)
	v_lshlrev_b64_e32 v[3:4], 1, v[3:4]
	s_wait_kmcnt 0x0
	v_add_co_u32 v3, vcc_lo, s8, v3
	s_wait_alu 0xfffd
	s_delay_alu instid0(VALU_DEP_2) | instskip(SKIP_3) | instid1(SALU_CYCLE_1)
	v_add_co_ci_u32_e64 v4, null, s9, v4, vcc_lo
	global_store_b16 v[3:4], v2, off
	s_wait_alu 0xfffe
	s_or_b32 exec_lo, exec_lo, s0
	s_and_b32 exec_lo, exec_lo, s2
	s_cbranch_execnz .LBB156_61
	s_branch .LBB156_62
	.section	.rodata,"a",@progbits
	.p2align	6, 0x0
	.amdhsa_kernel _ZL12mul_mat_q6_KIN3c104HalfELb1EEvPKvS3_PT_iiiii
		.amdhsa_group_segment_fixed_size 45136
		.amdhsa_private_segment_fixed_size 28
		.amdhsa_kernarg_size 44
		.amdhsa_user_sgpr_count 2
		.amdhsa_user_sgpr_dispatch_ptr 0
		.amdhsa_user_sgpr_queue_ptr 0
		.amdhsa_user_sgpr_kernarg_segment_ptr 1
		.amdhsa_user_sgpr_dispatch_id 0
		.amdhsa_user_sgpr_private_segment_size 0
		.amdhsa_wavefront_size32 1
		.amdhsa_uses_dynamic_stack 0
		.amdhsa_enable_private_segment 1
		.amdhsa_system_sgpr_workgroup_id_x 1
		.amdhsa_system_sgpr_workgroup_id_y 1
		.amdhsa_system_sgpr_workgroup_id_z 0
		.amdhsa_system_sgpr_workgroup_info 0
		.amdhsa_system_vgpr_workitem_id 1
		.amdhsa_next_free_vgpr 256
		.amdhsa_next_free_sgpr 18
		.amdhsa_reserve_vcc 1
		.amdhsa_float_round_mode_32 0
		.amdhsa_float_round_mode_16_64 0
		.amdhsa_float_denorm_mode_32 3
		.amdhsa_float_denorm_mode_16_64 3
		.amdhsa_fp16_overflow 0
		.amdhsa_workgroup_processor_mode 1
		.amdhsa_memory_ordered 1
		.amdhsa_forward_progress 1
		.amdhsa_inst_pref_size 255
		.amdhsa_round_robin_scheduling 0
		.amdhsa_exception_fp_ieee_invalid_op 0
		.amdhsa_exception_fp_denorm_src 0
		.amdhsa_exception_fp_ieee_div_zero 0
		.amdhsa_exception_fp_ieee_overflow 0
		.amdhsa_exception_fp_ieee_underflow 0
		.amdhsa_exception_fp_ieee_inexact 0
		.amdhsa_exception_int_div_zero 0
	.end_amdhsa_kernel
	.section	.text._ZL12mul_mat_q6_KIN3c104HalfELb1EEvPKvS3_PT_iiiii,"axG",@progbits,_ZL12mul_mat_q6_KIN3c104HalfELb1EEvPKvS3_PT_iiiii,comdat
.Lfunc_end156:
	.size	_ZL12mul_mat_q6_KIN3c104HalfELb1EEvPKvS3_PT_iiiii, .Lfunc_end156-_ZL12mul_mat_q6_KIN3c104HalfELb1EEvPKvS3_PT_iiiii
                                        ; -- End function
	.set _ZL12mul_mat_q6_KIN3c104HalfELb1EEvPKvS3_PT_iiiii.num_vgpr, 256
	.set _ZL12mul_mat_q6_KIN3c104HalfELb1EEvPKvS3_PT_iiiii.num_agpr, 0
	.set _ZL12mul_mat_q6_KIN3c104HalfELb1EEvPKvS3_PT_iiiii.numbered_sgpr, 18
	.set _ZL12mul_mat_q6_KIN3c104HalfELb1EEvPKvS3_PT_iiiii.num_named_barrier, 0
	.set _ZL12mul_mat_q6_KIN3c104HalfELb1EEvPKvS3_PT_iiiii.private_seg_size, 28
	.set _ZL12mul_mat_q6_KIN3c104HalfELb1EEvPKvS3_PT_iiiii.uses_vcc, 1
	.set _ZL12mul_mat_q6_KIN3c104HalfELb1EEvPKvS3_PT_iiiii.uses_flat_scratch, 1
	.set _ZL12mul_mat_q6_KIN3c104HalfELb1EEvPKvS3_PT_iiiii.has_dyn_sized_stack, 0
	.set _ZL12mul_mat_q6_KIN3c104HalfELb1EEvPKvS3_PT_iiiii.has_recursion, 0
	.set _ZL12mul_mat_q6_KIN3c104HalfELb1EEvPKvS3_PT_iiiii.has_indirect_call, 0
	.section	.AMDGPU.csdata,"",@progbits
; Kernel info:
; codeLenInByte = 38208
; TotalNumSgprs: 20
; NumVgprs: 256
; ScratchSize: 28
; MemoryBound: 0
; FloatMode: 240
; IeeeMode: 1
; LDSByteSize: 45136 bytes/workgroup (compile time only)
; SGPRBlocks: 0
; VGPRBlocks: 31
; NumSGPRsForWavesPerEU: 20
; NumVGPRsForWavesPerEU: 256
; Occupancy: 4
; WaveLimiterHint : 0
; COMPUTE_PGM_RSRC2:SCRATCH_EN: 1
; COMPUTE_PGM_RSRC2:USER_SGPR: 2
; COMPUTE_PGM_RSRC2:TRAP_HANDLER: 0
; COMPUTE_PGM_RSRC2:TGID_X_EN: 1
; COMPUTE_PGM_RSRC2:TGID_Y_EN: 1
; COMPUTE_PGM_RSRC2:TGID_Z_EN: 0
; COMPUTE_PGM_RSRC2:TIDIG_COMP_CNT: 1
	.section	.text._ZL12mul_mat_q4_0IN3c108BFloat16ELb0EEvPKvS3_PT_iiiii,"axG",@progbits,_ZL12mul_mat_q4_0IN3c108BFloat16ELb0EEvPKvS3_PT_iiiii,comdat
	.globl	_ZL12mul_mat_q4_0IN3c108BFloat16ELb0EEvPKvS3_PT_iiiii ; -- Begin function _ZL12mul_mat_q4_0IN3c108BFloat16ELb0EEvPKvS3_PT_iiiii
	.p2align	8
	.type	_ZL12mul_mat_q4_0IN3c108BFloat16ELb0EEvPKvS3_PT_iiiii,@function
_ZL12mul_mat_q4_0IN3c108BFloat16ELb0EEvPKvS3_PT_iiiii: ; @_ZL12mul_mat_q4_0IN3c108BFloat16ELb0EEvPKvS3_PT_iiiii
; %bb.0:
	s_clause 0x1
	s_load_b32 s2, s[0:1], 0x18
	s_load_b96 s[4:6], s[0:1], 0x20
	v_bfe_u32 v27, v0, 10, 10
	v_and_b32_e32 v28, 0x3ff, v0
	s_lshl_b32 s7, ttmp7, 6
	s_wait_kmcnt 0x0
	s_cmp_gt_i32 s2, 31
	s_cbranch_scc1 .LBB157_2
; %bb.1:
	v_bfe_u32 v1, v0, 10, 10
	v_and_b32_e32 v2, 0x3ff, v0
	s_mov_b32 s3, 0
	s_delay_alu instid0(VALU_DEP_2)
	v_add_nc_u32_e32 v3, s7, v1
	s_branch .LBB157_3
.LBB157_2:
	s_mov_b32 s3, -1
                                        ; implicit-def: $vgpr1
                                        ; implicit-def: $vgpr2
                                        ; implicit-def: $vgpr3
.LBB157_3:
	s_load_b64 s[8:9], s[0:1], 0x10
	v_dual_mov_b32 v10, 0 :: v_dual_mov_b32 v33, 0
	v_dual_mov_b32 v14, 0 :: v_dual_mov_b32 v11, 0
	;; [unrolled: 1-line block ×15, first 2 shown]
	v_mov_b32_e32 v32, 0
	v_mov_b32_e32 v36, 0
	s_and_not1_b32 vcc_lo, exec_lo, s3
	s_lshl_b32 s14, ttmp9, 7
	s_cbranch_vccnz .LBB157_14
; %bb.4:
	v_add_nc_u32_e32 v10, s7, v27
	v_and_b32_e32 v21, 31, v0
	v_lshlrev_b32_e32 v22, 7, v27
	s_add_co_i32 s10, s4, -1
	v_bfe_u32 v26, v0, 3, 7
	v_dual_mov_b32 v36, 0 :: v_dual_add_nc_u32 v5, 8, v10
	v_add_nc_u32_e32 v7, 16, v10
	v_dual_mov_b32 v50, 0 :: v_dual_add_nc_u32 v9, 24, v10
	v_add_nc_u32_e32 v11, 32, v10
	v_add_nc_u32_e32 v13, 40, v10
	;; [unrolled: 1-line block ×4, first 2 shown]
	v_lshl_or_b32 v21, v21, 2, 0x4200
	v_add_nc_u32_e32 v30, 0x400, v22
	v_add_nc_u32_e32 v32, 0x800, v22
	v_cvt_f64_i32_e32 v[1:2], s10
	v_cvt_f64_u32_e32 v[3:4], v10
	v_cvt_f64_u32_e32 v[5:6], v5
	s_clause 0x1
	scratch_store_b32 off, v10, off offset:96
	scratch_store_b32 off, v26, off offset:44
	v_cvt_f64_u32_e32 v[9:10], v9
	v_cvt_f64_u32_e32 v[11:12], v11
	;; [unrolled: 1-line block ×4, first 2 shown]
	v_add_nc_u32_e32 v94, v21, v30
	v_dual_mov_b32 v32, 0 :: v_dual_add_nc_u32 v95, v21, v32
	v_cvt_f64_u32_e32 v[7:8], v7
	v_mov_b32_e32 v30, 0
	v_cvt_f64_u32_e32 v[13:14], v13
	v_and_b32_e32 v44, 7, v0
	v_bfe_u32 v42, v0, 2, 8
	v_and_b32_e32 v19, 3, v0
	v_add_nc_u32_e32 v34, 0x1000, v22
	s_ashr_i32 s3, s2, 31
	v_lshlrev_b32_e32 v20, 2, v28
	s_lshr_b32 s3, s3, 27
	v_add_nc_u32_e32 v37, 0x1800, v22
	s_add_co_i32 s11, s2, s3
	s_ashr_i32 s12, s5, 31
	s_wait_alu 0xfffe
	s_ashr_i32 s15, s11, 5
	s_lshr_b32 s12, s12, 27
	v_add_nc_u32_e32 v99, v21, v37
	v_dual_mov_b32 v37, 0 :: v_dual_and_b32 v52, 12, v20
	v_mad_u32_u24 v53, 0x84, v27, v20
	v_dual_mov_b32 v49, 0 :: v_dual_and_b32 v20, 28, v20
	s_add_co_i32 s5, s5, s12
	v_add_nc_u32_e32 v23, 0x60, v28
	s_ashr_i32 s5, s5, 5
	v_add_nc_u32_e32 v38, 0x1c00, v22
	v_add_nc_u32_e32 v24, 64, v28
	v_and_b32_e32 v0, 0xfc, v0
	v_min_num_f64_e32 v[3:4], v[3:4], v[1:2]
	v_min_num_f64_e32 v[5:6], v[5:6], v[1:2]
	v_add_nc_u32_e32 v25, 32, v28
	v_mul_lo_u32 v41, s15, v27
	v_min_num_f64_e32 v[9:10], v[9:10], v[1:2]
	v_min_num_f64_e32 v[11:12], v[11:12], v[1:2]
	;; [unrolled: 1-line block ×3, first 2 shown]
	s_lshl_b32 s16, s15, 3
	v_add_nc_u32_e32 v33, 0xc00, v22
	v_add_nc_u32_e32 v35, 0x1400, v22
	s_load_b128 s[0:3], s[0:1], 0x0
	v_min_num_f64_e32 v[7:8], v[7:8], v[1:2]
	v_add_nc_u32_e32 v45, s16, v41
	v_min_num_f64_e32 v[13:14], v[13:14], v[1:2]
	v_min_num_f64_e32 v[1:2], v[17:18], v[1:2]
	v_lshl_add_u32 v17, v27, 2, v26
	v_lshlrev_b32_e32 v18, 2, v44
	v_lshl_add_u32 v26, v27, 3, v42
	v_add_nc_u32_e32 v98, v21, v35
	s_and_not1_b32 s11, s11, 31
	v_add_nc_u32_e32 v43, 32, v17
	v_mul_lo_u32 v59, s15, v17
	v_and_b32_e32 v39, 0x7fc, v17
	v_lshlrev_b32_e32 v40, 5, v17
	s_mul_i32 s12, s15, s14
	v_mov_b32_e32 v48, 0
	s_ashr_i32 s13, s12, 31
	v_mov_b32_e32 v35, 0
	s_mul_u64 s[12:13], s[12:13], 18
	s_wait_alu 0xfffe
	v_add_nc_u32_e32 v64, s11, v59
	s_wait_kmcnt 0x0
	s_add_nc_u64 s[0:1], s[0:1], s[12:13]
	s_delay_alu instid0(VALU_DEP_1) | instskip(SKIP_2) | instid1(VALU_DEP_3)
	v_add_nc_u32_e32 v66, s11, v64
	v_cvt_i32_f64_e32 v3, v[3:4]
	v_cvt_i32_f64_e32 v4, v[5:6]
	v_add_nc_u32_e32 v69, s11, v66
	s_mov_b32 s11, 0
	v_cvt_i32_f64_e32 v6, v[9:10]
	v_cvt_i32_f64_e32 v9, v[15:16]
	;; [unrolled: 1-line block ×6, first 2 shown]
	v_add_nc_u32_e32 v1, 64, v17
	v_and_b32_e32 v13, 0xffc, v43
	v_add_nc_u32_e32 v2, 0x60, v17
	v_and_b32_e32 v11, 63, v26
	v_lshlrev_b32_e32 v14, 5, v43
	v_and_b32_e32 v15, 0xffc, v1
	v_lshlrev_b32_e32 v16, 5, v1
	v_add3_u32 v13, v13, v18, 0x6200
	v_and_b32_e32 v1, 0xffc, v2
	v_lshlrev_b32_e32 v17, 5, v2
	v_add3_u32 v15, v15, v18, 0x6200
	v_or_b32_e32 v2, s7, v11
	v_add_nc_u32_e32 v90, v13, v14
	v_mov_b32_e32 v14, 0
	v_add3_u32 v12, v39, v18, 0x6200
	v_add_nc_u32_e32 v91, v15, v16
	v_mov_b32_e32 v15, 0
	v_dual_mov_b32 v34, 0 :: v_dual_add_nc_u32 v97, v21, v34
	v_lshlrev_b32_e32 v29, 2, v19
	v_add3_u32 v18, v1, v18, 0x6200
	v_min_i32_e32 v1, s10, v2
	v_dual_mov_b32 v39, 0 :: v_dual_mov_b32 v26, 0
	s_delay_alu instid0(VALU_DEP_4) | instskip(NEXT) | instid1(VALU_DEP_4)
	v_lshl_or_b32 v11, v11, 4, v29
	v_dual_mov_b32 v17, 0 :: v_dual_add_nc_u32 v92, v18, v17
	v_dual_mov_b32 v16, 0 :: v_dual_add_nc_u32 v47, s16, v45
	s_delay_alu instid0(VALU_DEP_3) | instskip(SKIP_1) | instid1(VALU_DEP_3)
	v_dual_mov_b32 v11, 0 :: v_dual_add_nc_u32 v2, 0x7280, v11
	v_add_nc_u32_e32 v100, v21, v38
	v_dual_mov_b32 v38, 0 :: v_dual_add_nc_u32 v51, s16, v47
	scratch_store_b32 off, v2, off          ; 4-byte Folded Spill
	v_mad_co_u64_u32 v[1:2], null, v1, s5, v[19:20]
	v_add_nc_u32_e32 v89, v12, v40
	v_mov_b32_e32 v43, 0
	v_dual_mov_b32 v13, 0 :: v_dual_mov_b32 v40, 0
	v_dual_mov_b32 v12, 0 :: v_dual_mov_b32 v29, 0
	scratch_store_b64 off, v[1:2], off offset:48 ; 8-byte Folded Spill
	v_mul_lo_u32 v1, s5, v3
	v_lshlrev_b32_e32 v2, 5, v28
	v_and_b32_e32 v3, 0x1fc, v23
	v_mov_b32_e32 v23, 0
	s_wait_alu 0xfffe
	s_mov_b32 s10, s11
	v_dual_mov_b32 v18, 0 :: v_dual_mov_b32 v19, 0
	scratch_store_b32 off, v1, off offset:4 ; 4-byte Folded Spill
	v_mul_lo_u32 v1, s5, v4
	v_and_b32_e32 v4, 0x1fc, v24
	v_mov_b32_e32 v24, 0
	s_delay_alu instid0(VALU_DEP_2) | instskip(SKIP_3) | instid1(VALU_DEP_1)
	v_add_nc_u32_e32 v4, v2, v4
	scratch_store_b32 off, v1, off offset:8 ; 4-byte Folded Spill
	v_mul_lo_u32 v1, s5, v5
	v_and_b32_e32 v5, 0x1fc, v25
	v_add_nc_u32_e32 v5, v2, v5
	scratch_store_b32 off, v1, off offset:12 ; 4-byte Folded Spill
	v_mul_lo_u32 v1, s5, v6
	v_add_nc_u32_e32 v6, v2, v3
	scratch_store_b32 off, v1, off offset:16 ; 4-byte Folded Spill
	v_mul_lo_u32 v1, s5, v7
	v_add_nc_u32_e32 v7, v2, v0
	v_add_nc_u32_e32 v0, 0x6e00, v6
	s_clause 0x1
	scratch_store_b32 off, v0, off offset:56
	scratch_store_b32 off, v1, off offset:20
	v_mul_lo_u32 v1, s5, v8
	v_add_nc_u32_e32 v0, 0x6a00, v4
	scratch_store_b32 off, v0, off offset:60 ; 4-byte Folded Spill
	v_add_nc_u32_e32 v0, 0x6600, v5
	scratch_store_b32 off, v1, off offset:24 ; 4-byte Folded Spill
	v_mul_lo_u32 v1, s5, v9
	scratch_store_b32 off, v0, off offset:64 ; 4-byte Folded Spill
	v_add_nc_u32_e32 v0, 0x6200, v7
	scratch_store_b32 off, v1, off offset:28 ; 4-byte Folded Spill
	v_mul_lo_u32 v1, s5, v10
	v_mov_b32_e32 v10, 0
	v_add_nc_u32_e32 v96, v21, v33
	v_add_co_u32 v2, s5, s2, v20
	s_wait_alu 0xf1ff
	v_add_co_ci_u32_e64 v3, null, s3, 0, s5
	v_mov_b32_e32 v20, 0
	scratch_store_b32 off, v1, off offset:32 ; 4-byte Folded Spill
	v_lshrrev_b32_e32 v1, 3, v25
	v_mov_b32_e32 v25, 0
	s_add_co_i32 s5, s15, 3
	v_mov_b32_e32 v33, 0
	s_clause 0x2
	scratch_store_b32 off, v1, off offset:72
	scratch_store_b32 off, v0, off offset:68
	;; [unrolled: 1-line block ×3, first 2 shown]
	v_lshl_add_u32 v0, v27, 4, 0x7280
	scratch_store_b32 off, v0, off offset:36 ; 4-byte Folded Spill
	v_add_nc_u32_e32 v0, 0x6e10, v6
	scratch_store_b32 off, v0, off offset:76 ; 4-byte Folded Spill
	v_add_nc_u32_e32 v0, 0x6a10, v4
	;; [unrolled: 2-line block ×4, first 2 shown]
	scratch_store_b32 off, v0, off offset:88 ; 4-byte Folded Spill
	v_dual_mov_b32 v21, 0 :: v_dual_add_nc_u32 v0, v21, v22
	v_add_nc_u32_e32 v84, 0x4200, v22
	v_mov_b32_e32 v22, 0
	v_add_nc_u32_e32 v54, s16, v51
	scratch_store_b32 off, v0, off offset:40 ; 4-byte Folded Spill
	v_add_nc_u32_e32 v55, s16, v54
	s_delay_alu instid0(VALU_DEP_1) | instskip(NEXT) | instid1(VALU_DEP_1)
	v_add_nc_u32_e32 v56, s16, v55
	v_add_nc_u32_e32 v57, s16, v56
	s_delay_alu instid0(VALU_DEP_1) | instskip(NEXT) | instid1(VALU_DEP_1)
	v_add_nc_u32_e32 v58, s16, v57
	;; [unrolled: 3-line block ×5, first 2 shown]
	v_add_nc_u32_e32 v70, s16, v67
	s_branch .LBB157_6
.LBB157_5:                              ;   in Loop: Header=BB157_6 Depth=1
	s_add_co_i32 s10, s10, 8
	s_add_co_i32 s5, s5, -8
	s_wait_alu 0xfffe
	s_cmp_ge_i32 s10, s15
	s_cbranch_scc1 .LBB157_13
.LBB157_6:                              ; =>This Loop Header: Depth=1
                                        ;     Child Loop BB157_8 Depth 2
                                        ;     Child Loop BB157_11 Depth 2
	s_wait_alu 0xfffe
	s_mul_u64 s[12:13], s[10:11], 18
	s_cmp_gt_u32 s5, 3
	s_wait_alu 0xfffe
	s_add_nc_u64 s[12:13], s[0:1], s[12:13]
	v_add_nc_u32_e32 v123, 0x35a0, v53
	s_wait_alu 0xfffe
	v_mad_co_u64_u32 v[4:5], null, v42, 18, s[12:13]
	v_add_nc_u32_e32 v124, 0x39c0, v53
	v_add_nc_u32_e32 v125, 0x3de0, v53
	s_delay_alu instid0(VALU_DEP_3) | instskip(SKIP_3) | instid1(VALU_DEP_4)
	v_mad_co_u64_u32 v[6:7], null, v41, 18, v[4:5]
	v_mad_co_u64_u32 v[8:9], null, v45, 18, v[4:5]
	;; [unrolled: 1-line block ×4, first 2 shown]
	v_add_co_u32 v6, vcc_lo, v6, v52
	v_mad_co_u64_u32 v[105:106], null, v54, 18, v[4:5]
	s_wait_alu 0xfffd
	v_add_co_ci_u32_e64 v7, null, 0, v7, vcc_lo
	v_add_co_u32 v8, vcc_lo, v8, v52
	v_mad_co_u64_u32 v[107:108], null, v55, 18, v[4:5]
	s_wait_alu 0xfffd
	v_add_co_ci_u32_e64 v9, null, 0, v9, vcc_lo
	;; [unrolled: 4-line block ×4, first 2 shown]
	v_add_co_u32 v105, vcc_lo, v105, v52
	s_wait_alu 0xfffd
	v_add_co_ci_u32_e64 v106, null, 0, v106, vcc_lo
	v_add_co_u32 v107, vcc_lo, v107, v52
	s_wait_alu 0xfffd
	v_add_co_ci_u32_e64 v108, null, 0, v108, vcc_lo
	;; [unrolled: 3-line block ×3, first 2 shown]
	v_add_co_u32 v111, vcc_lo, v111, v52
	v_mad_co_u64_u32 v[113:114], null, v58, 18, v[4:5]
	s_wait_alu 0xfffd
	v_add_co_ci_u32_e64 v112, null, 0, v112, vcc_lo
	s_clause 0x7
	global_load_b32 v85, v[6:7], off offset:2
	global_load_b32 v86, v[8:9], off offset:2
	;; [unrolled: 1-line block ×8, first 2 shown]
	v_mad_co_u64_u32 v[6:7], null, v60, 18, v[4:5]
	v_mad_co_u64_u32 v[101:102], null, v61, 18, v[4:5]
	;; [unrolled: 1-line block ×4, first 2 shown]
	v_add_co_u32 v8, vcc_lo, v113, v52
	v_mad_co_u64_u32 v[105:106], null, v63, 18, v[4:5]
	s_wait_alu 0xfffd
	v_add_co_ci_u32_e64 v9, null, 0, v114, vcc_lo
	v_add_co_u32 v6, vcc_lo, v6, v52
	v_mad_co_u64_u32 v[107:108], null, v65, 18, v[4:5]
	s_wait_alu 0xfffd
	v_add_co_ci_u32_e64 v7, null, 0, v7, vcc_lo
	v_add_co_u32 v101, vcc_lo, v101, v52
	v_mad_co_u64_u32 v[111:112], null, v59, 18, v[109:110]
	v_mad_co_u64_u32 v[117:118], null, v67, 18, v[4:5]
	;; [unrolled: 1-line block ×3, first 2 shown]
	s_wait_alu 0xfffd
	v_add_co_ci_u32_e64 v102, null, 0, v102, vcc_lo
	v_add_co_u32 v103, vcc_lo, v103, v52
	v_mad_co_u64_u32 v[115:116], null, v66, 18, v[109:110]
	v_mad_co_u64_u32 v[4:5], null, v70, 18, v[4:5]
	;; [unrolled: 1-line block ×3, first 2 shown]
	s_wait_alu 0xfffd
	v_add_co_ci_u32_e64 v104, null, 0, v104, vcc_lo
	v_add_co_u32 v105, vcc_lo, v105, v52
	s_wait_alu 0xfffd
	v_add_co_ci_u32_e64 v106, null, 0, v106, vcc_lo
	v_add_co_u32 v107, vcc_lo, v107, v52
	s_wait_alu 0xfffd
	v_add_co_ci_u32_e64 v108, null, 0, v108, vcc_lo
	s_clause 0x3
	global_load_u16 v111, v[111:112], off
	global_load_u16 v112, v[113:114], off
	global_load_u16 v113, v[115:116], off
	global_load_u16 v114, v[109:110], off
	v_add_co_u32 v109, vcc_lo, v117, v52
	s_wait_alu 0xfffd
	v_add_co_ci_u32_e64 v110, null, 0, v118, vcc_lo
	v_add_co_u32 v4, vcc_lo, v4, v52
	s_wait_alu 0xfffd
	v_add_co_ci_u32_e64 v5, null, 0, v5, vcc_lo
	s_clause 0x7
	global_load_b32 v8, v[8:9], off offset:2
	global_load_b32 v6, v[6:7], off offset:2
	;; [unrolled: 1-line block ×8, first 2 shown]
	v_add_nc_u32_e32 v5, 0x420, v53
	v_add_nc_u32_e32 v104, 0x840, v53
	;; [unrolled: 1-line block ×12, first 2 shown]
	s_wait_loadcnt 0xb
	v_cvt_f32_f16_e32 v111, v111
	s_wait_loadcnt 0xa
	v_cvt_f32_f16_e32 v112, v112
	;; [unrolled: 2-line block ×4, first 2 shown]
	ds_store_b32 v53, v85
	ds_store_b32 v5, v86
	;; [unrolled: 1-line block ×8, first 2 shown]
	s_wait_loadcnt 0x7
	ds_store_b32 v110, v8
	s_wait_loadcnt 0x6
	ds_store_b32 v115, v6
	;; [unrolled: 2-line block ×8, first 2 shown]
	ds_store_b32 v89, v111
	ds_store_b32 v90, v112
	;; [unrolled: 1-line block ×4, first 2 shown]
	s_cbranch_scc0 .LBB157_5
; %bb.7:                                ;   in Loop: Header=BB157_6 Depth=1
	scratch_load_b32 v0, off, off offset:44 ; 4-byte Folded Reload
	s_mov_b32 s12, -4
	s_wait_loadcnt 0x0
	v_add_nc_u32_e32 v85, s10, v0
	scratch_load_b64 v[0:1], off, off offset:48 ; 8-byte Folded Reload
	s_wait_loadcnt 0x0
	v_add_nc_u32_e32 v101, s10, v0
	scratch_load_b32 v0, off, off offset:4  ; 4-byte Folded Reload
	v_mad_co_u64_u32 v[112:113], null, v101, 36, s[2:3]
	s_wait_loadcnt 0x0
	v_add_nc_u32_e32 v4, v85, v0
	scratch_load_b32 v0, off, off offset:8  ; 4-byte Folded Reload
	v_mad_co_i64_i32 v[4:5], null, v4, 36, v[2:3]
	s_wait_loadcnt 0x0
	v_add_nc_u32_e32 v6, v85, v0
	scratch_load_b32 v0, off, off offset:12 ; 4-byte Folded Reload
	v_mad_co_i64_i32 v[6:7], null, v6, 36, v[2:3]
	s_wait_loadcnt 0x0
	v_add_nc_u32_e32 v8, v85, v0
	scratch_load_b32 v0, off, off offset:16 ; 4-byte Folded Reload
	;; [unrolled: 4-line block ×6, first 2 shown]
	v_mad_co_i64_i32 v[108:109], null, v88, 36, v[2:3]
	s_wait_loadcnt 0x0
	v_add_nc_u32_e32 v85, v85, v0
	s_delay_alu instid0(VALU_DEP_1)
	v_mad_co_i64_i32 v[110:111], null, v85, 36, v[2:3]
	s_clause 0x8
	global_load_b32 v85, v[104:105], off offset:4
	global_load_b32 v4, v[4:5], off offset:4
	;; [unrolled: 1-line block ×8, first 2 shown]
	global_load_b32 v87, v[112:113], off
	s_clause 0x5
	scratch_load_b32 v103, off, off offset:36
	scratch_load_b32 v104, off, off offset:68
	;; [unrolled: 1-line block ×6, first 2 shown]
	v_mov_b32_e32 v102, v84
	v_mul_u32_u24_e32 v108, 0x84, v28
	s_wait_loadcnt 0xe
	ds_store_b32 v100, v85
	s_wait_loadcnt 0x0
	ds_store_b32 v0, v4
	ds_store_b32 v94, v5
	;; [unrolled: 1-line block ×7, first 2 shown]
	scratch_load_b32 v0, off, off           ; 4-byte Folded Reload
	s_wait_loadcnt 0x0
	ds_store_b32 v0, v87
	s_wait_storecnt_dscnt 0x0
	s_barrier_signal -1
	s_barrier_wait -1
	global_inv scope:SCOPE_SE
.LBB157_8:                              ;   Parent Loop BB157_6 Depth=1
                                        ; =>  This Inner Loop Header: Depth=2
	ds_load_2addr_b32 v[4:5], v102 offset0:4 offset1:7
	ds_load_2addr_b32 v[141:142], v108 offset1:1
	ds_load_2addr_b32 v[161:162], v102 offset1:3
	ds_load_b32 v109, v105
	ds_load_2addr_b32 v[147:148], v102 offset0:1 offset1:2
	ds_load_2addr_b32 v[167:168], v102 offset0:5 offset1:6
	;; [unrolled: 1-line block ×3, first 2 shown]
	v_add_nc_u32_e32 v155, 0x400, v102
	v_add_nc_u32_e32 v105, 4, v105
	s_wait_alu 0xfffe
	s_add_co_i32 s12, s12, 4
	s_wait_alu 0xfffe
	s_cmp_lt_u32 s12, 12
	s_wait_dscnt 0x6
	v_bfe_i32 v85, v4, 16, 8
	s_wait_dscnt 0x5
	v_bfe_u32 v153, v141, 20, 4
	s_wait_dscnt 0x4
	v_bfe_i32 v86, v161, 16, 8
	v_bfe_u32 v110, v141, 16, 4
	s_wait_dscnt 0x2
	v_bfe_i32 v87, v147, 16, 8
	v_bfe_u32 v145, v142, 16, 4
	v_mul_i32_i24_e32 v6, v153, v85
	s_wait_dscnt 0x1
	v_bfe_i32 v88, v167, 16, 8
	v_bfe_u32 v134, v142, 20, 4
	v_lshrrev_b32_e32 v157, 28, v141
	v_mul_i32_i24_e32 v7, v87, v145
	v_mad_i32_i24 v6, v110, v86, v6
	v_ashrrev_i32_e32 v169, 24, v4
	v_mul_i32_i24_e32 v8, v88, v134
	v_bfe_u32 v111, v141, 24, 4
	v_ashrrev_i32_e32 v137, 24, v161
	v_bfe_u32 v156, v142, 24, 4
	v_lshrrev_b32_e32 v143, 28, v142
	v_add3_u32 v6, v6, v7, v8
	v_mul_i32_i24_e32 v7, v157, v169
	v_ashrrev_i32_e32 v181, 24, v147
	v_ashrrev_i32_e32 v183, 24, v167
	v_bfe_i32 v164, v4, 0, 8
	v_bfe_u32 v160, v141, 4, 4
	v_mad_i32_i24 v7, v111, v137, v7
	v_mul_i32_i24_e32 v8, v181, v156
	v_mul_i32_i24_e32 v9, v183, v143
	v_bfe_i32 v122, v161, 0, 8
	v_and_b32_e32 v112, 15, v141
	v_bfe_i32 v204, v147, 0, 8
	v_and_b32_e32 v150, 15, v142
	v_add3_u32 v7, v7, v8, v9
	v_mul_i32_i24_e32 v8, v160, v164
	v_bfe_i32 v205, v167, 0, 8
	v_bfe_u32 v146, v142, 4, 4
	v_mul_i32_i24_e32 v9, v204, v150
	s_wait_dscnt 0x0
	v_bfe_u32 v135, v179, 24, 4
	v_mad_i32_i24 v8, v112, v122, v8
	v_lshrrev_b32_e32 v127, 28, v179
	v_mul_i32_i24_e32 v113, v205, v146
	v_ashrrev_i32_e32 v208, 24, v148
	v_ashrrev_i32_e32 v240, 24, v168
	v_bfe_i32 v209, v148, 16, 8
	v_bfe_u32 v131, v179, 16, 4
	v_add3_u32 v8, v8, v9, v113
	v_mul_i32_i24_e32 v9, v208, v135
	v_mul_i32_i24_e32 v113, v240, v127
	v_bfe_i32 v241, v168, 16, 8
	v_bfe_u32 v121, v179, 20, 4
	v_bfe_i32 v210, v148, 0, 8
	v_and_b32_e32 v132, 15, v179
	v_add3_u32 v123, v7, v9, v113
	v_mul_i32_i24_e32 v7, v209, v131
	v_mul_i32_i24_e32 v9, v241, v121
	v_bfe_i32 v211, v168, 0, 8
	v_bfe_u32 v128, v179, 4, 4
	v_lshrrev_b16 v4, 8, v4
	v_bfe_i32 v223, v147, 8, 8
	v_add3_u32 v124, v6, v7, v9
	v_mul_i32_i24_e32 v6, v210, v132
	v_mul_i32_i24_e32 v7, v211, v128
	v_bfe_i32 v212, v4, 0, 8
	v_and_b32_e32 v4, 0xf0f0f0f, v142
	v_bfe_i32 v242, v162, 16, 8
	v_bfe_u32 v133, v180, 16, 4
	v_add3_u32 v125, v8, v6, v7
	v_lshrrev_b16 v6, 8, v161
	v_add_nc_u32_e32 v7, 0x2108, v108
	v_add_nc_u32_e32 v8, 0x1088, v108
	v_bfe_i32 v243, v5, 16, 8
	v_bfe_u32 v140, v180, 24, 4
	v_bfe_i32 v138, v6, 0, 8
	v_add_nc_u32_e32 v6, 0x2100, v108
	ds_load_2addr_b32 v[192:193], v6 offset1:1
	ds_load_2addr_b32 v[6:7], v7 offset1:1
	;; [unrolled: 1-line block ×3, first 2 shown]
	v_ashrrev_i32_e32 v244, 24, v162
	v_ashrrev_i32_e32 v245, 24, v5
	v_bfe_i32 v246, v162, 0, 8
	v_and_b32_e32 v136, 15, v180
	v_bfe_i32 v247, v5, 0, 8
	v_lshrrev_b32_e32 v142, 4, v142
	v_bfe_i32 v254, v148, 8, 8
	v_and_b32_e32 v148, 0xf0f0f0f, v179
	v_bfe_i32 v233, v167, 8, 8
	v_bfe_i32 v82, v162, 8, 8
	v_lshrrev_b16 v142, 8, v142
	v_lshrrev_b32_e32 v162, 4, v179
	v_lshrrev_b16 v148, 8, v148
	v_bfe_i32 v81, v168, 8, 8
	s_delay_alu instid0(VALU_DEP_4) | instskip(NEXT) | instid1(VALU_DEP_4)
	v_and_b32_e32 v142, 15, v142
	v_lshrrev_b16 v162, 8, v162
	s_wait_dscnt 0x2
	v_and_b32_e32 v116, 15, v192
	v_bfe_u32 v115, v192, 8, 4
	v_bfe_u32 v113, v192, 16, 4
	;; [unrolled: 1-line block ×3, first 2 shown]
	s_wait_dscnt 0x0
	v_bfe_u32 v139, v194, 16, 4
	v_mul_i32_i24_e32 v8, v122, v116
	v_and_b32_e32 v144, 15, v194
	v_mul_i32_i24_e32 v9, v86, v113
	v_mul_i32_i24_e32 v117, v137, v114
	v_bfe_u32 v151, v194, 24, 4
	v_mad_i32_i24 v8, v138, v115, v8
	v_bfe_u32 v184, v192, 4, 4
	v_bfe_u32 v186, v192, 12, 4
	v_lshrrev_b32_e32 v188, 28, v192
	v_and_b32_e32 v162, 15, v162
	v_add3_u32 v149, v8, v9, v117
	v_add_nc_u32_e32 v8, 0x3180, v108
	v_add_nc_u32_e32 v9, 0x3188, v108
	;; [unrolled: 1-line block ×3, first 2 shown]
	ds_load_2addr_b32 v[196:197], v8 offset1:1
	ds_load_2addr_b32 v[8:9], v9 offset1:1
	;; [unrolled: 1-line block ×3, first 2 shown]
	ds_load_2addr_b32 v[189:190], v155 offset0:4 offset1:7
	ds_load_2addr_b32 v[202:203], v155 offset1:3
	v_bfe_u32 v155, v194, 4, 4
	v_and_b32_e32 v168, 0xffff, v162
	v_bfe_u32 v236, v193, 4, 4
	s_delay_alu instid0(VALU_DEP_2)
	v_mul_i32_i24_e32 v179, v81, v168
	s_wait_dscnt 0x4
	v_and_b32_e32 v119, 15, v196
	v_bfe_u32 v120, v196, 8, 4
	v_bfe_u32 v118, v196, 24, 4
	s_wait_dscnt 0x2
	v_bfe_i32 v216, v198, 16, 8
	s_wait_dscnt 0x1
	v_bfe_i32 v174, v189, 16, 8
	v_mul_i32_i24_e32 v117, v122, v119
	v_bfe_i32 v219, v199, 16, 8
	v_mul_i32_i24_e32 v130, v137, v118
	v_bfe_i32 v218, v198, 0, 8
	v_bfe_i32 v206, v189, 0, 8
	v_mad_i32_i24 v126, v138, v120, v117
	v_bfe_u32 v117, v196, 16, 4
	v_bfe_i32 v221, v199, 0, 8
	v_ashrrev_i32_e32 v222, 24, v198
	v_ashrrev_i32_e32 v207, 24, v189
	;; [unrolled: 1-line block ×3, first 2 shown]
	v_mul_i32_i24_e32 v129, v86, v117
	v_bfe_u32 v182, v196, 4, 4
	v_bfe_u32 v185, v196, 12, 4
	s_wait_dscnt 0x0
	v_ashrrev_i32_e32 v249, 24, v203
	v_bfe_i32 v251, v203, 0, 8
	v_add3_u32 v154, v126, v129, v130
	v_add_nc_u32_e32 v126, 0x1080, v108
	v_add_nc_u32_e32 v129, 0x414, v102
	v_mul_i32_i24_e32 v130, v219, v139
	v_bfe_i32 v253, v203, 16, 8
	v_bfe_u32 v191, v196, 20, 4
	ds_load_2addr_b32 v[177:178], v126 offset1:1
	ds_load_2addr_b32 v[200:201], v129 offset1:1
	v_bfe_i32 v198, v198, 8, 8
	v_bfe_i32 v255, v202, 16, 8
	;; [unrolled: 1-line block ×5, first 2 shown]
	v_ashrrev_i32_e32 v79, 24, v202
	v_ashrrev_i32_e32 v80, 24, v190
	v_bfe_i32 v46, v190, 8, 8
	v_bfe_i32 v190, v203, 8, 8
	v_bfe_u32 v238, v197, 4, 4
	v_lshrrev_b32_e32 v239, 28, v197
	v_add_nc_u32_e32 v108, 16, v108
	s_wait_dscnt 0x1
	v_bfe_u32 v159, v178, 16, 4
	v_bfe_u32 v166, v177, 20, 4
	;; [unrolled: 1-line block ×3, first 2 shown]
	s_wait_dscnt 0x0
	v_bfe_i32 v217, v200, 16, 8
	v_and_b32_e32 v163, 15, v178
	v_mul_i32_i24_e32 v126, v216, v159
	v_bfe_u32 v172, v177, 4, 4
	v_bfe_u32 v158, v178, 4, 4
	v_mul_i32_i24_e32 v129, v217, v152
	v_bfe_i32 v220, v200, 0, 8
	v_mad_i32_i24 v126, v174, v166, v126
	v_bfe_u32 v165, v178, 24, 4
	v_lshrrev_b32_e32 v170, 28, v177
	v_lshrrev_b32_e32 v161, 28, v178
	v_ashrrev_i32_e32 v224, 24, v200
	v_add3_u32 v171, v126, v129, v130
	v_mul_i32_i24_e32 v126, v218, v163
	v_mul_i32_i24_e32 v129, v220, v158
	;; [unrolled: 1-line block ×3, first 2 shown]
	v_ashrrev_i32_e32 v248, 24, v201
	v_bfe_i32 v250, v201, 0, 8
	v_mad_i32_i24 v126, v206, v172, v126
	v_bfe_i32 v252, v201, 16, 8
	v_bfe_i32 v200, v200, 8, 8
	s_delay_alu instid0(VALU_DEP_3) | instskip(SKIP_3) | instid1(VALU_DEP_3)
	v_add3_u32 v175, v126, v129, v130
	v_mul_i32_i24_e32 v126, v222, v165
	v_mul_i32_i24_e32 v129, v224, v161
	;; [unrolled: 1-line block ×3, first 2 shown]
	v_mad_i32_i24 v126, v207, v170, v126
	s_delay_alu instid0(VALU_DEP_1) | instskip(SKIP_4) | instid1(VALU_DEP_4)
	v_add3_u32 v187, v126, v129, v130
	v_lshrrev_b32_e32 v129, 4, v141
	v_and_b32_e32 v126, 0xf0f0f0f, v141
	v_lshrrev_b16 v130, 8, v4
	v_bfe_u32 v141, v195, 24, 4
	v_lshrrev_b16 v129, 8, v129
	s_delay_alu instid0(VALU_DEP_4) | instskip(NEXT) | instid1(VALU_DEP_4)
	v_lshrrev_b16 v126, 8, v126
	v_and_b32_e32 v173, 0xffff, v130
	s_delay_alu instid0(VALU_DEP_3) | instskip(NEXT) | instid1(VALU_DEP_3)
	v_and_b32_e32 v129, 15, v129
	v_and_b32_e32 v4, 0xffff, v126
	s_delay_alu instid0(VALU_DEP_2) | instskip(NEXT) | instid1(VALU_DEP_2)
	v_and_b32_e32 v176, 0xffff, v129
	v_mul_i32_i24_e32 v126, v4, v138
	v_mul_i32_i24_e32 v129, v223, v173
	s_delay_alu instid0(VALU_DEP_3) | instskip(NEXT) | instid1(VALU_DEP_1)
	v_mul_i32_i24_e32 v130, v176, v212
	v_add3_u32 v147, v126, v130, v129
	v_bfe_u32 v126, v180, 20, 4
	v_mul_i32_i24_e32 v129, v242, v133
	s_delay_alu instid0(VALU_DEP_2) | instskip(NEXT) | instid1(VALU_DEP_1)
	v_mul_i32_i24_e32 v130, v243, v126
	v_add3_u32 v226, v124, v129, v130
	v_lshrrev_b32_e32 v129, 28, v180
	v_mul_i32_i24_e32 v124, v244, v140
	s_delay_alu instid0(VALU_DEP_2) | instskip(NEXT) | instid1(VALU_DEP_1)
	v_mul_i32_i24_e32 v130, v245, v129
	v_add3_u32 v228, v123, v124, v130
	v_bfe_u32 v130, v180, 4, 4
	v_mul_i32_i24_e32 v123, v246, v136
	s_delay_alu instid0(VALU_DEP_2) | instskip(NEXT) | instid1(VALU_DEP_1)
	v_mul_i32_i24_e32 v124, v247, v130
	v_add3_u32 v230, v125, v123, v124
	v_mul_i32_i24_e32 v123, v164, v184
	v_mul_i32_i24_e32 v124, v212, v186
	s_delay_alu instid0(VALU_DEP_1) | instskip(SKIP_2) | instid1(VALU_DEP_1)
	v_add3_u32 v213, v149, v124, v123
	v_mul_i32_i24_e32 v123, v164, v182
	v_mul_i32_i24_e32 v124, v212, v185
	v_add3_u32 v214, v154, v124, v123
	v_and_b32_e32 v123, 0xf0f0f0f, v177
	v_and_b32_e32 v124, 15, v177
	v_lshrrev_b32_e32 v154, 28, v194
	s_delay_alu instid0(VALU_DEP_3) | instskip(NEXT) | instid1(VALU_DEP_3)
	v_lshrrev_b16 v123, 8, v123
	v_mul_i32_i24_e32 v122, v124, v122
	s_delay_alu instid0(VALU_DEP_2) | instskip(SKIP_1) | instid1(VALU_DEP_2)
	v_and_b32_e32 v125, 0xffff, v123
	v_bfe_u32 v123, v177, 24, 4
	v_mad_i32_i24 v138, v125, v138, v122
	v_bfe_u32 v122, v177, 16, 4
	s_delay_alu instid0(VALU_DEP_3) | instskip(NEXT) | instid1(VALU_DEP_2)
	v_mul_i32_i24_e32 v137, v123, v137
	v_mul_i32_i24_e32 v86, v122, v86
	s_delay_alu instid0(VALU_DEP_1) | instskip(SKIP_2) | instid1(VALU_DEP_1)
	v_add3_u32 v86, v138, v86, v137
	v_mul_i32_i24_e32 v137, v248, v154
	v_mul_i32_i24_e32 v138, v249, v141
	v_add3_u32 v215, v187, v137, v138
	v_and_b32_e32 v137, 15, v195
	v_mul_i32_i24_e32 v138, v250, v155
	s_delay_alu instid0(VALU_DEP_2) | instskip(NEXT) | instid1(VALU_DEP_1)
	v_mul_i32_i24_e32 v149, v251, v137
	v_add3_u32 v227, v175, v138, v149
	v_bfe_u32 v149, v194, 20, 4
	v_bfe_u32 v138, v195, 16, 4
	s_delay_alu instid0(VALU_DEP_2) | instskip(NEXT) | instid1(VALU_DEP_2)
	v_mul_i32_i24_e32 v175, v252, v149
	v_mul_i32_i24_e32 v187, v253, v138
	s_delay_alu instid0(VALU_DEP_1) | instskip(SKIP_4) | instid1(VALU_DEP_4)
	v_add3_u32 v229, v171, v175, v187
	v_lshrrev_b16 v171, 8, v189
	v_bfe_u32 v189, v192, 20, 4
	v_mul_i32_i24_e32 v187, v207, v188
	v_lshrrev_b32_e32 v192, 28, v196
	v_bfe_i32 v231, v171, 0, 8
	s_delay_alu instid0(VALU_DEP_4) | instskip(NEXT) | instid1(VALU_DEP_2)
	v_mul_i32_i24_e32 v175, v174, v189
	v_mul_i32_i24_e32 v171, v231, v186
	s_delay_alu instid0(VALU_DEP_1) | instskip(NEXT) | instid1(VALU_DEP_1)
	v_mad_i32_i24 v171, v206, v184, v171
	v_add3_u32 v232, v171, v175, v187
	v_mul_i32_i24_e32 v171, v231, v185
	v_mul_i32_i24_e32 v175, v174, v191
	;; [unrolled: 1-line block ×3, first 2 shown]
	s_delay_alu instid0(VALU_DEP_3) | instskip(NEXT) | instid1(VALU_DEP_1)
	v_mad_i32_i24 v171, v206, v182, v171
	v_add3_u32 v196, v171, v175, v187
	v_and_b32_e32 v171, 0xffff, v148
	v_and_b32_e32 v175, 0xffff, v142
	s_delay_alu instid0(VALU_DEP_2) | instskip(NEXT) | instid1(VALU_DEP_2)
	v_mul_i32_i24_e32 v142, v254, v171
	v_mul_i32_i24_e32 v148, v233, v175
	s_delay_alu instid0(VALU_DEP_1) | instskip(SKIP_4) | instid1(VALU_DEP_3)
	v_add3_u32 v167, v147, v148, v142
	v_mul_i32_i24_e32 v142, v85, v189
	v_mul_i32_i24_e32 v147, v169, v188
	;; [unrolled: 1-line block ×3, first 2 shown]
	v_and_b32_e32 v207, 15, v197
	v_add3_u32 v234, v213, v142, v147
	v_mul_i32_i24_e32 v142, v85, v191
	v_mul_i32_i24_e32 v147, v169, v192
	v_bfe_u32 v213, v193, 8, 4
	v_mul_i32_i24_e32 v85, v166, v85
	s_delay_alu instid0(VALU_DEP_3) | instskip(SKIP_3) | instid1(VALU_DEP_3)
	v_add3_u32 v235, v214, v142, v147
	v_lshrrev_b32_e32 v142, 4, v177
	v_mul_i32_i24_e32 v147, v172, v164
	v_bfe_u32 v214, v197, 8, 4
	v_lshrrev_b16 v142, 8, v142
	s_delay_alu instid0(VALU_DEP_1) | instskip(NEXT) | instid1(VALU_DEP_1)
	v_and_b32_e32 v142, 15, v142
	v_and_b32_e32 v187, 0xffff, v142
	s_delay_alu instid0(VALU_DEP_1) | instskip(SKIP_1) | instid1(VALU_DEP_2)
	v_mul_i32_i24_e32 v142, v187, v212
	v_bfe_u32 v212, v193, 24, 4
	v_add3_u32 v86, v86, v142, v147
	v_mul_i32_i24_e32 v142, v231, v176
	v_mul_i32_i24_e32 v147, v174, v153
	s_delay_alu instid0(VALU_DEP_2) | instskip(NEXT) | instid1(VALU_DEP_1)
	v_mad_i32_i24 v142, v206, v160, v142
	v_add3_u32 v177, v142, v147, v148
	v_lshrrev_b32_e32 v142, 4, v178
	v_and_b32_e32 v147, 0xf0f0f0f, v178
	s_delay_alu instid0(VALU_DEP_2) | instskip(NEXT) | instid1(VALU_DEP_2)
	v_lshrrev_b16 v142, 8, v142
	v_lshrrev_b16 v147, 8, v147
	s_delay_alu instid0(VALU_DEP_2) | instskip(NEXT) | instid1(VALU_DEP_2)
	v_and_b32_e32 v142, 15, v142
	v_and_b32_e32 v178, 0xffff, v147
	s_delay_alu instid0(VALU_DEP_2) | instskip(SKIP_1) | instid1(VALU_DEP_3)
	v_and_b32_e32 v174, 0xffff, v142
	v_mul_i32_i24_e32 v142, v231, v187
	v_mul_i32_i24_e32 v147, v198, v178
	s_delay_alu instid0(VALU_DEP_3) | instskip(NEXT) | instid1(VALU_DEP_1)
	v_mul_i32_i24_e32 v148, v200, v174
	v_add3_u32 v231, v142, v147, v148
	v_bfe_u32 v142, v195, 20, 4
	v_mul_i32_i24_e32 v147, v255, v122
	s_delay_alu instid0(VALU_DEP_2) | instskip(NEXT) | instid1(VALU_DEP_1)
	v_mul_i32_i24_e32 v148, v0, v142
	v_add3_u32 v27, v229, v148, v147
	v_bfe_u32 v147, v195, 4, 4
	v_mul_i32_i24_e32 v148, v83, v124
	s_delay_alu instid0(VALU_DEP_2) | instskip(NEXT) | instid1(VALU_DEP_1)
	v_mul_i32_i24_e32 v164, v31, v147
	v_add3_u32 v1, v227, v164, v148
	v_lshrrev_b32_e32 v148, 28, v195
	v_mul_i32_i24_e32 v164, v79, v123
	v_bfe_u32 v227, v193, 16, 4
	s_delay_alu instid0(VALU_DEP_3) | instskip(NEXT) | instid1(VALU_DEP_1)
	v_mul_i32_i24_e32 v206, v80, v148
	v_add3_u32 v237, v215, v206, v164
	v_mul_i32_i24_e32 v164, v198, v213
	v_mul_i32_i24_e32 v206, v222, v212
	v_bfe_u32 v215, v197, 24, 4
	s_delay_alu instid0(VALU_DEP_2) | instskip(SKIP_1) | instid1(VALU_DEP_3)
	v_add3_u32 v229, v232, v206, v164
	v_mul_i32_i24_e32 v164, v198, v214
	v_mul_i32_i24_e32 v206, v222, v215
	s_delay_alu instid0(VALU_DEP_1) | instskip(SKIP_2) | instid1(VALU_DEP_2)
	v_add3_u32 v196, v196, v206, v164
	v_and_b32_e32 v164, 0xf0f0f0f, v180
	v_and_b32_e32 v206, 15, v193
	v_lshrrev_b16 v164, 8, v164
	s_delay_alu instid0(VALU_DEP_1) | instskip(NEXT) | instid1(VALU_DEP_1)
	v_and_b32_e32 v164, 0xffff, v164
	v_mul_i32_i24_e32 v162, v82, v164
	s_delay_alu instid0(VALU_DEP_1) | instskip(SKIP_2) | instid1(VALU_DEP_1)
	v_add3_u32 v179, v167, v179, v162
	v_mul_i32_i24_e32 v162, v223, v213
	v_mul_i32_i24_e32 v167, v204, v206
	v_add3_u32 v232, v234, v162, v167
	v_mul_i32_i24_e32 v162, v223, v214
	v_mul_i32_i24_e32 v167, v204, v207
	s_delay_alu instid0(VALU_DEP_1) | instskip(SKIP_3) | instid1(VALU_DEP_3)
	v_add3_u32 v234, v235, v162, v167
	v_mul_i32_i24_e32 v162, v170, v169
	v_and_b32_e32 v167, 0xf0f0f0f, v194
	v_lshrrev_b32_e32 v235, 28, v193
	v_add3_u32 v85, v86, v85, v162
	v_mul_i32_i24_e32 v86, v222, v156
	v_mul_i32_i24_e32 v162, v198, v173
	v_lshrrev_b16 v167, 8, v167
	v_bfe_i32 v198, v199, 8, 8
	v_bfe_i32 v199, v201, 8, 8
	v_bfe_u32 v222, v193, 12, 4
	v_add3_u32 v86, v177, v86, v162
	v_lshrrev_b32_e32 v162, 4, v194
	v_and_b32_e32 v177, 0xffff, v167
	s_delay_alu instid0(VALU_DEP_2) | instskip(NEXT) | instid1(VALU_DEP_1)
	v_lshrrev_b16 v162, 8, v162
	v_and_b32_e32 v162, 15, v162
	s_delay_alu instid0(VALU_DEP_1) | instskip(NEXT) | instid1(VALU_DEP_4)
	v_and_b32_e32 v167, 0xffff, v162
	v_mul_i32_i24_e32 v162, v198, v177
	s_delay_alu instid0(VALU_DEP_2) | instskip(NEXT) | instid1(VALU_DEP_1)
	v_mul_i32_i24_e32 v169, v199, v167
	v_add3_u32 v194, v231, v162, v169
	v_mul_i32_i24_e32 v162, v218, v206
	v_mul_i32_i24_e32 v169, v216, v227
	s_delay_alu instid0(VALU_DEP_1) | instskip(SKIP_2) | instid1(VALU_DEP_2)
	v_add3_u32 v201, v229, v162, v169
	v_bfe_u32 v229, v197, 16, 4
	v_mul_i32_i24_e32 v162, v218, v207
	v_mul_i32_i24_e32 v169, v216, v229
	s_delay_alu instid0(VALU_DEP_1) | instskip(SKIP_3) | instid1(VALU_DEP_3)
	v_add3_u32 v196, v196, v162, v169
	v_lshrrev_b32_e32 v162, 4, v180
	v_bfe_i32 v180, v5, 8, 8
	v_mul_i32_i24_e32 v169, v181, v212
	v_lshrrev_b16 v5, 8, v162
	s_delay_alu instid0(VALU_DEP_1) | instskip(NEXT) | instid1(VALU_DEP_1)
	v_and_b32_e32 v5, 15, v5
	v_and_b32_e32 v162, 0xffff, v5
	s_delay_alu instid0(VALU_DEP_1) | instskip(NEXT) | instid1(VALU_DEP_1)
	v_mul_i32_i24_e32 v5, v180, v162
	v_add3_u32 v179, v179, v5, v228
	v_mul_i32_i24_e32 v5, v87, v227
	s_delay_alu instid0(VALU_DEP_2) | instskip(NEXT) | instid1(VALU_DEP_2)
	v_add3_u32 v179, v230, v226, v179
	v_add3_u32 v228, v232, v5, v169
	v_mul_i32_i24_e32 v5, v87, v229
	v_mul_i32_i24_e32 v169, v181, v215
	v_mul_i32_i24_e32 v181, v181, v165
	v_mul_i32_i24_e32 v87, v87, v159
	v_bfe_u32 v230, v6, 24, 4
	v_bfe_u32 v232, v8, 8, 4
	v_add3_u32 v231, v234, v5, v169
	v_mul_i32_i24_e32 v5, v204, v163
	v_mul_i32_i24_e32 v169, v223, v178
	v_bfe_u32 v234, v193, 20, 4
	v_bfe_u32 v223, v197, 12, 4
	v_mul_i32_i24_e32 v193, v200, v222
	v_bfe_u32 v226, v6, 16, 4
	v_add3_u32 v85, v85, v169, v5
	v_mul_i32_i24_e32 v5, v218, v150
	v_mul_i32_i24_e32 v169, v216, v145
	;; [unrolled: 1-line block ×3, first 2 shown]
	v_and_b32_e32 v216, 15, v6
	v_add3_u32 v85, v85, v87, v181
	v_mul_i32_i24_e32 v87, v220, v146
	v_add3_u32 v86, v86, v5, v169
	v_lshrrev_b32_e32 v5, 4, v195
	v_and_b32_e32 v169, 0xf0f0f0f, v195
	v_mul_i32_i24_e32 v181, v224, v143
	v_and_b32_e32 v218, 15, v8
	s_delay_alu instid0(VALU_DEP_4) | instskip(NEXT) | instid1(VALU_DEP_4)
	v_lshrrev_b16 v5, 8, v5
	v_lshrrev_b16 v169, 8, v169
	s_delay_alu instid0(VALU_DEP_4) | instskip(SKIP_4) | instid1(VALU_DEP_4)
	v_add3_u32 v86, v86, v181, v87
	v_lshrrev_b16 v87, 8, v202
	v_bfe_u32 v202, v7, 16, 4
	v_and_b32_e32 v5, 15, v5
	v_and_b32_e32 v169, 0xffff, v169
	v_bfe_i32 v87, v87, 0, 8
	s_delay_alu instid0(VALU_DEP_3) | instskip(NEXT) | instid1(VALU_DEP_3)
	v_and_b32_e32 v5, 0xffff, v5
	v_mul_i32_i24_e32 v195, v190, v169
	s_delay_alu instid0(VALU_DEP_3) | instskip(NEXT) | instid1(VALU_DEP_3)
	v_mul_i32_i24_e32 v181, v87, v125
	v_mul_i32_i24_e32 v203, v46, v5
	s_delay_alu instid0(VALU_DEP_1) | instskip(SKIP_2) | instid1(VALU_DEP_3)
	v_add3_u32 v194, v194, v195, v203
	v_mul_i32_i24_e32 v195, v220, v236
	v_mul_i32_i24_e32 v203, v224, v235
	v_add3_u32 v181, v194, v181, v237
	v_mul_i32_i24_e32 v194, v217, v234
	s_delay_alu instid0(VALU_DEP_3)
	v_add3_u32 v195, v201, v203, v195
	v_mul_i32_i24_e32 v201, v220, v238
	v_mul_i32_i24_e32 v203, v224, v239
	v_bfe_u32 v237, v197, 20, 4
	v_mul_i32_i24_e32 v197, v183, v239
	v_add3_u32 v193, v195, v193, v194
	v_mul_i32_i24_e32 v194, v200, v223
	v_add3_u32 v196, v196, v203, v201
	v_mul_i32_i24_e32 v201, v205, v236
	v_mul_i32_i24_e32 v203, v233, v222
	;; [unrolled: 1-line block ×4, first 2 shown]
	v_add3_u32 v1, v1, v27, v181
	v_mul_i32_i24_e32 v181, v225, v230
	v_add3_u32 v201, v228, v201, v203
	v_mul_i32_i24_e32 v203, v205, v238
	;; [unrolled: 2-line block ×3, first 2 shown]
	v_mul_i32_i24_e32 v196, v183, v235
	v_mul_i32_i24_e32 v183, v183, v161
	v_add3_u32 v203, v231, v203, v204
	v_bfe_u32 v231, v6, 8, 4
	v_bfe_u32 v228, v8, 16, 4
	v_add3_u32 v195, v201, v195, v196
	v_mul_i32_i24_e32 v196, v88, v237
	v_mul_i32_i24_e32 v201, v233, v174
	;; [unrolled: 1-line block ×4, first 2 shown]
	v_bfe_u32 v233, v8, 24, 4
	v_add3_u32 v196, v203, v196, v197
	v_mul_i32_i24_e32 v197, v205, v158
	v_lshrrev_b32_e32 v220, 28, v6
	v_add3_u32 v27, v193, v181, v27
	v_mul_i32_i24_e32 v181, v198, v232
	v_mul_i32_i24_e32 v193, v225, v233
	v_add3_u32 v85, v85, v197, v201
	v_mul_i32_i24_e32 v197, v217, v134
	v_bfe_u32 v224, v8, 4, 4
	v_bfe_u32 v203, v6, 12, 4
	v_add3_u32 v181, v194, v193, v181
	v_add3_u32 v85, v85, v88, v183
	;; [unrolled: 1-line block ×3, first 2 shown]
	v_mul_i32_i24_e32 v88, v225, v135
	v_mul_i32_i24_e32 v183, v198, v171
	;; [unrolled: 1-line block ×4, first 2 shown]
	v_lshrrev_b32_e32 v225, 28, v8
	v_bfe_u32 v205, v8, 12, 4
	v_add3_u32 v86, v86, v88, v183
	v_mul_i32_i24_e32 v88, v221, v216
	v_mul_i32_i24_e32 v183, v219, v226
	v_add3_u32 v193, v195, v193, v194
	v_mul_i32_i24_e32 v194, v254, v232
	v_mul_i32_i24_e32 v195, v210, v218
	v_bfe_u32 v217, v6, 20, 4
	v_add3_u32 v27, v27, v88, v183
	v_mul_i32_i24_e32 v88, v221, v218
	v_mul_i32_i24_e32 v183, v219, v228
	v_add3_u32 v194, v196, v194, v195
	v_and_b32_e32 v195, 15, v7
	v_and_b32_e32 v196, 15, v9
	v_bfe_u32 v204, v9, 16, 4
	v_add3_u32 v88, v181, v88, v183
	v_mul_i32_i24_e32 v181, v209, v226
	v_mul_i32_i24_e32 v183, v208, v230
	v_lshrrev_b32_e32 v198, 28, v7
	v_bfe_u32 v200, v9, 4, 4
	v_lshrrev_b32_e32 v201, 28, v9
	v_bfe_u32 v197, v9, 20, 4
	v_add3_u32 v181, v193, v181, v183
	v_mul_i32_i24_e32 v183, v209, v228
	v_mul_i32_i24_e32 v193, v208, v233
	v_cvt_f32_i32_e32 v1, v1
	s_delay_alu instid0(VALU_DEP_2) | instskip(SKIP_3) | instid1(VALU_DEP_2)
	v_add3_u32 v183, v194, v183, v193
	v_mul_i32_i24_e32 v193, v210, v144
	v_mul_i32_i24_e32 v194, v254, v177
	v_bfe_u32 v210, v9, 8, 4
	v_add3_u32 v85, v85, v194, v193
	v_mul_i32_i24_e32 v193, v221, v132
	v_mul_i32_i24_e32 v194, v219, v131
	v_bfe_u32 v221, v6, 4, 4
	v_mul_i32_i24_e32 v6, v199, v203
	v_bfe_u32 v219, v8, 20, 4
	v_mul_i32_i24_e32 v8, v199, v205
	v_add3_u32 v86, v86, v193, v194
	v_mul_i32_i24_e32 v193, v250, v221
	v_mul_i32_i24_e32 v194, v248, v220
	s_delay_alu instid0(VALU_DEP_1) | instskip(SKIP_2) | instid1(VALU_DEP_1)
	v_add3_u32 v27, v27, v194, v193
	v_mul_i32_i24_e32 v193, v250, v224
	v_mul_i32_i24_e32 v194, v248, v225
	v_add3_u32 v88, v88, v194, v193
	v_mul_i32_i24_e32 v193, v211, v221
	v_mul_i32_i24_e32 v194, v81, v203
	s_delay_alu instid0(VALU_DEP_1) | instskip(SKIP_3) | instid1(VALU_DEP_2)
	v_add3_u32 v181, v181, v193, v194
	v_mul_i32_i24_e32 v193, v211, v224
	v_mul_i32_i24_e32 v194, v81, v205
	;; [unrolled: 1-line block ×3, first 2 shown]
	v_add3_u32 v183, v183, v193, v194
	v_mul_i32_i24_e32 v193, v208, v151
	v_mul_i32_i24_e32 v194, v209, v139
	v_bfe_u32 v209, v7, 8, 4
	v_bfe_u32 v208, v7, 24, 4
	s_delay_alu instid0(VALU_DEP_3) | instskip(SKIP_3) | instid1(VALU_DEP_2)
	v_add3_u32 v85, v85, v194, v193
	v_mul_i32_i24_e32 v193, v250, v128
	v_mul_i32_i24_e32 v194, v248, v127
	v_add_nc_u32_e32 v248, 0xc04, v102
	v_add3_u32 v86, v86, v194, v193
	v_mul_i32_i24_e32 v193, v252, v217
	v_bfe_u32 v194, v7, 20, 4
	s_delay_alu instid0(VALU_DEP_2) | instskip(SKIP_2) | instid1(VALU_DEP_2)
	v_add3_u32 v6, v27, v6, v193
	v_mul_i32_i24_e32 v27, v252, v219
	v_bfe_u32 v193, v9, 12, 4
	v_add3_u32 v8, v88, v8, v27
	v_mul_i32_i24_e32 v27, v241, v217
	v_mul_i32_i24_e32 v88, v240, v220
	s_delay_alu instid0(VALU_DEP_1) | instskip(SKIP_2) | instid1(VALU_DEP_1)
	v_add3_u32 v27, v181, v27, v88
	v_mul_i32_i24_e32 v88, v241, v219
	v_mul_i32_i24_e32 v181, v240, v225
	v_add3_u32 v88, v183, v88, v181
	v_mul_i32_i24_e32 v181, v211, v155
	v_bfe_u32 v211, v9, 24, 4
	v_mul_i32_i24_e32 v9, v0, v197
	s_delay_alu instid0(VALU_DEP_3) | instskip(SKIP_3) | instid1(VALU_DEP_2)
	v_add3_u32 v81, v85, v181, v81
	v_mul_i32_i24_e32 v85, v252, v121
	v_mul_i32_i24_e32 v181, v199, v168
	v_bfe_u32 v199, v7, 4, 4
	v_add3_u32 v85, v86, v181, v85
	v_mul_i32_i24_e32 v86, v190, v209
	v_mul_i32_i24_e32 v181, v249, v208
	s_delay_alu instid0(VALU_DEP_1) | instskip(SKIP_2) | instid1(VALU_DEP_1)
	v_add3_u32 v6, v6, v181, v86
	v_mul_i32_i24_e32 v86, v190, v210
	v_mul_i32_i24_e32 v181, v249, v211
	v_add3_u32 v8, v8, v181, v86
	v_mul_i32_i24_e32 v86, v82, v209
	v_mul_i32_i24_e32 v181, v246, v195
	s_delay_alu instid0(VALU_DEP_1) | instskip(SKIP_3) | instid1(VALU_DEP_2)
	v_add3_u32 v27, v27, v86, v181
	v_mul_i32_i24_e32 v86, v82, v210
	v_mul_i32_i24_e32 v181, v246, v196
	v_mul_i32_i24_e32 v82, v82, v169
	v_add3_u32 v86, v88, v86, v181
	v_mul_i32_i24_e32 v88, v240, v154
	v_mul_i32_i24_e32 v181, v241, v149
	ds_load_2addr_b32 v[240:241], v103 offset1:32
	v_add3_u32 v81, v81, v181, v88
	v_mul_i32_i24_e32 v88, v249, v140
	v_mul_i32_i24_e32 v181, v190, v164
	v_bfe_u32 v190, v7, 12, 4
	s_delay_alu instid0(VALU_DEP_2) | instskip(SKIP_2) | instid1(VALU_DEP_4)
	v_add3_u32 v85, v85, v88, v181
	v_mul_i32_i24_e32 v88, v251, v195
	v_mul_i32_i24_e32 v181, v253, v202
	;; [unrolled: 1-line block ×3, first 2 shown]
	s_delay_alu instid0(VALU_DEP_2) | instskip(SKIP_2) | instid1(VALU_DEP_1)
	v_add3_u32 v6, v6, v88, v181
	v_mul_i32_i24_e32 v88, v251, v196
	v_mul_i32_i24_e32 v181, v253, v204
	v_add3_u32 v8, v8, v88, v181
	v_mul_i32_i24_e32 v88, v242, v202
	v_mul_i32_i24_e32 v181, v244, v208
	s_delay_alu instid0(VALU_DEP_1) | instskip(SKIP_2) | instid1(VALU_DEP_1)
	v_add3_u32 v27, v27, v88, v181
	v_mul_i32_i24_e32 v88, v242, v204
	v_mul_i32_i24_e32 v181, v244, v211
	v_add3_u32 v86, v86, v88, v181
	v_mul_i32_i24_e32 v88, v246, v137
	s_delay_alu instid0(VALU_DEP_1) | instskip(SKIP_2) | instid1(VALU_DEP_1)
	v_add3_u32 v81, v81, v82, v88
	v_mul_i32_i24_e32 v82, v251, v136
	v_mul_i32_i24_e32 v88, v253, v133
	v_add3_u32 v82, v85, v82, v88
	v_mul_i32_i24_e32 v85, v31, v199
	v_mul_i32_i24_e32 v88, v80, v198
	s_delay_alu instid0(VALU_DEP_1) | instskip(SKIP_4) | instid1(VALU_DEP_3)
	v_add3_u32 v6, v6, v88, v85
	v_mul_i32_i24_e32 v85, v31, v200
	v_mul_i32_i24_e32 v88, v80, v201
	;; [unrolled: 1-line block ×4, first 2 shown]
	v_add3_u32 v8, v8, v88, v85
	v_mul_i32_i24_e32 v85, v247, v199
	s_delay_alu instid0(VALU_DEP_3) | instskip(SKIP_3) | instid1(VALU_DEP_3)
	v_add3_u32 v31, v82, v80, v31
	v_mul_i32_i24_e32 v80, v0, v194
	v_mul_i32_i24_e32 v88, v180, v190
	;; [unrolled: 1-line block ×3, first 2 shown]
	v_add3_u32 v6, v6, v7, v80
	v_mul_i32_i24_e32 v7, v46, v193
	s_delay_alu instid0(VALU_DEP_4)
	v_add3_u32 v27, v27, v85, v88
	v_mul_i32_i24_e32 v85, v247, v200
	v_mul_i32_i24_e32 v88, v180, v193
	;; [unrolled: 1-line block ×3, first 2 shown]
	v_add3_u32 v7, v8, v7, v9
	v_mul_i32_i24_e32 v8, v243, v194
	v_mul_i32_i24_e32 v9, v245, v198
	v_add3_u32 v85, v86, v85, v88
	v_mul_i32_i24_e32 v86, v244, v141
	v_mul_i32_i24_e32 v88, v242, v138
	v_add3_u32 v0, v31, v46, v0
	v_add3_u32 v8, v27, v8, v9
	v_mul_i32_i24_e32 v9, v243, v197
	v_mul_i32_i24_e32 v27, v245, v201
	;; [unrolled: 1-line block ×4, first 2 shown]
	v_add3_u32 v81, v81, v88, v86
	v_mul_i32_i24_e32 v80, v180, v5
	v_add3_u32 v9, v85, v9, v27
	v_mul_i32_i24_e32 v27, v247, v147
	;; [unrolled: 2-line block ×3, first 2 shown]
	v_mul_i32_i24_e32 v46, v87, v120
	v_cvt_f32_i32_e32 v8, v8
	v_add3_u32 v27, v81, v27, v80
	v_cvt_f32_i32_e32 v9, v9
	s_delay_alu instid0(VALU_DEP_4) | instskip(SKIP_2) | instid1(VALU_DEP_1)
	v_add3_u32 v7, v7, v31, v46
	v_mul_i32_i24_e32 v31, v243, v142
	v_mul_i32_i24_e32 v46, v245, v148
	v_add3_u32 v27, v27, v31, v46
	v_mul_i32_i24_e32 v31, v83, v112
	v_mul_i32_i24_e32 v46, v87, v4
	s_delay_alu instid0(VALU_DEP_3) | instskip(NEXT) | instid1(VALU_DEP_2)
	v_cvt_f32_i32_e32 v27, v27
	v_add3_u32 v0, v0, v31, v46
	v_mul_i32_i24_e32 v31, v255, v113
	v_mul_i32_i24_e32 v46, v79, v114
	s_delay_alu instid0(VALU_DEP_1) | instskip(SKIP_2) | instid1(VALU_DEP_1)
	v_add3_u32 v31, v6, v31, v46
	v_mul_i32_i24_e32 v6, v255, v117
	v_mul_i32_i24_e32 v46, v79, v118
	v_add3_u32 v46, v7, v6, v46
	v_mul_i32_i24_e32 v6, v255, v110
	v_mul_i32_i24_e32 v7, v79, v111
	s_delay_alu instid0(VALU_DEP_1) | instskip(SKIP_3) | instid1(VALU_DEP_3)
	v_add3_u32 v0, v0, v6, v7
	s_wait_dscnt 0x0
	v_lshrrev_b32_e32 v6, 16, v240
	v_cvt_f32_i32_e32 v7, v179
	v_cvt_f32_i32_e32 v0, v0
	s_delay_alu instid0(VALU_DEP_3) | instskip(NEXT) | instid1(VALU_DEP_1)
	v_cvt_f32_f16_e32 v6, v6
	v_mul_f32_e32 v6, 0x41000000, v6
	s_delay_alu instid0(VALU_DEP_1) | instskip(SKIP_4) | instid1(VALU_DEP_4)
	v_fma_mix_f32 v181, v240, v8, -v6 op_sel_hi:[1,0,0]
	v_lshrrev_b32_e32 v8, 16, v241
	v_fma_mix_f32 v7, v240, v7, -v6 op_sel_hi:[1,0,0]
	v_fma_mix_f32 v9, v240, v9, -v6 op_sel_hi:[1,0,0]
	;; [unrolled: 1-line block ×3, first 2 shown]
	v_cvt_f32_f16_e32 v8, v8
	s_delay_alu instid0(VALU_DEP_1) | instskip(NEXT) | instid1(VALU_DEP_1)
	v_dual_fmac_f32 v50, v109, v6 :: v_dual_mul_f32 v27, 0x41000000, v8
	v_fma_mix_f32 v8, v241, v1, -v27 op_sel_hi:[1,0,0]
	v_cvt_f32_i32_e32 v1, v31
	v_cvt_f32_i32_e32 v31, v46
	v_fma_mix_f32 v179, v241, v0, -v27 op_sel_hi:[1,0,0]
	v_add_nc_u32_e32 v0, 0x800, v102
	v_fmac_f32_e32 v40, v109, v8
	v_fma_mix_f32 v183, v241, v1, -v27 op_sel_hi:[1,0,0]
	v_fma_mix_f32 v180, v241, v31, -v27 op_sel_hi:[1,0,0]
	ds_load_2addr_b32 v[240:241], v0 offset0:4 offset1:7
	s_wait_dscnt 0x0
	v_bfe_i32 v1, v240, 8, 8
	v_bfe_i32 v27, v240, 0, 8
	v_bfe_i32 v46, v240, 16, 8
	v_ashrrev_i32_e32 v79, 24, v240
	s_delay_alu instid0(VALU_DEP_4) | instskip(NEXT) | instid1(VALU_DEP_3)
	v_mul_i32_i24_e32 v31, v1, v186
	v_mul_i32_i24_e32 v80, v46, v189
	s_delay_alu instid0(VALU_DEP_3) | instskip(SKIP_1) | instid1(VALU_DEP_4)
	v_mul_i32_i24_e32 v81, v79, v188
	v_mul_i32_i24_e32 v82, v79, v192
	v_mad_i32_i24 v31, v27, v184, v31
	v_mul_i32_i24_e32 v254, v157, v79
	s_delay_alu instid0(VALU_DEP_2) | instskip(SKIP_2) | instid1(VALU_DEP_2)
	v_add3_u32 v31, v31, v80, v81
	v_mul_i32_i24_e32 v80, v1, v185
	v_mul_i32_i24_e32 v81, v46, v191
	v_mad_i32_i24 v80, v27, v182, v80
	s_delay_alu instid0(VALU_DEP_1)
	v_add3_u32 v80, v80, v81, v82
	v_add_nc_u32_e32 v81, 0xc00, v102
	ds_load_2addr_b32 v[242:243], v81 offset0:4 offset1:7
	s_wait_dscnt 0x0
	v_bfe_i32 v82, v242, 8, 8
	v_bfe_i32 v83, v242, 0, 8
	;; [unrolled: 1-line block ×3, first 2 shown]
	v_ashrrev_i32_e32 v87, 24, v242
	s_delay_alu instid0(VALU_DEP_4) | instskip(NEXT) | instid1(VALU_DEP_3)
	v_mul_i32_i24_e32 v85, v82, v186
	v_mul_i32_i24_e32 v88, v86, v189
	s_delay_alu instid0(VALU_DEP_3) | instskip(SKIP_1) | instid1(VALU_DEP_4)
	v_mul_i32_i24_e32 v240, v87, v188
	v_mul_i32_i24_e32 v242, v87, v192
	v_mad_i32_i24 v85, v83, v184, v85
	v_mul_i32_i24_e32 v68, v157, v87
	s_delay_alu instid0(VALU_DEP_2) | instskip(SKIP_2) | instid1(VALU_DEP_2)
	v_add3_u32 v85, v85, v88, v240
	v_mul_i32_i24_e32 v88, v82, v185
	v_mul_i32_i24_e32 v240, v86, v191
	v_mad_i32_i24 v88, v83, v182, v88
	s_delay_alu instid0(VALU_DEP_1)
	v_add3_u32 v88, v88, v240, v242
	v_add_nc_u32_e32 v240, 0x804, v102
	v_add_nc_u32_e32 v242, 0x814, v102
	ds_load_2addr_b32 v[244:245], v240 offset1:1
	ds_load_2addr_b32 v[246:247], v242 offset1:1
	;; [unrolled: 1-line block ×3, first 2 shown]
	s_wait_dscnt 0x2
	v_bfe_i32 v240, v244, 8, 8
	v_ashrrev_i32_e32 v242, 24, v244
	s_wait_dscnt 0x0
	v_bfe_i32 v252, v248, 8, 8
	v_ashrrev_i32_e32 v253, 24, v248
	v_mul_i32_i24_e32 v250, v240, v213
	v_mul_i32_i24_e32 v251, v242, v212
	s_delay_alu instid0(VALU_DEP_1) | instskip(SKIP_2) | instid1(VALU_DEP_1)
	v_add3_u32 v31, v31, v251, v250
	v_mul_i32_i24_e32 v250, v240, v214
	v_mul_i32_i24_e32 v251, v242, v215
	v_add3_u32 v80, v80, v251, v250
	v_mul_i32_i24_e32 v250, v252, v213
	v_mul_i32_i24_e32 v251, v253, v212
	s_delay_alu instid0(VALU_DEP_1) | instskip(SKIP_2) | instid1(VALU_DEP_1)
	v_add3_u32 v85, v85, v251, v250
	v_mul_i32_i24_e32 v250, v252, v214
	v_mul_i32_i24_e32 v251, v253, v215
	v_add3_u32 v88, v88, v251, v250
	v_mul_i32_i24_e32 v250, v176, v1
	v_mul_i32_i24_e32 v251, v153, v46
	;; [unrolled: 1-line block ×3, first 2 shown]
	s_delay_alu instid0(VALU_DEP_3) | instskip(NEXT) | instid1(VALU_DEP_2)
	v_mad_i32_i24 v250, v160, v27, v250
	v_mad_i32_i24 v1, v172, v27, v1
	v_mul_i32_i24_e32 v27, v166, v46
	v_mul_i32_i24_e32 v46, v170, v79
	s_delay_alu instid0(VALU_DEP_4) | instskip(SKIP_2) | instid1(VALU_DEP_4)
	v_add3_u32 v250, v250, v251, v254
	v_bfe_i32 v254, v244, 0, 8
	v_bfe_i32 v244, v244, 16, 8
	v_add3_u32 v1, v1, v27, v46
	v_bfe_i32 v27, v246, 0, 8
	s_delay_alu instid0(VALU_DEP_4) | instskip(NEXT) | instid1(VALU_DEP_4)
	v_mul_i32_i24_e32 v251, v254, v206
	v_mul_i32_i24_e32 v255, v244, v227
	v_ashrrev_i32_e32 v46, 24, v246
	s_delay_alu instid0(VALU_DEP_4) | instskip(NEXT) | instid1(VALU_DEP_3)
	v_mul_i32_i24_e32 v79, v27, v236
	v_add3_u32 v31, v31, v251, v255
	v_mul_i32_i24_e32 v251, v254, v207
	v_mul_i32_i24_e32 v255, v244, v229
	s_delay_alu instid0(VALU_DEP_1) | instskip(SKIP_2) | instid1(VALU_DEP_2)
	v_add3_u32 v80, v80, v251, v255
	v_mul_i32_i24_e32 v251, v176, v82
	v_mul_i32_i24_e32 v255, v153, v86
	v_mad_i32_i24 v251, v160, v83, v251
	s_delay_alu instid0(VALU_DEP_1) | instskip(SKIP_2) | instid1(VALU_DEP_2)
	v_add3_u32 v68, v251, v255, v68
	v_bfe_i32 v255, v248, 0, 8
	v_bfe_i32 v248, v248, 16, 8
	v_mul_i32_i24_e32 v251, v255, v206
	s_delay_alu instid0(VALU_DEP_2) | instskip(NEXT) | instid1(VALU_DEP_1)
	v_mul_i32_i24_e32 v71, v248, v227
	v_add3_u32 v71, v85, v251, v71
	v_mul_i32_i24_e32 v85, v255, v207
	v_mul_i32_i24_e32 v251, v248, v229
	s_delay_alu instid0(VALU_DEP_1) | instskip(SKIP_2) | instid1(VALU_DEP_1)
	v_add3_u32 v85, v88, v85, v251
	v_mul_i32_i24_e32 v88, v242, v156
	v_mul_i32_i24_e32 v251, v240, v173
	v_add3_u32 v88, v250, v88, v251
	v_mul_i32_i24_e32 v250, v46, v235
	s_delay_alu instid0(VALU_DEP_1) | instskip(SKIP_2) | instid1(VALU_DEP_1)
	v_add3_u32 v31, v31, v250, v79
	v_mul_i32_i24_e32 v79, v27, v238
	v_mul_i32_i24_e32 v250, v46, v239
	v_add3_u32 v79, v80, v250, v79
	v_mul_i32_i24_e32 v80, v253, v156
	v_mul_i32_i24_e32 v250, v252, v173
	s_delay_alu instid0(VALU_DEP_1) | instskip(SKIP_2) | instid1(VALU_DEP_2)
	v_add3_u32 v68, v68, v80, v250
	v_mul_i32_i24_e32 v80, v187, v82
	v_mul_i32_i24_e32 v82, v166, v86
	v_mad_i32_i24 v80, v172, v83, v80
	v_mul_i32_i24_e32 v83, v170, v87
	s_delay_alu instid0(VALU_DEP_1)
	v_add3_u32 v80, v80, v82, v83
	v_add_nc_u32_e32 v82, 0xc14, v102
	ds_load_2addr_b32 v[250:251], v82 offset1:1
	s_wait_dscnt 0x0
	v_bfe_i32 v82, v250, 0, 8
	v_ashrrev_i32_e32 v83, 24, v250
	s_delay_alu instid0(VALU_DEP_2) | instskip(NEXT) | instid1(VALU_DEP_2)
	v_mul_i32_i24_e32 v86, v82, v236
	v_mul_i32_i24_e32 v87, v83, v235
	s_delay_alu instid0(VALU_DEP_1) | instskip(SKIP_2) | instid1(VALU_DEP_1)
	v_add3_u32 v71, v71, v87, v86
	v_mul_i32_i24_e32 v86, v82, v238
	v_mul_i32_i24_e32 v87, v83, v239
	v_add3_u32 v85, v85, v87, v86
	v_mul_i32_i24_e32 v86, v254, v150
	v_mul_i32_i24_e32 v87, v244, v145
	;; [unrolled: 1-line block ×3, first 2 shown]
	s_delay_alu instid0(VALU_DEP_2) | instskip(SKIP_2) | instid1(VALU_DEP_1)
	v_add3_u32 v86, v88, v86, v87
	v_mul_i32_i24_e32 v87, v242, v165
	v_mul_i32_i24_e32 v88, v240, v178
	v_add3_u32 v1, v1, v87, v88
	v_bfe_i32 v87, v246, 8, 8
	v_bfe_i32 v88, v246, 16, 8
	s_delay_alu instid0(VALU_DEP_2) | instskip(NEXT) | instid1(VALU_DEP_2)
	v_mul_i32_i24_e32 v240, v87, v222
	v_mul_i32_i24_e32 v242, v88, v234
	s_delay_alu instid0(VALU_DEP_1) | instskip(SKIP_2) | instid1(VALU_DEP_1)
	v_add3_u32 v31, v31, v240, v242
	v_mul_i32_i24_e32 v240, v87, v223
	v_mul_i32_i24_e32 v242, v88, v237
	v_add3_u32 v79, v79, v240, v242
	v_mul_i32_i24_e32 v240, v255, v150
	v_mul_i32_i24_e32 v242, v248, v145
	;; [unrolled: 1-line block ×3, first 2 shown]
	s_delay_alu instid0(VALU_DEP_2) | instskip(SKIP_2) | instid1(VALU_DEP_1)
	v_add3_u32 v68, v68, v240, v242
	v_mul_i32_i24_e32 v240, v253, v165
	v_mul_i32_i24_e32 v242, v252, v178
	v_add3_u32 v80, v80, v240, v242
	v_bfe_i32 v240, v250, 8, 8
	v_bfe_i32 v242, v250, 16, 8
	s_delay_alu instid0(VALU_DEP_2) | instskip(NEXT) | instid1(VALU_DEP_2)
	v_mul_i32_i24_e32 v246, v240, v222
	v_mul_i32_i24_e32 v250, v242, v234
	s_delay_alu instid0(VALU_DEP_1) | instskip(SKIP_2) | instid1(VALU_DEP_1)
	v_add3_u32 v71, v71, v246, v250
	v_mul_i32_i24_e32 v246, v240, v223
	v_mul_i32_i24_e32 v250, v242, v237
	v_add3_u32 v85, v85, v246, v250
	v_mul_i32_i24_e32 v246, v27, v146
	v_mul_i32_i24_e32 v250, v46, v143
	;; [unrolled: 1-line block ×4, first 2 shown]
	s_delay_alu instid0(VALU_DEP_3) | instskip(SKIP_1) | instid1(VALU_DEP_1)
	v_add3_u32 v86, v86, v250, v246
	v_mul_i32_i24_e32 v246, v254, v163
	v_add3_u32 v1, v1, v246, v244
	v_bfe_i32 v244, v245, 8, 8
	v_ashrrev_i32_e32 v246, 24, v245
	s_delay_alu instid0(VALU_DEP_3) | instskip(NEXT) | instid1(VALU_DEP_3)
	v_add3_u32 v1, v1, v46, v27
	v_mul_i32_i24_e32 v250, v244, v231
	s_delay_alu instid0(VALU_DEP_3) | instskip(SKIP_2) | instid1(VALU_DEP_3)
	v_mul_i32_i24_e32 v252, v246, v230
	v_bfe_i32 v27, v245, 0, 8
	v_bfe_i32 v46, v245, 16, 8
	v_add3_u32 v31, v31, v252, v250
	v_mul_i32_i24_e32 v250, v244, v232
	v_mul_i32_i24_e32 v252, v246, v233
	;; [unrolled: 1-line block ×3, first 2 shown]
	s_delay_alu instid0(VALU_DEP_2) | instskip(SKIP_4) | instid1(VALU_DEP_3)
	v_add3_u32 v79, v79, v252, v250
	v_mul_i32_i24_e32 v250, v82, v146
	v_mul_i32_i24_e32 v252, v83, v143
	;; [unrolled: 1-line block ×4, first 2 shown]
	v_add3_u32 v68, v68, v252, v250
	v_mul_i32_i24_e32 v250, v255, v163
	s_delay_alu instid0(VALU_DEP_1) | instskip(SKIP_2) | instid1(VALU_DEP_3)
	v_add3_u32 v80, v80, v250, v248
	v_bfe_i32 v248, v249, 8, 8
	v_ashrrev_i32_e32 v250, 24, v249
	v_add3_u32 v80, v80, v83, v82
	s_delay_alu instid0(VALU_DEP_3) | instskip(NEXT) | instid1(VALU_DEP_3)
	v_mul_i32_i24_e32 v252, v248, v231
	v_mul_i32_i24_e32 v253, v250, v230
	v_bfe_i32 v82, v249, 0, 8
	v_bfe_i32 v83, v249, 16, 8
	s_delay_alu instid0(VALU_DEP_3) | instskip(SKIP_2) | instid1(VALU_DEP_4)
	v_add3_u32 v71, v71, v253, v252
	v_mul_i32_i24_e32 v252, v248, v232
	v_mul_i32_i24_e32 v253, v250, v233
	;; [unrolled: 1-line block ×3, first 2 shown]
	s_delay_alu instid0(VALU_DEP_2) | instskip(SKIP_4) | instid1(VALU_DEP_3)
	v_add3_u32 v85, v85, v253, v252
	v_mul_i32_i24_e32 v252, v88, v134
	v_mul_i32_i24_e32 v253, v87, v175
	;; [unrolled: 1-line block ×4, first 2 shown]
	v_add3_u32 v86, v86, v253, v252
	v_mul_i32_i24_e32 v252, v46, v226
	s_delay_alu instid0(VALU_DEP_3) | instskip(SKIP_2) | instid1(VALU_DEP_4)
	v_add3_u32 v1, v1, v87, v88
	v_bfe_i32 v87, v247, 0, 8
	v_ashrrev_i32_e32 v88, 24, v247
	v_add3_u32 v31, v31, v245, v252
	v_mul_i32_i24_e32 v245, v27, v218
	v_mul_i32_i24_e32 v252, v46, v228
	s_delay_alu instid0(VALU_DEP_1) | instskip(SKIP_4) | instid1(VALU_DEP_3)
	v_add3_u32 v79, v79, v245, v252
	v_mul_i32_i24_e32 v245, v242, v134
	v_mul_i32_i24_e32 v252, v240, v175
	;; [unrolled: 1-line block ×4, first 2 shown]
	v_add3_u32 v68, v68, v252, v245
	v_mul_i32_i24_e32 v245, v82, v216
	s_delay_alu instid0(VALU_DEP_3)
	v_add3_u32 v80, v80, v240, v242
	v_bfe_i32 v240, v251, 0, 8
	v_ashrrev_i32_e32 v242, 24, v251
	v_bfe_i32 v252, v247, 16, 8
	v_add3_u32 v71, v71, v245, v249
	v_mul_i32_i24_e32 v245, v82, v218
	v_mul_i32_i24_e32 v249, v83, v228
	s_delay_alu instid0(VALU_DEP_1) | instskip(SKIP_3) | instid1(VALU_DEP_2)
	v_add3_u32 v85, v85, v245, v249
	v_mul_i32_i24_e32 v245, v246, v135
	v_mul_i32_i24_e32 v249, v244, v171
	;; [unrolled: 1-line block ×3, first 2 shown]
	v_add3_u32 v86, v86, v245, v249
	v_mul_i32_i24_e32 v245, v87, v221
	v_mul_i32_i24_e32 v249, v88, v220
	s_delay_alu instid0(VALU_DEP_1) | instskip(SKIP_2) | instid1(VALU_DEP_1)
	v_add3_u32 v31, v31, v249, v245
	v_mul_i32_i24_e32 v245, v87, v224
	v_mul_i32_i24_e32 v249, v88, v225
	v_add3_u32 v79, v79, v249, v245
	v_mul_i32_i24_e32 v245, v250, v135
	v_mul_i32_i24_e32 v249, v248, v171
	s_delay_alu instid0(VALU_DEP_1) | instskip(SKIP_2) | instid1(VALU_DEP_1)
	v_add3_u32 v68, v68, v245, v249
	v_mul_i32_i24_e32 v245, v240, v221
	v_mul_i32_i24_e32 v249, v242, v220
	v_add3_u32 v71, v71, v249, v245
	v_mul_i32_i24_e32 v245, v240, v224
	v_mul_i32_i24_e32 v249, v242, v225
	s_delay_alu instid0(VALU_DEP_1) | instskip(SKIP_4) | instid1(VALU_DEP_3)
	v_add3_u32 v85, v85, v249, v245
	v_mul_i32_i24_e32 v245, v27, v132
	v_mul_i32_i24_e32 v249, v46, v131
	;; [unrolled: 1-line block ×4, first 2 shown]
	v_add3_u32 v86, v86, v245, v249
	v_mul_i32_i24_e32 v245, v246, v151
	v_bfe_i32 v249, v247, 8, 8
	s_delay_alu instid0(VALU_DEP_2) | instskip(NEXT) | instid1(VALU_DEP_2)
	v_add3_u32 v1, v1, v245, v244
	v_mul_i32_i24_e32 v244, v249, v203
	v_mul_i32_i24_e32 v245, v252, v217
	s_delay_alu instid0(VALU_DEP_3) | instskip(NEXT) | instid1(VALU_DEP_2)
	v_add3_u32 v1, v1, v27, v46
	v_add3_u32 v31, v31, v244, v245
	v_mul_i32_i24_e32 v244, v249, v205
	v_mul_i32_i24_e32 v245, v252, v219
	s_delay_alu instid0(VALU_DEP_1) | instskip(SKIP_2) | instid1(VALU_DEP_1)
	v_add3_u32 v79, v79, v244, v245
	v_mul_i32_i24_e32 v244, v82, v132
	v_mul_i32_i24_e32 v245, v83, v131
	v_add3_u32 v68, v68, v244, v245
	v_mul_i32_i24_e32 v244, v250, v151
	v_mul_i32_i24_e32 v245, v248, v177
	v_bfe_i32 v248, v251, 8, 8
	v_bfe_i32 v250, v251, 16, 8
	s_delay_alu instid0(VALU_DEP_3) | instskip(NEXT) | instid1(VALU_DEP_3)
	v_add3_u32 v80, v80, v244, v245
	v_mul_i32_i24_e32 v244, v248, v203
	s_delay_alu instid0(VALU_DEP_3) | instskip(NEXT) | instid1(VALU_DEP_1)
	v_mul_i32_i24_e32 v245, v250, v217
	v_add3_u32 v71, v71, v244, v245
	v_mul_i32_i24_e32 v244, v248, v205
	v_mul_i32_i24_e32 v245, v250, v219
	s_delay_alu instid0(VALU_DEP_1) | instskip(SKIP_2) | instid1(VALU_DEP_1)
	v_add3_u32 v85, v85, v244, v245
	v_mul_i32_i24_e32 v244, v87, v128
	v_mul_i32_i24_e32 v245, v88, v127
	v_add3_u32 v86, v86, v245, v244
	ds_load_2addr_b32 v[244:245], v0 offset1:3
	s_wait_dscnt 0x0
	v_bfe_i32 v0, v245, 8, 8
	v_ashrrev_i32_e32 v27, 24, v245
	s_delay_alu instid0(VALU_DEP_2) | instskip(NEXT) | instid1(VALU_DEP_2)
	v_mul_i32_i24_e32 v46, v0, v209
	v_mul_i32_i24_e32 v246, v27, v208
	s_delay_alu instid0(VALU_DEP_1) | instskip(SKIP_2) | instid1(VALU_DEP_1)
	v_add3_u32 v31, v31, v246, v46
	v_mul_i32_i24_e32 v46, v0, v210
	v_mul_i32_i24_e32 v246, v27, v211
	v_add3_u32 v46, v79, v246, v46
	v_mul_i32_i24_e32 v79, v240, v128
	v_mul_i32_i24_e32 v246, v242, v127
	s_delay_alu instid0(VALU_DEP_1) | instskip(SKIP_3) | instid1(VALU_DEP_1)
	v_add3_u32 v68, v68, v246, v79
	ds_load_2addr_b32 v[246:247], v81 offset1:3
	v_mul_i32_i24_e32 v79, v82, v144
	v_mul_i32_i24_e32 v82, v83, v139
	v_add3_u32 v79, v80, v79, v82
	s_wait_dscnt 0x0
	v_bfe_i32 v80, v247, 8, 8
	v_ashrrev_i32_e32 v81, 24, v247
	s_delay_alu instid0(VALU_DEP_2) | instskip(NEXT) | instid1(VALU_DEP_2)
	v_mul_i32_i24_e32 v82, v80, v209
	v_mul_i32_i24_e32 v83, v81, v208
	s_delay_alu instid0(VALU_DEP_1) | instskip(SKIP_2) | instid1(VALU_DEP_1)
	v_add3_u32 v71, v71, v83, v82
	v_mul_i32_i24_e32 v82, v80, v210
	v_mul_i32_i24_e32 v83, v81, v211
	v_add3_u32 v82, v85, v83, v82
	v_mul_i32_i24_e32 v83, v252, v121
	v_mul_i32_i24_e32 v85, v249, v168
	s_delay_alu instid0(VALU_DEP_1) | instskip(SKIP_2) | instid1(VALU_DEP_1)
	v_add3_u32 v83, v86, v85, v83
	v_mul_i32_i24_e32 v85, v87, v155
	v_mul_i32_i24_e32 v86, v88, v154
	v_add3_u32 v1, v1, v86, v85
	v_bfe_i32 v85, v245, 0, 8
	v_bfe_i32 v86, v245, 16, 8
	s_delay_alu instid0(VALU_DEP_2) | instskip(NEXT) | instid1(VALU_DEP_2)
	v_mul_i32_i24_e32 v87, v85, v195
	v_mul_i32_i24_e32 v88, v86, v202
	s_delay_alu instid0(VALU_DEP_1) | instskip(SKIP_2) | instid1(VALU_DEP_1)
	v_add3_u32 v31, v31, v87, v88
	v_mul_i32_i24_e32 v87, v85, v196
	v_mul_i32_i24_e32 v88, v86, v204
	v_add3_u32 v46, v46, v87, v88
	v_mul_i32_i24_e32 v87, v250, v121
	v_mul_i32_i24_e32 v88, v248, v168
	s_delay_alu instid0(VALU_DEP_1) | instskip(SKIP_2) | instid1(VALU_DEP_1)
	v_add3_u32 v68, v68, v88, v87
	v_mul_i32_i24_e32 v87, v240, v155
	v_mul_i32_i24_e32 v88, v242, v154
	v_add3_u32 v79, v79, v88, v87
	v_bfe_i32 v87, v247, 0, 8
	v_bfe_i32 v88, v247, 16, 8
	s_delay_alu instid0(VALU_DEP_2) | instskip(NEXT) | instid1(VALU_DEP_2)
	v_mul_i32_i24_e32 v240, v87, v195
	v_mul_i32_i24_e32 v242, v88, v202
	s_delay_alu instid0(VALU_DEP_1) | instskip(SKIP_2) | instid1(VALU_DEP_1)
	v_add3_u32 v71, v71, v240, v242
	v_mul_i32_i24_e32 v240, v87, v196
	v_mul_i32_i24_e32 v242, v88, v204
	v_add3_u32 v82, v82, v240, v242
	v_mul_i32_i24_e32 v240, v27, v140
	v_mul_i32_i24_e32 v242, v0, v164
	v_mul_i32_i24_e32 v27, v27, v141
	v_mul_i32_i24_e32 v0, v0, v169
	s_delay_alu instid0(VALU_DEP_3) | instskip(SKIP_2) | instid1(VALU_DEP_1)
	v_add3_u32 v83, v83, v240, v242
	v_mul_i32_i24_e32 v240, v252, v149
	v_mul_i32_i24_e32 v242, v249, v167
	v_add3_u32 v1, v1, v242, v240
	v_bfe_i32 v240, v241, 0, 8
	v_ashrrev_i32_e32 v242, 24, v241
	s_delay_alu instid0(VALU_DEP_3) | instskip(NEXT) | instid1(VALU_DEP_3)
	v_add3_u32 v0, v1, v27, v0
	v_mul_i32_i24_e32 v245, v240, v199
	s_delay_alu instid0(VALU_DEP_3) | instskip(SKIP_2) | instid1(VALU_DEP_3)
	v_mul_i32_i24_e32 v247, v242, v198
	v_bfe_i32 v1, v241, 8, 8
	v_bfe_i32 v27, v241, 16, 8
	v_add3_u32 v31, v31, v247, v245
	v_mul_i32_i24_e32 v245, v240, v200
	v_mul_i32_i24_e32 v247, v242, v201
	;; [unrolled: 1-line block ×3, first 2 shown]
	s_delay_alu instid0(VALU_DEP_2) | instskip(SKIP_4) | instid1(VALU_DEP_3)
	v_add3_u32 v46, v46, v247, v245
	v_mul_i32_i24_e32 v245, v81, v140
	v_mul_i32_i24_e32 v247, v80, v164
	v_mul_i32_i24_e32 v81, v81, v141
	v_mul_i32_i24_e32 v80, v80, v169
	v_add3_u32 v68, v68, v245, v247
	v_mul_i32_i24_e32 v245, v250, v149
	v_mul_i32_i24_e32 v247, v248, v167
	s_delay_alu instid0(VALU_DEP_1) | instskip(SKIP_2) | instid1(VALU_DEP_3)
	v_add3_u32 v79, v79, v247, v245
	v_bfe_i32 v245, v243, 0, 8
	v_ashrrev_i32_e32 v247, 24, v243
	v_add3_u32 v79, v79, v81, v80
	s_delay_alu instid0(VALU_DEP_3) | instskip(NEXT) | instid1(VALU_DEP_3)
	v_mul_i32_i24_e32 v248, v245, v199
	v_mul_i32_i24_e32 v249, v247, v198
	v_bfe_i32 v80, v243, 8, 8
	v_bfe_i32 v81, v243, 16, 8
	s_delay_alu instid0(VALU_DEP_3) | instskip(SKIP_2) | instid1(VALU_DEP_4)
	v_add3_u32 v71, v71, v249, v248
	v_mul_i32_i24_e32 v248, v245, v200
	v_mul_i32_i24_e32 v249, v247, v201
	;; [unrolled: 1-line block ×3, first 2 shown]
	s_delay_alu instid0(VALU_DEP_2) | instskip(SKIP_4) | instid1(VALU_DEP_3)
	v_add3_u32 v82, v82, v249, v248
	v_mul_i32_i24_e32 v248, v85, v136
	v_mul_i32_i24_e32 v249, v86, v133
	v_mul_i32_i24_e32 v85, v85, v137
	v_mul_i32_i24_e32 v86, v86, v138
	v_add3_u32 v83, v83, v248, v249
	v_mul_i32_i24_e32 v248, v27, v194
	s_delay_alu instid0(VALU_DEP_3) | instskip(SKIP_2) | instid1(VALU_DEP_4)
	v_add3_u32 v0, v0, v85, v86
	v_bfe_i32 v85, v244, 0, 8
	v_bfe_i32 v86, v244, 8, 8
	v_add3_u32 v31, v31, v241, v248
	v_mul_i32_i24_e32 v241, v1, v193
	v_mul_i32_i24_e32 v248, v27, v197
	s_delay_alu instid0(VALU_DEP_1) | instskip(SKIP_4) | instid1(VALU_DEP_3)
	v_add3_u32 v46, v46, v241, v248
	v_mul_i32_i24_e32 v241, v87, v136
	v_mul_i32_i24_e32 v248, v88, v133
	;; [unrolled: 1-line block ×4, first 2 shown]
	v_add3_u32 v68, v68, v241, v248
	v_mul_i32_i24_e32 v241, v80, v190
	s_delay_alu instid0(VALU_DEP_3) | instskip(SKIP_2) | instid1(VALU_DEP_4)
	v_add3_u32 v79, v79, v87, v88
	v_bfe_i32 v87, v246, 0, 8
	v_bfe_i32 v88, v246, 8, 8
	v_add3_u32 v71, v71, v241, v243
	v_mul_i32_i24_e32 v241, v80, v193
	v_mul_i32_i24_e32 v243, v81, v197
	s_delay_alu instid0(VALU_DEP_1) | instskip(SKIP_3) | instid1(VALU_DEP_2)
	v_add3_u32 v82, v82, v241, v243
	v_mul_i32_i24_e32 v241, v240, v130
	v_mul_i32_i24_e32 v243, v242, v129
	;; [unrolled: 1-line block ×3, first 2 shown]
	v_add3_u32 v83, v83, v243, v241
	v_mul_i32_i24_e32 v241, v85, v116
	v_mul_i32_i24_e32 v243, v86, v115
	s_delay_alu instid0(VALU_DEP_1) | instskip(SKIP_2) | instid1(VALU_DEP_1)
	v_add3_u32 v31, v31, v241, v243
	v_mul_i32_i24_e32 v241, v85, v119
	v_mul_i32_i24_e32 v243, v86, v120
	v_add3_u32 v46, v46, v241, v243
	v_mul_i32_i24_e32 v241, v245, v130
	v_mul_i32_i24_e32 v243, v247, v129
	s_delay_alu instid0(VALU_DEP_1) | instskip(SKIP_2) | instid1(VALU_DEP_1)
	v_add3_u32 v68, v68, v243, v241
	v_mul_i32_i24_e32 v241, v87, v116
	v_mul_i32_i24_e32 v243, v88, v115
	v_add3_u32 v71, v71, v241, v243
	v_mul_i32_i24_e32 v241, v87, v119
	v_mul_i32_i24_e32 v243, v88, v120
	s_delay_alu instid0(VALU_DEP_1) | instskip(SKIP_4) | instid1(VALU_DEP_3)
	v_add3_u32 v82, v82, v241, v243
	v_mul_i32_i24_e32 v241, v27, v126
	v_mul_i32_i24_e32 v243, v1, v162
	;; [unrolled: 1-line block ×4, first 2 shown]
	v_add3_u32 v83, v83, v243, v241
	v_mul_i32_i24_e32 v241, v242, v148
	s_delay_alu instid0(VALU_DEP_1) | instskip(SKIP_2) | instid1(VALU_DEP_3)
	v_add3_u32 v0, v0, v241, v240
	v_bfe_i32 v240, v244, 16, 8
	v_ashrrev_i32_e32 v241, 24, v244
	v_add3_u32 v0, v0, v1, v27
	s_delay_alu instid0(VALU_DEP_3) | instskip(NEXT) | instid1(VALU_DEP_3)
	v_mul_i32_i24_e32 v242, v240, v113
	v_mul_i32_i24_e32 v243, v241, v114
	;; [unrolled: 1-line block ×4, first 2 shown]
	s_delay_alu instid0(VALU_DEP_3) | instskip(SKIP_2) | instid1(VALU_DEP_3)
	v_add3_u32 v31, v31, v242, v243
	v_mul_i32_i24_e32 v242, v240, v117
	v_mul_i32_i24_e32 v243, v241, v118
	v_cvt_f32_i32_e32 v31, v31
	s_delay_alu instid0(VALU_DEP_2) | instskip(SKIP_2) | instid1(VALU_DEP_3)
	v_add3_u32 v46, v46, v242, v243
	v_mul_i32_i24_e32 v242, v81, v126
	v_mul_i32_i24_e32 v243, v80, v162
	v_cvt_f32_i32_e32 v46, v46
	s_delay_alu instid0(VALU_DEP_2)
	v_add3_u32 v68, v68, v243, v242
	v_mul_i32_i24_e32 v242, v245, v147
	v_mul_i32_i24_e32 v243, v247, v148
	ds_load_2addr_b32 v[247:248], v103 offset0:64 offset1:96
	v_add3_u32 v1, v68, v1, v27
	v_mul_i32_i24_e32 v27, v81, v142
	v_add3_u32 v79, v79, v243, v242
	v_bfe_i32 v242, v246, 16, 8
	v_ashrrev_i32_e32 v243, 24, v246
	v_mul_i32_i24_e32 v68, v80, v5
	v_mul_i32_i24_e32 v80, v125, v86
	s_delay_alu instid0(VALU_DEP_4) | instskip(NEXT) | instid1(VALU_DEP_4)
	v_mul_i32_i24_e32 v244, v242, v113
	v_mul_i32_i24_e32 v245, v243, v114
	s_delay_alu instid0(VALU_DEP_4) | instskip(SKIP_2) | instid1(VALU_DEP_4)
	v_add3_u32 v27, v79, v68, v27
	v_mul_i32_i24_e32 v68, v110, v240
	v_mul_i32_i24_e32 v79, v111, v241
	v_add3_u32 v71, v71, v244, v245
	v_mul_i32_i24_e32 v244, v242, v117
	v_mul_i32_i24_e32 v245, v243, v118
	s_delay_alu instid0(VALU_DEP_1) | instskip(SKIP_2) | instid1(VALU_DEP_1)
	v_add3_u32 v82, v82, v244, v245
	v_mul_i32_i24_e32 v244, v112, v85
	v_mul_i32_i24_e32 v245, v4, v86
	v_add3_u32 v83, v83, v244, v245
	s_delay_alu instid0(VALU_DEP_1) | instskip(SKIP_1) | instid1(VALU_DEP_1)
	v_add3_u32 v68, v83, v68, v79
	v_mul_i32_i24_e32 v79, v124, v85
	v_add3_u32 v0, v0, v79, v80
	v_mul_i32_i24_e32 v79, v110, v242
	v_mul_i32_i24_e32 v80, v111, v243
	s_delay_alu instid0(VALU_DEP_1) | instskip(SKIP_2) | instid1(VALU_DEP_3)
	v_add3_u32 v1, v1, v79, v80
	v_mul_i32_i24_e32 v79, v124, v87
	v_mul_i32_i24_e32 v80, v125, v88
	v_cvt_f32_i32_e32 v1, v1
	s_delay_alu instid0(VALU_DEP_2) | instskip(SKIP_2) | instid1(VALU_DEP_1)
	v_add3_u32 v27, v27, v79, v80
	v_mul_i32_i24_e32 v79, v122, v240
	v_mul_i32_i24_e32 v80, v123, v241
	v_add3_u32 v0, v0, v79, v80
	v_mul_i32_i24_e32 v79, v122, v242
	v_mul_i32_i24_e32 v80, v123, v243
	s_delay_alu instid0(VALU_DEP_3) | instskip(NEXT) | instid1(VALU_DEP_2)
	v_cvt_f32_i32_e32 v0, v0
	v_add3_u32 v27, v27, v79, v80
	s_wait_dscnt 0x0
	v_lshrrev_b32_e32 v79, 16, v247
	s_delay_alu instid0(VALU_DEP_2) | instskip(NEXT) | instid1(VALU_DEP_2)
	v_cvt_f32_i32_e32 v27, v27
	v_cvt_f32_f16_e32 v79, v79
	s_delay_alu instid0(VALU_DEP_1) | instskip(NEXT) | instid1(VALU_DEP_1)
	v_mul_f32_e32 v79, 0x41000000, v79
	v_fma_mix_f32 v240, v247, v0, -v79 op_sel_hi:[1,0,0]
	v_lshrrev_b32_e32 v0, 16, v248
	v_fma_mix_f32 v245, v247, v31, -v79 op_sel_hi:[1,0,0]
	v_cvt_f32_i32_e32 v31, v68
	v_fma_mix_f32 v243, v247, v46, -v79 op_sel_hi:[1,0,0]
	v_cvt_f32_i32_e32 v46, v82
	v_cvt_f32_f16_e32 v0, v0
	v_fmac_f32_e32 v35, v109, v240
	v_fma_mix_f32 v241, v247, v31, -v79 op_sel_hi:[1,0,0]
	v_cvt_f32_i32_e32 v31, v71
	s_delay_alu instid0(VALU_DEP_4) | instskip(NEXT) | instid1(VALU_DEP_1)
	v_mul_f32_e32 v0, 0x41000000, v0
	v_fma_mix_f32 v247, v248, v31, -v0 op_sel_hi:[1,0,0]
	v_fma_mix_f32 v246, v248, v46, -v0 op_sel_hi:[1,0,0]
	;; [unrolled: 1-line block ×4, first 2 shown]
	v_add_nc_u32_e32 v0, 0x1000, v102
	s_delay_alu instid0(VALU_DEP_2)
	v_fmac_f32_e32 v30, v109, v242
	ds_load_2addr_b32 v[248:249], v0 offset0:4 offset1:7
	s_wait_dscnt 0x0
	v_bfe_i32 v1, v248, 8, 8
	v_bfe_i32 v27, v248, 0, 8
	;; [unrolled: 1-line block ×3, first 2 shown]
	v_ashrrev_i32_e32 v68, 24, v248
	v_add_nc_u32_e32 v248, 0x1404, v102
	v_mul_i32_i24_e32 v31, v1, v186
	s_delay_alu instid0(VALU_DEP_4) | instskip(NEXT) | instid1(VALU_DEP_4)
	v_mul_i32_i24_e32 v71, v46, v189
	v_mul_i32_i24_e32 v79, v68, v188
	;; [unrolled: 1-line block ×3, first 2 shown]
	s_delay_alu instid0(VALU_DEP_4) | instskip(SKIP_1) | instid1(VALU_DEP_2)
	v_mad_i32_i24 v31, v27, v184, v31
	v_mul_i32_i24_e32 v76, v157, v68
	v_add3_u32 v31, v31, v71, v79
	v_mul_i32_i24_e32 v71, v1, v185
	v_mul_i32_i24_e32 v79, v46, v191
	s_delay_alu instid0(VALU_DEP_2) | instskip(NEXT) | instid1(VALU_DEP_1)
	v_mad_i32_i24 v71, v27, v182, v71
	v_add3_u32 v71, v71, v79, v80
	v_add_nc_u32_e32 v79, 0x1400, v102
	ds_load_2addr_b32 v[250:251], v79 offset0:4 offset1:7
	s_wait_dscnt 0x0
	v_bfe_i32 v80, v250, 8, 8
	v_bfe_i32 v81, v250, 0, 8
	;; [unrolled: 1-line block ×3, first 2 shown]
	v_ashrrev_i32_e32 v87, 24, v250
	s_delay_alu instid0(VALU_DEP_4) | instskip(NEXT) | instid1(VALU_DEP_3)
	v_mul_i32_i24_e32 v82, v80, v186
	v_mul_i32_i24_e32 v85, v83, v189
	s_delay_alu instid0(VALU_DEP_3) | instskip(SKIP_1) | instid1(VALU_DEP_4)
	v_mul_i32_i24_e32 v86, v87, v188
	v_mul_i32_i24_e32 v88, v87, v192
	v_mad_i32_i24 v82, v81, v184, v82
	v_mul_i32_i24_e32 v78, v157, v87
	s_delay_alu instid0(VALU_DEP_2) | instskip(SKIP_2) | instid1(VALU_DEP_2)
	v_add3_u32 v82, v82, v85, v86
	v_mul_i32_i24_e32 v85, v80, v185
	v_mul_i32_i24_e32 v86, v83, v191
	v_mad_i32_i24 v85, v81, v182, v85
	s_delay_alu instid0(VALU_DEP_1)
	v_add3_u32 v88, v85, v86, v88
	v_add_nc_u32_e32 v85, 0x1004, v102
	v_add_nc_u32_e32 v86, 0x1014, v102
	ds_load_2addr_b32 v[252:253], v85 offset1:1
	ds_load_2addr_b32 v[254:255], v86 offset1:1
	;; [unrolled: 1-line block ×3, first 2 shown]
	s_wait_dscnt 0x2
	v_bfe_i32 v248, v252, 8, 8
	v_ashrrev_i32_e32 v250, 24, v252
	s_delay_alu instid0(VALU_DEP_2) | instskip(NEXT) | instid1(VALU_DEP_2)
	v_mul_i32_i24_e32 v72, v248, v213
	v_mul_i32_i24_e32 v73, v250, v212
	s_delay_alu instid0(VALU_DEP_1) | instskip(SKIP_2) | instid1(VALU_DEP_1)
	v_add3_u32 v31, v31, v73, v72
	v_mul_i32_i24_e32 v72, v248, v214
	v_mul_i32_i24_e32 v73, v250, v215
	v_add3_u32 v71, v71, v73, v72
	s_wait_dscnt 0x0
	v_bfe_i32 v72, v85, 8, 8
	v_ashrrev_i32_e32 v73, 24, v85
	s_delay_alu instid0(VALU_DEP_2) | instskip(NEXT) | instid1(VALU_DEP_2)
	v_mul_i32_i24_e32 v74, v72, v213
	v_mul_i32_i24_e32 v75, v73, v212
	s_delay_alu instid0(VALU_DEP_1) | instskip(SKIP_2) | instid1(VALU_DEP_1)
	v_add3_u32 v74, v82, v75, v74
	v_mul_i32_i24_e32 v75, v72, v214
	v_mul_i32_i24_e32 v82, v73, v215
	v_add3_u32 v75, v88, v82, v75
	v_mul_i32_i24_e32 v82, v176, v1
	v_mul_i32_i24_e32 v88, v153, v46
	;; [unrolled: 1-line block ×3, first 2 shown]
	s_delay_alu instid0(VALU_DEP_3) | instskip(NEXT) | instid1(VALU_DEP_2)
	v_mad_i32_i24 v82, v160, v27, v82
	v_mad_i32_i24 v1, v172, v27, v1
	v_mul_i32_i24_e32 v27, v166, v46
	v_mul_i32_i24_e32 v46, v170, v68
	s_delay_alu instid0(VALU_DEP_4) | instskip(SKIP_2) | instid1(VALU_DEP_4)
	v_add3_u32 v76, v82, v88, v76
	v_bfe_i32 v82, v252, 0, 8
	v_bfe_i32 v252, v252, 16, 8
	v_add3_u32 v1, v1, v27, v46
	v_bfe_i32 v27, v254, 0, 8
	s_delay_alu instid0(VALU_DEP_4) | instskip(NEXT) | instid1(VALU_DEP_4)
	v_mul_i32_i24_e32 v88, v82, v206
	v_mul_i32_i24_e32 v77, v252, v227
	v_ashrrev_i32_e32 v46, 24, v254
	s_delay_alu instid0(VALU_DEP_4) | instskip(NEXT) | instid1(VALU_DEP_3)
	v_mul_i32_i24_e32 v68, v27, v236
	v_add3_u32 v31, v31, v88, v77
	v_mul_i32_i24_e32 v77, v82, v207
	v_mul_i32_i24_e32 v88, v252, v229
	s_delay_alu instid0(VALU_DEP_1) | instskip(SKIP_2) | instid1(VALU_DEP_2)
	v_add3_u32 v71, v71, v77, v88
	v_mul_i32_i24_e32 v77, v176, v80
	v_mul_i32_i24_e32 v88, v153, v83
	v_mad_i32_i24 v77, v160, v81, v77
	s_delay_alu instid0(VALU_DEP_1) | instskip(SKIP_2) | instid1(VALU_DEP_2)
	v_add3_u32 v77, v77, v88, v78
	v_bfe_i32 v78, v85, 0, 8
	v_bfe_i32 v85, v85, 16, 8
	v_mul_i32_i24_e32 v88, v78, v206
	s_delay_alu instid0(VALU_DEP_2) | instskip(NEXT) | instid1(VALU_DEP_1)
	v_mul_i32_i24_e32 v93, v85, v227
	v_add3_u32 v74, v74, v88, v93
	v_mul_i32_i24_e32 v88, v78, v207
	v_mul_i32_i24_e32 v93, v85, v229
	s_delay_alu instid0(VALU_DEP_1) | instskip(SKIP_2) | instid1(VALU_DEP_1)
	v_add3_u32 v75, v75, v88, v93
	v_mul_i32_i24_e32 v88, v250, v156
	v_mul_i32_i24_e32 v93, v248, v173
	v_add3_u32 v76, v76, v88, v93
	v_mul_i32_i24_e32 v88, v46, v235
	s_delay_alu instid0(VALU_DEP_1) | instskip(SKIP_2) | instid1(VALU_DEP_1)
	v_add3_u32 v31, v31, v88, v68
	v_mul_i32_i24_e32 v68, v27, v238
	v_mul_i32_i24_e32 v88, v46, v239
	v_add3_u32 v68, v71, v88, v68
	v_mul_i32_i24_e32 v71, v73, v156
	v_mul_i32_i24_e32 v88, v72, v173
	;; [unrolled: 1-line block ×4, first 2 shown]
	s_delay_alu instid0(VALU_DEP_3) | instskip(SKIP_2) | instid1(VALU_DEP_2)
	v_add3_u32 v71, v77, v71, v88
	v_mul_i32_i24_e32 v77, v187, v80
	v_mul_i32_i24_e32 v80, v166, v83
	v_mad_i32_i24 v77, v172, v81, v77
	v_mul_i32_i24_e32 v81, v170, v87
	s_delay_alu instid0(VALU_DEP_1) | instskip(SKIP_1) | instid1(VALU_DEP_2)
	v_add3_u32 v77, v77, v80, v81
	v_add_nc_u32_e32 v80, 0x1414, v102
	v_add3_u32 v72, v77, v73, v72
	ds_load_2addr_b32 v[87:88], v80 offset1:1
	s_wait_dscnt 0x0
	v_bfe_i32 v80, v87, 0, 8
	v_ashrrev_i32_e32 v81, 24, v87
	v_bfe_i32 v73, v87, 8, 8
	v_bfe_i32 v77, v87, 16, 8
	s_delay_alu instid0(VALU_DEP_4) | instskip(NEXT) | instid1(VALU_DEP_4)
	v_mul_i32_i24_e32 v83, v80, v236
	v_mul_i32_i24_e32 v93, v81, v235
	s_delay_alu instid0(VALU_DEP_4) | instskip(NEXT) | instid1(VALU_DEP_2)
	v_mul_i32_i24_e32 v87, v73, v222
	v_add3_u32 v74, v74, v93, v83
	v_mul_i32_i24_e32 v83, v80, v238
	v_mul_i32_i24_e32 v93, v81, v239
	s_delay_alu instid0(VALU_DEP_1) | instskip(SKIP_3) | instid1(VALU_DEP_2)
	v_add3_u32 v75, v75, v93, v83
	v_mul_i32_i24_e32 v83, v82, v150
	v_mul_i32_i24_e32 v93, v252, v145
	;; [unrolled: 1-line block ×3, first 2 shown]
	v_add3_u32 v76, v76, v83, v93
	v_mul_i32_i24_e32 v83, v250, v165
	v_mul_i32_i24_e32 v93, v248, v178
	s_delay_alu instid0(VALU_DEP_1) | instskip(SKIP_2) | instid1(VALU_DEP_2)
	v_add3_u32 v1, v1, v83, v93
	v_bfe_i32 v83, v254, 8, 8
	v_bfe_i32 v93, v254, 16, 8
	v_mul_i32_i24_e32 v248, v83, v222
	s_delay_alu instid0(VALU_DEP_2) | instskip(NEXT) | instid1(VALU_DEP_1)
	v_mul_i32_i24_e32 v250, v93, v234
	v_add3_u32 v31, v31, v248, v250
	v_mul_i32_i24_e32 v248, v83, v223
	v_mul_i32_i24_e32 v250, v93, v237
	s_delay_alu instid0(VALU_DEP_1) | instskip(SKIP_4) | instid1(VALU_DEP_3)
	v_add3_u32 v68, v68, v248, v250
	v_mul_i32_i24_e32 v248, v78, v150
	v_mul_i32_i24_e32 v250, v85, v145
	;; [unrolled: 1-line block ×4, first 2 shown]
	v_add3_u32 v71, v71, v248, v250
	v_mul_i32_i24_e32 v248, v77, v234
	s_delay_alu instid0(VALU_DEP_3) | instskip(SKIP_2) | instid1(VALU_DEP_4)
	v_add3_u32 v72, v72, v78, v85
	v_bfe_i32 v78, v86, 8, 8
	v_ashrrev_i32_e32 v85, 24, v86
	v_add3_u32 v74, v74, v87, v248
	v_mul_i32_i24_e32 v87, v73, v223
	v_mul_i32_i24_e32 v248, v77, v237
	s_delay_alu instid0(VALU_DEP_1) | instskip(SKIP_4) | instid1(VALU_DEP_3)
	v_add3_u32 v75, v75, v87, v248
	v_mul_i32_i24_e32 v87, v27, v146
	v_mul_i32_i24_e32 v248, v46, v143
	v_mul_i32_i24_e32 v27, v27, v158
	v_mul_i32_i24_e32 v46, v46, v161
	v_add3_u32 v76, v76, v248, v87
	v_mul_i32_i24_e32 v87, v252, v159
	s_delay_alu instid0(VALU_DEP_1) | instskip(SKIP_2) | instid1(VALU_DEP_3)
	v_add3_u32 v1, v1, v82, v87
	v_bfe_i32 v82, v253, 8, 8
	v_ashrrev_i32_e32 v87, 24, v253
	v_add3_u32 v1, v1, v46, v27
	s_delay_alu instid0(VALU_DEP_3) | instskip(NEXT) | instid1(VALU_DEP_3)
	v_mul_i32_i24_e32 v248, v82, v231
	v_mul_i32_i24_e32 v250, v87, v230
	v_bfe_i32 v27, v253, 0, 8
	v_bfe_i32 v46, v253, 16, 8
	s_delay_alu instid0(VALU_DEP_3) | instskip(SKIP_2) | instid1(VALU_DEP_1)
	v_add3_u32 v31, v31, v250, v248
	v_mul_i32_i24_e32 v248, v82, v232
	v_mul_i32_i24_e32 v250, v87, v233
	v_add3_u32 v68, v68, v250, v248
	v_mul_i32_i24_e32 v248, v80, v146
	v_mul_i32_i24_e32 v250, v81, v143
	;; [unrolled: 1-line block ×4, first 2 shown]
	s_delay_alu instid0(VALU_DEP_3) | instskip(SKIP_2) | instid1(VALU_DEP_4)
	v_add3_u32 v71, v71, v250, v248
	v_mul_i32_i24_e32 v248, v78, v231
	v_mul_i32_i24_e32 v250, v85, v230
	v_add3_u32 v72, v72, v81, v80
	v_bfe_i32 v80, v86, 0, 8
	v_bfe_i32 v81, v86, 16, 8
	s_delay_alu instid0(VALU_DEP_4) | instskip(SKIP_3) | instid1(VALU_DEP_2)
	v_add3_u32 v74, v74, v250, v248
	v_mul_i32_i24_e32 v248, v78, v232
	v_mul_i32_i24_e32 v250, v85, v233
	;; [unrolled: 1-line block ×3, first 2 shown]
	v_add3_u32 v75, v75, v250, v248
	v_mul_i32_i24_e32 v248, v93, v134
	v_mul_i32_i24_e32 v250, v83, v175
	;; [unrolled: 1-line block ×3, first 2 shown]
	s_delay_alu instid0(VALU_DEP_2) | instskip(SKIP_2) | instid1(VALU_DEP_1)
	v_add3_u32 v76, v76, v250, v248
	v_mul_i32_i24_e32 v248, v27, v216
	v_mul_i32_i24_e32 v250, v46, v226
	v_add3_u32 v31, v31, v248, v250
	v_mul_i32_i24_e32 v248, v27, v218
	v_mul_i32_i24_e32 v250, v46, v228
	s_delay_alu instid0(VALU_DEP_1) | instskip(SKIP_4) | instid1(VALU_DEP_3)
	v_add3_u32 v68, v68, v248, v250
	v_mul_i32_i24_e32 v248, v77, v134
	v_mul_i32_i24_e32 v250, v73, v175
	;; [unrolled: 1-line block ×4, first 2 shown]
	v_add3_u32 v71, v71, v250, v248
	v_mul_i32_i24_e32 v248, v81, v226
	s_delay_alu instid0(VALU_DEP_3)
	v_add3_u32 v72, v72, v73, v77
	v_bfe_i32 v73, v88, 0, 8
	v_ashrrev_i32_e32 v77, 24, v88
	v_bfe_i32 v250, v88, 16, 8
	v_add3_u32 v74, v74, v86, v248
	v_mul_i32_i24_e32 v86, v80, v218
	v_mul_i32_i24_e32 v248, v81, v228
	s_delay_alu instid0(VALU_DEP_1) | instskip(SKIP_3) | instid1(VALU_DEP_2)
	v_add3_u32 v75, v75, v86, v248
	v_mul_i32_i24_e32 v86, v87, v135
	v_mul_i32_i24_e32 v248, v82, v171
	;; [unrolled: 1-line block ×3, first 2 shown]
	v_add3_u32 v76, v76, v86, v248
	v_mul_i32_i24_e32 v86, v93, v152
	v_ashrrev_i32_e32 v93, 24, v255
	s_delay_alu instid0(VALU_DEP_2) | instskip(SKIP_1) | instid1(VALU_DEP_3)
	v_add3_u32 v1, v1, v83, v86
	v_bfe_i32 v83, v255, 0, 8
	v_mul_i32_i24_e32 v248, v93, v220
	s_delay_alu instid0(VALU_DEP_2) | instskip(NEXT) | instid1(VALU_DEP_1)
	v_mul_i32_i24_e32 v86, v83, v221
	v_add3_u32 v31, v31, v248, v86
	v_mul_i32_i24_e32 v86, v83, v224
	v_mul_i32_i24_e32 v248, v93, v225
	s_delay_alu instid0(VALU_DEP_1) | instskip(SKIP_4) | instid1(VALU_DEP_3)
	v_add3_u32 v68, v68, v248, v86
	v_mul_i32_i24_e32 v86, v85, v135
	v_mul_i32_i24_e32 v248, v78, v171
	v_mul_i32_i24_e32 v85, v85, v151
	v_mul_i32_i24_e32 v78, v78, v177
	v_add3_u32 v71, v71, v86, v248
	v_mul_i32_i24_e32 v86, v73, v221
	v_mul_i32_i24_e32 v248, v77, v220
	s_delay_alu instid0(VALU_DEP_4) | instskip(SKIP_1) | instid1(VALU_DEP_3)
	v_add3_u32 v72, v72, v85, v78
	v_bfe_i32 v78, v88, 8, 8
	v_add3_u32 v74, v74, v248, v86
	v_mul_i32_i24_e32 v86, v73, v224
	v_mul_i32_i24_e32 v248, v77, v225
	s_delay_alu instid0(VALU_DEP_4) | instskip(NEXT) | instid1(VALU_DEP_2)
	v_mul_i32_i24_e32 v85, v78, v203
	v_add3_u32 v75, v75, v248, v86
	v_mul_i32_i24_e32 v86, v27, v132
	v_mul_i32_i24_e32 v248, v46, v131
	;; [unrolled: 1-line block ×4, first 2 shown]
	s_delay_alu instid0(VALU_DEP_3) | instskip(SKIP_2) | instid1(VALU_DEP_2)
	v_add3_u32 v76, v76, v86, v248
	v_mul_i32_i24_e32 v86, v87, v151
	v_bfe_i32 v248, v255, 16, 8
	v_add3_u32 v1, v1, v86, v82
	v_bfe_i32 v82, v255, 8, 8
	s_delay_alu instid0(VALU_DEP_3) | instskip(NEXT) | instid1(VALU_DEP_3)
	v_mul_i32_i24_e32 v87, v248, v217
	v_add3_u32 v1, v1, v27, v46
	s_delay_alu instid0(VALU_DEP_3) | instskip(NEXT) | instid1(VALU_DEP_1)
	v_mul_i32_i24_e32 v86, v82, v203
	v_add3_u32 v31, v31, v86, v87
	v_mul_i32_i24_e32 v86, v82, v205
	v_mul_i32_i24_e32 v87, v248, v219
	s_delay_alu instid0(VALU_DEP_1) | instskip(SKIP_2) | instid1(VALU_DEP_1)
	v_add3_u32 v68, v68, v86, v87
	v_mul_i32_i24_e32 v86, v80, v132
	v_mul_i32_i24_e32 v87, v81, v131
	v_add3_u32 v71, v71, v86, v87
	v_mul_i32_i24_e32 v86, v250, v217
	s_delay_alu instid0(VALU_DEP_1) | instskip(SKIP_2) | instid1(VALU_DEP_1)
	v_add3_u32 v74, v74, v85, v86
	v_mul_i32_i24_e32 v85, v78, v205
	v_mul_i32_i24_e32 v86, v250, v219
	v_add3_u32 v75, v75, v85, v86
	v_mul_i32_i24_e32 v85, v83, v128
	v_mul_i32_i24_e32 v86, v93, v127
	s_delay_alu instid0(VALU_DEP_1) | instskip(SKIP_4) | instid1(VALU_DEP_2)
	v_add3_u32 v76, v76, v86, v85
	ds_load_2addr_b32 v[85:86], v0 offset1:3
	s_wait_dscnt 0x0
	v_bfe_i32 v0, v86, 8, 8
	v_ashrrev_i32_e32 v27, 24, v86
	v_mul_i32_i24_e32 v46, v0, v209
	s_delay_alu instid0(VALU_DEP_2) | instskip(NEXT) | instid1(VALU_DEP_1)
	v_mul_i32_i24_e32 v87, v27, v208
	v_add3_u32 v31, v31, v87, v46
	v_mul_i32_i24_e32 v46, v0, v210
	v_mul_i32_i24_e32 v87, v27, v211
	s_delay_alu instid0(VALU_DEP_1) | instskip(SKIP_4) | instid1(VALU_DEP_3)
	v_add3_u32 v46, v68, v87, v46
	v_mul_i32_i24_e32 v68, v73, v128
	v_mul_i32_i24_e32 v87, v77, v127
	;; [unrolled: 1-line block ×4, first 2 shown]
	v_add3_u32 v68, v71, v87, v68
	ds_load_2addr_b32 v[87:88], v79 offset1:3
	v_mul_i32_i24_e32 v71, v80, v144
	v_mul_i32_i24_e32 v80, v81, v139
	s_delay_alu instid0(VALU_DEP_1) | instskip(NEXT) | instid1(VALU_DEP_1)
	v_add3_u32 v71, v72, v71, v80
	v_add3_u32 v71, v71, v77, v73
	s_wait_dscnt 0x0
	v_bfe_i32 v72, v88, 8, 8
	v_ashrrev_i32_e32 v79, 24, v88
	v_bfe_i32 v73, v88, 0, 8
	v_bfe_i32 v77, v88, 16, 8
	s_delay_alu instid0(VALU_DEP_4) | instskip(NEXT) | instid1(VALU_DEP_4)
	v_mul_i32_i24_e32 v80, v72, v209
	v_mul_i32_i24_e32 v81, v79, v208
	s_delay_alu instid0(VALU_DEP_1) | instskip(SKIP_2) | instid1(VALU_DEP_1)
	v_add3_u32 v74, v74, v81, v80
	v_mul_i32_i24_e32 v80, v72, v210
	v_mul_i32_i24_e32 v81, v79, v211
	v_add3_u32 v75, v75, v81, v80
	v_mul_i32_i24_e32 v80, v248, v121
	v_mul_i32_i24_e32 v81, v82, v168
	;; [unrolled: 1-line block ×3, first 2 shown]
	s_delay_alu instid0(VALU_DEP_2) | instskip(SKIP_2) | instid1(VALU_DEP_1)
	v_add3_u32 v76, v76, v81, v80
	v_mul_i32_i24_e32 v80, v83, v155
	v_mul_i32_i24_e32 v81, v93, v154
	v_add3_u32 v1, v1, v81, v80
	v_bfe_i32 v80, v86, 0, 8
	v_bfe_i32 v81, v86, 16, 8
	s_delay_alu instid0(VALU_DEP_2) | instskip(NEXT) | instid1(VALU_DEP_2)
	v_mul_i32_i24_e32 v83, v80, v195
	v_mul_i32_i24_e32 v86, v81, v202
	s_delay_alu instid0(VALU_DEP_1) | instskip(SKIP_2) | instid1(VALU_DEP_1)
	v_add3_u32 v31, v31, v83, v86
	v_mul_i32_i24_e32 v83, v80, v196
	v_mul_i32_i24_e32 v86, v81, v204
	v_add3_u32 v46, v46, v83, v86
	v_mul_i32_i24_e32 v83, v250, v121
	v_mul_i32_i24_e32 v86, v78, v168
	;; [unrolled: 1-line block ×3, first 2 shown]
	s_delay_alu instid0(VALU_DEP_2) | instskip(SKIP_2) | instid1(VALU_DEP_1)
	v_add3_u32 v68, v68, v86, v83
	v_mul_i32_i24_e32 v83, v73, v195
	v_mul_i32_i24_e32 v86, v77, v202
	v_add3_u32 v74, v74, v83, v86
	v_mul_i32_i24_e32 v83, v73, v196
	v_mul_i32_i24_e32 v86, v77, v204
	s_delay_alu instid0(VALU_DEP_1) | instskip(SKIP_4) | instid1(VALU_DEP_3)
	v_add3_u32 v75, v75, v83, v86
	v_mul_i32_i24_e32 v83, v27, v140
	v_mul_i32_i24_e32 v86, v0, v164
	;; [unrolled: 1-line block ×4, first 2 shown]
	v_add3_u32 v76, v76, v83, v86
	v_mul_i32_i24_e32 v83, v248, v149
	s_delay_alu instid0(VALU_DEP_1) | instskip(SKIP_2) | instid1(VALU_DEP_3)
	v_add3_u32 v1, v1, v82, v83
	v_bfe_i32 v82, v249, 0, 8
	v_ashrrev_i32_e32 v83, 24, v249
	v_add3_u32 v0, v1, v27, v0
	s_delay_alu instid0(VALU_DEP_3) | instskip(NEXT) | instid1(VALU_DEP_3)
	v_mul_i32_i24_e32 v86, v82, v199
	v_mul_i32_i24_e32 v88, v83, v198
	v_bfe_i32 v1, v249, 8, 8
	v_bfe_i32 v27, v249, 16, 8
	s_delay_alu instid0(VALU_DEP_3) | instskip(SKIP_2) | instid1(VALU_DEP_1)
	v_add3_u32 v31, v31, v88, v86
	v_mul_i32_i24_e32 v86, v82, v200
	v_mul_i32_i24_e32 v88, v83, v201
	v_add3_u32 v46, v46, v88, v86
	v_mul_i32_i24_e32 v86, v79, v140
	v_mul_i32_i24_e32 v88, v72, v164
	;; [unrolled: 1-line block ×4, first 2 shown]
	s_delay_alu instid0(VALU_DEP_3) | instskip(SKIP_1) | instid1(VALU_DEP_1)
	v_add3_u32 v68, v68, v86, v88
	v_mul_i32_i24_e32 v86, v250, v149
	v_add3_u32 v71, v71, v78, v86
	v_bfe_i32 v78, v251, 0, 8
	v_ashrrev_i32_e32 v86, 24, v251
	s_delay_alu instid0(VALU_DEP_3) | instskip(NEXT) | instid1(VALU_DEP_3)
	v_add3_u32 v71, v71, v79, v72
	v_mul_i32_i24_e32 v88, v78, v199
	s_delay_alu instid0(VALU_DEP_3) | instskip(SKIP_2) | instid1(VALU_DEP_3)
	v_mul_i32_i24_e32 v93, v86, v198
	v_bfe_i32 v72, v251, 8, 8
	v_bfe_i32 v79, v251, 16, 8
	v_add3_u32 v74, v74, v93, v88
	v_mul_i32_i24_e32 v88, v78, v200
	v_mul_i32_i24_e32 v93, v86, v201
	s_delay_alu instid0(VALU_DEP_1) | instskip(SKIP_4) | instid1(VALU_DEP_3)
	v_add3_u32 v75, v75, v93, v88
	v_mul_i32_i24_e32 v88, v80, v136
	v_mul_i32_i24_e32 v93, v81, v133
	v_mul_i32_i24_e32 v80, v80, v137
	v_mul_i32_i24_e32 v81, v81, v138
	v_add3_u32 v76, v76, v88, v93
	v_mul_i32_i24_e32 v88, v1, v190
	v_mul_i32_i24_e32 v93, v27, v194
	s_delay_alu instid0(VALU_DEP_4) | instskip(SKIP_2) | instid1(VALU_DEP_4)
	v_add3_u32 v0, v0, v80, v81
	v_bfe_i32 v80, v85, 0, 8
	v_bfe_i32 v81, v85, 8, 8
	v_add3_u32 v31, v31, v88, v93
	v_mul_i32_i24_e32 v88, v1, v193
	v_mul_i32_i24_e32 v93, v27, v197
	s_delay_alu instid0(VALU_DEP_1) | instskip(SKIP_4) | instid1(VALU_DEP_3)
	v_add3_u32 v46, v46, v88, v93
	v_mul_i32_i24_e32 v88, v73, v136
	v_mul_i32_i24_e32 v93, v77, v133
	v_mul_i32_i24_e32 v73, v73, v137
	v_mul_i32_i24_e32 v77, v77, v138
	v_add3_u32 v68, v68, v88, v93
	v_mul_i32_i24_e32 v88, v72, v190
	v_mul_i32_i24_e32 v93, v79, v194
	s_delay_alu instid0(VALU_DEP_4) | instskip(SKIP_2) | instid1(VALU_DEP_4)
	v_add3_u32 v71, v71, v73, v77
	;; [unrolled: 16-line block ×3, first 2 shown]
	v_bfe_i32 v82, v85, 16, 8
	v_ashrrev_i32_e32 v83, 24, v85
	v_add3_u32 v31, v31, v88, v93
	v_mul_i32_i24_e32 v88, v80, v119
	v_mul_i32_i24_e32 v93, v81, v120
	;; [unrolled: 1-line block ×3, first 2 shown]
	s_delay_alu instid0(VALU_DEP_2) | instskip(SKIP_3) | instid1(VALU_DEP_2)
	v_add3_u32 v46, v46, v88, v93
	v_mul_i32_i24_e32 v88, v78, v130
	v_mul_i32_i24_e32 v93, v86, v129
	;; [unrolled: 1-line block ×3, first 2 shown]
	v_add3_u32 v68, v68, v93, v88
	v_mul_i32_i24_e32 v88, v73, v116
	v_mul_i32_i24_e32 v93, v77, v115
	s_delay_alu instid0(VALU_DEP_1) | instskip(SKIP_2) | instid1(VALU_DEP_1)
	v_add3_u32 v74, v74, v88, v93
	v_mul_i32_i24_e32 v88, v73, v119
	v_mul_i32_i24_e32 v93, v77, v120
	v_add3_u32 v75, v75, v88, v93
	v_mul_i32_i24_e32 v88, v27, v126
	v_mul_i32_i24_e32 v93, v1, v162
	;; [unrolled: 1-line block ×4, first 2 shown]
	s_delay_alu instid0(VALU_DEP_3) | instskip(SKIP_1) | instid1(VALU_DEP_3)
	v_add3_u32 v76, v76, v93, v88
	v_mul_i32_i24_e32 v88, v83, v114
	v_add3_u32 v0, v0, v1, v27
	v_mul_i32_i24_e32 v1, v112, v73
	v_mul_i32_i24_e32 v27, v4, v77
	s_delay_alu instid0(VALU_DEP_4) | instskip(SKIP_2) | instid1(VALU_DEP_3)
	v_add3_u32 v31, v31, v85, v88
	v_mul_i32_i24_e32 v85, v82, v117
	v_mul_i32_i24_e32 v88, v83, v118
	v_cvt_f32_i32_e32 v31, v31
	s_delay_alu instid0(VALU_DEP_2) | instskip(SKIP_2) | instid1(VALU_DEP_3)
	v_add3_u32 v46, v46, v85, v88
	v_mul_i32_i24_e32 v85, v79, v126
	v_mul_i32_i24_e32 v88, v72, v162
	v_cvt_f32_i32_e32 v46, v46
	s_delay_alu instid0(VALU_DEP_2) | instskip(SKIP_1) | instid1(VALU_DEP_2)
	v_add3_u32 v68, v68, v88, v85
	v_mul_i32_i24_e32 v85, v86, v148
	v_add3_u32 v1, v68, v1, v27
	s_delay_alu instid0(VALU_DEP_2)
	v_add3_u32 v71, v71, v85, v78
	v_bfe_i32 v78, v87, 16, 8
	v_ashrrev_i32_e32 v85, 24, v87
	v_mul_i32_i24_e32 v27, v79, v142
	v_mul_i32_i24_e32 v68, v72, v5
	;; [unrolled: 1-line block ×5, first 2 shown]
	s_delay_alu instid0(VALU_DEP_4) | instskip(SKIP_2) | instid1(VALU_DEP_4)
	v_add3_u32 v27, v71, v68, v27
	v_mul_i32_i24_e32 v68, v110, v82
	v_mul_i32_i24_e32 v71, v111, v83
	v_add3_u32 v74, v74, v86, v87
	v_mul_i32_i24_e32 v86, v78, v117
	v_mul_i32_i24_e32 v87, v85, v118
	s_delay_alu instid0(VALU_DEP_1) | instskip(SKIP_2) | instid1(VALU_DEP_1)
	v_add3_u32 v75, v75, v86, v87
	v_mul_i32_i24_e32 v86, v112, v80
	v_mul_i32_i24_e32 v87, v4, v81
	v_add3_u32 v76, v76, v86, v87
	s_delay_alu instid0(VALU_DEP_1) | instskip(SKIP_1) | instid1(VALU_DEP_1)
	v_add3_u32 v68, v76, v68, v71
	v_mul_i32_i24_e32 v71, v124, v80
	v_add3_u32 v0, v0, v71, v72
	v_mul_i32_i24_e32 v71, v110, v78
	v_mul_i32_i24_e32 v72, v111, v85
	s_delay_alu instid0(VALU_DEP_1) | instskip(SKIP_2) | instid1(VALU_DEP_3)
	v_add3_u32 v1, v1, v71, v72
	v_mul_i32_i24_e32 v71, v124, v73
	v_mul_i32_i24_e32 v72, v125, v77
	v_cvt_f32_i32_e32 v1, v1
	s_delay_alu instid0(VALU_DEP_2) | instskip(SKIP_2) | instid1(VALU_DEP_1)
	v_add3_u32 v27, v27, v71, v72
	v_mul_i32_i24_e32 v71, v122, v82
	v_mul_i32_i24_e32 v72, v123, v83
	v_add3_u32 v0, v0, v71, v72
	v_mul_i32_i24_e32 v72, v123, v85
	ds_load_2addr_b32 v[85:86], v103 offset0:128 offset1:160
	v_mul_i32_i24_e32 v71, v122, v78
	v_cvt_f32_i32_e32 v0, v0
	s_delay_alu instid0(VALU_DEP_2) | instskip(NEXT) | instid1(VALU_DEP_1)
	v_add3_u32 v27, v27, v71, v72
	v_cvt_f32_i32_e32 v27, v27
	s_wait_dscnt 0x0
	v_lshrrev_b32_e32 v71, 16, v85
	s_delay_alu instid0(VALU_DEP_1) | instskip(NEXT) | instid1(VALU_DEP_1)
	v_cvt_f32_f16_e32 v71, v71
	v_mul_f32_e32 v71, 0x41000000, v71
	s_delay_alu instid0(VALU_DEP_1)
	v_fma_mix_f32 v248, v85, v0, -v71 op_sel_hi:[1,0,0]
	v_lshrrev_b32_e32 v0, 16, v86
	v_fma_mix_f32 v251, v85, v46, -v71 op_sel_hi:[1,0,0]
	v_cvt_f32_i32_e32 v46, v68
	v_cvt_f32_i32_e32 v68, v75
	v_fma_mix_f32 v31, v85, v31, -v71 op_sel_hi:[1,0,0]
	v_cvt_f32_f16_e32 v0, v0
	v_fmac_f32_e32 v24, v109, v248
	v_fma_mix_f32 v250, v85, v46, -v71 op_sel_hi:[1,0,0]
	v_cvt_f32_i32_e32 v46, v74
	s_delay_alu instid0(VALU_DEP_4) | instskip(NEXT) | instid1(VALU_DEP_1)
	v_mul_f32_e32 v0, 0x41000000, v0
	v_fma_mix_f32 v46, v86, v46, -v0 op_sel_hi:[1,0,0]
	v_fma_mix_f32 v68, v86, v68, -v0 op_sel_hi:[1,0,0]
	;; [unrolled: 1-line block ×4, first 2 shown]
	v_add_nc_u32_e32 v0, 0x1800, v102
	s_delay_alu instid0(VALU_DEP_2)
	v_fmac_f32_e32 v20, v109, v249
	ds_load_2addr_b32 v[85:86], v0 offset0:4 offset1:7
	s_wait_dscnt 0x0
	v_bfe_i32 v1, v85, 8, 8
	v_bfe_i32 v27, v85, 0, 8
	;; [unrolled: 1-line block ×3, first 2 shown]
	v_ashrrev_i32_e32 v73, 24, v85
	v_add_nc_u32_e32 v85, 0x1c04, v102
	v_mul_i32_i24_e32 v71, v1, v186
	s_delay_alu instid0(VALU_DEP_4) | instskip(NEXT) | instid1(VALU_DEP_4)
	v_mul_i32_i24_e32 v74, v72, v189
	v_mul_i32_i24_e32 v75, v73, v188
	;; [unrolled: 1-line block ×3, first 2 shown]
	s_delay_alu instid0(VALU_DEP_4) | instskip(NEXT) | instid1(VALU_DEP_1)
	v_mad_i32_i24 v71, v27, v184, v71
	v_add3_u32 v71, v71, v74, v75
	v_mul_i32_i24_e32 v74, v1, v185
	v_mul_i32_i24_e32 v75, v72, v191
	s_delay_alu instid0(VALU_DEP_2) | instskip(NEXT) | instid1(VALU_DEP_1)
	v_mad_i32_i24 v74, v27, v182, v74
	v_add3_u32 v74, v74, v75, v76
	v_add_nc_u32_e32 v75, 0x1c00, v102
	ds_load_2addr_b32 v[87:88], v75 offset0:4 offset1:7
	s_wait_dscnt 0x0
	v_bfe_i32 v76, v87, 8, 8
	v_bfe_i32 v78, v87, 0, 8
	;; [unrolled: 1-line block ×3, first 2 shown]
	v_ashrrev_i32_e32 v81, 24, v87
	s_delay_alu instid0(VALU_DEP_4) | instskip(SKIP_1) | instid1(VALU_DEP_4)
	v_mul_i32_i24_e32 v77, v76, v186
	v_mul_i32_i24_e32 v186, v157, v73
	;; [unrolled: 1-line block ×3, first 2 shown]
	s_delay_alu instid0(VALU_DEP_4)
	v_mul_i32_i24_e32 v82, v81, v188
	v_mul_i32_i24_e32 v83, v81, v192
	v_mad_i32_i24 v77, v78, v184, v77
	v_mul_i32_i24_e32 v157, v157, v81
	v_mul_i32_i24_e32 v73, v170, v73
	;; [unrolled: 1-line block ×3, first 2 shown]
	s_delay_alu instid0(VALU_DEP_4) | instskip(SKIP_2) | instid1(VALU_DEP_2)
	v_add3_u32 v77, v77, v80, v82
	v_mul_i32_i24_e32 v80, v76, v185
	v_mul_i32_i24_e32 v82, v79, v191
	v_mad_i32_i24 v80, v78, v182, v80
	s_delay_alu instid0(VALU_DEP_1)
	v_add3_u32 v80, v80, v82, v83
	v_add_nc_u32_e32 v82, 0x1804, v102
	v_add_nc_u32_e32 v83, 0x1814, v102
	ds_load_2addr_b32 v[184:185], v82 offset1:1
	ds_load_2addr_b32 v[188:189], v83 offset1:1
	;; [unrolled: 1-line block ×3, first 2 shown]
	s_wait_dscnt 0x2
	v_bfe_i32 v82, v184, 8, 8
	v_ashrrev_i32_e32 v83, 24, v184
	s_wait_dscnt 0x0
	v_ashrrev_i32_e32 v93, 24, v191
	s_delay_alu instid0(VALU_DEP_3) | instskip(NEXT) | instid1(VALU_DEP_3)
	v_mul_i32_i24_e32 v85, v82, v213
	v_mul_i32_i24_e32 v87, v83, v212
	s_delay_alu instid0(VALU_DEP_3) | instskip(NEXT) | instid1(VALU_DEP_2)
	v_mul_i32_i24_e32 v182, v93, v212
	v_add3_u32 v71, v71, v87, v85
	v_mul_i32_i24_e32 v85, v82, v214
	v_mul_i32_i24_e32 v87, v83, v215
	s_delay_alu instid0(VALU_DEP_1) | instskip(SKIP_1) | instid1(VALU_DEP_1)
	v_add3_u32 v74, v74, v87, v85
	v_bfe_i32 v85, v191, 8, 8
	v_mul_i32_i24_e32 v87, v85, v213
	s_delay_alu instid0(VALU_DEP_1) | instskip(SKIP_2) | instid1(VALU_DEP_1)
	v_add3_u32 v77, v77, v182, v87
	v_mul_i32_i24_e32 v87, v85, v214
	v_mul_i32_i24_e32 v182, v93, v215
	v_add3_u32 v80, v80, v182, v87
	v_mul_i32_i24_e32 v87, v176, v1
	v_mul_i32_i24_e32 v176, v176, v76
	;; [unrolled: 1-line block ×5, first 2 shown]
	v_mad_i32_i24 v87, v160, v27, v87
	v_mad_i32_i24 v160, v160, v78, v176
	v_mul_i32_i24_e32 v76, v187, v76
	v_mul_i32_i24_e32 v72, v166, v72
	v_mad_i32_i24 v1, v172, v27, v1
	v_add3_u32 v87, v87, v182, v186
	v_add3_u32 v153, v160, v153, v157
	v_mad_i32_i24 v27, v172, v78, v76
	v_bfe_i32 v76, v191, 0, 8
	v_bfe_i32 v160, v191, 16, 8
	;; [unrolled: 1-line block ×4, first 2 shown]
	v_add3_u32 v1, v1, v72, v73
	v_mul_i32_i24_e32 v78, v76, v206
	v_mul_i32_i24_e32 v157, v160, v227
	;; [unrolled: 1-line block ×4, first 2 shown]
	v_bfe_i32 v72, v188, 0, 8
	v_ashrrev_i32_e32 v73, 24, v188
	v_add3_u32 v77, v77, v78, v157
	v_mul_i32_i24_e32 v78, v76, v207
	v_mul_i32_i24_e32 v157, v160, v229
	v_add3_u32 v71, v71, v186, v212
	v_mul_i32_i24_e32 v186, v182, v207
	v_mul_i32_i24_e32 v212, v184, v229
	;; [unrolled: 1-line block ×3, first 2 shown]
	v_add3_u32 v78, v80, v78, v157
	v_mul_i32_i24_e32 v80, v83, v156
	v_mul_i32_i24_e32 v157, v82, v173
	v_add3_u32 v74, v74, v186, v212
	v_add3_u32 v27, v27, v79, v81
	v_add_nc_u32_e32 v79, 0x1c14, v102
	v_mul_i32_i24_e32 v82, v82, v178
	v_add3_u32 v80, v87, v80, v157
	v_mul_i32_i24_e32 v87, v72, v236
	v_mul_i32_i24_e32 v157, v73, v235
	v_add_nc_u32_e32 v102, 32, v102
	s_delay_alu instid0(VALU_DEP_2) | instskip(SKIP_2) | instid1(VALU_DEP_1)
	v_add3_u32 v71, v71, v157, v87
	v_mul_i32_i24_e32 v87, v72, v238
	v_mul_i32_i24_e32 v157, v73, v239
	v_add3_u32 v74, v74, v157, v87
	v_mul_i32_i24_e32 v87, v93, v156
	v_mul_i32_i24_e32 v156, v85, v173
	;; [unrolled: 1-line block ×3, first 2 shown]
	s_delay_alu instid0(VALU_DEP_2) | instskip(SKIP_4) | instid1(VALU_DEP_2)
	v_add3_u32 v87, v153, v87, v156
	ds_load_2addr_b32 v[156:157], v79 offset1:1
	s_wait_dscnt 0x0
	v_bfe_i32 v79, v156, 0, 8
	v_ashrrev_i32_e32 v153, 24, v156
	v_mul_i32_i24_e32 v81, v79, v236
	s_delay_alu instid0(VALU_DEP_2) | instskip(NEXT) | instid1(VALU_DEP_1)
	v_mul_i32_i24_e32 v166, v153, v235
	v_add3_u32 v77, v77, v166, v81
	v_mul_i32_i24_e32 v81, v79, v238
	v_mul_i32_i24_e32 v166, v153, v239
	s_delay_alu instid0(VALU_DEP_1) | instskip(SKIP_3) | instid1(VALU_DEP_2)
	v_add3_u32 v78, v78, v166, v81
	v_mul_i32_i24_e32 v81, v182, v150
	v_mul_i32_i24_e32 v166, v184, v145
	;; [unrolled: 1-line block ×3, first 2 shown]
	v_add3_u32 v80, v80, v81, v166
	v_mul_i32_i24_e32 v81, v83, v165
	s_delay_alu instid0(VALU_DEP_1) | instskip(SKIP_2) | instid1(VALU_DEP_2)
	v_add3_u32 v1, v1, v81, v82
	v_bfe_i32 v81, v188, 8, 8
	v_bfe_i32 v82, v188, 16, 8
	v_mul_i32_i24_e32 v83, v81, v222
	s_delay_alu instid0(VALU_DEP_2) | instskip(NEXT) | instid1(VALU_DEP_1)
	v_mul_i32_i24_e32 v166, v82, v234
	v_add3_u32 v71, v71, v83, v166
	v_mul_i32_i24_e32 v83, v81, v223
	v_mul_i32_i24_e32 v166, v82, v237
	s_delay_alu instid0(VALU_DEP_1) | instskip(SKIP_2) | instid1(VALU_DEP_2)
	v_add3_u32 v74, v74, v83, v166
	v_mul_i32_i24_e32 v83, v76, v150
	v_mul_i32_i24_e32 v76, v76, v163
	v_add3_u32 v83, v87, v83, v145
	v_mul_i32_i24_e32 v87, v93, v165
	v_bfe_i32 v93, v156, 16, 8
	s_delay_alu instid0(VALU_DEP_2) | instskip(SKIP_1) | instid1(VALU_DEP_3)
	v_add3_u32 v27, v27, v87, v85
	v_bfe_i32 v85, v156, 8, 8
	v_mul_i32_i24_e32 v145, v93, v234
	s_delay_alu instid0(VALU_DEP_2) | instskip(NEXT) | instid1(VALU_DEP_1)
	v_mul_i32_i24_e32 v87, v85, v222
	v_add3_u32 v77, v77, v87, v145
	v_mul_i32_i24_e32 v87, v85, v223
	v_mul_i32_i24_e32 v145, v93, v237
	s_delay_alu instid0(VALU_DEP_1)
	v_add3_u32 v78, v78, v87, v145
	v_mul_i32_i24_e32 v87, v72, v146
	v_mul_i32_i24_e32 v145, v73, v143
	;; [unrolled: 1-line block ×6, first 2 shown]
	v_add3_u32 v80, v80, v145, v87
	v_mul_i32_i24_e32 v87, v182, v163
	v_mul_i32_i24_e32 v145, v184, v159
	v_add3_u32 v83, v83, v143, v146
	v_mul_i32_i24_e32 v143, v160, v159
	v_ashrrev_i32_e32 v146, 24, v192
	v_mul_i32_i24_e32 v79, v79, v158
	v_add3_u32 v1, v1, v87, v145
	v_bfe_i32 v87, v185, 8, 8
	v_ashrrev_i32_e32 v145, 24, v185
	v_add3_u32 v27, v27, v76, v143
	v_bfe_i32 v76, v192, 8, 8
	v_add3_u32 v1, v1, v73, v72
	v_mul_i32_i24_e32 v150, v87, v231
	v_mul_i32_i24_e32 v156, v145, v230
	v_bfe_i32 v72, v185, 0, 8
	v_mul_i32_i24_e32 v143, v76, v231
	v_bfe_i32 v73, v185, 16, 8
	s_delay_alu instid0(VALU_DEP_4) | instskip(SKIP_2) | instid1(VALU_DEP_1)
	v_add3_u32 v71, v71, v156, v150
	v_mul_i32_i24_e32 v150, v87, v232
	v_mul_i32_i24_e32 v156, v145, v233
	v_add3_u32 v74, v74, v156, v150
	v_mul_i32_i24_e32 v150, v146, v230
	s_delay_alu instid0(VALU_DEP_1) | instskip(SKIP_2) | instid1(VALU_DEP_1)
	v_add3_u32 v77, v77, v150, v143
	v_mul_i32_i24_e32 v143, v76, v232
	v_mul_i32_i24_e32 v150, v146, v233
	v_add3_u32 v78, v78, v150, v143
	v_mul_i32_i24_e32 v143, v82, v134
	v_mul_i32_i24_e32 v150, v81, v175
	;; [unrolled: 1-line block ×6, first 2 shown]
	v_add3_u32 v80, v80, v150, v143
	v_mul_i32_i24_e32 v143, v72, v216
	v_mul_i32_i24_e32 v150, v73, v226
	v_add3_u32 v1, v1, v81, v82
	v_bfe_i32 v81, v189, 0, 8
	v_ashrrev_i32_e32 v82, 24, v189
	s_delay_alu instid0(VALU_DEP_4) | instskip(SKIP_2) | instid1(VALU_DEP_1)
	v_add3_u32 v71, v71, v143, v150
	v_mul_i32_i24_e32 v143, v72, v218
	v_mul_i32_i24_e32 v150, v73, v228
	v_add3_u32 v74, v74, v143, v150
	v_mul_i32_i24_e32 v143, v85, v175
	v_mul_i32_i24_e32 v85, v85, v174
	s_delay_alu instid0(VALU_DEP_2) | instskip(SKIP_1) | instid1(VALU_DEP_1)
	v_add3_u32 v83, v83, v143, v134
	v_mul_i32_i24_e32 v134, v153, v161
	v_add3_u32 v27, v27, v134, v79
	v_bfe_i32 v79, v192, 0, 8
	v_bfe_i32 v134, v192, 16, 8
	s_delay_alu instid0(VALU_DEP_3) | instskip(NEXT) | instid1(VALU_DEP_3)
	v_add3_u32 v27, v27, v85, v93
	v_mul_i32_i24_e32 v143, v79, v216
	s_delay_alu instid0(VALU_DEP_3) | instskip(SKIP_1) | instid1(VALU_DEP_2)
	v_mul_i32_i24_e32 v150, v134, v226
	v_bfe_i32 v85, v157, 0, 8
	v_add3_u32 v77, v77, v143, v150
	v_mul_i32_i24_e32 v143, v79, v218
	v_mul_i32_i24_e32 v150, v134, v228
	s_delay_alu instid0(VALU_DEP_4) | instskip(NEXT) | instid1(VALU_DEP_2)
	v_mul_i32_i24_e32 v93, v85, v221
	v_add3_u32 v78, v78, v143, v150
	v_mul_i32_i24_e32 v143, v145, v135
	v_mul_i32_i24_e32 v150, v87, v171
	;; [unrolled: 1-line block ×4, first 2 shown]
	s_delay_alu instid0(VALU_DEP_3) | instskip(SKIP_2) | instid1(VALU_DEP_1)
	v_add3_u32 v80, v80, v143, v150
	v_mul_i32_i24_e32 v143, v81, v221
	v_mul_i32_i24_e32 v150, v82, v220
	v_add3_u32 v71, v71, v150, v143
	v_mul_i32_i24_e32 v143, v81, v224
	v_mul_i32_i24_e32 v150, v82, v225
	s_delay_alu instid0(VALU_DEP_1) | instskip(SKIP_2) | instid1(VALU_DEP_2)
	v_add3_u32 v74, v74, v150, v143
	v_mul_i32_i24_e32 v143, v76, v171
	v_mul_i32_i24_e32 v76, v76, v177
	v_add3_u32 v83, v83, v135, v143
	v_ashrrev_i32_e32 v135, 24, v157
	s_delay_alu instid0(VALU_DEP_1) | instskip(NEXT) | instid1(VALU_DEP_1)
	v_mul_i32_i24_e32 v143, v135, v220
	v_add3_u32 v77, v77, v143, v93
	v_mul_i32_i24_e32 v93, v85, v224
	v_mul_i32_i24_e32 v143, v135, v225
	s_delay_alu instid0(VALU_DEP_1)
	v_add3_u32 v78, v78, v143, v93
	v_mul_i32_i24_e32 v93, v72, v132
	v_mul_i32_i24_e32 v143, v73, v131
	;; [unrolled: 1-line block ×6, first 2 shown]
	v_add3_u32 v80, v80, v93, v143
	v_mul_i32_i24_e32 v93, v145, v151
	v_add3_u32 v83, v83, v132, v131
	v_mul_i32_i24_e32 v131, v146, v151
	v_mul_i32_i24_e32 v79, v79, v144
	s_delay_alu instid0(VALU_DEP_4)
	v_add3_u32 v1, v1, v93, v87
	v_bfe_i32 v87, v189, 8, 8
	v_bfe_i32 v93, v189, 16, 8
	v_add3_u32 v27, v27, v131, v76
	v_bfe_i32 v76, v157, 8, 8
	v_add3_u32 v1, v1, v72, v73
	v_mul_i32_i24_e32 v143, v87, v203
	v_mul_i32_i24_e32 v145, v93, v217
	s_delay_alu instid0(VALU_DEP_4) | instskip(NEXT) | instid1(VALU_DEP_2)
	v_mul_i32_i24_e32 v131, v76, v203
	v_add3_u32 v71, v71, v143, v145
	v_mul_i32_i24_e32 v143, v87, v205
	v_mul_i32_i24_e32 v145, v93, v219
	s_delay_alu instid0(VALU_DEP_1) | instskip(SKIP_1) | instid1(VALU_DEP_1)
	v_add3_u32 v74, v74, v143, v145
	v_bfe_i32 v143, v157, 16, 8
	v_mul_i32_i24_e32 v132, v143, v217
	s_delay_alu instid0(VALU_DEP_1) | instskip(SKIP_2) | instid1(VALU_DEP_1)
	v_add3_u32 v77, v77, v131, v132
	v_mul_i32_i24_e32 v131, v76, v205
	v_mul_i32_i24_e32 v132, v143, v219
	v_add3_u32 v78, v78, v131, v132
	v_mul_i32_i24_e32 v131, v81, v128
	v_mul_i32_i24_e32 v132, v82, v127
	;; [unrolled: 1-line block ×3, first 2 shown]
	s_delay_alu instid0(VALU_DEP_2) | instskip(SKIP_4) | instid1(VALU_DEP_2)
	v_add3_u32 v80, v80, v132, v131
	ds_load_2addr_b32 v[131:132], v0 offset1:3
	s_wait_dscnt 0x0
	v_bfe_i32 v0, v132, 8, 8
	v_ashrrev_i32_e32 v72, 24, v132
	v_mul_i32_i24_e32 v73, v0, v209
	s_delay_alu instid0(VALU_DEP_2) | instskip(NEXT) | instid1(VALU_DEP_1)
	v_mul_i32_i24_e32 v145, v72, v208
	v_add3_u32 v71, v71, v145, v73
	v_mul_i32_i24_e32 v73, v0, v210
	v_mul_i32_i24_e32 v145, v72, v211
	s_delay_alu instid0(VALU_DEP_1) | instskip(SKIP_1) | instid1(VALU_DEP_1)
	v_add3_u32 v73, v74, v145, v73
	v_mul_i32_i24_e32 v74, v85, v128
	v_add3_u32 v74, v83, v127, v74
	ds_load_2addr_b32 v[127:128], v75 offset1:3
	v_mul_i32_i24_e32 v83, v134, v139
	s_delay_alu instid0(VALU_DEP_1) | instskip(SKIP_3) | instid1(VALU_DEP_2)
	v_add3_u32 v27, v27, v79, v83
	s_wait_dscnt 0x0
	v_bfe_i32 v75, v128, 8, 8
	v_ashrrev_i32_e32 v83, 24, v128
	v_mul_i32_i24_e32 v79, v75, v209
	s_delay_alu instid0(VALU_DEP_2) | instskip(NEXT) | instid1(VALU_DEP_1)
	v_mul_i32_i24_e32 v134, v83, v208
	v_add3_u32 v77, v77, v134, v79
	v_mul_i32_i24_e32 v79, v75, v210
	v_mul_i32_i24_e32 v134, v83, v211
	s_delay_alu instid0(VALU_DEP_1) | instskip(SKIP_3) | instid1(VALU_DEP_2)
	v_add3_u32 v78, v78, v134, v79
	v_mul_i32_i24_e32 v79, v93, v121
	v_mul_i32_i24_e32 v134, v87, v168
	;; [unrolled: 1-line block ×3, first 2 shown]
	v_add3_u32 v79, v80, v134, v79
	v_mul_i32_i24_e32 v80, v81, v155
	v_mul_i32_i24_e32 v81, v82, v154
	s_delay_alu instid0(VALU_DEP_1) | instskip(SKIP_2) | instid1(VALU_DEP_2)
	v_add3_u32 v1, v1, v81, v80
	v_bfe_i32 v80, v132, 0, 8
	v_bfe_i32 v81, v132, 16, 8
	v_mul_i32_i24_e32 v82, v80, v195
	s_delay_alu instid0(VALU_DEP_2) | instskip(NEXT) | instid1(VALU_DEP_1)
	v_mul_i32_i24_e32 v132, v81, v202
	v_add3_u32 v71, v71, v82, v132
	v_mul_i32_i24_e32 v82, v80, v196
	v_mul_i32_i24_e32 v132, v81, v204
	s_delay_alu instid0(VALU_DEP_1) | instskip(SKIP_3) | instid1(VALU_DEP_2)
	v_add3_u32 v73, v73, v82, v132
	v_mul_i32_i24_e32 v82, v143, v121
	v_mul_i32_i24_e32 v121, v76, v168
	;; [unrolled: 1-line block ×3, first 2 shown]
	v_add3_u32 v74, v74, v121, v82
	v_mul_i32_i24_e32 v82, v85, v155
	v_mul_i32_i24_e32 v85, v135, v154
	v_bfe_i32 v121, v128, 16, 8
	s_delay_alu instid0(VALU_DEP_2) | instskip(SKIP_1) | instid1(VALU_DEP_3)
	v_add3_u32 v27, v27, v85, v82
	v_bfe_i32 v82, v128, 0, 8
	v_mul_i32_i24_e32 v128, v121, v202
	s_delay_alu instid0(VALU_DEP_2) | instskip(NEXT) | instid1(VALU_DEP_1)
	v_mul_i32_i24_e32 v85, v82, v195
	v_add3_u32 v77, v77, v85, v128
	v_mul_i32_i24_e32 v85, v82, v196
	v_mul_i32_i24_e32 v128, v121, v204
	s_delay_alu instid0(VALU_DEP_1) | instskip(SKIP_4) | instid1(VALU_DEP_3)
	v_add3_u32 v78, v78, v85, v128
	v_mul_i32_i24_e32 v85, v72, v140
	v_mul_i32_i24_e32 v128, v0, v164
	;; [unrolled: 1-line block ×4, first 2 shown]
	v_add3_u32 v79, v79, v85, v128
	v_mul_i32_i24_e32 v85, v93, v149
	s_delay_alu instid0(VALU_DEP_1) | instskip(SKIP_2) | instid1(VALU_DEP_3)
	v_add3_u32 v1, v1, v87, v85
	v_bfe_i32 v85, v86, 0, 8
	v_ashrrev_i32_e32 v87, 24, v86
	v_add3_u32 v0, v1, v72, v0
	s_delay_alu instid0(VALU_DEP_3) | instskip(NEXT) | instid1(VALU_DEP_3)
	v_mul_i32_i24_e32 v93, v85, v199
	v_mul_i32_i24_e32 v128, v87, v198
	v_bfe_i32 v1, v86, 8, 8
	v_bfe_i32 v72, v86, 16, 8
	s_delay_alu instid0(VALU_DEP_3) | instskip(SKIP_3) | instid1(VALU_DEP_2)
	v_add3_u32 v71, v71, v128, v93
	v_mul_i32_i24_e32 v93, v85, v200
	v_mul_i32_i24_e32 v128, v87, v201
	;; [unrolled: 1-line block ×3, first 2 shown]
	v_add3_u32 v73, v73, v128, v93
	v_mul_i32_i24_e32 v93, v83, v140
	v_mul_i32_i24_e32 v128, v75, v164
	v_mul_i32_i24_e32 v83, v83, v141
	v_mul_i32_i24_e32 v75, v75, v169
	s_delay_alu instid0(VALU_DEP_3) | instskip(SKIP_2) | instid1(VALU_DEP_2)
	v_add3_u32 v74, v74, v93, v128
	v_mul_i32_i24_e32 v93, v143, v149
	v_ashrrev_i32_e32 v128, 24, v88
	v_add3_u32 v27, v27, v76, v93
	v_bfe_i32 v76, v88, 0, 8
	s_delay_alu instid0(VALU_DEP_3) | instskip(NEXT) | instid1(VALU_DEP_3)
	v_mul_i32_i24_e32 v132, v128, v198
	v_add3_u32 v27, v27, v83, v75
	s_delay_alu instid0(VALU_DEP_3) | instskip(SKIP_2) | instid1(VALU_DEP_3)
	v_mul_i32_i24_e32 v93, v76, v199
	v_bfe_i32 v75, v88, 8, 8
	v_bfe_i32 v83, v88, 16, 8
	v_add3_u32 v77, v77, v132, v93
	v_mul_i32_i24_e32 v93, v76, v200
	v_mul_i32_i24_e32 v132, v128, v201
	s_delay_alu instid0(VALU_DEP_4) | instskip(NEXT) | instid1(VALU_DEP_2)
	v_mul_i32_i24_e32 v88, v83, v194
	v_add3_u32 v78, v78, v132, v93
	v_mul_i32_i24_e32 v93, v80, v136
	v_mul_i32_i24_e32 v132, v81, v133
	;; [unrolled: 1-line block ×4, first 2 shown]
	s_delay_alu instid0(VALU_DEP_3) | instskip(SKIP_1) | instid1(VALU_DEP_3)
	v_add3_u32 v79, v79, v93, v132
	v_mul_i32_i24_e32 v93, v72, v194
	v_add3_u32 v0, v0, v80, v81
	v_bfe_i32 v80, v131, 0, 8
	v_bfe_i32 v81, v131, 8, 8
	s_delay_alu instid0(VALU_DEP_4) | instskip(SKIP_2) | instid1(VALU_DEP_1)
	v_add3_u32 v71, v71, v86, v93
	v_mul_i32_i24_e32 v86, v1, v193
	v_mul_i32_i24_e32 v93, v72, v197
	v_add3_u32 v73, v73, v86, v93
	v_mul_i32_i24_e32 v86, v82, v136
	v_mul_i32_i24_e32 v93, v121, v133
	;; [unrolled: 1-line block ×3, first 2 shown]
	s_delay_alu instid0(VALU_DEP_2) | instskip(SKIP_1) | instid1(VALU_DEP_1)
	v_add3_u32 v74, v74, v86, v93
	v_mul_i32_i24_e32 v86, v75, v190
	v_add3_u32 v77, v77, v86, v88
	v_mul_i32_i24_e32 v86, v75, v193
	v_mul_i32_i24_e32 v88, v83, v197
	s_delay_alu instid0(VALU_DEP_1) | instskip(SKIP_3) | instid1(VALU_DEP_2)
	v_add3_u32 v78, v78, v86, v88
	v_mul_i32_i24_e32 v86, v85, v130
	v_mul_i32_i24_e32 v88, v87, v129
	;; [unrolled: 1-line block ×3, first 2 shown]
	v_add3_u32 v79, v79, v88, v86
	v_mul_i32_i24_e32 v86, v80, v116
	v_mul_i32_i24_e32 v88, v81, v115
	s_delay_alu instid0(VALU_DEP_1) | instskip(SKIP_2) | instid1(VALU_DEP_1)
	v_add3_u32 v71, v71, v86, v88
	v_mul_i32_i24_e32 v86, v80, v119
	v_mul_i32_i24_e32 v88, v81, v120
	v_add3_u32 v73, v73, v86, v88
	v_mul_i32_i24_e32 v86, v76, v130
	v_mul_i32_i24_e32 v88, v128, v129
	;; [unrolled: 1-line block ×3, first 2 shown]
	s_delay_alu instid0(VALU_DEP_2) | instskip(SKIP_2) | instid1(VALU_DEP_2)
	v_add3_u32 v74, v74, v88, v86
	v_mul_i32_i24_e32 v86, v121, v138
	v_bfe_i32 v88, v127, 8, 8
	v_add3_u32 v27, v27, v82, v86
	v_bfe_i32 v82, v127, 0, 8
	s_delay_alu instid0(VALU_DEP_3) | instskip(NEXT) | instid1(VALU_DEP_2)
	v_mul_i32_i24_e32 v93, v88, v115
	v_mul_i32_i24_e32 v86, v82, v116
	s_delay_alu instid0(VALU_DEP_1) | instskip(SKIP_2) | instid1(VALU_DEP_1)
	v_add3_u32 v77, v77, v86, v93
	v_mul_i32_i24_e32 v86, v82, v119
	v_mul_i32_i24_e32 v93, v88, v120
	v_add3_u32 v78, v78, v86, v93
	v_mul_i32_i24_e32 v86, v72, v126
	v_mul_i32_i24_e32 v93, v1, v162
	v_mul_i32_i24_e32 v72, v72, v142
	v_mul_i32_i24_e32 v1, v1, v5
	v_mul_i32_i24_e32 v5, v75, v5
	s_delay_alu instid0(VALU_DEP_4) | instskip(SKIP_1) | instid1(VALU_DEP_1)
	v_add3_u32 v79, v79, v93, v86
	v_mul_i32_i24_e32 v86, v87, v148
	v_add3_u32 v0, v0, v86, v85
	v_bfe_i32 v85, v131, 16, 8
	v_ashrrev_i32_e32 v86, 24, v131
	s_delay_alu instid0(VALU_DEP_3) | instskip(NEXT) | instid1(VALU_DEP_3)
	v_add3_u32 v0, v0, v1, v72
	v_mul_i32_i24_e32 v87, v85, v113
	s_delay_alu instid0(VALU_DEP_3) | instskip(SKIP_2) | instid1(VALU_DEP_3)
	v_mul_i32_i24_e32 v93, v86, v114
	v_mul_i32_i24_e32 v1, v112, v82
	;; [unrolled: 1-line block ×3, first 2 shown]
	v_add3_u32 v71, v71, v87, v93
	v_mul_i32_i24_e32 v87, v85, v117
	v_mul_i32_i24_e32 v93, v86, v118
	s_delay_alu instid0(VALU_DEP_3) | instskip(NEXT) | instid1(VALU_DEP_2)
	v_cvt_f32_i32_e32 v71, v71
	v_add3_u32 v73, v73, v87, v93
	v_mul_i32_i24_e32 v87, v83, v126
	v_mul_i32_i24_e32 v93, v75, v162
	s_delay_alu instid0(VALU_DEP_3) | instskip(NEXT) | instid1(VALU_DEP_2)
	v_cvt_f32_i32_e32 v73, v73
	v_add3_u32 v74, v74, v93, v87
	v_mul_i32_i24_e32 v87, v128, v148
	s_delay_alu instid0(VALU_DEP_1) | instskip(SKIP_2) | instid1(VALU_DEP_2)
	v_add3_u32 v27, v27, v87, v76
	v_bfe_i32 v76, v127, 16, 8
	v_ashrrev_i32_e32 v87, 24, v127
	v_mul_i32_i24_e32 v93, v76, v113
	s_delay_alu instid0(VALU_DEP_2) | instskip(NEXT) | instid1(VALU_DEP_1)
	v_mul_i32_i24_e32 v113, v87, v114
	v_add3_u32 v77, v77, v93, v113
	v_mul_i32_i24_e32 v93, v76, v117
	v_mul_i32_i24_e32 v113, v87, v118
	s_delay_alu instid0(VALU_DEP_1) | instskip(SKIP_3) | instid1(VALU_DEP_4)
	v_add3_u32 v78, v78, v93, v113
	v_mul_i32_i24_e32 v113, v4, v81
	v_mul_i32_i24_e32 v4, v4, v88
	;; [unrolled: 1-line block ×3, first 2 shown]
	v_cvt_f32_i32_e32 v75, v78
	s_delay_alu instid0(VALU_DEP_3) | instskip(SKIP_1) | instid1(VALU_DEP_4)
	v_add3_u32 v1, v74, v1, v4
	v_mul_i32_i24_e32 v4, v83, v142
	v_add3_u32 v79, v79, v93, v113
	s_delay_alu instid0(VALU_DEP_2) | instskip(SKIP_2) | instid1(VALU_DEP_1)
	v_add3_u32 v4, v27, v5, v4
	v_mul_i32_i24_e32 v5, v110, v85
	v_mul_i32_i24_e32 v27, v111, v86
	v_add3_u32 v27, v79, v5, v27
	v_mul_i32_i24_e32 v5, v124, v80
	s_delay_alu instid0(VALU_DEP_2) | instskip(NEXT) | instid1(VALU_DEP_2)
	v_cvt_f32_i32_e32 v27, v27
	v_add3_u32 v0, v0, v5, v72
	v_mul_i32_i24_e32 v5, v110, v76
	v_mul_i32_i24_e32 v72, v111, v87
	s_delay_alu instid0(VALU_DEP_1) | instskip(SKIP_2) | instid1(VALU_DEP_3)
	v_add3_u32 v1, v1, v5, v72
	v_mul_i32_i24_e32 v5, v124, v82
	v_mul_i32_i24_e32 v72, v125, v88
	v_cvt_f32_i32_e32 v1, v1
	s_delay_alu instid0(VALU_DEP_2) | instskip(SKIP_2) | instid1(VALU_DEP_1)
	v_add3_u32 v4, v4, v5, v72
	v_mul_i32_i24_e32 v5, v122, v85
	v_mul_i32_i24_e32 v72, v123, v86
	v_add3_u32 v0, v0, v5, v72
	v_mul_i32_i24_e32 v5, v122, v76
	v_mul_i32_i24_e32 v72, v123, v87
	s_delay_alu instid0(VALU_DEP_3) | instskip(NEXT) | instid1(VALU_DEP_2)
	v_cvt_f32_i32_e32 v0, v0
	v_add3_u32 v72, v4, v5, v72
	ds_load_2addr_b32 v[4:5], v103 offset0:192 offset1:224
	v_add_nc_u32_e32 v103, 4, v103
	v_cvt_f32_i32_e32 v72, v72
	s_wait_dscnt 0x0
	v_lshrrev_b32_e32 v74, 16, v4
	s_delay_alu instid0(VALU_DEP_1) | instskip(NEXT) | instid1(VALU_DEP_1)
	v_cvt_f32_f16_e32 v74, v74
	v_mul_f32_e32 v74, 0x41000000, v74
	s_delay_alu instid0(VALU_DEP_1)
	v_fma_mix_f32 v71, v4, v71, -v74 op_sel_hi:[1,0,0]
	v_fma_mix_f32 v73, v4, v73, -v74 op_sel_hi:[1,0,0]
	;; [unrolled: 1-line block ×4, first 2 shown]
	v_lshrrev_b32_e32 v4, 16, v5
	v_cvt_f32_i32_e32 v74, v77
	s_delay_alu instid0(VALU_DEP_3) | instskip(NEXT) | instid1(VALU_DEP_3)
	v_fmac_f32_e32 v16, v109, v0
	v_cvt_f32_f16_e32 v4, v4
	s_delay_alu instid0(VALU_DEP_1) | instskip(NEXT) | instid1(VALU_DEP_1)
	v_mul_f32_e32 v4, 0x41000000, v4
	v_fma_mix_f32 v74, v5, v74, -v4 op_sel_hi:[1,0,0]
	v_fma_mix_f32 v75, v5, v75, -v4 op_sel_hi:[1,0,0]
	;; [unrolled: 1-line block ×4, first 2 shown]
	ds_load_b32 v5, v106
	v_add_nc_u32_e32 v106, 4, v106
	v_fmac_f32_e32 v12, v109, v4
	s_wait_dscnt 0x0
	v_fmac_f32_e32 v49, v5, v181
	v_fmac_f32_e32 v34, v5, v245
	;; [unrolled: 1-line block ×8, first 2 shown]
	ds_load_b32 v5, v107
	s_wait_dscnt 0x0
	v_dual_fmac_f32 v48, v5, v9 :: v_dual_add_nc_u32 v107, 4, v107
	v_fmac_f32_e32 v33, v5, v243
	v_fmac_f32_e32 v26, v5, v246
	;; [unrolled: 1-line block ×7, first 2 shown]
	ds_load_b32 v5, v104
	v_add_nc_u32_e32 v104, 4, v104
	s_wait_dscnt 0x0
	v_fmac_f32_e32 v36, v5, v7
	v_fmac_f32_e32 v43, v5, v179
	v_fmac_f32_e32 v37, v5, v241
	v_fmac_f32_e32 v32, v5, v244
	v_fmac_f32_e32 v25, v5, v250
	v_fmac_f32_e32 v21, v5, v252
	v_fmac_f32_e32 v17, v5, v27
	v_fmac_f32_e32 v13, v5, v1
	s_cbranch_scc1 .LBB157_8
; %bb.9:                                ;   in Loop: Header=BB157_6 Depth=1
	s_and_b32 s12, s5, -4
	s_wait_loadcnt 0x0
	s_wait_alu 0xfffe
	s_cmp_eq_u32 s12, 4
	s_barrier_signal -1
	s_barrier_wait -1
	global_inv scope:SCOPE_SE
	s_cbranch_scc1 .LBB157_5
; %bb.10:                               ;   in Loop: Header=BB157_6 Depth=1
	s_clause 0x3
	scratch_load_b32 v0, off, off offset:72
	scratch_load_b32 v1, off, off offset:4
	;; [unrolled: 1-line block ×4, first 2 shown]
	s_mov_b32 s12, 12
	s_wait_loadcnt 0x3
	v_add_nc_u32_e32 v0, s10, v0
	s_wait_loadcnt 0x1
	s_delay_alu instid0(VALU_DEP_1)
	v_add_nc_u32_e32 v6, v0, v4
	scratch_load_b32 v4, off, off offset:12 ; 4-byte Folded Reload
	v_add_nc_u32_e32 v1, v0, v1
	v_mad_co_i64_i32 v[6:7], null, v6, 36, v[2:3]
	s_wait_loadcnt 0x0
	v_add_nc_u32_e32 v8, v0, v4
	scratch_load_b32 v4, off, off offset:16 ; 4-byte Folded Reload
	v_mad_co_i64_i32 v[8:9], null, v8, 36, v[2:3]
	s_wait_loadcnt 0x0
	v_add_nc_u32_e32 v27, v0, v4
	v_mad_co_i64_i32 v[4:5], null, v1, 36, v[2:3]
	scratch_load_b32 v1, off, off offset:20 ; 4-byte Folded Reload
	v_mad_co_i64_i32 v[85:86], null, v27, 36, v[2:3]
	scratch_load_b32 v27, off, off offset:32 ; 4-byte Folded Reload
	s_wait_loadcnt 0x1
	v_add_nc_u32_e32 v1, v0, v1
	s_wait_loadcnt 0x0
	v_add_nc_u32_e32 v27, v0, v27
	s_delay_alu instid0(VALU_DEP_2) | instskip(SKIP_3) | instid1(VALU_DEP_1)
	v_mad_co_i64_i32 v[87:88], null, v1, 36, v[2:3]
	scratch_load_b32 v1, off, off offset:24 ; 4-byte Folded Reload
	v_mad_co_i64_i32 v[102:103], null, v27, 36, v[2:3]
	v_add_nc_u32_e32 v27, 4, v101
	v_mad_co_u64_u32 v[108:109], null, v27, 36, s[2:3]
	s_wait_loadcnt 0x0
	v_add_nc_u32_e32 v1, v0, v1
	v_add_nc_u32_e32 v0, v0, v31
	s_delay_alu instid0(VALU_DEP_2) | instskip(NEXT) | instid1(VALU_DEP_2)
	v_mad_co_i64_i32 v[104:105], null, v1, 36, v[2:3]
	v_mad_co_i64_i32 v[106:107], null, v0, 36, v[2:3]
	s_clause 0x8
	global_load_b32 v0, v[102:103], off offset:4
	global_load_b32 v1, v[4:5], off offset:4
	;; [unrolled: 1-line block ×8, first 2 shown]
	global_load_b32 v27, v[108:109], off
	s_clause 0x4
	scratch_load_b32 v101, off, off offset:36
	scratch_load_b32 v103, off, off offset:88
	;; [unrolled: 1-line block ×5, first 2 shown]
	v_mov_b32_e32 v102, v84
	v_mad_u32_u24 v107, 0x84, v28, 64
	s_wait_loadcnt 0xd
	ds_store_b32 v100, v0
	scratch_load_b32 v0, off, off offset:40 ; 4-byte Folded Reload
	s_wait_loadcnt 0x0
	ds_store_b32 v0, v1
	ds_store_b32 v94, v4
	;; [unrolled: 1-line block ×7, first 2 shown]
	scratch_load_b32 v0, off, off           ; 4-byte Folded Reload
	s_wait_loadcnt 0x0
	ds_store_b32 v0, v27
	s_wait_dscnt 0x0
	s_barrier_signal -1
	s_barrier_wait -1
	global_inv scope:SCOPE_SE
.LBB157_11:                             ;   Parent Loop BB157_6 Depth=1
                                        ; =>  This Inner Loop Header: Depth=2
	ds_load_2addr_b32 v[4:5], v102 offset0:4 offset1:7
	ds_load_2addr_b32 v[85:86], v107 offset1:1
	ds_load_2addr_b32 v[87:88], v102 offset1:3
	ds_load_b32 v108, v104
	ds_load_2addr_b32 v[140:141], v102 offset0:1 offset1:2
	ds_load_2addr_b32 v[166:167], v102 offset0:5 offset1:6
	;; [unrolled: 1-line block ×3, first 2 shown]
	v_add_nc_u32_e32 v136, 0x400, v102
	v_add_nc_u32_e32 v104, 4, v104
	s_wait_alu 0xfffe
	s_add_co_i32 s12, s12, 4
	s_wait_alu 0xfffe
	s_cmp_lt_u32 s12, 28
	s_wait_dscnt 0x6
	v_bfe_i32 v0, v4, 16, 8
	s_wait_dscnt 0x5
	v_bfe_u32 v152, v85, 20, 4
	s_wait_dscnt 0x4
	v_bfe_i32 v1, v87, 16, 8
	v_bfe_u32 v109, v85, 16, 4
	s_wait_dscnt 0x2
	v_bfe_i32 v27, v140, 16, 8
	v_bfe_u32 v144, v86, 16, 4
	v_mul_i32_i24_e32 v6, v152, v0
	s_wait_dscnt 0x1
	v_bfe_i32 v31, v166, 16, 8
	v_bfe_u32 v133, v86, 20, 4
	v_lshrrev_b32_e32 v156, 28, v85
	v_mul_i32_i24_e32 v7, v27, v144
	v_mad_i32_i24 v6, v109, v1, v6
	v_ashrrev_i32_e32 v46, 24, v4
	v_mul_i32_i24_e32 v8, v31, v133
	v_bfe_u32 v110, v85, 24, 4
	v_ashrrev_i32_e32 v68, 24, v87
	v_bfe_u32 v155, v86, 24, 4
	v_lshrrev_b32_e32 v142, 28, v86
	v_add3_u32 v6, v6, v7, v8
	v_mul_i32_i24_e32 v7, v156, v46
	v_ashrrev_i32_e32 v71, 24, v140
	v_ashrrev_i32_e32 v72, 24, v166
	v_bfe_i32 v73, v4, 0, 8
	v_bfe_u32 v159, v85, 4, 4
	v_mad_i32_i24 v7, v110, v68, v7
	v_mul_i32_i24_e32 v8, v71, v155
	v_mul_i32_i24_e32 v9, v72, v142
	v_bfe_i32 v74, v87, 0, 8
	v_and_b32_e32 v111, 15, v85
	v_bfe_i32 v75, v140, 0, 8
	v_and_b32_e32 v149, 15, v86
	v_add3_u32 v7, v7, v8, v9
	v_mul_i32_i24_e32 v8, v159, v73
	v_bfe_i32 v76, v166, 0, 8
	v_bfe_u32 v145, v86, 4, 4
	v_mul_i32_i24_e32 v9, v75, v149
	s_wait_dscnt 0x0
	v_bfe_u32 v134, v179, 24, 4
	v_mad_i32_i24 v8, v111, v74, v8
	v_lshrrev_b32_e32 v126, 28, v179
	v_mul_i32_i24_e32 v77, v76, v145
	v_ashrrev_i32_e32 v178, 24, v167
	v_bfe_i32 v79, v141, 16, 8
	v_bfe_u32 v130, v179, 16, 4
	v_bfe_i32 v80, v167, 16, 8
	v_add3_u32 v8, v8, v9, v77
	v_ashrrev_i32_e32 v77, 24, v141
	v_mul_i32_i24_e32 v78, v178, v126
	v_bfe_u32 v120, v179, 20, 4
	v_bfe_i32 v82, v141, 0, 8
	v_and_b32_e32 v131, 15, v179
	v_mul_i32_i24_e32 v9, v77, v134
	v_bfe_i32 v83, v167, 0, 8
	v_bfe_u32 v127, v179, 4, 4
	v_lshrrev_b16 v4, 8, v4
	v_bfe_i32 v239, v88, 16, 8
	v_add3_u32 v78, v7, v9, v78
	v_mul_i32_i24_e32 v7, v79, v130
	v_mul_i32_i24_e32 v9, v80, v120
	v_bfe_i32 v205, v4, 0, 8
	v_and_b32_e32 v4, 0xf0f0f0f, v86
	v_bfe_u32 v132, v180, 16, 4
	v_bfe_i32 v240, v5, 16, 8
	v_add3_u32 v81, v6, v7, v9
	v_mul_i32_i24_e32 v6, v82, v131
	v_mul_i32_i24_e32 v7, v83, v127
	v_bfe_u32 v139, v180, 24, 4
	v_lshrrev_b32_e32 v128, 28, v180
	v_ashrrev_i32_e32 v241, 24, v88
	v_ashrrev_i32_e32 v242, 24, v5
	v_add3_u32 v93, v8, v6, v7
	v_lshrrev_b16 v6, 8, v87
	v_add_nc_u32_e32 v7, 0x2108, v107
	v_add_nc_u32_e32 v8, 0x1088, v107
	v_bfe_i32 v243, v88, 0, 8
	v_and_b32_e32 v135, 15, v180
	v_bfe_i32 v87, v6, 0, 8
	v_add_nc_u32_e32 v6, 0x2100, v107
	ds_load_2addr_b32 v[191:192], v6 offset1:1
	ds_load_2addr_b32 v[6:7], v7 offset1:1
	;; [unrolled: 1-line block ×3, first 2 shown]
	v_bfe_i32 v244, v5, 0, 8
	v_bfe_u32 v129, v180, 4, 4
	v_lshrrev_b32_e32 v86, 4, v86
	v_bfe_i32 v218, v141, 8, 8
	v_and_b32_e32 v141, 0xf0f0f0f, v179
	v_bfe_i32 v254, v167, 8, 8
	v_and_b32_e32 v167, 0xf0f0f0f, v180
	v_lshrrev_b16 v86, 8, v86
	v_bfe_i32 v88, v88, 8, 8
	v_lshrrev_b16 v141, 8, v141
	s_delay_alu instid0(VALU_DEP_4) | instskip(NEXT) | instid1(VALU_DEP_4)
	v_lshrrev_b16 v167, 8, v167
	v_and_b32_e32 v86, 15, v86
	s_wait_dscnt 0x2
	v_and_b32_e32 v115, 15, v191
	v_bfe_u32 v114, v191, 8, 4
	v_bfe_u32 v112, v191, 16, 4
	;; [unrolled: 1-line block ×3, first 2 shown]
	s_wait_dscnt 0x0
	v_bfe_u32 v138, v193, 16, 4
	v_mul_i32_i24_e32 v8, v74, v115
	v_and_b32_e32 v143, 15, v193
	v_mul_i32_i24_e32 v9, v1, v112
	v_mul_i32_i24_e32 v116, v68, v113
	v_bfe_u32 v150, v193, 24, 4
	v_mad_i32_i24 v8, v87, v114, v8
	v_bfe_u32 v183, v191, 4, 4
	v_bfe_u32 v185, v191, 12, 4
	v_lshrrev_b32_e32 v153, 28, v193
	v_bfe_u32 v154, v193, 4, 4
	v_add3_u32 v121, v8, v9, v116
	v_add_nc_u32_e32 v8, 0x3180, v107
	v_add_nc_u32_e32 v9, 0x3188, v107
	;; [unrolled: 1-line block ×3, first 2 shown]
	ds_load_2addr_b32 v[195:196], v8 offset1:1
	ds_load_2addr_b32 v[8:9], v9 offset1:1
	;; [unrolled: 1-line block ×3, first 2 shown]
	ds_load_2addr_b32 v[188:189], v136 offset0:4 offset1:7
	ds_load_2addr_b32 v[201:202], v136 offset1:3
	v_lshrrev_b32_e32 v187, 28, v191
	v_bfe_u32 v226, v192, 16, 4
	v_bfe_u32 v235, v192, 4, 4
	v_lshrrev_b32_e32 v234, 28, v192
	v_bfe_u32 v233, v192, 20, 4
	v_bfe_u32 v230, v6, 8, 4
	v_bfe_u32 v229, v6, 24, 4
	v_bfe_u32 v225, v6, 16, 4
	s_wait_dscnt 0x4
	v_and_b32_e32 v118, 15, v195
	v_bfe_u32 v119, v195, 8, 4
	v_bfe_u32 v117, v195, 24, 4
	s_wait_dscnt 0x2
	v_bfe_i32 v168, v197, 16, 8
	s_wait_dscnt 0x1
	v_bfe_i32 v161, v188, 16, 8
	v_mul_i32_i24_e32 v116, v74, v118
	v_bfe_i32 v203, v198, 16, 8
	v_mul_i32_i24_e32 v124, v68, v117
	v_bfe_i32 v204, v197, 0, 8
	v_bfe_i32 v173, v188, 0, 8
	v_mad_i32_i24 v122, v87, v119, v116
	v_bfe_u32 v116, v195, 16, 4
	v_mul_i32_i24_e32 v125, v203, v138
	v_bfe_i32 v208, v198, 0, 8
	v_ashrrev_i32_e32 v176, 24, v197
	v_ashrrev_i32_e32 v177, 24, v188
	v_mul_i32_i24_e32 v123, v1, v116
	v_ashrrev_i32_e32 v210, 24, v198
	v_bfe_u32 v181, v195, 4, 4
	v_bfe_u32 v184, v195, 12, 4
	s_wait_dscnt 0x0
	v_bfe_i32 v245, v202, 0, 8
	v_add3_u32 v122, v122, v123, v124
	v_add_nc_u32_e32 v123, 0x1080, v107
	v_add_nc_u32_e32 v124, 0x414, v102
	v_bfe_i32 v247, v202, 16, 8
	v_mul_i32_i24_e32 v190, v177, v187
	v_bfe_i32 v248, v201, 16, 8
	ds_load_2addr_b32 v[146:147], v123 offset1:1
	ds_load_2addr_b32 v[199:200], v124 offset1:1
	v_bfe_i32 v249, v189, 16, 8
	v_bfe_i32 v250, v201, 0, 8
	;; [unrolled: 1-line block ×3, first 2 shown]
	v_ashrrev_i32_e32 v252, 24, v201
	v_ashrrev_i32_e32 v253, 24, v189
	v_bfe_u32 v228, v196, 16, 4
	v_bfe_u32 v237, v196, 4, 4
	v_lshrrev_b32_e32 v238, 28, v196
	v_bfe_u32 v236, v196, 20, 4
	v_bfe_u32 v231, v8, 8, 4
	;; [unrolled: 1-line block ×5, first 2 shown]
	v_lshrrev_b32_e32 v224, 28, v8
	v_add_nc_u32_e32 v107, 16, v107
	s_wait_dscnt 0x1
	v_bfe_u32 v158, v147, 16, 4
	v_bfe_u32 v165, v146, 20, 4
	;; [unrolled: 1-line block ×3, first 2 shown]
	s_wait_dscnt 0x0
	v_bfe_i32 v182, v199, 16, 8
	v_and_b32_e32 v162, 15, v147
	v_mul_i32_i24_e32 v123, v168, v158
	v_bfe_u32 v171, v146, 4, 4
	v_bfe_u32 v157, v147, 4, 4
	v_mul_i32_i24_e32 v124, v182, v151
	v_bfe_i32 v207, v199, 0, 8
	v_mad_i32_i24 v123, v161, v165, v123
	v_bfe_u32 v164, v147, 24, 4
	v_lshrrev_b32_e32 v169, 28, v146
	v_lshrrev_b32_e32 v160, 28, v147
	v_ashrrev_i32_e32 v209, 24, v199
	v_add3_u32 v163, v123, v124, v125
	v_mul_i32_i24_e32 v123, v204, v162
	v_mul_i32_i24_e32 v124, v207, v157
	;; [unrolled: 1-line block ×3, first 2 shown]
	v_bfe_i32 v216, v200, 0, 8
	v_bfe_i32 v246, v200, 16, 8
	v_mad_i32_i24 v123, v173, v171, v123
	s_delay_alu instid0(VALU_DEP_1) | instskip(SKIP_3) | instid1(VALU_DEP_3)
	v_add3_u32 v137, v123, v124, v125
	v_mul_i32_i24_e32 v123, v176, v164
	v_mul_i32_i24_e32 v124, v209, v160
	;; [unrolled: 1-line block ×3, first 2 shown]
	v_mad_i32_i24 v123, v177, v169, v123
	s_delay_alu instid0(VALU_DEP_1) | instskip(SKIP_3) | instid1(VALU_DEP_3)
	v_add3_u32 v148, v123, v124, v125
	v_and_b32_e32 v123, 0xf0f0f0f, v85
	v_lshrrev_b32_e32 v85, 4, v85
	v_lshrrev_b16 v124, 8, v4
	v_lshrrev_b16 v123, 8, v123
	s_delay_alu instid0(VALU_DEP_3) | instskip(NEXT) | instid1(VALU_DEP_3)
	v_lshrrev_b16 v85, 8, v85
	v_and_b32_e32 v172, 0xffff, v124
	s_delay_alu instid0(VALU_DEP_3) | instskip(NEXT) | instid1(VALU_DEP_3)
	v_and_b32_e32 v4, 0xffff, v123
	v_and_b32_e32 v85, 15, v85
	s_delay_alu instid0(VALU_DEP_2) | instskip(NEXT) | instid1(VALU_DEP_2)
	v_mul_i32_i24_e32 v123, v4, v87
	v_and_b32_e32 v175, 0xffff, v85
	v_bfe_i32 v85, v140, 8, 8
	v_bfe_u32 v140, v194, 24, 4
	s_delay_alu instid0(VALU_DEP_3) | instskip(NEXT) | instid1(VALU_DEP_3)
	v_mul_i32_i24_e32 v125, v175, v205
	v_mul_i32_i24_e32 v124, v85, v172
	s_delay_alu instid0(VALU_DEP_1) | instskip(SKIP_2) | instid1(VALU_DEP_2)
	v_add3_u32 v186, v123, v125, v124
	v_bfe_u32 v125, v180, 20, 4
	v_mul_i32_i24_e32 v123, v239, v132
	v_mul_i32_i24_e32 v124, v240, v125
	s_delay_alu instid0(VALU_DEP_1) | instskip(SKIP_2) | instid1(VALU_DEP_1)
	v_add3_u32 v81, v81, v123, v124
	v_mul_i32_i24_e32 v123, v241, v139
	v_mul_i32_i24_e32 v124, v242, v128
	v_add3_u32 v78, v78, v123, v124
	v_mul_i32_i24_e32 v123, v243, v135
	v_mul_i32_i24_e32 v124, v244, v129
	s_delay_alu instid0(VALU_DEP_1) | instskip(SKIP_2) | instid1(VALU_DEP_1)
	v_add3_u32 v93, v93, v123, v124
	v_mul_i32_i24_e32 v123, v73, v183
	v_mul_i32_i24_e32 v124, v205, v185
	v_add3_u32 v206, v121, v124, v123
	v_mul_i32_i24_e32 v121, v73, v181
	v_mul_i32_i24_e32 v123, v205, v184
	;; [unrolled: 1-line block ×3, first 2 shown]
	s_delay_alu instid0(VALU_DEP_2) | instskip(SKIP_3) | instid1(VALU_DEP_3)
	v_add3_u32 v211, v122, v123, v121
	v_and_b32_e32 v121, 0xf0f0f0f, v146
	v_and_b32_e32 v123, 15, v146
	v_bfe_u32 v122, v146, 24, 4
	v_lshrrev_b16 v121, 8, v121
	s_delay_alu instid0(VALU_DEP_3) | instskip(NEXT) | instid1(VALU_DEP_3)
	v_mul_i32_i24_e32 v74, v123, v74
	v_mul_i32_i24_e32 v68, v122, v68
	s_delay_alu instid0(VALU_DEP_3) | instskip(SKIP_1) | instid1(VALU_DEP_2)
	v_and_b32_e32 v124, 0xffff, v121
	v_bfe_u32 v121, v146, 16, 4
	v_mad_i32_i24 v74, v124, v87, v74
	s_delay_alu instid0(VALU_DEP_2) | instskip(NEXT) | instid1(VALU_DEP_1)
	v_mul_i32_i24_e32 v1, v121, v1
	v_add3_u32 v1, v74, v1, v68
	v_ashrrev_i32_e32 v68, 24, v200
	v_ashrrev_i32_e32 v74, 24, v202
	s_delay_alu instid0(VALU_DEP_2) | instskip(NEXT) | instid1(VALU_DEP_2)
	v_mul_i32_i24_e32 v87, v68, v153
	v_mul_i32_i24_e32 v136, v74, v140
	s_delay_alu instid0(VALU_DEP_1) | instskip(SKIP_2) | instid1(VALU_DEP_2)
	v_add3_u32 v87, v148, v87, v136
	v_and_b32_e32 v136, 15, v194
	v_mul_i32_i24_e32 v148, v216, v154
	v_mul_i32_i24_e32 v170, v245, v136
	s_delay_alu instid0(VALU_DEP_1) | instskip(SKIP_2) | instid1(VALU_DEP_2)
	v_add3_u32 v212, v137, v148, v170
	v_bfe_u32 v148, v193, 20, 4
	v_bfe_u32 v137, v194, 16, 4
	v_mul_i32_i24_e32 v170, v246, v148
	s_delay_alu instid0(VALU_DEP_2) | instskip(NEXT) | instid1(VALU_DEP_1)
	v_mul_i32_i24_e32 v174, v247, v137
	v_add3_u32 v163, v163, v170, v174
	v_lshrrev_b16 v170, 8, v188
	v_bfe_u32 v188, v191, 20, 4
	v_lshrrev_b32_e32 v191, 28, v195
	s_delay_alu instid0(VALU_DEP_3) | instskip(NEXT) | instid1(VALU_DEP_3)
	v_bfe_i32 v213, v170, 0, 8
	v_mul_i32_i24_e32 v174, v161, v188
	s_delay_alu instid0(VALU_DEP_2) | instskip(NEXT) | instid1(VALU_DEP_1)
	v_mul_i32_i24_e32 v170, v213, v185
	v_mad_i32_i24 v170, v173, v183, v170
	s_delay_alu instid0(VALU_DEP_1) | instskip(SKIP_3) | instid1(VALU_DEP_3)
	v_add3_u32 v214, v170, v174, v190
	v_mul_i32_i24_e32 v170, v213, v184
	v_bfe_u32 v190, v195, 20, 4
	v_mul_i32_i24_e32 v195, v177, v191
	v_mad_i32_i24 v170, v173, v181, v170
	s_delay_alu instid0(VALU_DEP_3) | instskip(NEXT) | instid1(VALU_DEP_1)
	v_mul_i32_i24_e32 v174, v161, v190
	v_add3_u32 v195, v170, v174, v195
	v_and_b32_e32 v170, 0xffff, v141
	v_and_b32_e32 v174, 0xffff, v86
	v_bfe_i32 v86, v166, 8, 8
	s_delay_alu instid0(VALU_DEP_3) | instskip(NEXT) | instid1(VALU_DEP_2)
	v_mul_i32_i24_e32 v141, v218, v170
	v_mul_i32_i24_e32 v166, v86, v174
	s_delay_alu instid0(VALU_DEP_1) | instskip(SKIP_2) | instid1(VALU_DEP_1)
	v_add3_u32 v166, v186, v166, v141
	v_mul_i32_i24_e32 v141, v0, v188
	v_mul_i32_i24_e32 v186, v46, v187
	v_add3_u32 v206, v206, v141, v186
	v_mul_i32_i24_e32 v141, v0, v190
	v_mul_i32_i24_e32 v186, v46, v191
	;; [unrolled: 1-line block ×4, first 2 shown]
	s_delay_alu instid0(VALU_DEP_3) | instskip(SKIP_3) | instid1(VALU_DEP_3)
	v_add3_u32 v215, v211, v141, v186
	v_lshrrev_b32_e32 v141, 4, v146
	v_mul_i32_i24_e32 v146, v177, v156
	v_bfe_u32 v211, v192, 24, 4
	v_lshrrev_b16 v141, 8, v141
	s_delay_alu instid0(VALU_DEP_1) | instskip(NEXT) | instid1(VALU_DEP_1)
	v_and_b32_e32 v141, 15, v141
	v_and_b32_e32 v186, 0xffff, v141
	s_delay_alu instid0(VALU_DEP_1) | instskip(NEXT) | instid1(VALU_DEP_1)
	v_mul_i32_i24_e32 v141, v186, v205
	v_add3_u32 v1, v1, v141, v73
	v_mul_i32_i24_e32 v73, v213, v175
	v_mul_i32_i24_e32 v141, v161, v152
	v_bfe_i32 v161, v197, 8, 8
	v_bfe_i32 v197, v199, 8, 8
	v_add3_u32 v0, v1, v0, v46
	v_mad_i32_i24 v73, v173, v159, v73
	v_mul_i32_i24_e32 v1, v176, v155
	v_mul_i32_i24_e32 v46, v161, v172
	s_delay_alu instid0(VALU_DEP_3) | instskip(SKIP_2) | instid1(VALU_DEP_3)
	v_add3_u32 v73, v73, v141, v146
	v_lshrrev_b32_e32 v141, 4, v147
	v_and_b32_e32 v146, 0xf0f0f0f, v147
	v_add3_u32 v1, v73, v1, v46
	s_delay_alu instid0(VALU_DEP_3) | instskip(NEXT) | instid1(VALU_DEP_3)
	v_lshrrev_b16 v141, 8, v141
	v_lshrrev_b16 v146, 8, v146
	v_bfe_i32 v46, v198, 8, 8
	v_bfe_i32 v73, v200, 8, 8
	v_mul_i32_i24_e32 v198, v168, v226
	v_and_b32_e32 v141, 15, v141
	v_and_b32_e32 v177, 0xffff, v146
	v_lshrrev_b32_e32 v200, 28, v9
	s_delay_alu instid0(VALU_DEP_3) | instskip(SKIP_1) | instid1(VALU_DEP_4)
	v_and_b32_e32 v173, 0xffff, v141
	v_mul_i32_i24_e32 v141, v213, v186
	v_mul_i32_i24_e32 v146, v161, v177
	v_bfe_u32 v213, v196, 8, 4
	s_delay_alu instid0(VALU_DEP_4) | instskip(NEXT) | instid1(VALU_DEP_1)
	v_mul_i32_i24_e32 v147, v197, v173
	v_add3_u32 v199, v141, v146, v147
	v_bfe_u32 v141, v194, 20, 4
	v_mul_i32_i24_e32 v146, v248, v121
	s_delay_alu instid0(VALU_DEP_2) | instskip(NEXT) | instid1(VALU_DEP_1)
	v_mul_i32_i24_e32 v147, v249, v141
	v_add3_u32 v217, v163, v147, v146
	v_bfe_u32 v146, v194, 4, 4
	v_mul_i32_i24_e32 v147, v250, v123
	s_delay_alu instid0(VALU_DEP_2) | instskip(NEXT) | instid1(VALU_DEP_1)
	v_mul_i32_i24_e32 v163, v251, v146
	v_add3_u32 v219, v212, v163, v147
	v_lshrrev_b32_e32 v147, 28, v194
	v_mul_i32_i24_e32 v163, v252, v122
	v_bfe_u32 v212, v192, 8, 4
	s_delay_alu instid0(VALU_DEP_3) | instskip(NEXT) | instid1(VALU_DEP_1)
	v_mul_i32_i24_e32 v205, v253, v147
	v_add3_u32 v87, v87, v205, v163
	s_delay_alu instid0(VALU_DEP_3) | instskip(SKIP_1) | instid1(VALU_DEP_1)
	v_mul_i32_i24_e32 v163, v161, v212
	v_mul_i32_i24_e32 v205, v176, v211
	v_add3_u32 v220, v214, v205, v163
	v_bfe_u32 v214, v196, 24, 4
	v_mul_i32_i24_e32 v163, v161, v213
	v_lshrrev_b32_e32 v161, 4, v193
	s_delay_alu instid0(VALU_DEP_3) | instskip(NEXT) | instid1(VALU_DEP_2)
	v_mul_i32_i24_e32 v205, v176, v214
	v_lshrrev_b16 v161, 8, v161
	s_delay_alu instid0(VALU_DEP_2) | instskip(SKIP_1) | instid1(VALU_DEP_3)
	v_add3_u32 v195, v195, v205, v163
	v_lshrrev_b32_e32 v163, 4, v179
	v_and_b32_e32 v161, 15, v161
	s_delay_alu instid0(VALU_DEP_2) | instskip(NEXT) | instid1(VALU_DEP_1)
	v_lshrrev_b16 v163, 8, v163
	v_and_b32_e32 v179, 15, v163
	v_and_b32_e32 v163, 0xffff, v167
	s_delay_alu instid0(VALU_DEP_2) | instskip(NEXT) | instid1(VALU_DEP_2)
	v_and_b32_e32 v167, 0xffff, v179
	v_mul_i32_i24_e32 v179, v88, v163
	s_delay_alu instid0(VALU_DEP_2) | instskip(NEXT) | instid1(VALU_DEP_1)
	v_mul_i32_i24_e32 v205, v254, v167
	v_add3_u32 v179, v166, v205, v179
	v_and_b32_e32 v205, 15, v192
	v_mul_i32_i24_e32 v166, v85, v212
	s_delay_alu instid0(VALU_DEP_2) | instskip(NEXT) | instid1(VALU_DEP_1)
	v_mul_i32_i24_e32 v221, v75, v205
	v_add3_u32 v221, v206, v166, v221
	v_and_b32_e32 v206, 15, v196
	v_mul_i32_i24_e32 v166, v85, v213
	s_delay_alu instid0(VALU_DEP_2) | instskip(NEXT) | instid1(VALU_DEP_1)
	v_mul_i32_i24_e32 v222, v75, v206
	v_add3_u32 v215, v215, v166, v222
	v_and_b32_e32 v166, 0xf0f0f0f, v193
	v_bfe_u32 v222, v196, 12, 4
	v_bfe_u32 v196, v9, 20, 4
	s_delay_alu instid0(VALU_DEP_3) | instskip(NEXT) | instid1(VALU_DEP_1)
	v_lshrrev_b16 v166, 8, v166
	v_and_b32_e32 v176, 0xffff, v166
	v_and_b32_e32 v166, 0xffff, v161
	s_delay_alu instid0(VALU_DEP_2) | instskip(NEXT) | instid1(VALU_DEP_2)
	v_mul_i32_i24_e32 v161, v46, v176
	v_mul_i32_i24_e32 v193, v73, v166
	s_delay_alu instid0(VALU_DEP_1) | instskip(SKIP_2) | instid1(VALU_DEP_2)
	v_add3_u32 v193, v199, v161, v193
	v_mul_i32_i24_e32 v161, v204, v205
	v_mul_i32_i24_e32 v199, v168, v228
	v_add3_u32 v198, v220, v161, v198
	v_mul_i32_i24_e32 v161, v204, v206
	v_bfe_u32 v220, v6, 4, 4
	s_delay_alu instid0(VALU_DEP_2) | instskip(SKIP_3) | instid1(VALU_DEP_3)
	v_add3_u32 v195, v195, v161, v199
	v_lshrrev_b32_e32 v161, 4, v180
	v_bfe_i32 v180, v5, 8, 8
	v_mul_i32_i24_e32 v199, v71, v214
	v_lshrrev_b16 v5, 8, v161
	s_delay_alu instid0(VALU_DEP_1) | instskip(NEXT) | instid1(VALU_DEP_1)
	v_and_b32_e32 v5, 15, v5
	v_and_b32_e32 v161, 0xffff, v5
	s_delay_alu instid0(VALU_DEP_1) | instskip(NEXT) | instid1(VALU_DEP_1)
	v_mul_i32_i24_e32 v5, v180, v161
	v_add3_u32 v78, v179, v5, v78
	v_mul_i32_i24_e32 v5, v27, v226
	v_mul_i32_i24_e32 v179, v71, v211
	;; [unrolled: 1-line block ×3, first 2 shown]
	s_delay_alu instid0(VALU_DEP_4) | instskip(SKIP_1) | instid1(VALU_DEP_4)
	v_add3_u32 v78, v93, v81, v78
	v_mul_i32_i24_e32 v81, v76, v235
	v_add3_u32 v179, v221, v5, v179
	v_mul_i32_i24_e32 v5, v27, v228
	v_mul_i32_i24_e32 v27, v27, v158
	v_bfe_u32 v221, v192, 12, 4
	v_mul_i32_i24_e32 v192, v72, v234
	s_delay_alu instid0(VALU_DEP_4)
	v_add3_u32 v199, v215, v5, v199
	v_mul_i32_i24_e32 v5, v75, v162
	v_mul_i32_i24_e32 v75, v85, v177
	v_bfe_i32 v85, v189, 8, 8
	v_mul_i32_i24_e32 v93, v86, v221
	v_and_b32_e32 v215, 15, v6
	s_delay_alu instid0(VALU_DEP_4)
	v_add3_u32 v0, v0, v75, v5
	v_mul_i32_i24_e32 v5, v204, v149
	v_mul_i32_i24_e32 v75, v168, v144
	v_add3_u32 v81, v179, v81, v93
	v_mul_i32_i24_e32 v93, v76, v237
	v_add3_u32 v0, v0, v27, v71
	;; [unrolled: 2-line block ×3, first 2 shown]
	v_lshrrev_b32_e32 v5, 4, v194
	v_and_b32_e32 v75, 0xf0f0f0f, v194
	v_mul_i32_i24_e32 v71, v209, v142
	v_mul_i32_i24_e32 v179, v86, v222
	;; [unrolled: 1-line block ×3, first 2 shown]
	v_lshrrev_b16 v5, 8, v5
	v_lshrrev_b16 v75, 8, v75
	v_add3_u32 v1, v1, v71, v27
	v_lshrrev_b16 v27, 8, v201
	v_add3_u32 v93, v199, v93, v179
	v_and_b32_e32 v5, 15, v5
	v_and_b32_e32 v168, 0xffff, v75
	v_bfe_i32 v75, v202, 8, 8
	v_bfe_i32 v27, v27, 0, 8
	v_mul_i32_i24_e32 v179, v182, v233
	v_and_b32_e32 v5, 0xffff, v5
	v_mul_i32_i24_e32 v86, v86, v173
	v_mul_i32_i24_e32 v189, v75, v168
	;; [unrolled: 1-line block ×3, first 2 shown]
	v_bfe_u32 v202, v6, 12, 4
	v_mul_i32_i24_e32 v194, v85, v5
	v_add3_u32 v0, v0, v76, v86
	v_mul_i32_i24_e32 v76, v182, v133
	v_mul_i32_i24_e32 v86, v197, v174
	v_bfe_u32 v204, v8, 12, 4
	v_add3_u32 v189, v193, v189, v194
	v_mul_i32_i24_e32 v193, v207, v235
	v_mul_i32_i24_e32 v194, v209, v234
	v_add3_u32 v1, v1, v86, v76
	v_mul_i32_i24_e32 v76, v46, v230
	v_add3_u32 v71, v189, v71, v87
	;; [unrolled: 2-line block ×3, first 2 shown]
	v_mul_i32_i24_e32 v194, v207, v237
	v_mul_i32_i24_e32 v198, v209, v238
	;; [unrolled: 1-line block ×4, first 2 shown]
	v_add3_u32 v87, v193, v87, v179
	v_mul_i32_i24_e32 v179, v197, v222
	v_add3_u32 v194, v195, v198, v194
	v_add3_u32 v71, v219, v217, v71
	v_and_b32_e32 v217, 15, v8
	v_add3_u32 v76, v87, v86, v76
	v_mul_i32_i24_e32 v86, v46, v231
	v_add3_u32 v179, v194, v179, v189
	v_mul_i32_i24_e32 v189, v31, v233
	v_mul_i32_i24_e32 v46, v46, v170
	;; [unrolled: 1-line block ×3, first 2 shown]
	v_lshrrev_b32_e32 v219, 28, v6
	v_bfe_u32 v207, v7, 24, 4
	v_add3_u32 v81, v81, v189, v192
	v_mul_i32_i24_e32 v189, v31, v236
	v_mul_i32_i24_e32 v192, v72, v238
	;; [unrolled: 1-line block ×4, first 2 shown]
	v_add3_u32 v86, v179, v87, v86
	v_mul_i32_i24_e32 v87, v82, v215
	v_mul_i32_i24_e32 v179, v218, v230
	v_add3_u32 v93, v93, v189, v192
	v_add3_u32 v0, v0, v31, v72
	v_mul_i32_i24_e32 v31, v210, v134
	v_mul_i32_i24_e32 v72, v203, v227
	v_add3_u32 v81, v81, v179, v87
	v_mul_i32_i24_e32 v87, v82, v217
	v_mul_i32_i24_e32 v179, v218, v231
	;; [unrolled: 3-line block ×3, first 2 shown]
	v_bfe_u32 v209, v9, 8, 4
	v_add3_u32 v87, v93, v179, v87
	v_bfe_u32 v210, v9, 24, 4
	v_and_b32_e32 v194, 15, v7
	v_add3_u32 v31, v76, v31, v46
	v_mul_i32_i24_e32 v46, v208, v217
	v_mul_i32_i24_e32 v76, v77, v229
	v_and_b32_e32 v195, 15, v9
	v_bfe_u32 v201, v7, 16, 4
	v_bfe_u32 v198, v7, 4, 4
	v_add3_u32 v46, v86, v46, v72
	v_mul_i32_i24_e32 v72, v79, v225
	v_lshrrev_b32_e32 v197, 28, v7
	v_bfe_u32 v199, v9, 4, 4
	v_bfe_u32 v189, v7, 12, 4
	;; [unrolled: 1-line block ×3, first 2 shown]
	v_add3_u32 v72, v81, v72, v76
	v_mul_i32_i24_e32 v76, v79, v227
	v_mul_i32_i24_e32 v81, v77, v232
	;; [unrolled: 1-line block ×4, first 2 shown]
	v_bfe_u32 v193, v7, 20, 4
	s_delay_alu instid0(VALU_DEP_4) | instskip(SKIP_4) | instid1(VALU_DEP_3)
	v_add3_u32 v76, v87, v76, v81
	v_mul_i32_i24_e32 v81, v82, v143
	v_mul_i32_i24_e32 v82, v218, v176
	v_bfe_u32 v218, v8, 20, 4
	v_mul_i32_i24_e32 v8, v73, v204
	v_add3_u32 v0, v0, v82, v81
	v_mul_i32_i24_e32 v81, v208, v131
	v_mul_i32_i24_e32 v82, v203, v130
	v_bfe_u32 v208, v7, 8, 4
	v_bfe_u32 v203, v9, 16, 4
	v_add3_u32 v0, v0, v79, v77
	v_mul_i32_i24_e32 v77, v216, v127
	v_add3_u32 v1, v1, v81, v82
	v_mul_i32_i24_e32 v81, v216, v220
	v_mul_i32_i24_e32 v82, v68, v219
	;; [unrolled: 1-line block ×4, first 2 shown]
	s_delay_alu instid0(VALU_DEP_3)
	v_add3_u32 v31, v31, v82, v81
	v_mul_i32_i24_e32 v81, v216, v223
	v_mul_i32_i24_e32 v82, v68, v224
	;; [unrolled: 1-line block ×3, first 2 shown]
	v_bfe_u32 v216, v6, 20, 4
	v_mul_i32_i24_e32 v6, v73, v202
	s_delay_alu instid0(VALU_DEP_4) | instskip(NEXT) | instid1(VALU_DEP_4)
	v_add3_u32 v46, v46, v82, v81
	v_add3_u32 v1, v1, v68, v77
	s_delay_alu instid0(VALU_DEP_4) | instskip(SKIP_2) | instid1(VALU_DEP_3)
	v_mul_i32_i24_e32 v68, v246, v216
	v_mul_i32_i24_e32 v81, v83, v220
	;; [unrolled: 1-line block ×3, first 2 shown]
	v_add3_u32 v6, v31, v6, v68
	v_mul_i32_i24_e32 v31, v246, v218
	s_delay_alu instid0(VALU_DEP_3)
	v_add3_u32 v72, v72, v81, v82
	v_mul_i32_i24_e32 v81, v83, v223
	v_mul_i32_i24_e32 v82, v254, v204
	;; [unrolled: 1-line block ×3, first 2 shown]
	v_add3_u32 v8, v46, v8, v31
	v_mul_i32_i24_e32 v31, v80, v216
	v_mul_i32_i24_e32 v46, v178, v219
	v_add3_u32 v76, v76, v81, v82
	v_add_nc_u32_e32 v81, 0xc04, v102
	s_delay_alu instid0(VALU_DEP_3) | instskip(SKIP_2) | instid1(VALU_DEP_2)
	v_add3_u32 v31, v72, v31, v46
	v_mul_i32_i24_e32 v46, v80, v218
	v_mul_i32_i24_e32 v72, v254, v166
	v_add3_u32 v46, v76, v46, v68
	v_mul_i32_i24_e32 v68, v83, v154
	s_delay_alu instid0(VALU_DEP_1) | instskip(SKIP_2) | instid1(VALU_DEP_1)
	v_add3_u32 v0, v0, v68, v72
	v_mul_i32_i24_e32 v68, v246, v120
	v_mul_i32_i24_e32 v72, v73, v167
	v_add3_u32 v1, v1, v72, v68
	v_mul_i32_i24_e32 v68, v75, v208
	v_mul_i32_i24_e32 v72, v74, v207
	s_delay_alu instid0(VALU_DEP_1) | instskip(SKIP_2) | instid1(VALU_DEP_1)
	v_add3_u32 v6, v6, v72, v68
	v_mul_i32_i24_e32 v68, v75, v209
	v_mul_i32_i24_e32 v72, v74, v210
	v_add3_u32 v8, v8, v72, v68
	v_mul_i32_i24_e32 v68, v243, v194
	;; [unrolled: 7-line block ×10, first 2 shown]
	s_delay_alu instid0(VALU_DEP_1) | instskip(SKIP_1) | instid1(VALU_DEP_1)
	v_add3_u32 v6, v6, v7, v68
	v_mul_i32_i24_e32 v7, v85, v192
	v_add3_u32 v7, v8, v7, v9
	v_mul_i32_i24_e32 v8, v240, v193
	v_mul_i32_i24_e32 v9, v242, v197
	s_delay_alu instid0(VALU_DEP_1) | instskip(SKIP_2) | instid1(VALU_DEP_3)
	v_add3_u32 v8, v31, v8, v9
	v_mul_i32_i24_e32 v9, v240, v196
	v_mul_i32_i24_e32 v31, v242, v200
	v_cvt_f32_i32_e32 v8, v8
	s_delay_alu instid0(VALU_DEP_2) | instskip(SKIP_2) | instid1(VALU_DEP_3)
	v_add3_u32 v9, v46, v9, v31
	v_mul_i32_i24_e32 v31, v244, v146
	v_mul_i32_i24_e32 v46, v180, v5
	v_cvt_f32_i32_e32 v9, v9
	s_delay_alu instid0(VALU_DEP_2)
	v_add3_u32 v0, v0, v31, v46
	v_mul_i32_i24_e32 v31, v249, v125
	v_mul_i32_i24_e32 v46, v85, v161
	ds_load_2addr_b32 v[85:86], v101 offset1:32
	v_add3_u32 v1, v1, v46, v31
	v_mul_i32_i24_e32 v31, v250, v115
	v_mul_i32_i24_e32 v46, v27, v114
	s_delay_alu instid0(VALU_DEP_1) | instskip(SKIP_3) | instid1(VALU_DEP_2)
	v_add3_u32 v6, v6, v31, v46
	v_mul_i32_i24_e32 v31, v250, v118
	v_mul_i32_i24_e32 v46, v27, v119
	;; [unrolled: 1-line block ×3, first 2 shown]
	v_add3_u32 v7, v7, v31, v46
	v_mul_i32_i24_e32 v31, v240, v141
	v_mul_i32_i24_e32 v46, v242, v147
	s_delay_alu instid0(VALU_DEP_1) | instskip(SKIP_1) | instid1(VALU_DEP_2)
	v_add3_u32 v0, v0, v31, v46
	v_mul_i32_i24_e32 v31, v250, v111
	v_cvt_f32_i32_e32 v0, v0
	s_delay_alu instid0(VALU_DEP_2) | instskip(SKIP_2) | instid1(VALU_DEP_1)
	v_add3_u32 v1, v1, v31, v27
	v_mul_i32_i24_e32 v27, v248, v112
	v_mul_i32_i24_e32 v31, v252, v113
	v_add3_u32 v27, v6, v27, v31
	v_mul_i32_i24_e32 v6, v248, v116
	v_mul_i32_i24_e32 v31, v252, v117
	s_delay_alu instid0(VALU_DEP_3) | instskip(NEXT) | instid1(VALU_DEP_2)
	v_cvt_f32_i32_e32 v27, v27
	v_add3_u32 v31, v7, v6, v31
	v_mul_i32_i24_e32 v6, v248, v109
	v_mul_i32_i24_e32 v7, v252, v110
	s_delay_alu instid0(VALU_DEP_3) | instskip(NEXT) | instid1(VALU_DEP_2)
	v_cvt_f32_i32_e32 v31, v31
	v_add3_u32 v1, v1, v6, v7
	s_wait_dscnt 0x0
	v_lshrrev_b32_e32 v6, 16, v85
	v_cvt_f32_i32_e32 v7, v78
	s_delay_alu instid0(VALU_DEP_3) | instskip(NEXT) | instid1(VALU_DEP_3)
	v_cvt_f32_i32_e32 v1, v1
	v_cvt_f32_f16_e32 v6, v6
	s_delay_alu instid0(VALU_DEP_1) | instskip(NEXT) | instid1(VALU_DEP_1)
	v_mul_f32_e32 v6, 0x41000000, v6
	v_fma_mix_f32 v7, v85, v7, -v6 op_sel_hi:[1,0,0]
	v_fma_mix_f32 v180, v85, v8, -v6 op_sel_hi:[1,0,0]
	;; [unrolled: 1-line block ×4, first 2 shown]
	v_lshrrev_b32_e32 v0, 16, v86
	v_cvt_f32_i32_e32 v8, v71
	s_delay_alu instid0(VALU_DEP_3) | instskip(NEXT) | instid1(VALU_DEP_3)
	v_fmac_f32_e32 v50, v108, v6
	v_cvt_f32_f16_e32 v0, v0
	s_delay_alu instid0(VALU_DEP_1) | instskip(NEXT) | instid1(VALU_DEP_1)
	v_mul_f32_e32 v0, 0x41000000, v0
	v_fma_mix_f32 v8, v86, v8, -v0 op_sel_hi:[1,0,0]
	v_fma_mix_f32 v182, v86, v27, -v0 op_sel_hi:[1,0,0]
	;; [unrolled: 1-line block ×4, first 2 shown]
	v_add_nc_u32_e32 v0, 0x800, v102
	v_fmac_f32_e32 v40, v108, v8
	ds_load_2addr_b32 v[85:86], v0 offset0:4 offset1:7
	s_wait_dscnt 0x0
	v_bfe_i32 v1, v85, 8, 8
	v_bfe_i32 v27, v85, 0, 8
	;; [unrolled: 1-line block ×3, first 2 shown]
	v_ashrrev_i32_e32 v68, 24, v85
	s_delay_alu instid0(VALU_DEP_4) | instskip(NEXT) | instid1(VALU_DEP_3)
	v_mul_i32_i24_e32 v31, v1, v185
	v_mul_i32_i24_e32 v71, v46, v188
	s_delay_alu instid0(VALU_DEP_3) | instskip(SKIP_1) | instid1(VALU_DEP_4)
	v_mul_i32_i24_e32 v72, v68, v187
	v_mul_i32_i24_e32 v73, v68, v191
	v_mad_i32_i24 v31, v27, v183, v31
	s_delay_alu instid0(VALU_DEP_1) | instskip(SKIP_2) | instid1(VALU_DEP_2)
	v_add3_u32 v31, v31, v71, v72
	v_mul_i32_i24_e32 v71, v1, v184
	v_mul_i32_i24_e32 v72, v46, v190
	v_mad_i32_i24 v71, v27, v181, v71
	s_delay_alu instid0(VALU_DEP_1)
	v_add3_u32 v71, v71, v72, v73
	v_add_nc_u32_e32 v72, 0xc00, v102
	ds_load_2addr_b32 v[87:88], v72 offset0:4 offset1:7
	s_wait_dscnt 0x0
	v_bfe_i32 v73, v87, 8, 8
	v_bfe_i32 v74, v87, 0, 8
	;; [unrolled: 1-line block ×3, first 2 shown]
	v_ashrrev_i32_e32 v77, 24, v87
	v_mul_i32_i24_e32 v87, v156, v68
	v_mul_i32_i24_e32 v75, v73, v185
	s_delay_alu instid0(VALU_DEP_4) | instskip(NEXT) | instid1(VALU_DEP_4)
	v_mul_i32_i24_e32 v78, v76, v188
	v_mul_i32_i24_e32 v79, v77, v187
	;; [unrolled: 1-line block ×3, first 2 shown]
	s_delay_alu instid0(VALU_DEP_4) | instskip(SKIP_1) | instid1(VALU_DEP_2)
	v_mad_i32_i24 v75, v74, v183, v75
	v_mul_i32_i24_e32 v245, v156, v77
	v_add3_u32 v75, v75, v78, v79
	v_mul_i32_i24_e32 v78, v73, v184
	v_mul_i32_i24_e32 v79, v76, v190
	s_delay_alu instid0(VALU_DEP_2) | instskip(NEXT) | instid1(VALU_DEP_1)
	v_mad_i32_i24 v78, v74, v181, v78
	v_add3_u32 v78, v78, v79, v80
	v_add_nc_u32_e32 v79, 0x804, v102
	v_add_nc_u32_e32 v80, 0x814, v102
	ds_load_2addr_b32 v[239:240], v79 offset1:1
	ds_load_2addr_b32 v[241:242], v80 offset1:1
	;; [unrolled: 1-line block ×3, first 2 shown]
	s_wait_dscnt 0x2
	v_bfe_i32 v79, v239, 8, 8
	v_ashrrev_i32_e32 v80, 24, v239
	s_delay_alu instid0(VALU_DEP_2) | instskip(NEXT) | instid1(VALU_DEP_2)
	v_mul_i32_i24_e32 v81, v79, v212
	v_mul_i32_i24_e32 v82, v80, v211
	s_delay_alu instid0(VALU_DEP_1) | instskip(SKIP_2) | instid1(VALU_DEP_1)
	v_add3_u32 v31, v31, v82, v81
	v_mul_i32_i24_e32 v81, v79, v213
	v_mul_i32_i24_e32 v82, v80, v214
	v_add3_u32 v71, v71, v82, v81
	s_wait_dscnt 0x0
	v_bfe_i32 v81, v243, 8, 8
	v_ashrrev_i32_e32 v82, 24, v243
	s_delay_alu instid0(VALU_DEP_2) | instskip(NEXT) | instid1(VALU_DEP_2)
	v_mul_i32_i24_e32 v83, v81, v212
	v_mul_i32_i24_e32 v85, v82, v211
	s_delay_alu instid0(VALU_DEP_1) | instskip(SKIP_2) | instid1(VALU_DEP_1)
	v_add3_u32 v75, v75, v85, v83
	v_mul_i32_i24_e32 v83, v81, v213
	v_mul_i32_i24_e32 v85, v82, v214
	v_add3_u32 v78, v78, v85, v83
	v_mul_i32_i24_e32 v83, v175, v1
	v_mul_i32_i24_e32 v85, v152, v46
	;; [unrolled: 1-line block ×3, first 2 shown]
	s_delay_alu instid0(VALU_DEP_3) | instskip(NEXT) | instid1(VALU_DEP_2)
	v_mad_i32_i24 v83, v159, v27, v83
	v_mad_i32_i24 v1, v171, v27, v1
	v_mul_i32_i24_e32 v27, v165, v46
	v_mul_i32_i24_e32 v46, v169, v68
	s_delay_alu instid0(VALU_DEP_4) | instskip(SKIP_2) | instid1(VALU_DEP_4)
	v_add3_u32 v83, v83, v85, v87
	v_bfe_i32 v85, v239, 0, 8
	v_bfe_i32 v87, v239, 16, 8
	v_add3_u32 v1, v1, v27, v46
	v_bfe_i32 v27, v241, 0, 8
	s_delay_alu instid0(VALU_DEP_4) | instskip(NEXT) | instid1(VALU_DEP_4)
	v_mul_i32_i24_e32 v93, v85, v205
	v_mul_i32_i24_e32 v239, v87, v226
	v_ashrrev_i32_e32 v46, 24, v241
	s_delay_alu instid0(VALU_DEP_4) | instskip(NEXT) | instid1(VALU_DEP_3)
	v_mul_i32_i24_e32 v68, v27, v235
	v_add3_u32 v31, v31, v93, v239
	v_mul_i32_i24_e32 v93, v85, v206
	v_mul_i32_i24_e32 v239, v87, v228
	s_delay_alu instid0(VALU_DEP_1) | instskip(SKIP_3) | instid1(VALU_DEP_3)
	v_add3_u32 v71, v71, v93, v239
	v_mul_i32_i24_e32 v93, v175, v73
	v_mul_i32_i24_e32 v239, v152, v76
	;; [unrolled: 1-line block ×3, first 2 shown]
	v_mad_i32_i24 v93, v159, v74, v93
	s_delay_alu instid0(VALU_DEP_2) | instskip(SKIP_2) | instid1(VALU_DEP_4)
	v_mad_i32_i24 v73, v171, v74, v73
	v_mul_i32_i24_e32 v74, v165, v76
	v_mul_i32_i24_e32 v76, v169, v77
	v_add3_u32 v93, v93, v239, v245
	v_bfe_i32 v239, v243, 0, 8
	v_bfe_i32 v243, v243, 16, 8
	s_delay_alu instid0(VALU_DEP_4) | instskip(SKIP_1) | instid1(VALU_DEP_4)
	v_add3_u32 v73, v73, v74, v76
	v_add_nc_u32_e32 v74, 0xc14, v102
	v_mul_i32_i24_e32 v245, v239, v205
	s_delay_alu instid0(VALU_DEP_4) | instskip(NEXT) | instid1(VALU_DEP_1)
	v_mul_i32_i24_e32 v246, v243, v226
	v_add3_u32 v75, v75, v245, v246
	v_mul_i32_i24_e32 v245, v239, v206
	v_mul_i32_i24_e32 v246, v243, v228
	s_delay_alu instid0(VALU_DEP_1) | instskip(SKIP_4) | instid1(VALU_DEP_3)
	v_add3_u32 v78, v78, v245, v246
	v_mul_i32_i24_e32 v245, v80, v155
	v_mul_i32_i24_e32 v246, v79, v172
	;; [unrolled: 1-line block ×4, first 2 shown]
	v_add3_u32 v83, v83, v245, v246
	v_mul_i32_i24_e32 v245, v46, v234
	s_delay_alu instid0(VALU_DEP_3) | instskip(SKIP_2) | instid1(VALU_DEP_4)
	v_add3_u32 v1, v1, v80, v79
	v_bfe_i32 v79, v241, 8, 8
	v_bfe_i32 v80, v241, 16, 8
	v_add3_u32 v31, v31, v245, v68
	v_mul_i32_i24_e32 v68, v27, v237
	v_mul_i32_i24_e32 v245, v46, v238
	s_delay_alu instid0(VALU_DEP_1) | instskip(SKIP_4) | instid1(VALU_DEP_3)
	v_add3_u32 v68, v71, v245, v68
	v_mul_i32_i24_e32 v71, v82, v155
	v_mul_i32_i24_e32 v245, v81, v172
	;; [unrolled: 1-line block ×4, first 2 shown]
	v_add3_u32 v71, v93, v71, v245
	ds_load_2addr_b32 v[245:246], v74 offset1:1
	v_add3_u32 v73, v73, v82, v81
	s_wait_dscnt 0x0
	v_bfe_i32 v74, v245, 0, 8
	v_ashrrev_i32_e32 v76, 24, v245
	v_bfe_i32 v81, v245, 8, 8
	v_bfe_i32 v82, v245, 16, 8
	s_delay_alu instid0(VALU_DEP_4) | instskip(NEXT) | instid1(VALU_DEP_4)
	v_mul_i32_i24_e32 v77, v74, v235
	v_mul_i32_i24_e32 v93, v76, v234
	s_delay_alu instid0(VALU_DEP_1) | instskip(SKIP_2) | instid1(VALU_DEP_1)
	v_add3_u32 v75, v75, v93, v77
	v_mul_i32_i24_e32 v77, v74, v237
	v_mul_i32_i24_e32 v93, v76, v238
	v_add3_u32 v77, v78, v93, v77
	v_mul_i32_i24_e32 v78, v85, v149
	v_mul_i32_i24_e32 v93, v87, v144
	s_delay_alu instid0(VALU_DEP_1) | instskip(SKIP_2) | instid1(VALU_DEP_1)
	v_add3_u32 v78, v83, v78, v93
	v_mul_i32_i24_e32 v83, v79, v221
	v_mul_i32_i24_e32 v93, v80, v233
	v_add3_u32 v31, v31, v83, v93
	;; [unrolled: 7-line block ×4, first 2 shown]
	v_mul_i32_i24_e32 v83, v27, v145
	v_mul_i32_i24_e32 v93, v46, v142
	;; [unrolled: 1-line block ×4, first 2 shown]
	s_delay_alu instid0(VALU_DEP_3) | instskip(SKIP_2) | instid1(VALU_DEP_1)
	v_add3_u32 v78, v78, v93, v83
	v_mul_i32_i24_e32 v83, v85, v162
	v_mul_i32_i24_e32 v85, v87, v158
	v_add3_u32 v1, v1, v83, v85
	v_bfe_i32 v83, v240, 8, 8
	v_ashrrev_i32_e32 v85, 24, v240
	s_delay_alu instid0(VALU_DEP_3) | instskip(NEXT) | instid1(VALU_DEP_3)
	v_add3_u32 v1, v1, v46, v27
	v_mul_i32_i24_e32 v87, v83, v230
	s_delay_alu instid0(VALU_DEP_3) | instskip(SKIP_2) | instid1(VALU_DEP_3)
	v_mul_i32_i24_e32 v93, v85, v229
	v_bfe_i32 v27, v240, 0, 8
	v_bfe_i32 v46, v240, 16, 8
	v_add3_u32 v31, v31, v93, v87
	v_mul_i32_i24_e32 v87, v83, v231
	v_mul_i32_i24_e32 v93, v85, v232
	s_delay_alu instid0(VALU_DEP_4) | instskip(NEXT) | instid1(VALU_DEP_2)
	v_mul_i32_i24_e32 v240, v46, v225
	v_add3_u32 v68, v68, v93, v87
	v_mul_i32_i24_e32 v87, v74, v145
	v_mul_i32_i24_e32 v93, v76, v142
	;; [unrolled: 1-line block ×4, first 2 shown]
	s_delay_alu instid0(VALU_DEP_3) | instskip(SKIP_2) | instid1(VALU_DEP_1)
	v_add3_u32 v71, v71, v93, v87
	v_mul_i32_i24_e32 v87, v239, v162
	v_mul_i32_i24_e32 v93, v243, v158
	v_add3_u32 v73, v73, v87, v93
	v_bfe_i32 v87, v244, 8, 8
	v_ashrrev_i32_e32 v93, 24, v244
	s_delay_alu instid0(VALU_DEP_3) | instskip(NEXT) | instid1(VALU_DEP_3)
	v_add3_u32 v73, v73, v76, v74
	v_mul_i32_i24_e32 v239, v87, v230
	s_delay_alu instid0(VALU_DEP_3) | instskip(SKIP_2) | instid1(VALU_DEP_3)
	v_mul_i32_i24_e32 v241, v93, v229
	v_bfe_i32 v74, v244, 0, 8
	v_bfe_i32 v76, v244, 16, 8
	v_add3_u32 v75, v75, v241, v239
	v_mul_i32_i24_e32 v239, v87, v231
	v_mul_i32_i24_e32 v241, v93, v232
	s_delay_alu instid0(VALU_DEP_1) | instskip(SKIP_4) | instid1(VALU_DEP_3)
	v_add3_u32 v77, v77, v241, v239
	v_mul_i32_i24_e32 v239, v80, v133
	v_mul_i32_i24_e32 v241, v79, v174
	;; [unrolled: 1-line block ×4, first 2 shown]
	v_add3_u32 v78, v78, v241, v239
	v_mul_i32_i24_e32 v239, v27, v215
	s_delay_alu instid0(VALU_DEP_3) | instskip(SKIP_2) | instid1(VALU_DEP_4)
	v_add3_u32 v1, v1, v79, v80
	v_bfe_i32 v79, v242, 0, 8
	v_ashrrev_i32_e32 v80, 24, v242
	v_add3_u32 v31, v31, v239, v240
	v_mul_i32_i24_e32 v239, v27, v217
	v_mul_i32_i24_e32 v240, v46, v227
	s_delay_alu instid0(VALU_DEP_1) | instskip(SKIP_4) | instid1(VALU_DEP_3)
	v_add3_u32 v68, v68, v239, v240
	v_mul_i32_i24_e32 v239, v82, v133
	v_mul_i32_i24_e32 v240, v81, v174
	;; [unrolled: 1-line block ×4, first 2 shown]
	v_add3_u32 v71, v71, v240, v239
	v_mul_i32_i24_e32 v239, v74, v215
	v_mul_i32_i24_e32 v240, v76, v225
	s_delay_alu instid0(VALU_DEP_4) | instskip(SKIP_2) | instid1(VALU_DEP_4)
	v_add3_u32 v73, v73, v81, v82
	v_bfe_i32 v81, v246, 0, 8
	v_ashrrev_i32_e32 v82, 24, v246
	v_add3_u32 v75, v75, v239, v240
	v_mul_i32_i24_e32 v239, v74, v217
	v_mul_i32_i24_e32 v240, v76, v227
	s_delay_alu instid0(VALU_DEP_1) | instskip(SKIP_4) | instid1(VALU_DEP_3)
	v_add3_u32 v77, v77, v239, v240
	v_mul_i32_i24_e32 v239, v85, v134
	v_mul_i32_i24_e32 v240, v83, v170
	;; [unrolled: 1-line block ×4, first 2 shown]
	v_add3_u32 v78, v78, v239, v240
	v_mul_i32_i24_e32 v239, v79, v220
	v_mul_i32_i24_e32 v240, v80, v219
	s_delay_alu instid0(VALU_DEP_4) | instskip(SKIP_2) | instid1(VALU_DEP_4)
	v_add3_u32 v1, v1, v85, v83
	v_bfe_i32 v83, v242, 8, 8
	v_bfe_i32 v85, v242, 16, 8
	v_add3_u32 v31, v31, v240, v239
	v_mul_i32_i24_e32 v239, v79, v223
	v_mul_i32_i24_e32 v240, v80, v224
	s_delay_alu instid0(VALU_DEP_1) | instskip(SKIP_4) | instid1(VALU_DEP_3)
	v_add3_u32 v68, v68, v240, v239
	v_mul_i32_i24_e32 v239, v93, v134
	v_mul_i32_i24_e32 v240, v87, v170
	v_mul_i32_i24_e32 v93, v93, v150
	v_mul_i32_i24_e32 v87, v87, v176
	v_add3_u32 v71, v71, v239, v240
	v_mul_i32_i24_e32 v239, v81, v220
	v_mul_i32_i24_e32 v240, v82, v219
	s_delay_alu instid0(VALU_DEP_4) | instskip(SKIP_2) | instid1(VALU_DEP_4)
	v_add3_u32 v73, v73, v93, v87
	v_bfe_i32 v87, v246, 8, 8
	v_bfe_i32 v93, v246, 16, 8
	v_add3_u32 v75, v75, v240, v239
	v_mul_i32_i24_e32 v239, v81, v223
	v_mul_i32_i24_e32 v240, v82, v224
	s_delay_alu instid0(VALU_DEP_1) | instskip(SKIP_4) | instid1(VALU_DEP_3)
	v_add3_u32 v77, v77, v240, v239
	v_mul_i32_i24_e32 v239, v27, v131
	v_mul_i32_i24_e32 v240, v46, v130
	;; [unrolled: 1-line block ×4, first 2 shown]
	v_add3_u32 v78, v78, v239, v240
	v_mul_i32_i24_e32 v239, v83, v202
	v_mul_i32_i24_e32 v240, v85, v216
	s_delay_alu instid0(VALU_DEP_4) | instskip(NEXT) | instid1(VALU_DEP_2)
	v_add3_u32 v1, v1, v27, v46
	v_add3_u32 v31, v31, v239, v240
	v_mul_i32_i24_e32 v239, v83, v204
	v_mul_i32_i24_e32 v240, v85, v218
	s_delay_alu instid0(VALU_DEP_1) | instskip(SKIP_2) | instid1(VALU_DEP_1)
	v_add3_u32 v68, v68, v239, v240
	v_mul_i32_i24_e32 v239, v74, v131
	v_mul_i32_i24_e32 v240, v76, v130
	v_add3_u32 v71, v71, v239, v240
	v_mul_i32_i24_e32 v239, v87, v202
	v_mul_i32_i24_e32 v240, v93, v216
	s_delay_alu instid0(VALU_DEP_1) | instskip(SKIP_2) | instid1(VALU_DEP_1)
	v_add3_u32 v75, v75, v239, v240
	v_mul_i32_i24_e32 v239, v87, v204
	v_mul_i32_i24_e32 v240, v93, v218
	v_add3_u32 v77, v77, v239, v240
	v_mul_i32_i24_e32 v239, v79, v127
	v_mul_i32_i24_e32 v240, v80, v126
	s_delay_alu instid0(VALU_DEP_1) | instskip(SKIP_4) | instid1(VALU_DEP_2)
	v_add3_u32 v78, v78, v240, v239
	ds_load_2addr_b32 v[239:240], v0 offset1:3
	s_wait_dscnt 0x0
	v_bfe_i32 v0, v240, 8, 8
	v_ashrrev_i32_e32 v27, 24, v240
	v_mul_i32_i24_e32 v46, v0, v208
	s_delay_alu instid0(VALU_DEP_2) | instskip(NEXT) | instid1(VALU_DEP_1)
	v_mul_i32_i24_e32 v241, v27, v207
	v_add3_u32 v31, v31, v241, v46
	v_mul_i32_i24_e32 v46, v0, v209
	v_mul_i32_i24_e32 v241, v27, v210
	s_delay_alu instid0(VALU_DEP_1) | instskip(SKIP_2) | instid1(VALU_DEP_1)
	v_add3_u32 v46, v68, v241, v46
	v_mul_i32_i24_e32 v68, v81, v127
	v_mul_i32_i24_e32 v241, v82, v126
	v_add3_u32 v68, v71, v241, v68
	ds_load_2addr_b32 v[241:242], v72 offset1:3
	v_mul_i32_i24_e32 v71, v74, v143
	v_mul_i32_i24_e32 v74, v76, v138
	s_delay_alu instid0(VALU_DEP_1) | instskip(SKIP_3) | instid1(VALU_DEP_2)
	v_add3_u32 v71, v73, v71, v74
	s_wait_dscnt 0x0
	v_bfe_i32 v72, v242, 8, 8
	v_ashrrev_i32_e32 v73, 24, v242
	v_mul_i32_i24_e32 v74, v72, v208
	s_delay_alu instid0(VALU_DEP_2) | instskip(NEXT) | instid1(VALU_DEP_1)
	v_mul_i32_i24_e32 v76, v73, v207
	v_add3_u32 v74, v75, v76, v74
	v_mul_i32_i24_e32 v75, v72, v209
	v_mul_i32_i24_e32 v76, v73, v210
	s_delay_alu instid0(VALU_DEP_1) | instskip(SKIP_2) | instid1(VALU_DEP_1)
	v_add3_u32 v75, v77, v76, v75
	v_mul_i32_i24_e32 v76, v85, v120
	v_mul_i32_i24_e32 v77, v83, v167
	v_add3_u32 v76, v78, v77, v76
	v_mul_i32_i24_e32 v77, v79, v154
	v_mul_i32_i24_e32 v78, v80, v153
	s_delay_alu instid0(VALU_DEP_1) | instskip(SKIP_2) | instid1(VALU_DEP_2)
	v_add3_u32 v1, v1, v78, v77
	v_bfe_i32 v77, v240, 0, 8
	v_bfe_i32 v78, v240, 16, 8
	v_mul_i32_i24_e32 v79, v77, v194
	s_delay_alu instid0(VALU_DEP_2) | instskip(NEXT) | instid1(VALU_DEP_1)
	v_mul_i32_i24_e32 v80, v78, v201
	v_add3_u32 v31, v31, v79, v80
	v_mul_i32_i24_e32 v79, v77, v195
	v_mul_i32_i24_e32 v80, v78, v203
	s_delay_alu instid0(VALU_DEP_1) | instskip(SKIP_2) | instid1(VALU_DEP_1)
	v_add3_u32 v46, v46, v79, v80
	v_mul_i32_i24_e32 v79, v93, v120
	v_mul_i32_i24_e32 v80, v87, v167
	v_add3_u32 v68, v68, v80, v79
	v_mul_i32_i24_e32 v79, v81, v154
	v_mul_i32_i24_e32 v80, v82, v153
	s_delay_alu instid0(VALU_DEP_1) | instskip(SKIP_2) | instid1(VALU_DEP_2)
	v_add3_u32 v71, v71, v80, v79
	v_bfe_i32 v79, v242, 0, 8
	v_bfe_i32 v80, v242, 16, 8
	v_mul_i32_i24_e32 v81, v79, v194
	s_delay_alu instid0(VALU_DEP_2) | instskip(NEXT) | instid1(VALU_DEP_1)
	v_mul_i32_i24_e32 v82, v80, v201
	v_add3_u32 v74, v74, v81, v82
	v_mul_i32_i24_e32 v81, v79, v195
	v_mul_i32_i24_e32 v82, v80, v203
	s_delay_alu instid0(VALU_DEP_1) | instskip(SKIP_4) | instid1(VALU_DEP_3)
	v_add3_u32 v75, v75, v81, v82
	v_mul_i32_i24_e32 v81, v27, v139
	v_mul_i32_i24_e32 v82, v0, v163
	v_mul_i32_i24_e32 v27, v27, v140
	v_mul_i32_i24_e32 v0, v0, v168
	v_add3_u32 v76, v76, v81, v82
	v_mul_i32_i24_e32 v81, v85, v148
	v_mul_i32_i24_e32 v82, v83, v166
	s_delay_alu instid0(VALU_DEP_1) | instskip(SKIP_2) | instid1(VALU_DEP_3)
	v_add3_u32 v1, v1, v82, v81
	v_bfe_i32 v81, v86, 0, 8
	v_ashrrev_i32_e32 v82, 24, v86
	v_add3_u32 v0, v1, v27, v0
	s_delay_alu instid0(VALU_DEP_3) | instskip(NEXT) | instid1(VALU_DEP_3)
	v_mul_i32_i24_e32 v83, v81, v198
	v_mul_i32_i24_e32 v85, v82, v197
	v_bfe_i32 v1, v86, 8, 8
	v_bfe_i32 v27, v86, 16, 8
	s_delay_alu instid0(VALU_DEP_3) | instskip(SKIP_3) | instid1(VALU_DEP_2)
	v_add3_u32 v31, v31, v85, v83
	v_mul_i32_i24_e32 v83, v81, v199
	v_mul_i32_i24_e32 v85, v82, v200
	;; [unrolled: 1-line block ×3, first 2 shown]
	v_add3_u32 v46, v46, v85, v83
	v_mul_i32_i24_e32 v83, v73, v139
	v_mul_i32_i24_e32 v85, v72, v163
	;; [unrolled: 1-line block ×4, first 2 shown]
	s_delay_alu instid0(VALU_DEP_3) | instskip(SKIP_2) | instid1(VALU_DEP_1)
	v_add3_u32 v68, v68, v83, v85
	v_mul_i32_i24_e32 v83, v93, v148
	v_mul_i32_i24_e32 v85, v87, v166
	v_add3_u32 v71, v71, v85, v83
	v_bfe_i32 v83, v88, 0, 8
	v_ashrrev_i32_e32 v85, 24, v88
	s_delay_alu instid0(VALU_DEP_3) | instskip(NEXT) | instid1(VALU_DEP_3)
	v_add3_u32 v71, v71, v73, v72
	v_mul_i32_i24_e32 v87, v83, v198
	s_delay_alu instid0(VALU_DEP_3) | instskip(SKIP_2) | instid1(VALU_DEP_3)
	v_mul_i32_i24_e32 v93, v85, v197
	v_bfe_i32 v72, v88, 8, 8
	v_bfe_i32 v73, v88, 16, 8
	v_add3_u32 v74, v74, v93, v87
	v_mul_i32_i24_e32 v87, v83, v199
	v_mul_i32_i24_e32 v93, v85, v200
	s_delay_alu instid0(VALU_DEP_1) | instskip(SKIP_4) | instid1(VALU_DEP_3)
	v_add3_u32 v75, v75, v93, v87
	v_mul_i32_i24_e32 v87, v77, v135
	v_mul_i32_i24_e32 v93, v78, v132
	;; [unrolled: 1-line block ×4, first 2 shown]
	v_add3_u32 v76, v76, v87, v93
	v_mul_i32_i24_e32 v87, v27, v193
	s_delay_alu instid0(VALU_DEP_3) | instskip(SKIP_2) | instid1(VALU_DEP_4)
	v_add3_u32 v0, v0, v77, v78
	v_bfe_i32 v77, v239, 0, 8
	v_bfe_i32 v78, v239, 8, 8
	v_add3_u32 v31, v31, v86, v87
	v_mul_i32_i24_e32 v86, v1, v192
	v_mul_i32_i24_e32 v87, v27, v196
	s_delay_alu instid0(VALU_DEP_1) | instskip(SKIP_4) | instid1(VALU_DEP_3)
	v_add3_u32 v46, v46, v86, v87
	v_mul_i32_i24_e32 v86, v79, v135
	v_mul_i32_i24_e32 v87, v80, v132
	;; [unrolled: 1-line block ×4, first 2 shown]
	v_add3_u32 v68, v68, v86, v87
	v_mul_i32_i24_e32 v86, v72, v189
	v_mul_i32_i24_e32 v87, v73, v193
	s_delay_alu instid0(VALU_DEP_4) | instskip(SKIP_2) | instid1(VALU_DEP_4)
	v_add3_u32 v71, v71, v79, v80
	v_bfe_i32 v79, v241, 0, 8
	v_bfe_i32 v80, v241, 8, 8
	v_add3_u32 v74, v74, v86, v87
	v_mul_i32_i24_e32 v86, v72, v192
	v_mul_i32_i24_e32 v87, v73, v196
	s_delay_alu instid0(VALU_DEP_1) | instskip(SKIP_4) | instid1(VALU_DEP_3)
	v_add3_u32 v75, v75, v86, v87
	v_mul_i32_i24_e32 v86, v81, v129
	v_mul_i32_i24_e32 v87, v82, v128
	;; [unrolled: 1-line block ×4, first 2 shown]
	v_add3_u32 v76, v76, v87, v86
	v_mul_i32_i24_e32 v86, v77, v115
	v_mul_i32_i24_e32 v87, v78, v114
	s_delay_alu instid0(VALU_DEP_4) | instskip(SKIP_2) | instid1(VALU_DEP_4)
	v_add3_u32 v0, v0, v82, v81
	v_bfe_i32 v81, v239, 16, 8
	v_ashrrev_i32_e32 v82, 24, v239
	v_add3_u32 v31, v31, v86, v87
	v_mul_i32_i24_e32 v86, v77, v118
	v_mul_i32_i24_e32 v87, v78, v119
	s_delay_alu instid0(VALU_DEP_1) | instskip(SKIP_4) | instid1(VALU_DEP_3)
	v_add3_u32 v46, v46, v86, v87
	v_mul_i32_i24_e32 v86, v83, v129
	v_mul_i32_i24_e32 v87, v85, v128
	;; [unrolled: 1-line block ×4, first 2 shown]
	v_add3_u32 v68, v68, v87, v86
	v_mul_i32_i24_e32 v86, v79, v115
	v_mul_i32_i24_e32 v87, v80, v114
	s_delay_alu instid0(VALU_DEP_4) | instskip(SKIP_2) | instid1(VALU_DEP_4)
	v_add3_u32 v71, v71, v85, v83
	v_bfe_i32 v83, v241, 16, 8
	v_ashrrev_i32_e32 v85, 24, v241
	v_add3_u32 v74, v74, v86, v87
	v_mul_i32_i24_e32 v86, v79, v118
	v_mul_i32_i24_e32 v87, v80, v119
	s_delay_alu instid0(VALU_DEP_1) | instskip(SKIP_4) | instid1(VALU_DEP_3)
	v_add3_u32 v75, v75, v86, v87
	v_mul_i32_i24_e32 v86, v27, v125
	v_mul_i32_i24_e32 v87, v1, v161
	;; [unrolled: 1-line block ×4, first 2 shown]
	v_add3_u32 v76, v76, v87, v86
	v_mul_i32_i24_e32 v86, v81, v112
	v_mul_i32_i24_e32 v87, v82, v113
	s_delay_alu instid0(VALU_DEP_4) | instskip(SKIP_2) | instid1(VALU_DEP_4)
	v_add3_u32 v0, v0, v1, v27
	v_mul_i32_i24_e32 v1, v111, v79
	v_mul_i32_i24_e32 v27, v4, v80
	v_add3_u32 v31, v31, v86, v87
	v_mul_i32_i24_e32 v86, v81, v116
	v_mul_i32_i24_e32 v87, v82, v117
	s_delay_alu instid0(VALU_DEP_3) | instskip(NEXT) | instid1(VALU_DEP_2)
	v_cvt_f32_i32_e32 v31, v31
	v_add3_u32 v46, v46, v86, v87
	v_mul_i32_i24_e32 v86, v73, v125
	v_mul_i32_i24_e32 v87, v72, v161
	s_delay_alu instid0(VALU_DEP_3) | instskip(NEXT) | instid1(VALU_DEP_2)
	v_cvt_f32_i32_e32 v46, v46
	v_add3_u32 v68, v68, v87, v86
	v_mul_i32_i24_e32 v86, v83, v112
	v_mul_i32_i24_e32 v87, v85, v113
	s_delay_alu instid0(VALU_DEP_3) | instskip(SKIP_1) | instid1(VALU_DEP_3)
	v_add3_u32 v1, v68, v1, v27
	v_mul_i32_i24_e32 v27, v73, v141
	v_add3_u32 v74, v74, v86, v87
	v_mul_i32_i24_e32 v86, v83, v116
	v_mul_i32_i24_e32 v87, v85, v117
	;; [unrolled: 1-line block ×4, first 2 shown]
	s_delay_alu instid0(VALU_DEP_3)
	v_add3_u32 v75, v75, v86, v87
	v_mul_i32_i24_e32 v86, v111, v77
	v_mul_i32_i24_e32 v87, v4, v78
	v_add3_u32 v27, v71, v68, v27
	v_mul_i32_i24_e32 v68, v109, v81
	v_mul_i32_i24_e32 v71, v110, v82
	s_delay_alu instid0(VALU_DEP_4) | instskip(NEXT) | instid1(VALU_DEP_1)
	v_add3_u32 v76, v76, v86, v87
	v_add3_u32 v68, v76, v68, v71
	v_mul_i32_i24_e32 v71, v123, v77
	s_delay_alu instid0(VALU_DEP_1) | instskip(SKIP_2) | instid1(VALU_DEP_1)
	v_add3_u32 v0, v0, v71, v72
	v_mul_i32_i24_e32 v71, v109, v83
	v_mul_i32_i24_e32 v72, v110, v85
	v_add3_u32 v1, v1, v71, v72
	v_mul_i32_i24_e32 v71, v123, v79
	v_mul_i32_i24_e32 v72, v124, v80
	s_delay_alu instid0(VALU_DEP_3) | instskip(NEXT) | instid1(VALU_DEP_2)
	v_cvt_f32_i32_e32 v1, v1
	v_add3_u32 v27, v27, v71, v72
	v_mul_i32_i24_e32 v71, v121, v81
	v_mul_i32_i24_e32 v72, v122, v82
	v_add_nc_u32_e32 v81, 0x1404, v102
	s_delay_alu instid0(VALU_DEP_2) | instskip(SKIP_4) | instid1(VALU_DEP_2)
	v_add3_u32 v0, v0, v71, v72
	v_mul_i32_i24_e32 v72, v122, v85
	ds_load_2addr_b32 v[85:86], v101 offset0:64 offset1:96
	v_mul_i32_i24_e32 v71, v121, v83
	v_cvt_f32_i32_e32 v0, v0
	v_add3_u32 v27, v27, v71, v72
	s_delay_alu instid0(VALU_DEP_1) | instskip(SKIP_2) | instid1(VALU_DEP_1)
	v_cvt_f32_i32_e32 v27, v27
	s_wait_dscnt 0x0
	v_lshrrev_b32_e32 v71, 16, v85
	v_cvt_f32_f16_e32 v71, v71
	s_delay_alu instid0(VALU_DEP_1) | instskip(NEXT) | instid1(VALU_DEP_1)
	v_mul_f32_e32 v71, 0x41000000, v71
	v_fma_mix_f32 v239, v85, v0, -v71 op_sel_hi:[1,0,0]
	v_lshrrev_b32_e32 v0, 16, v86
	v_fma_mix_f32 v244, v85, v31, -v71 op_sel_hi:[1,0,0]
	v_cvt_f32_i32_e32 v31, v68
	v_fma_mix_f32 v242, v85, v46, -v71 op_sel_hi:[1,0,0]
	v_cvt_f32_i32_e32 v46, v75
	v_cvt_f32_f16_e32 v0, v0
	v_fmac_f32_e32 v35, v108, v239
	v_fma_mix_f32 v240, v85, v31, -v71 op_sel_hi:[1,0,0]
	v_cvt_f32_i32_e32 v31, v74
	s_delay_alu instid0(VALU_DEP_4) | instskip(NEXT) | instid1(VALU_DEP_1)
	v_mul_f32_e32 v0, 0x41000000, v0
	v_fma_mix_f32 v246, v86, v31, -v0 op_sel_hi:[1,0,0]
	v_fma_mix_f32 v245, v86, v46, -v0 op_sel_hi:[1,0,0]
	;; [unrolled: 1-line block ×4, first 2 shown]
	v_add_nc_u32_e32 v0, 0x1000, v102
	s_delay_alu instid0(VALU_DEP_2)
	v_fmac_f32_e32 v30, v108, v241
	ds_load_2addr_b32 v[85:86], v0 offset0:4 offset1:7
	s_wait_dscnt 0x0
	v_bfe_i32 v1, v85, 8, 8
	v_bfe_i32 v27, v85, 0, 8
	;; [unrolled: 1-line block ×3, first 2 shown]
	v_ashrrev_i32_e32 v68, 24, v85
	s_delay_alu instid0(VALU_DEP_4) | instskip(NEXT) | instid1(VALU_DEP_3)
	v_mul_i32_i24_e32 v31, v1, v185
	v_mul_i32_i24_e32 v71, v46, v188
	s_delay_alu instid0(VALU_DEP_3) | instskip(SKIP_1) | instid1(VALU_DEP_4)
	v_mul_i32_i24_e32 v72, v68, v187
	v_mul_i32_i24_e32 v73, v68, v191
	v_mad_i32_i24 v31, v27, v183, v31
	s_delay_alu instid0(VALU_DEP_1) | instskip(SKIP_2) | instid1(VALU_DEP_2)
	v_add3_u32 v31, v31, v71, v72
	v_mul_i32_i24_e32 v71, v1, v184
	v_mul_i32_i24_e32 v72, v46, v190
	v_mad_i32_i24 v71, v27, v181, v71
	s_delay_alu instid0(VALU_DEP_1)
	v_add3_u32 v71, v71, v72, v73
	v_add_nc_u32_e32 v72, 0x1400, v102
	ds_load_2addr_b32 v[87:88], v72 offset0:4 offset1:7
	s_wait_dscnt 0x0
	v_bfe_i32 v73, v87, 8, 8
	v_bfe_i32 v74, v87, 0, 8
	;; [unrolled: 1-line block ×3, first 2 shown]
	v_ashrrev_i32_e32 v77, 24, v87
	v_mul_i32_i24_e32 v87, v156, v68
	v_mul_i32_i24_e32 v75, v73, v185
	s_delay_alu instid0(VALU_DEP_4) | instskip(NEXT) | instid1(VALU_DEP_4)
	v_mul_i32_i24_e32 v78, v76, v188
	v_mul_i32_i24_e32 v79, v77, v187
	v_mul_i32_i24_e32 v80, v77, v191
	s_delay_alu instid0(VALU_DEP_4) | instskip(SKIP_1) | instid1(VALU_DEP_2)
	v_mad_i32_i24 v75, v74, v183, v75
	v_mul_i32_i24_e32 v253, v156, v77
	v_add3_u32 v75, v75, v78, v79
	v_mul_i32_i24_e32 v78, v73, v184
	v_mul_i32_i24_e32 v79, v76, v190
	s_delay_alu instid0(VALU_DEP_2) | instskip(NEXT) | instid1(VALU_DEP_1)
	v_mad_i32_i24 v78, v74, v181, v78
	v_add3_u32 v78, v78, v79, v80
	v_add_nc_u32_e32 v79, 0x1004, v102
	v_add_nc_u32_e32 v80, 0x1014, v102
	ds_load_2addr_b32 v[247:248], v79 offset1:1
	ds_load_2addr_b32 v[249:250], v80 offset1:1
	;; [unrolled: 1-line block ×3, first 2 shown]
	s_wait_dscnt 0x2
	v_bfe_i32 v79, v247, 8, 8
	v_ashrrev_i32_e32 v80, 24, v247
	s_delay_alu instid0(VALU_DEP_2) | instskip(NEXT) | instid1(VALU_DEP_2)
	v_mul_i32_i24_e32 v81, v79, v212
	v_mul_i32_i24_e32 v82, v80, v211
	s_delay_alu instid0(VALU_DEP_1) | instskip(SKIP_2) | instid1(VALU_DEP_1)
	v_add3_u32 v31, v31, v82, v81
	v_mul_i32_i24_e32 v81, v79, v213
	v_mul_i32_i24_e32 v82, v80, v214
	v_add3_u32 v71, v71, v82, v81
	s_wait_dscnt 0x0
	v_bfe_i32 v81, v251, 8, 8
	v_ashrrev_i32_e32 v82, 24, v251
	s_delay_alu instid0(VALU_DEP_2) | instskip(NEXT) | instid1(VALU_DEP_2)
	v_mul_i32_i24_e32 v83, v81, v212
	v_mul_i32_i24_e32 v85, v82, v211
	s_delay_alu instid0(VALU_DEP_1) | instskip(SKIP_2) | instid1(VALU_DEP_1)
	v_add3_u32 v75, v75, v85, v83
	v_mul_i32_i24_e32 v83, v81, v213
	v_mul_i32_i24_e32 v85, v82, v214
	v_add3_u32 v78, v78, v85, v83
	v_mul_i32_i24_e32 v83, v175, v1
	v_mul_i32_i24_e32 v85, v152, v46
	;; [unrolled: 1-line block ×3, first 2 shown]
	s_delay_alu instid0(VALU_DEP_3) | instskip(NEXT) | instid1(VALU_DEP_2)
	v_mad_i32_i24 v83, v159, v27, v83
	v_mad_i32_i24 v1, v171, v27, v1
	v_mul_i32_i24_e32 v27, v165, v46
	v_mul_i32_i24_e32 v46, v169, v68
	s_delay_alu instid0(VALU_DEP_4) | instskip(SKIP_2) | instid1(VALU_DEP_4)
	v_add3_u32 v83, v83, v85, v87
	v_bfe_i32 v85, v247, 0, 8
	v_bfe_i32 v87, v247, 16, 8
	v_add3_u32 v1, v1, v27, v46
	v_bfe_i32 v27, v249, 0, 8
	s_delay_alu instid0(VALU_DEP_4) | instskip(NEXT) | instid1(VALU_DEP_4)
	v_mul_i32_i24_e32 v93, v85, v205
	v_mul_i32_i24_e32 v247, v87, v226
	v_ashrrev_i32_e32 v46, 24, v249
	s_delay_alu instid0(VALU_DEP_4) | instskip(NEXT) | instid1(VALU_DEP_3)
	v_mul_i32_i24_e32 v68, v27, v235
	v_add3_u32 v31, v31, v93, v247
	v_mul_i32_i24_e32 v93, v85, v206
	v_mul_i32_i24_e32 v247, v87, v228
	s_delay_alu instid0(VALU_DEP_1) | instskip(SKIP_3) | instid1(VALU_DEP_3)
	v_add3_u32 v71, v71, v93, v247
	v_mul_i32_i24_e32 v93, v175, v73
	v_mul_i32_i24_e32 v247, v152, v76
	;; [unrolled: 1-line block ×3, first 2 shown]
	v_mad_i32_i24 v93, v159, v74, v93
	s_delay_alu instid0(VALU_DEP_2) | instskip(SKIP_2) | instid1(VALU_DEP_4)
	v_mad_i32_i24 v73, v171, v74, v73
	v_mul_i32_i24_e32 v74, v165, v76
	v_mul_i32_i24_e32 v76, v169, v77
	v_add3_u32 v93, v93, v247, v253
	v_bfe_i32 v247, v251, 0, 8
	v_bfe_i32 v251, v251, 16, 8
	s_delay_alu instid0(VALU_DEP_4) | instskip(SKIP_1) | instid1(VALU_DEP_4)
	v_add3_u32 v73, v73, v74, v76
	v_add_nc_u32_e32 v74, 0x1414, v102
	v_mul_i32_i24_e32 v253, v247, v205
	s_delay_alu instid0(VALU_DEP_4) | instskip(NEXT) | instid1(VALU_DEP_1)
	v_mul_i32_i24_e32 v254, v251, v226
	v_add3_u32 v75, v75, v253, v254
	v_mul_i32_i24_e32 v253, v247, v206
	v_mul_i32_i24_e32 v254, v251, v228
	s_delay_alu instid0(VALU_DEP_1) | instskip(SKIP_4) | instid1(VALU_DEP_3)
	v_add3_u32 v78, v78, v253, v254
	v_mul_i32_i24_e32 v253, v80, v155
	v_mul_i32_i24_e32 v254, v79, v172
	v_mul_i32_i24_e32 v80, v80, v164
	v_mul_i32_i24_e32 v79, v79, v177
	v_add3_u32 v83, v83, v253, v254
	v_mul_i32_i24_e32 v253, v46, v234
	s_delay_alu instid0(VALU_DEP_3) | instskip(SKIP_2) | instid1(VALU_DEP_4)
	v_add3_u32 v1, v1, v80, v79
	v_bfe_i32 v79, v249, 8, 8
	v_bfe_i32 v80, v249, 16, 8
	v_add3_u32 v31, v31, v253, v68
	v_mul_i32_i24_e32 v68, v27, v237
	v_mul_i32_i24_e32 v253, v46, v238
	s_delay_alu instid0(VALU_DEP_1) | instskip(SKIP_4) | instid1(VALU_DEP_3)
	v_add3_u32 v68, v71, v253, v68
	v_mul_i32_i24_e32 v71, v82, v155
	v_mul_i32_i24_e32 v253, v81, v172
	;; [unrolled: 1-line block ×4, first 2 shown]
	v_add3_u32 v71, v93, v71, v253
	ds_load_2addr_b32 v[253:254], v74 offset1:1
	v_add3_u32 v73, v73, v82, v81
	s_wait_dscnt 0x0
	v_bfe_i32 v74, v253, 0, 8
	v_ashrrev_i32_e32 v76, 24, v253
	v_bfe_i32 v81, v253, 8, 8
	v_bfe_i32 v82, v253, 16, 8
	s_delay_alu instid0(VALU_DEP_4) | instskip(NEXT) | instid1(VALU_DEP_4)
	v_mul_i32_i24_e32 v77, v74, v235
	v_mul_i32_i24_e32 v93, v76, v234
	s_delay_alu instid0(VALU_DEP_1) | instskip(SKIP_2) | instid1(VALU_DEP_1)
	v_add3_u32 v75, v75, v93, v77
	v_mul_i32_i24_e32 v77, v74, v237
	v_mul_i32_i24_e32 v93, v76, v238
	v_add3_u32 v77, v78, v93, v77
	v_mul_i32_i24_e32 v78, v85, v149
	v_mul_i32_i24_e32 v93, v87, v144
	s_delay_alu instid0(VALU_DEP_1) | instskip(SKIP_2) | instid1(VALU_DEP_1)
	v_add3_u32 v78, v83, v78, v93
	v_mul_i32_i24_e32 v83, v79, v221
	v_mul_i32_i24_e32 v93, v80, v233
	v_add3_u32 v31, v31, v83, v93
	;; [unrolled: 7-line block ×4, first 2 shown]
	v_mul_i32_i24_e32 v83, v27, v145
	v_mul_i32_i24_e32 v93, v46, v142
	;; [unrolled: 1-line block ×4, first 2 shown]
	s_delay_alu instid0(VALU_DEP_3) | instskip(SKIP_2) | instid1(VALU_DEP_1)
	v_add3_u32 v78, v78, v93, v83
	v_mul_i32_i24_e32 v83, v85, v162
	v_mul_i32_i24_e32 v85, v87, v158
	v_add3_u32 v1, v1, v83, v85
	v_bfe_i32 v83, v248, 8, 8
	v_ashrrev_i32_e32 v85, 24, v248
	s_delay_alu instid0(VALU_DEP_3) | instskip(NEXT) | instid1(VALU_DEP_3)
	v_add3_u32 v1, v1, v46, v27
	v_mul_i32_i24_e32 v87, v83, v230
	s_delay_alu instid0(VALU_DEP_3) | instskip(SKIP_2) | instid1(VALU_DEP_3)
	v_mul_i32_i24_e32 v93, v85, v229
	v_bfe_i32 v27, v248, 0, 8
	v_bfe_i32 v46, v248, 16, 8
	v_add3_u32 v31, v31, v93, v87
	v_mul_i32_i24_e32 v87, v83, v231
	v_mul_i32_i24_e32 v93, v85, v232
	s_delay_alu instid0(VALU_DEP_4) | instskip(NEXT) | instid1(VALU_DEP_2)
	v_mul_i32_i24_e32 v248, v46, v225
	v_add3_u32 v68, v68, v93, v87
	v_mul_i32_i24_e32 v87, v74, v145
	v_mul_i32_i24_e32 v93, v76, v142
	;; [unrolled: 1-line block ×4, first 2 shown]
	s_delay_alu instid0(VALU_DEP_3) | instskip(SKIP_2) | instid1(VALU_DEP_1)
	v_add3_u32 v71, v71, v93, v87
	v_mul_i32_i24_e32 v87, v247, v162
	v_mul_i32_i24_e32 v93, v251, v158
	v_add3_u32 v73, v73, v87, v93
	v_bfe_i32 v87, v252, 8, 8
	v_ashrrev_i32_e32 v93, 24, v252
	s_delay_alu instid0(VALU_DEP_3) | instskip(NEXT) | instid1(VALU_DEP_3)
	v_add3_u32 v73, v73, v76, v74
	v_mul_i32_i24_e32 v247, v87, v230
	s_delay_alu instid0(VALU_DEP_3) | instskip(SKIP_2) | instid1(VALU_DEP_3)
	v_mul_i32_i24_e32 v249, v93, v229
	v_bfe_i32 v74, v252, 0, 8
	v_bfe_i32 v76, v252, 16, 8
	v_add3_u32 v75, v75, v249, v247
	v_mul_i32_i24_e32 v247, v87, v231
	v_mul_i32_i24_e32 v249, v93, v232
	s_delay_alu instid0(VALU_DEP_1) | instskip(SKIP_4) | instid1(VALU_DEP_3)
	v_add3_u32 v77, v77, v249, v247
	v_mul_i32_i24_e32 v247, v80, v133
	v_mul_i32_i24_e32 v249, v79, v174
	;; [unrolled: 1-line block ×4, first 2 shown]
	v_add3_u32 v78, v78, v249, v247
	v_mul_i32_i24_e32 v247, v27, v215
	s_delay_alu instid0(VALU_DEP_3) | instskip(SKIP_2) | instid1(VALU_DEP_4)
	v_add3_u32 v1, v1, v79, v80
	v_bfe_i32 v79, v250, 0, 8
	v_ashrrev_i32_e32 v80, 24, v250
	v_add3_u32 v31, v31, v247, v248
	v_mul_i32_i24_e32 v247, v27, v217
	v_mul_i32_i24_e32 v248, v46, v227
	s_delay_alu instid0(VALU_DEP_1) | instskip(SKIP_4) | instid1(VALU_DEP_3)
	v_add3_u32 v68, v68, v247, v248
	v_mul_i32_i24_e32 v247, v82, v133
	v_mul_i32_i24_e32 v248, v81, v174
	;; [unrolled: 1-line block ×4, first 2 shown]
	v_add3_u32 v71, v71, v248, v247
	v_mul_i32_i24_e32 v247, v74, v215
	v_mul_i32_i24_e32 v248, v76, v225
	s_delay_alu instid0(VALU_DEP_4) | instskip(SKIP_2) | instid1(VALU_DEP_4)
	v_add3_u32 v73, v73, v81, v82
	v_bfe_i32 v81, v254, 0, 8
	v_ashrrev_i32_e32 v82, 24, v254
	v_add3_u32 v75, v75, v247, v248
	v_mul_i32_i24_e32 v247, v74, v217
	v_mul_i32_i24_e32 v248, v76, v227
	s_delay_alu instid0(VALU_DEP_1) | instskip(SKIP_4) | instid1(VALU_DEP_3)
	v_add3_u32 v77, v77, v247, v248
	v_mul_i32_i24_e32 v247, v85, v134
	v_mul_i32_i24_e32 v248, v83, v170
	v_mul_i32_i24_e32 v85, v85, v150
	v_mul_i32_i24_e32 v83, v83, v176
	v_add3_u32 v78, v78, v247, v248
	v_mul_i32_i24_e32 v247, v79, v220
	v_mul_i32_i24_e32 v248, v80, v219
	s_delay_alu instid0(VALU_DEP_4) | instskip(SKIP_2) | instid1(VALU_DEP_4)
	v_add3_u32 v1, v1, v85, v83
	v_bfe_i32 v83, v250, 8, 8
	v_bfe_i32 v85, v250, 16, 8
	v_add3_u32 v31, v31, v248, v247
	v_mul_i32_i24_e32 v247, v79, v223
	v_mul_i32_i24_e32 v248, v80, v224
	s_delay_alu instid0(VALU_DEP_1) | instskip(SKIP_4) | instid1(VALU_DEP_3)
	v_add3_u32 v68, v68, v248, v247
	v_mul_i32_i24_e32 v247, v93, v134
	v_mul_i32_i24_e32 v248, v87, v170
	;; [unrolled: 1-line block ×4, first 2 shown]
	v_add3_u32 v71, v71, v247, v248
	v_mul_i32_i24_e32 v247, v81, v220
	v_mul_i32_i24_e32 v248, v82, v219
	s_delay_alu instid0(VALU_DEP_4) | instskip(SKIP_2) | instid1(VALU_DEP_4)
	v_add3_u32 v73, v73, v93, v87
	v_bfe_i32 v87, v254, 8, 8
	v_bfe_i32 v93, v254, 16, 8
	v_add3_u32 v75, v75, v248, v247
	v_mul_i32_i24_e32 v247, v81, v223
	v_mul_i32_i24_e32 v248, v82, v224
	s_delay_alu instid0(VALU_DEP_1) | instskip(SKIP_4) | instid1(VALU_DEP_3)
	v_add3_u32 v77, v77, v248, v247
	v_mul_i32_i24_e32 v247, v27, v131
	v_mul_i32_i24_e32 v248, v46, v130
	;; [unrolled: 1-line block ×4, first 2 shown]
	v_add3_u32 v78, v78, v247, v248
	v_mul_i32_i24_e32 v247, v83, v202
	v_mul_i32_i24_e32 v248, v85, v216
	s_delay_alu instid0(VALU_DEP_4) | instskip(NEXT) | instid1(VALU_DEP_2)
	v_add3_u32 v1, v1, v27, v46
	v_add3_u32 v31, v31, v247, v248
	v_mul_i32_i24_e32 v247, v83, v204
	v_mul_i32_i24_e32 v248, v85, v218
	s_delay_alu instid0(VALU_DEP_1) | instskip(SKIP_2) | instid1(VALU_DEP_1)
	v_add3_u32 v68, v68, v247, v248
	v_mul_i32_i24_e32 v247, v74, v131
	v_mul_i32_i24_e32 v248, v76, v130
	v_add3_u32 v71, v71, v247, v248
	v_mul_i32_i24_e32 v247, v87, v202
	v_mul_i32_i24_e32 v248, v93, v216
	s_delay_alu instid0(VALU_DEP_1) | instskip(SKIP_2) | instid1(VALU_DEP_1)
	v_add3_u32 v75, v75, v247, v248
	v_mul_i32_i24_e32 v247, v87, v204
	v_mul_i32_i24_e32 v248, v93, v218
	v_add3_u32 v77, v77, v247, v248
	v_mul_i32_i24_e32 v247, v79, v127
	v_mul_i32_i24_e32 v248, v80, v126
	s_delay_alu instid0(VALU_DEP_1) | instskip(SKIP_4) | instid1(VALU_DEP_2)
	v_add3_u32 v78, v78, v248, v247
	ds_load_2addr_b32 v[247:248], v0 offset1:3
	s_wait_dscnt 0x0
	v_bfe_i32 v0, v248, 8, 8
	v_ashrrev_i32_e32 v27, 24, v248
	v_mul_i32_i24_e32 v46, v0, v208
	s_delay_alu instid0(VALU_DEP_2) | instskip(NEXT) | instid1(VALU_DEP_1)
	v_mul_i32_i24_e32 v249, v27, v207
	v_add3_u32 v31, v31, v249, v46
	v_mul_i32_i24_e32 v46, v0, v209
	v_mul_i32_i24_e32 v249, v27, v210
	s_delay_alu instid0(VALU_DEP_1) | instskip(SKIP_2) | instid1(VALU_DEP_1)
	v_add3_u32 v46, v68, v249, v46
	v_mul_i32_i24_e32 v68, v81, v127
	v_mul_i32_i24_e32 v249, v82, v126
	v_add3_u32 v68, v71, v249, v68
	ds_load_2addr_b32 v[249:250], v72 offset1:3
	v_mul_i32_i24_e32 v71, v74, v143
	v_mul_i32_i24_e32 v74, v76, v138
	s_delay_alu instid0(VALU_DEP_1) | instskip(SKIP_3) | instid1(VALU_DEP_2)
	v_add3_u32 v71, v73, v71, v74
	s_wait_dscnt 0x0
	v_bfe_i32 v72, v250, 8, 8
	v_ashrrev_i32_e32 v73, 24, v250
	v_mul_i32_i24_e32 v74, v72, v208
	s_delay_alu instid0(VALU_DEP_2) | instskip(NEXT) | instid1(VALU_DEP_1)
	v_mul_i32_i24_e32 v76, v73, v207
	v_add3_u32 v74, v75, v76, v74
	v_mul_i32_i24_e32 v75, v72, v209
	v_mul_i32_i24_e32 v76, v73, v210
	s_delay_alu instid0(VALU_DEP_1) | instskip(SKIP_2) | instid1(VALU_DEP_1)
	v_add3_u32 v75, v77, v76, v75
	v_mul_i32_i24_e32 v76, v85, v120
	v_mul_i32_i24_e32 v77, v83, v167
	v_add3_u32 v76, v78, v77, v76
	v_mul_i32_i24_e32 v77, v79, v154
	v_mul_i32_i24_e32 v78, v80, v153
	s_delay_alu instid0(VALU_DEP_1) | instskip(SKIP_2) | instid1(VALU_DEP_2)
	v_add3_u32 v1, v1, v78, v77
	v_bfe_i32 v77, v248, 0, 8
	v_bfe_i32 v78, v248, 16, 8
	v_mul_i32_i24_e32 v79, v77, v194
	s_delay_alu instid0(VALU_DEP_2) | instskip(NEXT) | instid1(VALU_DEP_1)
	v_mul_i32_i24_e32 v80, v78, v201
	v_add3_u32 v31, v31, v79, v80
	v_mul_i32_i24_e32 v79, v77, v195
	v_mul_i32_i24_e32 v80, v78, v203
	s_delay_alu instid0(VALU_DEP_1) | instskip(SKIP_2) | instid1(VALU_DEP_1)
	v_add3_u32 v46, v46, v79, v80
	v_mul_i32_i24_e32 v79, v93, v120
	v_mul_i32_i24_e32 v80, v87, v167
	v_add3_u32 v68, v68, v80, v79
	v_mul_i32_i24_e32 v79, v81, v154
	v_mul_i32_i24_e32 v80, v82, v153
	s_delay_alu instid0(VALU_DEP_1) | instskip(SKIP_2) | instid1(VALU_DEP_2)
	v_add3_u32 v71, v71, v80, v79
	v_bfe_i32 v79, v250, 0, 8
	v_bfe_i32 v80, v250, 16, 8
	v_mul_i32_i24_e32 v81, v79, v194
	s_delay_alu instid0(VALU_DEP_2) | instskip(NEXT) | instid1(VALU_DEP_1)
	v_mul_i32_i24_e32 v82, v80, v201
	v_add3_u32 v74, v74, v81, v82
	v_mul_i32_i24_e32 v81, v79, v195
	v_mul_i32_i24_e32 v82, v80, v203
	s_delay_alu instid0(VALU_DEP_1) | instskip(SKIP_4) | instid1(VALU_DEP_3)
	v_add3_u32 v75, v75, v81, v82
	v_mul_i32_i24_e32 v81, v27, v139
	v_mul_i32_i24_e32 v82, v0, v163
	;; [unrolled: 1-line block ×4, first 2 shown]
	v_add3_u32 v76, v76, v81, v82
	v_mul_i32_i24_e32 v81, v85, v148
	v_mul_i32_i24_e32 v82, v83, v166
	s_delay_alu instid0(VALU_DEP_1) | instskip(SKIP_2) | instid1(VALU_DEP_3)
	v_add3_u32 v1, v1, v82, v81
	v_bfe_i32 v81, v86, 0, 8
	v_ashrrev_i32_e32 v82, 24, v86
	v_add3_u32 v0, v1, v27, v0
	s_delay_alu instid0(VALU_DEP_3) | instskip(NEXT) | instid1(VALU_DEP_3)
	v_mul_i32_i24_e32 v83, v81, v198
	v_mul_i32_i24_e32 v85, v82, v197
	v_bfe_i32 v1, v86, 8, 8
	v_bfe_i32 v27, v86, 16, 8
	s_delay_alu instid0(VALU_DEP_3) | instskip(SKIP_3) | instid1(VALU_DEP_2)
	v_add3_u32 v31, v31, v85, v83
	v_mul_i32_i24_e32 v83, v81, v199
	v_mul_i32_i24_e32 v85, v82, v200
	;; [unrolled: 1-line block ×3, first 2 shown]
	v_add3_u32 v46, v46, v85, v83
	v_mul_i32_i24_e32 v83, v73, v139
	v_mul_i32_i24_e32 v85, v72, v163
	v_mul_i32_i24_e32 v73, v73, v140
	v_mul_i32_i24_e32 v72, v72, v168
	s_delay_alu instid0(VALU_DEP_3) | instskip(SKIP_2) | instid1(VALU_DEP_1)
	v_add3_u32 v68, v68, v83, v85
	v_mul_i32_i24_e32 v83, v93, v148
	v_mul_i32_i24_e32 v85, v87, v166
	v_add3_u32 v71, v71, v85, v83
	v_bfe_i32 v83, v88, 0, 8
	v_ashrrev_i32_e32 v85, 24, v88
	s_delay_alu instid0(VALU_DEP_3) | instskip(NEXT) | instid1(VALU_DEP_3)
	v_add3_u32 v71, v71, v73, v72
	v_mul_i32_i24_e32 v87, v83, v198
	s_delay_alu instid0(VALU_DEP_3) | instskip(SKIP_2) | instid1(VALU_DEP_3)
	v_mul_i32_i24_e32 v93, v85, v197
	v_bfe_i32 v72, v88, 8, 8
	v_bfe_i32 v73, v88, 16, 8
	v_add3_u32 v74, v74, v93, v87
	v_mul_i32_i24_e32 v87, v83, v199
	v_mul_i32_i24_e32 v93, v85, v200
	s_delay_alu instid0(VALU_DEP_1) | instskip(SKIP_4) | instid1(VALU_DEP_3)
	v_add3_u32 v75, v75, v93, v87
	v_mul_i32_i24_e32 v87, v77, v135
	v_mul_i32_i24_e32 v93, v78, v132
	;; [unrolled: 1-line block ×4, first 2 shown]
	v_add3_u32 v76, v76, v87, v93
	v_mul_i32_i24_e32 v87, v27, v193
	s_delay_alu instid0(VALU_DEP_3) | instskip(SKIP_2) | instid1(VALU_DEP_4)
	v_add3_u32 v0, v0, v77, v78
	v_bfe_i32 v77, v247, 0, 8
	v_bfe_i32 v78, v247, 8, 8
	v_add3_u32 v31, v31, v86, v87
	v_mul_i32_i24_e32 v86, v1, v192
	v_mul_i32_i24_e32 v87, v27, v196
	s_delay_alu instid0(VALU_DEP_1) | instskip(SKIP_4) | instid1(VALU_DEP_3)
	v_add3_u32 v46, v46, v86, v87
	v_mul_i32_i24_e32 v86, v79, v135
	v_mul_i32_i24_e32 v87, v80, v132
	;; [unrolled: 1-line block ×4, first 2 shown]
	v_add3_u32 v68, v68, v86, v87
	v_mul_i32_i24_e32 v86, v72, v189
	v_mul_i32_i24_e32 v87, v73, v193
	s_delay_alu instid0(VALU_DEP_4) | instskip(SKIP_2) | instid1(VALU_DEP_4)
	v_add3_u32 v71, v71, v79, v80
	v_bfe_i32 v79, v249, 0, 8
	v_bfe_i32 v80, v249, 8, 8
	v_add3_u32 v74, v74, v86, v87
	v_mul_i32_i24_e32 v86, v72, v192
	v_mul_i32_i24_e32 v87, v73, v196
	s_delay_alu instid0(VALU_DEP_1) | instskip(SKIP_4) | instid1(VALU_DEP_3)
	v_add3_u32 v75, v75, v86, v87
	v_mul_i32_i24_e32 v86, v81, v129
	v_mul_i32_i24_e32 v87, v82, v128
	;; [unrolled: 1-line block ×4, first 2 shown]
	v_add3_u32 v76, v76, v87, v86
	v_mul_i32_i24_e32 v86, v77, v115
	v_mul_i32_i24_e32 v87, v78, v114
	s_delay_alu instid0(VALU_DEP_4) | instskip(SKIP_2) | instid1(VALU_DEP_4)
	v_add3_u32 v0, v0, v82, v81
	v_bfe_i32 v81, v247, 16, 8
	v_ashrrev_i32_e32 v82, 24, v247
	v_add3_u32 v31, v31, v86, v87
	v_mul_i32_i24_e32 v86, v77, v118
	v_mul_i32_i24_e32 v87, v78, v119
	s_delay_alu instid0(VALU_DEP_1) | instskip(SKIP_4) | instid1(VALU_DEP_3)
	v_add3_u32 v46, v46, v86, v87
	v_mul_i32_i24_e32 v86, v83, v129
	v_mul_i32_i24_e32 v87, v85, v128
	;; [unrolled: 1-line block ×4, first 2 shown]
	v_add3_u32 v68, v68, v87, v86
	v_mul_i32_i24_e32 v86, v79, v115
	v_mul_i32_i24_e32 v87, v80, v114
	s_delay_alu instid0(VALU_DEP_4) | instskip(SKIP_2) | instid1(VALU_DEP_4)
	v_add3_u32 v71, v71, v85, v83
	v_bfe_i32 v83, v249, 16, 8
	v_ashrrev_i32_e32 v85, 24, v249
	v_add3_u32 v74, v74, v86, v87
	v_mul_i32_i24_e32 v86, v79, v118
	v_mul_i32_i24_e32 v87, v80, v119
	s_delay_alu instid0(VALU_DEP_1) | instskip(SKIP_4) | instid1(VALU_DEP_3)
	v_add3_u32 v75, v75, v86, v87
	v_mul_i32_i24_e32 v86, v27, v125
	v_mul_i32_i24_e32 v87, v1, v161
	;; [unrolled: 1-line block ×4, first 2 shown]
	v_add3_u32 v76, v76, v87, v86
	v_mul_i32_i24_e32 v86, v81, v112
	v_mul_i32_i24_e32 v87, v82, v113
	s_delay_alu instid0(VALU_DEP_4) | instskip(SKIP_2) | instid1(VALU_DEP_4)
	v_add3_u32 v0, v0, v1, v27
	v_mul_i32_i24_e32 v1, v111, v79
	v_mul_i32_i24_e32 v27, v4, v80
	v_add3_u32 v31, v31, v86, v87
	v_mul_i32_i24_e32 v86, v81, v116
	v_mul_i32_i24_e32 v87, v82, v117
	s_delay_alu instid0(VALU_DEP_3) | instskip(NEXT) | instid1(VALU_DEP_2)
	v_cvt_f32_i32_e32 v31, v31
	v_add3_u32 v46, v46, v86, v87
	v_mul_i32_i24_e32 v86, v73, v125
	v_mul_i32_i24_e32 v87, v72, v161
	s_delay_alu instid0(VALU_DEP_3) | instskip(NEXT) | instid1(VALU_DEP_2)
	v_cvt_f32_i32_e32 v46, v46
	v_add3_u32 v68, v68, v87, v86
	v_mul_i32_i24_e32 v86, v83, v112
	v_mul_i32_i24_e32 v87, v85, v113
	s_delay_alu instid0(VALU_DEP_3) | instskip(SKIP_1) | instid1(VALU_DEP_3)
	v_add3_u32 v1, v68, v1, v27
	v_mul_i32_i24_e32 v27, v73, v141
	v_add3_u32 v74, v74, v86, v87
	v_mul_i32_i24_e32 v86, v83, v116
	v_mul_i32_i24_e32 v87, v85, v117
	;; [unrolled: 1-line block ×4, first 2 shown]
	s_delay_alu instid0(VALU_DEP_3)
	v_add3_u32 v75, v75, v86, v87
	v_mul_i32_i24_e32 v86, v111, v77
	v_mul_i32_i24_e32 v87, v4, v78
	v_add3_u32 v27, v71, v68, v27
	v_mul_i32_i24_e32 v68, v109, v81
	v_mul_i32_i24_e32 v71, v110, v82
	s_delay_alu instid0(VALU_DEP_4) | instskip(NEXT) | instid1(VALU_DEP_1)
	v_add3_u32 v76, v76, v86, v87
	v_add3_u32 v68, v76, v68, v71
	v_mul_i32_i24_e32 v71, v123, v77
	s_delay_alu instid0(VALU_DEP_1) | instskip(SKIP_2) | instid1(VALU_DEP_1)
	v_add3_u32 v0, v0, v71, v72
	v_mul_i32_i24_e32 v71, v109, v83
	v_mul_i32_i24_e32 v72, v110, v85
	v_add3_u32 v1, v1, v71, v72
	v_mul_i32_i24_e32 v71, v123, v79
	v_mul_i32_i24_e32 v72, v124, v80
	s_delay_alu instid0(VALU_DEP_3) | instskip(NEXT) | instid1(VALU_DEP_2)
	v_cvt_f32_i32_e32 v1, v1
	v_add3_u32 v27, v27, v71, v72
	v_mul_i32_i24_e32 v71, v121, v81
	v_mul_i32_i24_e32 v72, v122, v82
	s_delay_alu instid0(VALU_DEP_1) | instskip(SKIP_4) | instid1(VALU_DEP_2)
	v_add3_u32 v0, v0, v71, v72
	v_mul_i32_i24_e32 v72, v122, v85
	ds_load_2addr_b32 v[85:86], v101 offset0:128 offset1:160
	v_mul_i32_i24_e32 v71, v121, v83
	v_cvt_f32_i32_e32 v0, v0
	v_add3_u32 v27, v27, v71, v72
	s_delay_alu instid0(VALU_DEP_1) | instskip(SKIP_2) | instid1(VALU_DEP_1)
	v_cvt_f32_i32_e32 v27, v27
	s_wait_dscnt 0x0
	v_lshrrev_b32_e32 v71, 16, v85
	v_cvt_f32_f16_e32 v71, v71
	s_delay_alu instid0(VALU_DEP_1) | instskip(NEXT) | instid1(VALU_DEP_1)
	v_mul_f32_e32 v71, 0x41000000, v71
	v_fma_mix_f32 v247, v85, v0, -v71 op_sel_hi:[1,0,0]
	v_lshrrev_b32_e32 v0, 16, v86
	v_fma_mix_f32 v250, v85, v46, -v71 op_sel_hi:[1,0,0]
	v_cvt_f32_i32_e32 v46, v68
	v_cvt_f32_i32_e32 v68, v75
	v_fma_mix_f32 v31, v85, v31, -v71 op_sel_hi:[1,0,0]
	v_cvt_f32_f16_e32 v0, v0
	v_fmac_f32_e32 v24, v108, v247
	v_fma_mix_f32 v249, v85, v46, -v71 op_sel_hi:[1,0,0]
	v_cvt_f32_i32_e32 v46, v74
	s_delay_alu instid0(VALU_DEP_4) | instskip(NEXT) | instid1(VALU_DEP_1)
	v_mul_f32_e32 v0, 0x41000000, v0
	v_fma_mix_f32 v46, v86, v46, -v0 op_sel_hi:[1,0,0]
	v_fma_mix_f32 v68, v86, v68, -v0 op_sel_hi:[1,0,0]
	;; [unrolled: 1-line block ×4, first 2 shown]
	v_add_nc_u32_e32 v0, 0x1800, v102
	s_delay_alu instid0(VALU_DEP_2)
	v_fmac_f32_e32 v20, v108, v248
	ds_load_2addr_b32 v[85:86], v0 offset0:4 offset1:7
	s_wait_dscnt 0x0
	v_bfe_i32 v1, v85, 8, 8
	v_bfe_i32 v27, v85, 0, 8
	;; [unrolled: 1-line block ×3, first 2 shown]
	v_ashrrev_i32_e32 v73, 24, v85
	v_add_nc_u32_e32 v85, 0x1c04, v102
	v_mul_i32_i24_e32 v71, v1, v185
	s_delay_alu instid0(VALU_DEP_4) | instskip(NEXT) | instid1(VALU_DEP_4)
	v_mul_i32_i24_e32 v74, v72, v188
	v_mul_i32_i24_e32 v75, v73, v187
	;; [unrolled: 1-line block ×3, first 2 shown]
	s_delay_alu instid0(VALU_DEP_4) | instskip(NEXT) | instid1(VALU_DEP_1)
	v_mad_i32_i24 v71, v27, v183, v71
	v_add3_u32 v71, v71, v74, v75
	v_mul_i32_i24_e32 v74, v1, v184
	v_mul_i32_i24_e32 v75, v72, v190
	s_delay_alu instid0(VALU_DEP_2) | instskip(NEXT) | instid1(VALU_DEP_1)
	v_mad_i32_i24 v74, v27, v181, v74
	v_add3_u32 v74, v74, v75, v76
	v_add_nc_u32_e32 v75, 0x1c00, v102
	ds_load_2addr_b32 v[87:88], v75 offset0:4 offset1:7
	s_wait_dscnt 0x0
	v_bfe_i32 v76, v87, 8, 8
	v_bfe_i32 v78, v87, 0, 8
	;; [unrolled: 1-line block ×3, first 2 shown]
	v_ashrrev_i32_e32 v81, 24, v87
	s_delay_alu instid0(VALU_DEP_4) | instskip(SKIP_1) | instid1(VALU_DEP_4)
	v_mul_i32_i24_e32 v77, v76, v185
	v_mul_i32_i24_e32 v185, v156, v73
	;; [unrolled: 1-line block ×3, first 2 shown]
	s_delay_alu instid0(VALU_DEP_4)
	v_mul_i32_i24_e32 v82, v81, v187
	v_mul_i32_i24_e32 v83, v81, v191
	v_mad_i32_i24 v77, v78, v183, v77
	v_mul_i32_i24_e32 v156, v156, v81
	v_mul_i32_i24_e32 v73, v169, v73
	;; [unrolled: 1-line block ×3, first 2 shown]
	s_delay_alu instid0(VALU_DEP_4) | instskip(SKIP_2) | instid1(VALU_DEP_2)
	v_add3_u32 v77, v77, v80, v82
	v_mul_i32_i24_e32 v80, v76, v184
	v_mul_i32_i24_e32 v82, v79, v190
	v_mad_i32_i24 v80, v78, v181, v80
	s_delay_alu instid0(VALU_DEP_1)
	v_add3_u32 v80, v80, v82, v83
	v_add_nc_u32_e32 v82, 0x1804, v102
	v_add_nc_u32_e32 v83, 0x1814, v102
	ds_load_2addr_b32 v[183:184], v82 offset1:1
	ds_load_2addr_b32 v[187:188], v83 offset1:1
	;; [unrolled: 1-line block ×3, first 2 shown]
	s_wait_dscnt 0x2
	v_bfe_i32 v82, v183, 8, 8
	v_ashrrev_i32_e32 v83, 24, v183
	s_wait_dscnt 0x0
	v_ashrrev_i32_e32 v93, 24, v190
	s_delay_alu instid0(VALU_DEP_3) | instskip(NEXT) | instid1(VALU_DEP_3)
	v_mul_i32_i24_e32 v85, v82, v212
	v_mul_i32_i24_e32 v87, v83, v211
	s_delay_alu instid0(VALU_DEP_3) | instskip(NEXT) | instid1(VALU_DEP_2)
	v_mul_i32_i24_e32 v181, v93, v211
	v_add3_u32 v71, v71, v87, v85
	v_mul_i32_i24_e32 v85, v82, v213
	v_mul_i32_i24_e32 v87, v83, v214
	s_delay_alu instid0(VALU_DEP_1) | instskip(SKIP_1) | instid1(VALU_DEP_1)
	v_add3_u32 v74, v74, v87, v85
	v_bfe_i32 v85, v190, 8, 8
	v_mul_i32_i24_e32 v87, v85, v212
	s_delay_alu instid0(VALU_DEP_1) | instskip(SKIP_2) | instid1(VALU_DEP_1)
	v_add3_u32 v77, v77, v181, v87
	v_mul_i32_i24_e32 v87, v85, v213
	v_mul_i32_i24_e32 v181, v93, v214
	v_add3_u32 v80, v80, v181, v87
	v_mul_i32_i24_e32 v87, v175, v1
	v_mul_i32_i24_e32 v175, v175, v76
	;; [unrolled: 1-line block ×5, first 2 shown]
	v_mad_i32_i24 v87, v159, v27, v87
	v_mad_i32_i24 v159, v159, v78, v175
	v_mul_i32_i24_e32 v76, v186, v76
	v_mul_i32_i24_e32 v72, v165, v72
	v_mad_i32_i24 v1, v171, v27, v1
	v_add3_u32 v87, v87, v181, v185
	v_add3_u32 v152, v159, v152, v156
	v_mad_i32_i24 v27, v171, v78, v76
	v_bfe_i32 v76, v190, 0, 8
	v_bfe_i32 v159, v190, 16, 8
	;; [unrolled: 1-line block ×4, first 2 shown]
	v_add3_u32 v1, v1, v72, v73
	v_mul_i32_i24_e32 v78, v76, v205
	v_mul_i32_i24_e32 v156, v159, v226
	;; [unrolled: 1-line block ×4, first 2 shown]
	v_bfe_i32 v72, v187, 0, 8
	v_ashrrev_i32_e32 v73, 24, v187
	v_add3_u32 v77, v77, v78, v156
	v_mul_i32_i24_e32 v78, v76, v206
	v_mul_i32_i24_e32 v156, v159, v228
	v_add3_u32 v71, v71, v185, v211
	v_mul_i32_i24_e32 v185, v181, v206
	v_mul_i32_i24_e32 v211, v183, v228
	;; [unrolled: 1-line block ×3, first 2 shown]
	v_add3_u32 v78, v80, v78, v156
	v_mul_i32_i24_e32 v80, v83, v155
	v_mul_i32_i24_e32 v156, v82, v172
	v_add3_u32 v74, v74, v185, v211
	v_add3_u32 v27, v27, v79, v81
	v_add_nc_u32_e32 v79, 0x1c14, v102
	v_mul_i32_i24_e32 v82, v82, v177
	v_add3_u32 v80, v87, v80, v156
	v_mul_i32_i24_e32 v87, v72, v235
	v_mul_i32_i24_e32 v156, v73, v234
	v_add_nc_u32_e32 v102, 32, v102
	s_delay_alu instid0(VALU_DEP_2) | instskip(SKIP_2) | instid1(VALU_DEP_1)
	v_add3_u32 v71, v71, v156, v87
	v_mul_i32_i24_e32 v87, v72, v237
	v_mul_i32_i24_e32 v156, v73, v238
	v_add3_u32 v74, v74, v156, v87
	v_mul_i32_i24_e32 v87, v93, v155
	v_mul_i32_i24_e32 v155, v85, v172
	;; [unrolled: 1-line block ×3, first 2 shown]
	s_delay_alu instid0(VALU_DEP_2) | instskip(SKIP_4) | instid1(VALU_DEP_2)
	v_add3_u32 v87, v152, v87, v155
	ds_load_2addr_b32 v[155:156], v79 offset1:1
	s_wait_dscnt 0x0
	v_bfe_i32 v79, v155, 0, 8
	v_ashrrev_i32_e32 v152, 24, v155
	v_mul_i32_i24_e32 v81, v79, v235
	s_delay_alu instid0(VALU_DEP_2) | instskip(NEXT) | instid1(VALU_DEP_1)
	v_mul_i32_i24_e32 v165, v152, v234
	v_add3_u32 v77, v77, v165, v81
	v_mul_i32_i24_e32 v81, v79, v237
	v_mul_i32_i24_e32 v165, v152, v238
	s_delay_alu instid0(VALU_DEP_1) | instskip(SKIP_3) | instid1(VALU_DEP_2)
	v_add3_u32 v78, v78, v165, v81
	v_mul_i32_i24_e32 v81, v181, v149
	v_mul_i32_i24_e32 v165, v183, v144
	;; [unrolled: 1-line block ×3, first 2 shown]
	v_add3_u32 v80, v80, v81, v165
	v_mul_i32_i24_e32 v81, v83, v164
	s_delay_alu instid0(VALU_DEP_1) | instskip(SKIP_2) | instid1(VALU_DEP_2)
	v_add3_u32 v1, v1, v81, v82
	v_bfe_i32 v81, v187, 8, 8
	v_bfe_i32 v82, v187, 16, 8
	v_mul_i32_i24_e32 v83, v81, v221
	s_delay_alu instid0(VALU_DEP_2) | instskip(NEXT) | instid1(VALU_DEP_1)
	v_mul_i32_i24_e32 v165, v82, v233
	v_add3_u32 v71, v71, v83, v165
	v_mul_i32_i24_e32 v83, v81, v222
	v_mul_i32_i24_e32 v165, v82, v236
	s_delay_alu instid0(VALU_DEP_1) | instskip(SKIP_2) | instid1(VALU_DEP_2)
	v_add3_u32 v74, v74, v83, v165
	v_mul_i32_i24_e32 v83, v76, v149
	v_mul_i32_i24_e32 v76, v76, v162
	v_add3_u32 v83, v87, v83, v144
	v_mul_i32_i24_e32 v87, v93, v164
	v_bfe_i32 v93, v155, 16, 8
	s_delay_alu instid0(VALU_DEP_2) | instskip(SKIP_1) | instid1(VALU_DEP_3)
	v_add3_u32 v27, v27, v87, v85
	v_bfe_i32 v85, v155, 8, 8
	v_mul_i32_i24_e32 v144, v93, v233
	s_delay_alu instid0(VALU_DEP_2) | instskip(NEXT) | instid1(VALU_DEP_1)
	v_mul_i32_i24_e32 v87, v85, v221
	v_add3_u32 v77, v77, v87, v144
	v_mul_i32_i24_e32 v87, v85, v222
	v_mul_i32_i24_e32 v144, v93, v236
	s_delay_alu instid0(VALU_DEP_1)
	v_add3_u32 v78, v78, v87, v144
	v_mul_i32_i24_e32 v87, v72, v145
	v_mul_i32_i24_e32 v144, v73, v142
	;; [unrolled: 1-line block ×6, first 2 shown]
	v_add3_u32 v80, v80, v144, v87
	v_mul_i32_i24_e32 v87, v181, v162
	v_mul_i32_i24_e32 v144, v183, v158
	v_add3_u32 v83, v83, v142, v145
	v_mul_i32_i24_e32 v142, v159, v158
	v_ashrrev_i32_e32 v145, 24, v191
	v_mul_i32_i24_e32 v79, v79, v157
	v_add3_u32 v1, v1, v87, v144
	v_bfe_i32 v87, v184, 8, 8
	v_ashrrev_i32_e32 v144, 24, v184
	v_add3_u32 v27, v27, v76, v142
	v_bfe_i32 v76, v191, 8, 8
	v_add3_u32 v1, v1, v73, v72
	v_mul_i32_i24_e32 v149, v87, v230
	v_mul_i32_i24_e32 v155, v144, v229
	v_bfe_i32 v72, v184, 0, 8
	v_mul_i32_i24_e32 v142, v76, v230
	v_bfe_i32 v73, v184, 16, 8
	s_delay_alu instid0(VALU_DEP_4) | instskip(SKIP_2) | instid1(VALU_DEP_1)
	v_add3_u32 v71, v71, v155, v149
	v_mul_i32_i24_e32 v149, v87, v231
	v_mul_i32_i24_e32 v155, v144, v232
	v_add3_u32 v74, v74, v155, v149
	v_mul_i32_i24_e32 v149, v145, v229
	s_delay_alu instid0(VALU_DEP_1) | instskip(SKIP_2) | instid1(VALU_DEP_1)
	v_add3_u32 v77, v77, v149, v142
	v_mul_i32_i24_e32 v142, v76, v231
	v_mul_i32_i24_e32 v149, v145, v232
	v_add3_u32 v78, v78, v149, v142
	v_mul_i32_i24_e32 v142, v82, v133
	v_mul_i32_i24_e32 v149, v81, v174
	;; [unrolled: 1-line block ×6, first 2 shown]
	v_add3_u32 v80, v80, v149, v142
	v_mul_i32_i24_e32 v142, v72, v215
	v_mul_i32_i24_e32 v149, v73, v225
	v_add3_u32 v1, v1, v81, v82
	v_bfe_i32 v81, v188, 0, 8
	v_ashrrev_i32_e32 v82, 24, v188
	s_delay_alu instid0(VALU_DEP_4) | instskip(SKIP_2) | instid1(VALU_DEP_1)
	v_add3_u32 v71, v71, v142, v149
	v_mul_i32_i24_e32 v142, v72, v217
	v_mul_i32_i24_e32 v149, v73, v227
	v_add3_u32 v74, v74, v142, v149
	v_mul_i32_i24_e32 v142, v85, v174
	v_mul_i32_i24_e32 v85, v85, v173
	s_delay_alu instid0(VALU_DEP_2) | instskip(SKIP_1) | instid1(VALU_DEP_1)
	v_add3_u32 v83, v83, v142, v133
	v_mul_i32_i24_e32 v133, v152, v160
	v_add3_u32 v27, v27, v133, v79
	v_bfe_i32 v79, v191, 0, 8
	v_bfe_i32 v133, v191, 16, 8
	s_delay_alu instid0(VALU_DEP_3) | instskip(NEXT) | instid1(VALU_DEP_3)
	v_add3_u32 v27, v27, v85, v93
	v_mul_i32_i24_e32 v142, v79, v215
	s_delay_alu instid0(VALU_DEP_3) | instskip(SKIP_1) | instid1(VALU_DEP_2)
	v_mul_i32_i24_e32 v149, v133, v225
	v_bfe_i32 v85, v156, 0, 8
	v_add3_u32 v77, v77, v142, v149
	v_mul_i32_i24_e32 v142, v79, v217
	v_mul_i32_i24_e32 v149, v133, v227
	s_delay_alu instid0(VALU_DEP_4) | instskip(NEXT) | instid1(VALU_DEP_2)
	v_mul_i32_i24_e32 v93, v85, v220
	v_add3_u32 v78, v78, v142, v149
	v_mul_i32_i24_e32 v142, v144, v134
	v_mul_i32_i24_e32 v149, v87, v170
	;; [unrolled: 1-line block ×4, first 2 shown]
	s_delay_alu instid0(VALU_DEP_3) | instskip(SKIP_2) | instid1(VALU_DEP_1)
	v_add3_u32 v80, v80, v142, v149
	v_mul_i32_i24_e32 v142, v81, v220
	v_mul_i32_i24_e32 v149, v82, v219
	v_add3_u32 v71, v71, v149, v142
	v_mul_i32_i24_e32 v142, v81, v223
	v_mul_i32_i24_e32 v149, v82, v224
	s_delay_alu instid0(VALU_DEP_1) | instskip(SKIP_2) | instid1(VALU_DEP_2)
	v_add3_u32 v74, v74, v149, v142
	v_mul_i32_i24_e32 v142, v76, v170
	v_mul_i32_i24_e32 v76, v76, v176
	v_add3_u32 v83, v83, v134, v142
	v_ashrrev_i32_e32 v134, 24, v156
	s_delay_alu instid0(VALU_DEP_1) | instskip(NEXT) | instid1(VALU_DEP_1)
	v_mul_i32_i24_e32 v142, v134, v219
	v_add3_u32 v77, v77, v142, v93
	v_mul_i32_i24_e32 v93, v85, v223
	v_mul_i32_i24_e32 v142, v134, v224
	s_delay_alu instid0(VALU_DEP_1)
	v_add3_u32 v78, v78, v142, v93
	v_mul_i32_i24_e32 v93, v72, v131
	v_mul_i32_i24_e32 v142, v73, v130
	;; [unrolled: 1-line block ×6, first 2 shown]
	v_add3_u32 v80, v80, v93, v142
	v_mul_i32_i24_e32 v93, v144, v150
	v_add3_u32 v83, v83, v131, v130
	v_mul_i32_i24_e32 v130, v145, v150
	v_mul_i32_i24_e32 v79, v79, v143
	s_delay_alu instid0(VALU_DEP_4)
	v_add3_u32 v1, v1, v93, v87
	v_bfe_i32 v87, v188, 8, 8
	v_bfe_i32 v93, v188, 16, 8
	v_add3_u32 v27, v27, v130, v76
	v_bfe_i32 v76, v156, 8, 8
	v_add3_u32 v1, v1, v72, v73
	v_mul_i32_i24_e32 v142, v87, v202
	v_mul_i32_i24_e32 v144, v93, v216
	s_delay_alu instid0(VALU_DEP_4) | instskip(NEXT) | instid1(VALU_DEP_2)
	v_mul_i32_i24_e32 v130, v76, v202
	v_add3_u32 v71, v71, v142, v144
	v_mul_i32_i24_e32 v142, v87, v204
	v_mul_i32_i24_e32 v144, v93, v218
	s_delay_alu instid0(VALU_DEP_1) | instskip(SKIP_1) | instid1(VALU_DEP_1)
	v_add3_u32 v74, v74, v142, v144
	v_bfe_i32 v142, v156, 16, 8
	v_mul_i32_i24_e32 v131, v142, v216
	s_delay_alu instid0(VALU_DEP_1) | instskip(SKIP_2) | instid1(VALU_DEP_1)
	v_add3_u32 v77, v77, v130, v131
	v_mul_i32_i24_e32 v130, v76, v204
	v_mul_i32_i24_e32 v131, v142, v218
	v_add3_u32 v78, v78, v130, v131
	v_mul_i32_i24_e32 v130, v81, v127
	v_mul_i32_i24_e32 v131, v82, v126
	;; [unrolled: 1-line block ×3, first 2 shown]
	s_delay_alu instid0(VALU_DEP_2) | instskip(SKIP_4) | instid1(VALU_DEP_2)
	v_add3_u32 v80, v80, v131, v130
	ds_load_2addr_b32 v[130:131], v0 offset1:3
	s_wait_dscnt 0x0
	v_bfe_i32 v0, v131, 8, 8
	v_ashrrev_i32_e32 v72, 24, v131
	v_mul_i32_i24_e32 v73, v0, v208
	s_delay_alu instid0(VALU_DEP_2) | instskip(NEXT) | instid1(VALU_DEP_1)
	v_mul_i32_i24_e32 v144, v72, v207
	v_add3_u32 v71, v71, v144, v73
	v_mul_i32_i24_e32 v73, v0, v209
	v_mul_i32_i24_e32 v144, v72, v210
	s_delay_alu instid0(VALU_DEP_1) | instskip(SKIP_1) | instid1(VALU_DEP_1)
	v_add3_u32 v73, v74, v144, v73
	v_mul_i32_i24_e32 v74, v85, v127
	v_add3_u32 v74, v83, v126, v74
	ds_load_2addr_b32 v[126:127], v75 offset1:3
	v_mul_i32_i24_e32 v83, v133, v138
	s_delay_alu instid0(VALU_DEP_1) | instskip(SKIP_3) | instid1(VALU_DEP_2)
	v_add3_u32 v27, v27, v79, v83
	s_wait_dscnt 0x0
	v_bfe_i32 v75, v127, 8, 8
	v_ashrrev_i32_e32 v83, 24, v127
	v_mul_i32_i24_e32 v79, v75, v208
	s_delay_alu instid0(VALU_DEP_2) | instskip(NEXT) | instid1(VALU_DEP_1)
	v_mul_i32_i24_e32 v133, v83, v207
	v_add3_u32 v77, v77, v133, v79
	v_mul_i32_i24_e32 v79, v75, v209
	v_mul_i32_i24_e32 v133, v83, v210
	s_delay_alu instid0(VALU_DEP_1) | instskip(SKIP_3) | instid1(VALU_DEP_2)
	v_add3_u32 v78, v78, v133, v79
	v_mul_i32_i24_e32 v79, v93, v120
	v_mul_i32_i24_e32 v133, v87, v167
	;; [unrolled: 1-line block ×3, first 2 shown]
	v_add3_u32 v79, v80, v133, v79
	v_mul_i32_i24_e32 v80, v81, v154
	v_mul_i32_i24_e32 v81, v82, v153
	s_delay_alu instid0(VALU_DEP_1) | instskip(SKIP_2) | instid1(VALU_DEP_2)
	v_add3_u32 v1, v1, v81, v80
	v_bfe_i32 v80, v131, 0, 8
	v_bfe_i32 v81, v131, 16, 8
	v_mul_i32_i24_e32 v82, v80, v194
	s_delay_alu instid0(VALU_DEP_2) | instskip(NEXT) | instid1(VALU_DEP_1)
	v_mul_i32_i24_e32 v131, v81, v201
	v_add3_u32 v71, v71, v82, v131
	v_mul_i32_i24_e32 v82, v80, v195
	v_mul_i32_i24_e32 v131, v81, v203
	s_delay_alu instid0(VALU_DEP_1) | instskip(SKIP_3) | instid1(VALU_DEP_2)
	v_add3_u32 v73, v73, v82, v131
	v_mul_i32_i24_e32 v82, v142, v120
	v_mul_i32_i24_e32 v120, v76, v167
	;; [unrolled: 1-line block ×3, first 2 shown]
	v_add3_u32 v74, v74, v120, v82
	v_mul_i32_i24_e32 v82, v85, v154
	v_mul_i32_i24_e32 v85, v134, v153
	v_bfe_i32 v120, v127, 16, 8
	s_delay_alu instid0(VALU_DEP_2) | instskip(SKIP_1) | instid1(VALU_DEP_3)
	v_add3_u32 v27, v27, v85, v82
	v_bfe_i32 v82, v127, 0, 8
	v_mul_i32_i24_e32 v127, v120, v201
	s_delay_alu instid0(VALU_DEP_2) | instskip(NEXT) | instid1(VALU_DEP_1)
	v_mul_i32_i24_e32 v85, v82, v194
	v_add3_u32 v77, v77, v85, v127
	v_mul_i32_i24_e32 v85, v82, v195
	v_mul_i32_i24_e32 v127, v120, v203
	s_delay_alu instid0(VALU_DEP_1) | instskip(SKIP_4) | instid1(VALU_DEP_3)
	v_add3_u32 v78, v78, v85, v127
	v_mul_i32_i24_e32 v85, v72, v139
	v_mul_i32_i24_e32 v127, v0, v163
	;; [unrolled: 1-line block ×4, first 2 shown]
	v_add3_u32 v79, v79, v85, v127
	v_mul_i32_i24_e32 v85, v93, v148
	s_delay_alu instid0(VALU_DEP_1) | instskip(SKIP_2) | instid1(VALU_DEP_3)
	v_add3_u32 v1, v1, v87, v85
	v_bfe_i32 v85, v86, 0, 8
	v_ashrrev_i32_e32 v87, 24, v86
	v_add3_u32 v0, v1, v72, v0
	s_delay_alu instid0(VALU_DEP_3) | instskip(NEXT) | instid1(VALU_DEP_3)
	v_mul_i32_i24_e32 v93, v85, v198
	v_mul_i32_i24_e32 v127, v87, v197
	v_bfe_i32 v1, v86, 8, 8
	v_bfe_i32 v72, v86, 16, 8
	s_delay_alu instid0(VALU_DEP_3) | instskip(SKIP_3) | instid1(VALU_DEP_2)
	v_add3_u32 v71, v71, v127, v93
	v_mul_i32_i24_e32 v93, v85, v199
	v_mul_i32_i24_e32 v127, v87, v200
	;; [unrolled: 1-line block ×3, first 2 shown]
	v_add3_u32 v73, v73, v127, v93
	v_mul_i32_i24_e32 v93, v83, v139
	v_mul_i32_i24_e32 v127, v75, v163
	;; [unrolled: 1-line block ×4, first 2 shown]
	s_delay_alu instid0(VALU_DEP_3) | instskip(SKIP_2) | instid1(VALU_DEP_2)
	v_add3_u32 v74, v74, v93, v127
	v_mul_i32_i24_e32 v93, v142, v148
	v_ashrrev_i32_e32 v127, 24, v88
	v_add3_u32 v27, v27, v76, v93
	v_bfe_i32 v76, v88, 0, 8
	s_delay_alu instid0(VALU_DEP_3) | instskip(NEXT) | instid1(VALU_DEP_3)
	v_mul_i32_i24_e32 v131, v127, v197
	v_add3_u32 v27, v27, v83, v75
	s_delay_alu instid0(VALU_DEP_3) | instskip(SKIP_2) | instid1(VALU_DEP_3)
	v_mul_i32_i24_e32 v93, v76, v198
	v_bfe_i32 v75, v88, 8, 8
	v_bfe_i32 v83, v88, 16, 8
	v_add3_u32 v77, v77, v131, v93
	v_mul_i32_i24_e32 v93, v76, v199
	v_mul_i32_i24_e32 v131, v127, v200
	s_delay_alu instid0(VALU_DEP_4) | instskip(NEXT) | instid1(VALU_DEP_2)
	v_mul_i32_i24_e32 v88, v83, v193
	v_add3_u32 v78, v78, v131, v93
	v_mul_i32_i24_e32 v93, v80, v135
	v_mul_i32_i24_e32 v131, v81, v132
	;; [unrolled: 1-line block ×4, first 2 shown]
	s_delay_alu instid0(VALU_DEP_3) | instskip(SKIP_1) | instid1(VALU_DEP_3)
	v_add3_u32 v79, v79, v93, v131
	v_mul_i32_i24_e32 v93, v72, v193
	v_add3_u32 v0, v0, v80, v81
	v_bfe_i32 v80, v130, 0, 8
	v_bfe_i32 v81, v130, 8, 8
	s_delay_alu instid0(VALU_DEP_4) | instskip(SKIP_2) | instid1(VALU_DEP_1)
	v_add3_u32 v71, v71, v86, v93
	v_mul_i32_i24_e32 v86, v1, v192
	v_mul_i32_i24_e32 v93, v72, v196
	v_add3_u32 v73, v73, v86, v93
	v_mul_i32_i24_e32 v86, v82, v135
	v_mul_i32_i24_e32 v93, v120, v132
	;; [unrolled: 1-line block ×3, first 2 shown]
	s_delay_alu instid0(VALU_DEP_2) | instskip(SKIP_1) | instid1(VALU_DEP_1)
	v_add3_u32 v74, v74, v86, v93
	v_mul_i32_i24_e32 v86, v75, v189
	v_add3_u32 v77, v77, v86, v88
	v_mul_i32_i24_e32 v86, v75, v192
	v_mul_i32_i24_e32 v88, v83, v196
	s_delay_alu instid0(VALU_DEP_1) | instskip(SKIP_3) | instid1(VALU_DEP_2)
	v_add3_u32 v78, v78, v86, v88
	v_mul_i32_i24_e32 v86, v85, v129
	v_mul_i32_i24_e32 v88, v87, v128
	;; [unrolled: 1-line block ×3, first 2 shown]
	v_add3_u32 v79, v79, v88, v86
	v_mul_i32_i24_e32 v86, v80, v115
	v_mul_i32_i24_e32 v88, v81, v114
	s_delay_alu instid0(VALU_DEP_1) | instskip(SKIP_2) | instid1(VALU_DEP_1)
	v_add3_u32 v71, v71, v86, v88
	v_mul_i32_i24_e32 v86, v80, v118
	v_mul_i32_i24_e32 v88, v81, v119
	v_add3_u32 v73, v73, v86, v88
	v_mul_i32_i24_e32 v86, v76, v129
	v_mul_i32_i24_e32 v88, v127, v128
	;; [unrolled: 1-line block ×3, first 2 shown]
	s_delay_alu instid0(VALU_DEP_2) | instskip(SKIP_2) | instid1(VALU_DEP_2)
	v_add3_u32 v74, v74, v88, v86
	v_mul_i32_i24_e32 v86, v120, v137
	v_bfe_i32 v88, v126, 8, 8
	v_add3_u32 v27, v27, v82, v86
	v_bfe_i32 v82, v126, 0, 8
	s_delay_alu instid0(VALU_DEP_3) | instskip(NEXT) | instid1(VALU_DEP_2)
	v_mul_i32_i24_e32 v93, v88, v114
	v_mul_i32_i24_e32 v86, v82, v115
	s_delay_alu instid0(VALU_DEP_1) | instskip(SKIP_2) | instid1(VALU_DEP_1)
	v_add3_u32 v77, v77, v86, v93
	v_mul_i32_i24_e32 v86, v82, v118
	v_mul_i32_i24_e32 v93, v88, v119
	v_add3_u32 v78, v78, v86, v93
	v_mul_i32_i24_e32 v86, v72, v125
	v_mul_i32_i24_e32 v93, v1, v161
	v_mul_i32_i24_e32 v72, v72, v141
	v_mul_i32_i24_e32 v1, v1, v5
	v_mul_i32_i24_e32 v5, v75, v5
	s_delay_alu instid0(VALU_DEP_4) | instskip(SKIP_1) | instid1(VALU_DEP_1)
	v_add3_u32 v79, v79, v93, v86
	v_mul_i32_i24_e32 v86, v87, v147
	v_add3_u32 v0, v0, v86, v85
	v_bfe_i32 v85, v130, 16, 8
	v_ashrrev_i32_e32 v86, 24, v130
	s_delay_alu instid0(VALU_DEP_3) | instskip(NEXT) | instid1(VALU_DEP_3)
	v_add3_u32 v0, v0, v1, v72
	v_mul_i32_i24_e32 v87, v85, v112
	s_delay_alu instid0(VALU_DEP_3) | instskip(SKIP_2) | instid1(VALU_DEP_3)
	v_mul_i32_i24_e32 v93, v86, v113
	v_mul_i32_i24_e32 v1, v111, v82
	;; [unrolled: 1-line block ×3, first 2 shown]
	v_add3_u32 v71, v71, v87, v93
	v_mul_i32_i24_e32 v87, v85, v116
	v_mul_i32_i24_e32 v93, v86, v117
	s_delay_alu instid0(VALU_DEP_3) | instskip(NEXT) | instid1(VALU_DEP_2)
	v_cvt_f32_i32_e32 v71, v71
	v_add3_u32 v73, v73, v87, v93
	v_mul_i32_i24_e32 v87, v83, v125
	v_mul_i32_i24_e32 v93, v75, v161
	s_delay_alu instid0(VALU_DEP_3) | instskip(NEXT) | instid1(VALU_DEP_2)
	v_cvt_f32_i32_e32 v73, v73
	v_add3_u32 v74, v74, v93, v87
	v_mul_i32_i24_e32 v87, v127, v147
	s_delay_alu instid0(VALU_DEP_1) | instskip(SKIP_2) | instid1(VALU_DEP_2)
	v_add3_u32 v27, v27, v87, v76
	v_bfe_i32 v76, v126, 16, 8
	v_ashrrev_i32_e32 v87, 24, v126
	v_mul_i32_i24_e32 v93, v76, v112
	s_delay_alu instid0(VALU_DEP_2) | instskip(NEXT) | instid1(VALU_DEP_1)
	v_mul_i32_i24_e32 v112, v87, v113
	v_add3_u32 v77, v77, v93, v112
	v_mul_i32_i24_e32 v93, v76, v116
	v_mul_i32_i24_e32 v112, v87, v117
	s_delay_alu instid0(VALU_DEP_1) | instskip(SKIP_3) | instid1(VALU_DEP_4)
	v_add3_u32 v78, v78, v93, v112
	v_mul_i32_i24_e32 v112, v4, v81
	v_mul_i32_i24_e32 v4, v4, v88
	;; [unrolled: 1-line block ×3, first 2 shown]
	v_cvt_f32_i32_e32 v75, v78
	s_delay_alu instid0(VALU_DEP_3) | instskip(SKIP_1) | instid1(VALU_DEP_4)
	v_add3_u32 v1, v74, v1, v4
	v_mul_i32_i24_e32 v4, v83, v141
	v_add3_u32 v79, v79, v93, v112
	s_delay_alu instid0(VALU_DEP_2) | instskip(SKIP_2) | instid1(VALU_DEP_1)
	v_add3_u32 v4, v27, v5, v4
	v_mul_i32_i24_e32 v5, v109, v85
	v_mul_i32_i24_e32 v27, v110, v86
	v_add3_u32 v27, v79, v5, v27
	v_mul_i32_i24_e32 v5, v123, v80
	s_delay_alu instid0(VALU_DEP_2) | instskip(NEXT) | instid1(VALU_DEP_2)
	v_cvt_f32_i32_e32 v27, v27
	v_add3_u32 v0, v0, v5, v72
	v_mul_i32_i24_e32 v5, v109, v76
	v_mul_i32_i24_e32 v72, v110, v87
	s_delay_alu instid0(VALU_DEP_1) | instskip(SKIP_2) | instid1(VALU_DEP_3)
	v_add3_u32 v1, v1, v5, v72
	v_mul_i32_i24_e32 v5, v123, v82
	v_mul_i32_i24_e32 v72, v124, v88
	v_cvt_f32_i32_e32 v1, v1
	s_delay_alu instid0(VALU_DEP_2) | instskip(SKIP_2) | instid1(VALU_DEP_1)
	v_add3_u32 v4, v4, v5, v72
	v_mul_i32_i24_e32 v5, v121, v85
	v_mul_i32_i24_e32 v72, v122, v86
	v_add3_u32 v0, v0, v5, v72
	v_mul_i32_i24_e32 v5, v121, v76
	v_mul_i32_i24_e32 v72, v122, v87
	s_delay_alu instid0(VALU_DEP_3) | instskip(NEXT) | instid1(VALU_DEP_2)
	v_cvt_f32_i32_e32 v0, v0
	v_add3_u32 v72, v4, v5, v72
	ds_load_2addr_b32 v[4:5], v101 offset0:192 offset1:224
	v_add_nc_u32_e32 v101, 4, v101
	v_cvt_f32_i32_e32 v72, v72
	s_wait_dscnt 0x0
	v_lshrrev_b32_e32 v74, 16, v4
	s_delay_alu instid0(VALU_DEP_1) | instskip(NEXT) | instid1(VALU_DEP_1)
	v_cvt_f32_f16_e32 v74, v74
	v_mul_f32_e32 v74, 0x41000000, v74
	s_delay_alu instid0(VALU_DEP_1)
	v_fma_mix_f32 v71, v4, v71, -v74 op_sel_hi:[1,0,0]
	v_fma_mix_f32 v73, v4, v73, -v74 op_sel_hi:[1,0,0]
	v_fma_mix_f32 v27, v4, v27, -v74 op_sel_hi:[1,0,0]
	v_fma_mix_f32 v0, v4, v0, -v74 op_sel_hi:[1,0,0]
	v_lshrrev_b32_e32 v4, 16, v5
	v_cvt_f32_i32_e32 v74, v77
	s_delay_alu instid0(VALU_DEP_3) | instskip(NEXT) | instid1(VALU_DEP_3)
	v_fmac_f32_e32 v16, v108, v0
	v_cvt_f32_f16_e32 v4, v4
	s_delay_alu instid0(VALU_DEP_1) | instskip(NEXT) | instid1(VALU_DEP_1)
	v_mul_f32_e32 v4, 0x41000000, v4
	v_fma_mix_f32 v74, v5, v74, -v4 op_sel_hi:[1,0,0]
	v_fma_mix_f32 v75, v5, v75, -v4 op_sel_hi:[1,0,0]
	;; [unrolled: 1-line block ×4, first 2 shown]
	ds_load_b32 v5, v105
	v_dual_fmac_f32 v12, v108, v4 :: v_dual_add_nc_u32 v105, 4, v105
	s_wait_dscnt 0x0
	v_fmac_f32_e32 v49, v5, v180
	v_fmac_f32_e32 v34, v5, v244
	;; [unrolled: 1-line block ×8, first 2 shown]
	ds_load_b32 v5, v106
	v_add_nc_u32_e32 v106, 4, v106
	s_wait_dscnt 0x0
	v_fmac_f32_e32 v48, v5, v9
	v_fmac_f32_e32 v33, v5, v242
	;; [unrolled: 1-line block ×8, first 2 shown]
	ds_load_b32 v5, v103
	v_add_nc_u32_e32 v103, 4, v103
	s_wait_dscnt 0x0
	v_fmac_f32_e32 v36, v5, v7
	v_fmac_f32_e32 v43, v5, v178
	v_fmac_f32_e32 v37, v5, v240
	v_fmac_f32_e32 v32, v5, v243
	v_fmac_f32_e32 v25, v5, v249
	v_fmac_f32_e32 v21, v5, v251
	v_fmac_f32_e32 v17, v5, v27
	v_fmac_f32_e32 v13, v5, v1
	s_cbranch_scc1 .LBB157_11
; %bb.12:                               ;   in Loop: Header=BB157_6 Depth=1
	s_wait_loadcnt 0x0
	s_barrier_signal -1
	s_barrier_wait -1
	global_inv scope:SCOPE_SE
	s_branch .LBB157_5
.LBB157_13:
	s_clause 0x1
	scratch_load_b32 v1, off, off offset:92 th:TH_LOAD_LU
	scratch_load_b32 v3, off, off offset:96
	v_mov_b32_e32 v2, v28
.LBB157_14:
	s_mov_b32 s0, exec_lo
	s_wait_loadcnt 0x0
	v_cmpx_gt_u32_e64 s4, v3
	s_cbranch_execz .LBB157_65
; %bb.15:
	v_add_nc_u32_e32 v0, s14, v2
	v_mul_lo_u32 v5, v3, s6
	s_delay_alu instid0(VALU_DEP_2)
	v_cmp_gt_u32_e32 vcc_lo, s6, v0
	s_and_saveexec_b32 s1, vcc_lo
	s_cbranch_execz .LBB157_17
; %bb.16:
	v_bfe_u32 v3, v36, 16, 1
	s_delay_alu instid0(VALU_DEP_3) | instskip(SKIP_1) | instid1(VALU_DEP_3)
	v_add_nc_u32_e32 v2, v0, v5
	v_cmp_o_f32_e64 s0, v36, v36
	v_add3_u32 v4, v36, v3, 0x7fff
	v_mov_b32_e32 v3, 0
	s_delay_alu instid0(VALU_DEP_2) | instskip(NEXT) | instid1(VALU_DEP_2)
	v_lshrrev_b32_e32 v4, 16, v4
	v_lshlrev_b64_e32 v[2:3], 1, v[2:3]
	s_delay_alu instid0(VALU_DEP_2) | instskip(SKIP_1) | instid1(VALU_DEP_2)
	v_cndmask_b32_e64 v4, 0x7fc0, v4, s0
	s_wait_kmcnt 0x0
	v_add_co_u32 v2, s0, s8, v2
	s_wait_alu 0xf1ff
	s_delay_alu instid0(VALU_DEP_3)
	v_add_co_ci_u32_e64 v3, null, s9, v3, s0
	global_store_b16 v[2:3], v4, off
.LBB157_17:
	s_or_b32 exec_lo, exec_lo, s1
	v_add_nc_u32_e32 v2, 32, v0
	s_delay_alu instid0(VALU_DEP_1)
	v_cmp_gt_u32_e64 s0, s6, v2
	s_and_saveexec_b32 s2, s0
	s_cbranch_execz .LBB157_19
; %bb.18:
	v_bfe_u32 v4, v50, 16, 1
	v_add_nc_u32_e32 v3, v2, v5
	v_cmp_o_f32_e64 s1, v50, v50
	s_delay_alu instid0(VALU_DEP_3) | instskip(SKIP_1) | instid1(VALU_DEP_2)
	v_add3_u32 v6, v50, v4, 0x7fff
	v_mov_b32_e32 v4, 0
	v_lshrrev_b32_e32 v6, 16, v6
	s_delay_alu instid0(VALU_DEP_2) | instskip(SKIP_1) | instid1(VALU_DEP_2)
	v_lshlrev_b64_e32 v[3:4], 1, v[3:4]
	s_wait_alu 0xf1ff
	v_cndmask_b32_e64 v6, 0x7fc0, v6, s1
	s_wait_kmcnt 0x0
	s_delay_alu instid0(VALU_DEP_2)
	v_add_co_u32 v3, s1, s8, v3
	s_wait_alu 0xf1ff
	v_add_co_ci_u32_e64 v4, null, s9, v4, s1
	global_store_b16 v[3:4], v6, off
.LBB157_19:
	s_wait_alu 0xfffe
	s_or_b32 exec_lo, exec_lo, s2
	v_add_nc_u32_e32 v3, 64, v0
	s_delay_alu instid0(VALU_DEP_1)
	v_cmp_gt_u32_e64 s1, s6, v3
	s_and_saveexec_b32 s3, s1
	s_cbranch_execz .LBB157_21
; %bb.20:
	v_bfe_u32 v4, v49, 16, 1
	v_dual_mov_b32 v7, 0 :: v_dual_add_nc_u32 v6, v3, v5
	v_cmp_o_f32_e64 s2, v49, v49
	s_delay_alu instid0(VALU_DEP_3) | instskip(NEXT) | instid1(VALU_DEP_3)
	v_add3_u32 v4, v49, v4, 0x7fff
	v_lshlrev_b64_e32 v[6:7], 1, v[6:7]
	s_delay_alu instid0(VALU_DEP_2) | instskip(SKIP_1) | instid1(VALU_DEP_1)
	v_lshrrev_b32_e32 v4, 16, v4
	s_wait_alu 0xf1ff
	v_cndmask_b32_e64 v4, 0x7fc0, v4, s2
	s_wait_kmcnt 0x0
	s_delay_alu instid0(VALU_DEP_3)
	v_add_co_u32 v6, s2, s8, v6
	s_wait_alu 0xf1ff
	v_add_co_ci_u32_e64 v7, null, s9, v7, s2
	global_store_b16 v[6:7], v4, off
.LBB157_21:
	s_wait_alu 0xfffe
	s_or_b32 exec_lo, exec_lo, s3
	v_add_nc_u32_e32 v4, 0x60, v0
	s_delay_alu instid0(VALU_DEP_1)
	v_cmp_gt_u32_e64 s2, s6, v4
	s_and_saveexec_b32 s5, s2
	s_cbranch_execz .LBB157_23
; %bb.22:
	v_bfe_u32 v6, v48, 16, 1
	v_add_nc_u32_e32 v5, v4, v5
	v_cmp_o_f32_e64 s3, v48, v48
	s_delay_alu instid0(VALU_DEP_3) | instskip(SKIP_1) | instid1(VALU_DEP_2)
	v_add3_u32 v7, v48, v6, 0x7fff
	v_mov_b32_e32 v6, 0
	v_lshrrev_b32_e32 v7, 16, v7
	s_delay_alu instid0(VALU_DEP_2) | instskip(SKIP_1) | instid1(VALU_DEP_2)
	v_lshlrev_b64_e32 v[5:6], 1, v[5:6]
	s_wait_alu 0xf1ff
	v_cndmask_b32_e64 v7, 0x7fc0, v7, s3
	s_wait_kmcnt 0x0
	s_delay_alu instid0(VALU_DEP_2)
	v_add_co_u32 v5, s3, s8, v5
	s_wait_alu 0xf1ff
	v_add_co_ci_u32_e64 v6, null, s9, v6, s3
	global_store_b16 v[5:6], v7, off
.LBB157_23:
	s_wait_alu 0xfffe
	s_or_b32 exec_lo, exec_lo, s5
	v_add3_u32 v5, v1, s7, 8
	s_delay_alu instid0(VALU_DEP_1)
	v_cmp_gt_u32_e64 s3, s4, v5
	s_and_b32 exec_lo, exec_lo, s3
	s_cbranch_execz .LBB157_65
; %bb.24:
	v_mul_lo_u32 v5, v5, s6
	s_and_saveexec_b32 s5, vcc_lo
	s_cbranch_execnz .LBB157_66
; %bb.25:
	s_wait_alu 0xfffe
	s_or_b32 exec_lo, exec_lo, s5
	s_and_saveexec_b32 s5, s0
	s_cbranch_execnz .LBB157_67
.LBB157_26:
	s_wait_alu 0xfffe
	s_or_b32 exec_lo, exec_lo, s5
	s_and_saveexec_b32 s5, s1
	s_cbranch_execnz .LBB157_68
.LBB157_27:
	s_wait_alu 0xfffe
	s_or_b32 exec_lo, exec_lo, s5
	s_and_saveexec_b32 s5, s2
	s_cbranch_execz .LBB157_29
.LBB157_28:
	v_bfe_u32 v6, v38, 16, 1
	v_add_nc_u32_e32 v5, v5, v4
	v_cmp_o_f32_e64 s3, v38, v38
	s_delay_alu instid0(VALU_DEP_3) | instskip(SKIP_1) | instid1(VALU_DEP_2)
	v_add3_u32 v7, v38, v6, 0x7fff
	v_mov_b32_e32 v6, 0
	v_lshrrev_b32_e32 v7, 16, v7
	s_delay_alu instid0(VALU_DEP_2) | instskip(SKIP_1) | instid1(VALU_DEP_2)
	v_lshlrev_b64_e32 v[5:6], 1, v[5:6]
	s_wait_alu 0xf1ff
	v_cndmask_b32_e64 v7, 0x7fc0, v7, s3
	s_wait_kmcnt 0x0
	s_delay_alu instid0(VALU_DEP_2)
	v_add_co_u32 v5, s3, s8, v5
	s_wait_alu 0xf1ff
	v_add_co_ci_u32_e64 v6, null, s9, v6, s3
	global_store_b16 v[5:6], v7, off
.LBB157_29:
	s_wait_alu 0xfffe
	s_or_b32 exec_lo, exec_lo, s5
	v_add3_u32 v5, v1, s7, 16
	s_delay_alu instid0(VALU_DEP_1)
	v_cmp_gt_u32_e64 s3, s4, v5
	s_and_b32 exec_lo, exec_lo, s3
	s_cbranch_execz .LBB157_65
; %bb.30:
	v_mul_lo_u32 v5, v5, s6
	s_and_saveexec_b32 s5, vcc_lo
	s_cbranch_execnz .LBB157_69
; %bb.31:
	s_wait_alu 0xfffe
	s_or_b32 exec_lo, exec_lo, s5
	s_and_saveexec_b32 s5, s0
	s_cbranch_execnz .LBB157_70
.LBB157_32:
	s_wait_alu 0xfffe
	s_or_b32 exec_lo, exec_lo, s5
	s_and_saveexec_b32 s5, s1
	s_cbranch_execnz .LBB157_71
.LBB157_33:
	s_wait_alu 0xfffe
	s_or_b32 exec_lo, exec_lo, s5
	s_and_saveexec_b32 s5, s2
	s_cbranch_execz .LBB157_35
.LBB157_34:
	v_bfe_u32 v6, v33, 16, 1
	v_add_nc_u32_e32 v5, v5, v4
	v_cmp_o_f32_e64 s3, v33, v33
	s_delay_alu instid0(VALU_DEP_3) | instskip(SKIP_1) | instid1(VALU_DEP_2)
	v_add3_u32 v7, v33, v6, 0x7fff
	v_mov_b32_e32 v6, 0
	v_lshrrev_b32_e32 v7, 16, v7
	s_delay_alu instid0(VALU_DEP_2) | instskip(SKIP_1) | instid1(VALU_DEP_2)
	v_lshlrev_b64_e32 v[5:6], 1, v[5:6]
	s_wait_alu 0xf1ff
	v_cndmask_b32_e64 v7, 0x7fc0, v7, s3
	s_wait_kmcnt 0x0
	s_delay_alu instid0(VALU_DEP_2)
	v_add_co_u32 v5, s3, s8, v5
	s_wait_alu 0xf1ff
	v_add_co_ci_u32_e64 v6, null, s9, v6, s3
	global_store_b16 v[5:6], v7, off
.LBB157_35:
	s_wait_alu 0xfffe
	s_or_b32 exec_lo, exec_lo, s5
	v_add3_u32 v5, v1, s7, 24
	s_delay_alu instid0(VALU_DEP_1)
	v_cmp_gt_u32_e64 s3, s4, v5
	s_and_b32 exec_lo, exec_lo, s3
	s_cbranch_execz .LBB157_65
; %bb.36:
	v_mul_lo_u32 v5, v5, s6
	s_and_saveexec_b32 s5, vcc_lo
	s_cbranch_execnz .LBB157_72
; %bb.37:
	s_wait_alu 0xfffe
	s_or_b32 exec_lo, exec_lo, s5
	s_and_saveexec_b32 s5, s0
	s_cbranch_execnz .LBB157_73
.LBB157_38:
	s_wait_alu 0xfffe
	s_or_b32 exec_lo, exec_lo, s5
	s_and_saveexec_b32 s5, s1
	s_cbranch_execnz .LBB157_74
.LBB157_39:
	s_wait_alu 0xfffe
	s_or_b32 exec_lo, exec_lo, s5
	s_and_saveexec_b32 s5, s2
	s_cbranch_execz .LBB157_41
.LBB157_40:
	v_bfe_u32 v6, v26, 16, 1
	v_add_nc_u32_e32 v5, v5, v4
	v_cmp_o_f32_e64 s3, v26, v26
	s_delay_alu instid0(VALU_DEP_3) | instskip(SKIP_1) | instid1(VALU_DEP_2)
	v_add3_u32 v7, v26, v6, 0x7fff
	v_mov_b32_e32 v6, 0
	v_lshrrev_b32_e32 v7, 16, v7
	s_delay_alu instid0(VALU_DEP_2) | instskip(SKIP_1) | instid1(VALU_DEP_2)
	v_lshlrev_b64_e32 v[5:6], 1, v[5:6]
	s_wait_alu 0xf1ff
	v_cndmask_b32_e64 v7, 0x7fc0, v7, s3
	s_wait_kmcnt 0x0
	s_delay_alu instid0(VALU_DEP_2)
	v_add_co_u32 v5, s3, s8, v5
	s_wait_alu 0xf1ff
	v_add_co_ci_u32_e64 v6, null, s9, v6, s3
	global_store_b16 v[5:6], v7, off
.LBB157_41:
	s_wait_alu 0xfffe
	s_or_b32 exec_lo, exec_lo, s5
	v_add3_u32 v5, v1, s7, 32
	s_delay_alu instid0(VALU_DEP_1)
	v_cmp_gt_u32_e64 s3, s4, v5
	s_and_b32 exec_lo, exec_lo, s3
	s_cbranch_execz .LBB157_65
; %bb.42:
	v_mul_lo_u32 v5, v5, s6
	s_and_saveexec_b32 s5, vcc_lo
	s_cbranch_execnz .LBB157_75
; %bb.43:
	s_wait_alu 0xfffe
	s_or_b32 exec_lo, exec_lo, s5
	s_and_saveexec_b32 s5, s0
	s_cbranch_execnz .LBB157_76
.LBB157_44:
	s_wait_alu 0xfffe
	s_or_b32 exec_lo, exec_lo, s5
	s_and_saveexec_b32 s5, s1
	s_cbranch_execnz .LBB157_77
.LBB157_45:
	s_wait_alu 0xfffe
	s_or_b32 exec_lo, exec_lo, s5
	s_and_saveexec_b32 s5, s2
	s_cbranch_execz .LBB157_47
.LBB157_46:
	v_bfe_u32 v6, v22, 16, 1
	v_add_nc_u32_e32 v5, v5, v4
	v_cmp_o_f32_e64 s3, v22, v22
	s_delay_alu instid0(VALU_DEP_3) | instskip(SKIP_1) | instid1(VALU_DEP_2)
	v_add3_u32 v7, v22, v6, 0x7fff
	v_mov_b32_e32 v6, 0
	v_lshrrev_b32_e32 v7, 16, v7
	s_delay_alu instid0(VALU_DEP_2) | instskip(SKIP_1) | instid1(VALU_DEP_2)
	v_lshlrev_b64_e32 v[5:6], 1, v[5:6]
	s_wait_alu 0xf1ff
	v_cndmask_b32_e64 v7, 0x7fc0, v7, s3
	s_wait_kmcnt 0x0
	s_delay_alu instid0(VALU_DEP_2)
	v_add_co_u32 v5, s3, s8, v5
	s_wait_alu 0xf1ff
	v_add_co_ci_u32_e64 v6, null, s9, v6, s3
	global_store_b16 v[5:6], v7, off
.LBB157_47:
	s_wait_alu 0xfffe
	s_or_b32 exec_lo, exec_lo, s5
	v_add3_u32 v5, v1, s7, 40
	s_delay_alu instid0(VALU_DEP_1)
	v_cmp_gt_u32_e64 s3, s4, v5
	s_and_b32 exec_lo, exec_lo, s3
	s_cbranch_execz .LBB157_65
; %bb.48:
	v_mul_lo_u32 v5, v5, s6
	s_and_saveexec_b32 s5, vcc_lo
	s_cbranch_execnz .LBB157_78
; %bb.49:
	s_wait_alu 0xfffe
	s_or_b32 exec_lo, exec_lo, s5
	s_and_saveexec_b32 s5, s0
	s_cbranch_execnz .LBB157_79
.LBB157_50:
	s_wait_alu 0xfffe
	s_or_b32 exec_lo, exec_lo, s5
	s_and_saveexec_b32 s5, s1
	s_cbranch_execnz .LBB157_80
.LBB157_51:
	s_wait_alu 0xfffe
	s_or_b32 exec_lo, exec_lo, s5
	s_and_saveexec_b32 s5, s2
	s_cbranch_execz .LBB157_53
.LBB157_52:
	v_bfe_u32 v6, v18, 16, 1
	v_add_nc_u32_e32 v5, v5, v4
	v_cmp_o_f32_e64 s3, v18, v18
	s_delay_alu instid0(VALU_DEP_3) | instskip(SKIP_1) | instid1(VALU_DEP_2)
	v_add3_u32 v7, v18, v6, 0x7fff
	v_mov_b32_e32 v6, 0
	v_lshrrev_b32_e32 v7, 16, v7
	s_delay_alu instid0(VALU_DEP_2) | instskip(SKIP_1) | instid1(VALU_DEP_2)
	v_lshlrev_b64_e32 v[5:6], 1, v[5:6]
	s_wait_alu 0xf1ff
	v_cndmask_b32_e64 v7, 0x7fc0, v7, s3
	s_wait_kmcnt 0x0
	s_delay_alu instid0(VALU_DEP_2)
	v_add_co_u32 v5, s3, s8, v5
	s_wait_alu 0xf1ff
	v_add_co_ci_u32_e64 v6, null, s9, v6, s3
	global_store_b16 v[5:6], v7, off
.LBB157_53:
	s_wait_alu 0xfffe
	s_or_b32 exec_lo, exec_lo, s5
	v_add3_u32 v5, v1, s7, 48
	s_delay_alu instid0(VALU_DEP_1)
	v_cmp_gt_u32_e64 s3, s4, v5
	s_and_b32 exec_lo, exec_lo, s3
	s_cbranch_execz .LBB157_65
; %bb.54:
	v_mul_lo_u32 v5, v5, s6
	s_and_saveexec_b32 s5, vcc_lo
	s_cbranch_execnz .LBB157_81
; %bb.55:
	s_wait_alu 0xfffe
	s_or_b32 exec_lo, exec_lo, s5
	s_and_saveexec_b32 s5, s0
	s_cbranch_execnz .LBB157_82
.LBB157_56:
	s_wait_alu 0xfffe
	s_or_b32 exec_lo, exec_lo, s5
	s_and_saveexec_b32 s5, s1
	s_cbranch_execnz .LBB157_83
.LBB157_57:
	s_wait_alu 0xfffe
	s_or_b32 exec_lo, exec_lo, s5
	s_and_saveexec_b32 s5, s2
	s_cbranch_execz .LBB157_59
.LBB157_58:
	v_bfe_u32 v6, v14, 16, 1
	v_add_nc_u32_e32 v5, v5, v4
	v_cmp_o_f32_e64 s3, v14, v14
	s_delay_alu instid0(VALU_DEP_3) | instskip(SKIP_1) | instid1(VALU_DEP_2)
	v_add3_u32 v7, v14, v6, 0x7fff
	v_mov_b32_e32 v6, 0
	v_lshrrev_b32_e32 v7, 16, v7
	s_delay_alu instid0(VALU_DEP_2) | instskip(SKIP_1) | instid1(VALU_DEP_2)
	v_lshlrev_b64_e32 v[5:6], 1, v[5:6]
	s_wait_alu 0xf1ff
	v_cndmask_b32_e64 v7, 0x7fc0, v7, s3
	s_wait_kmcnt 0x0
	s_delay_alu instid0(VALU_DEP_2)
	v_add_co_u32 v5, s3, s8, v5
	s_wait_alu 0xf1ff
	v_add_co_ci_u32_e64 v6, null, s9, v6, s3
	global_store_b16 v[5:6], v7, off
.LBB157_59:
	s_wait_alu 0xfffe
	s_or_b32 exec_lo, exec_lo, s5
	v_add3_u32 v1, v1, s7, 56
	s_delay_alu instid0(VALU_DEP_1)
	v_cmp_gt_u32_e64 s3, s4, v1
	s_and_b32 exec_lo, exec_lo, s3
	s_cbranch_execz .LBB157_65
; %bb.60:
	v_mul_lo_u32 v1, v1, s6
	s_and_saveexec_b32 s3, vcc_lo
	s_cbranch_execnz .LBB157_84
; %bb.61:
	s_wait_alu 0xfffe
	s_or_b32 exec_lo, exec_lo, s3
	s_and_saveexec_b32 s3, s0
	s_cbranch_execnz .LBB157_85
.LBB157_62:
	s_wait_alu 0xfffe
	s_or_b32 exec_lo, exec_lo, s3
	s_and_saveexec_b32 s0, s1
	s_cbranch_execnz .LBB157_86
.LBB157_63:
	s_wait_alu 0xfffe
	s_or_b32 exec_lo, exec_lo, s0
	s_delay_alu instid0(SALU_CYCLE_1)
	s_and_b32 exec_lo, exec_lo, s2
	s_cbranch_execz .LBB157_65
.LBB157_64:
	v_bfe_u32 v2, v10, 16, 1
	v_dual_mov_b32 v1, 0 :: v_dual_add_nc_u32 v0, v1, v4
	v_cmp_o_f32_e32 vcc_lo, v10, v10
	s_delay_alu instid0(VALU_DEP_3) | instskip(NEXT) | instid1(VALU_DEP_3)
	v_add3_u32 v2, v10, v2, 0x7fff
	v_lshlrev_b64_e32 v[0:1], 1, v[0:1]
	s_delay_alu instid0(VALU_DEP_2) | instskip(SKIP_1) | instid1(VALU_DEP_1)
	v_lshrrev_b32_e32 v2, 16, v2
	s_wait_alu 0xfffd
	v_cndmask_b32_e32 v2, 0x7fc0, v2, vcc_lo
	s_wait_kmcnt 0x0
	s_delay_alu instid0(VALU_DEP_3)
	v_add_co_u32 v0, vcc_lo, s8, v0
	s_wait_alu 0xfffd
	v_add_co_ci_u32_e64 v1, null, s9, v1, vcc_lo
	global_store_b16 v[0:1], v2, off
.LBB157_65:
	s_nop 0
	s_sendmsg sendmsg(MSG_DEALLOC_VGPRS)
	s_endpgm
.LBB157_66:
	v_bfe_u32 v7, v43, 16, 1
	s_delay_alu instid0(VALU_DEP_2) | instskip(SKIP_1) | instid1(VALU_DEP_3)
	v_add_nc_u32_e32 v6, v5, v0
	v_cmp_o_f32_e64 s3, v43, v43
	v_add3_u32 v8, v43, v7, 0x7fff
	v_mov_b32_e32 v7, 0
	s_delay_alu instid0(VALU_DEP_2) | instskip(NEXT) | instid1(VALU_DEP_2)
	v_lshrrev_b32_e32 v8, 16, v8
	v_lshlrev_b64_e32 v[6:7], 1, v[6:7]
	s_wait_alu 0xf1ff
	s_delay_alu instid0(VALU_DEP_2) | instskip(SKIP_1) | instid1(VALU_DEP_2)
	v_cndmask_b32_e64 v8, 0x7fc0, v8, s3
	s_wait_kmcnt 0x0
	v_add_co_u32 v6, s3, s8, v6
	s_wait_alu 0xf1ff
	v_add_co_ci_u32_e64 v7, null, s9, v7, s3
	global_store_b16 v[6:7], v8, off
	s_wait_alu 0xfffe
	s_or_b32 exec_lo, exec_lo, s5
	s_and_saveexec_b32 s5, s0
	s_cbranch_execz .LBB157_26
.LBB157_67:
	v_bfe_u32 v7, v40, 16, 1
	v_add_nc_u32_e32 v6, v5, v2
	v_cmp_o_f32_e64 s3, v40, v40
	s_delay_alu instid0(VALU_DEP_3) | instskip(SKIP_1) | instid1(VALU_DEP_2)
	v_add3_u32 v8, v40, v7, 0x7fff
	v_mov_b32_e32 v7, 0
	v_lshrrev_b32_e32 v8, 16, v8
	s_delay_alu instid0(VALU_DEP_2) | instskip(SKIP_1) | instid1(VALU_DEP_2)
	v_lshlrev_b64_e32 v[6:7], 1, v[6:7]
	s_wait_alu 0xf1ff
	v_cndmask_b32_e64 v8, 0x7fc0, v8, s3
	s_wait_kmcnt 0x0
	s_delay_alu instid0(VALU_DEP_2)
	v_add_co_u32 v6, s3, s8, v6
	s_wait_alu 0xf1ff
	v_add_co_ci_u32_e64 v7, null, s9, v7, s3
	global_store_b16 v[6:7], v8, off
	s_wait_alu 0xfffe
	s_or_b32 exec_lo, exec_lo, s5
	s_and_saveexec_b32 s5, s1
	s_cbranch_execz .LBB157_27
.LBB157_68:
	v_bfe_u32 v7, v39, 16, 1
	v_add_nc_u32_e32 v6, v5, v3
	v_cmp_o_f32_e64 s3, v39, v39
	s_delay_alu instid0(VALU_DEP_3) | instskip(SKIP_1) | instid1(VALU_DEP_2)
	v_add3_u32 v8, v39, v7, 0x7fff
	v_mov_b32_e32 v7, 0
	v_lshrrev_b32_e32 v8, 16, v8
	s_delay_alu instid0(VALU_DEP_2) | instskip(SKIP_1) | instid1(VALU_DEP_2)
	v_lshlrev_b64_e32 v[6:7], 1, v[6:7]
	s_wait_alu 0xf1ff
	v_cndmask_b32_e64 v8, 0x7fc0, v8, s3
	s_wait_kmcnt 0x0
	s_delay_alu instid0(VALU_DEP_2)
	v_add_co_u32 v6, s3, s8, v6
	s_wait_alu 0xf1ff
	v_add_co_ci_u32_e64 v7, null, s9, v7, s3
	global_store_b16 v[6:7], v8, off
	s_wait_alu 0xfffe
	s_or_b32 exec_lo, exec_lo, s5
	s_and_saveexec_b32 s5, s2
	s_cbranch_execnz .LBB157_28
	s_branch .LBB157_29
.LBB157_69:
	v_bfe_u32 v7, v37, 16, 1
	s_delay_alu instid0(VALU_DEP_2) | instskip(SKIP_1) | instid1(VALU_DEP_3)
	v_add_nc_u32_e32 v6, v5, v0
	v_cmp_o_f32_e64 s3, v37, v37
	v_add3_u32 v8, v37, v7, 0x7fff
	v_mov_b32_e32 v7, 0
	s_delay_alu instid0(VALU_DEP_2) | instskip(NEXT) | instid1(VALU_DEP_2)
	v_lshrrev_b32_e32 v8, 16, v8
	v_lshlrev_b64_e32 v[6:7], 1, v[6:7]
	s_wait_alu 0xf1ff
	s_delay_alu instid0(VALU_DEP_2) | instskip(SKIP_1) | instid1(VALU_DEP_2)
	v_cndmask_b32_e64 v8, 0x7fc0, v8, s3
	s_wait_kmcnt 0x0
	v_add_co_u32 v6, s3, s8, v6
	s_wait_alu 0xf1ff
	v_add_co_ci_u32_e64 v7, null, s9, v7, s3
	global_store_b16 v[6:7], v8, off
	s_wait_alu 0xfffe
	s_or_b32 exec_lo, exec_lo, s5
	s_and_saveexec_b32 s5, s0
	s_cbranch_execz .LBB157_32
.LBB157_70:
	v_bfe_u32 v7, v35, 16, 1
	v_add_nc_u32_e32 v6, v5, v2
	v_cmp_o_f32_e64 s3, v35, v35
	s_delay_alu instid0(VALU_DEP_3) | instskip(SKIP_1) | instid1(VALU_DEP_2)
	v_add3_u32 v8, v35, v7, 0x7fff
	v_mov_b32_e32 v7, 0
	v_lshrrev_b32_e32 v8, 16, v8
	s_delay_alu instid0(VALU_DEP_2) | instskip(SKIP_1) | instid1(VALU_DEP_2)
	v_lshlrev_b64_e32 v[6:7], 1, v[6:7]
	s_wait_alu 0xf1ff
	v_cndmask_b32_e64 v8, 0x7fc0, v8, s3
	s_wait_kmcnt 0x0
	s_delay_alu instid0(VALU_DEP_2)
	v_add_co_u32 v6, s3, s8, v6
	s_wait_alu 0xf1ff
	v_add_co_ci_u32_e64 v7, null, s9, v7, s3
	global_store_b16 v[6:7], v8, off
	s_wait_alu 0xfffe
	s_or_b32 exec_lo, exec_lo, s5
	s_and_saveexec_b32 s5, s1
	s_cbranch_execz .LBB157_33
.LBB157_71:
	v_bfe_u32 v7, v34, 16, 1
	v_add_nc_u32_e32 v6, v5, v3
	v_cmp_o_f32_e64 s3, v34, v34
	s_delay_alu instid0(VALU_DEP_3) | instskip(SKIP_1) | instid1(VALU_DEP_2)
	v_add3_u32 v8, v34, v7, 0x7fff
	v_mov_b32_e32 v7, 0
	v_lshrrev_b32_e32 v8, 16, v8
	s_delay_alu instid0(VALU_DEP_2) | instskip(SKIP_1) | instid1(VALU_DEP_2)
	v_lshlrev_b64_e32 v[6:7], 1, v[6:7]
	s_wait_alu 0xf1ff
	v_cndmask_b32_e64 v8, 0x7fc0, v8, s3
	s_wait_kmcnt 0x0
	s_delay_alu instid0(VALU_DEP_2)
	v_add_co_u32 v6, s3, s8, v6
	s_wait_alu 0xf1ff
	v_add_co_ci_u32_e64 v7, null, s9, v7, s3
	global_store_b16 v[6:7], v8, off
	s_wait_alu 0xfffe
	s_or_b32 exec_lo, exec_lo, s5
	s_and_saveexec_b32 s5, s2
	s_cbranch_execnz .LBB157_34
	s_branch .LBB157_35
.LBB157_72:
	v_bfe_u32 v7, v32, 16, 1
	s_delay_alu instid0(VALU_DEP_2) | instskip(SKIP_1) | instid1(VALU_DEP_3)
	v_add_nc_u32_e32 v6, v5, v0
	v_cmp_o_f32_e64 s3, v32, v32
	v_add3_u32 v8, v32, v7, 0x7fff
	v_mov_b32_e32 v7, 0
	s_delay_alu instid0(VALU_DEP_2) | instskip(NEXT) | instid1(VALU_DEP_2)
	v_lshrrev_b32_e32 v8, 16, v8
	v_lshlrev_b64_e32 v[6:7], 1, v[6:7]
	s_wait_alu 0xf1ff
	s_delay_alu instid0(VALU_DEP_2) | instskip(SKIP_1) | instid1(VALU_DEP_2)
	v_cndmask_b32_e64 v8, 0x7fc0, v8, s3
	s_wait_kmcnt 0x0
	v_add_co_u32 v6, s3, s8, v6
	s_wait_alu 0xf1ff
	v_add_co_ci_u32_e64 v7, null, s9, v7, s3
	global_store_b16 v[6:7], v8, off
	s_wait_alu 0xfffe
	s_or_b32 exec_lo, exec_lo, s5
	s_and_saveexec_b32 s5, s0
	s_cbranch_execz .LBB157_38
.LBB157_73:
	v_bfe_u32 v7, v30, 16, 1
	v_add_nc_u32_e32 v6, v5, v2
	v_cmp_o_f32_e64 s3, v30, v30
	s_delay_alu instid0(VALU_DEP_3) | instskip(SKIP_1) | instid1(VALU_DEP_2)
	v_add3_u32 v8, v30, v7, 0x7fff
	v_mov_b32_e32 v7, 0
	v_lshrrev_b32_e32 v8, 16, v8
	s_delay_alu instid0(VALU_DEP_2) | instskip(SKIP_1) | instid1(VALU_DEP_2)
	v_lshlrev_b64_e32 v[6:7], 1, v[6:7]
	s_wait_alu 0xf1ff
	v_cndmask_b32_e64 v8, 0x7fc0, v8, s3
	s_wait_kmcnt 0x0
	s_delay_alu instid0(VALU_DEP_2)
	v_add_co_u32 v6, s3, s8, v6
	s_wait_alu 0xf1ff
	v_add_co_ci_u32_e64 v7, null, s9, v7, s3
	global_store_b16 v[6:7], v8, off
	s_wait_alu 0xfffe
	s_or_b32 exec_lo, exec_lo, s5
	s_and_saveexec_b32 s5, s1
	s_cbranch_execz .LBB157_39
.LBB157_74:
	v_bfe_u32 v7, v29, 16, 1
	v_add_nc_u32_e32 v6, v5, v3
	v_cmp_o_f32_e64 s3, v29, v29
	s_delay_alu instid0(VALU_DEP_3) | instskip(SKIP_1) | instid1(VALU_DEP_2)
	v_add3_u32 v8, v29, v7, 0x7fff
	v_mov_b32_e32 v7, 0
	v_lshrrev_b32_e32 v8, 16, v8
	s_delay_alu instid0(VALU_DEP_2) | instskip(SKIP_1) | instid1(VALU_DEP_2)
	v_lshlrev_b64_e32 v[6:7], 1, v[6:7]
	s_wait_alu 0xf1ff
	v_cndmask_b32_e64 v8, 0x7fc0, v8, s3
	s_wait_kmcnt 0x0
	s_delay_alu instid0(VALU_DEP_2)
	v_add_co_u32 v6, s3, s8, v6
	s_wait_alu 0xf1ff
	v_add_co_ci_u32_e64 v7, null, s9, v7, s3
	global_store_b16 v[6:7], v8, off
	s_wait_alu 0xfffe
	s_or_b32 exec_lo, exec_lo, s5
	s_and_saveexec_b32 s5, s2
	s_cbranch_execnz .LBB157_40
	s_branch .LBB157_41
.LBB157_75:
	v_bfe_u32 v7, v25, 16, 1
	s_delay_alu instid0(VALU_DEP_2) | instskip(SKIP_1) | instid1(VALU_DEP_3)
	v_add_nc_u32_e32 v6, v5, v0
	v_cmp_o_f32_e64 s3, v25, v25
	v_add3_u32 v8, v25, v7, 0x7fff
	v_mov_b32_e32 v7, 0
	s_delay_alu instid0(VALU_DEP_2) | instskip(NEXT) | instid1(VALU_DEP_2)
	v_lshrrev_b32_e32 v8, 16, v8
	v_lshlrev_b64_e32 v[6:7], 1, v[6:7]
	s_wait_alu 0xf1ff
	s_delay_alu instid0(VALU_DEP_2) | instskip(SKIP_1) | instid1(VALU_DEP_2)
	v_cndmask_b32_e64 v8, 0x7fc0, v8, s3
	s_wait_kmcnt 0x0
	v_add_co_u32 v6, s3, s8, v6
	s_wait_alu 0xf1ff
	v_add_co_ci_u32_e64 v7, null, s9, v7, s3
	global_store_b16 v[6:7], v8, off
	s_wait_alu 0xfffe
	s_or_b32 exec_lo, exec_lo, s5
	s_and_saveexec_b32 s5, s0
	s_cbranch_execz .LBB157_44
.LBB157_76:
	v_bfe_u32 v7, v24, 16, 1
	v_add_nc_u32_e32 v6, v5, v2
	v_cmp_o_f32_e64 s3, v24, v24
	s_delay_alu instid0(VALU_DEP_3) | instskip(SKIP_1) | instid1(VALU_DEP_2)
	v_add3_u32 v8, v24, v7, 0x7fff
	v_mov_b32_e32 v7, 0
	v_lshrrev_b32_e32 v8, 16, v8
	s_delay_alu instid0(VALU_DEP_2) | instskip(SKIP_1) | instid1(VALU_DEP_2)
	v_lshlrev_b64_e32 v[6:7], 1, v[6:7]
	s_wait_alu 0xf1ff
	v_cndmask_b32_e64 v8, 0x7fc0, v8, s3
	s_wait_kmcnt 0x0
	s_delay_alu instid0(VALU_DEP_2)
	v_add_co_u32 v6, s3, s8, v6
	s_wait_alu 0xf1ff
	v_add_co_ci_u32_e64 v7, null, s9, v7, s3
	global_store_b16 v[6:7], v8, off
	s_wait_alu 0xfffe
	s_or_b32 exec_lo, exec_lo, s5
	s_and_saveexec_b32 s5, s1
	s_cbranch_execz .LBB157_45
.LBB157_77:
	v_bfe_u32 v7, v23, 16, 1
	v_add_nc_u32_e32 v6, v5, v3
	v_cmp_o_f32_e64 s3, v23, v23
	s_delay_alu instid0(VALU_DEP_3) | instskip(SKIP_1) | instid1(VALU_DEP_2)
	v_add3_u32 v8, v23, v7, 0x7fff
	v_mov_b32_e32 v7, 0
	v_lshrrev_b32_e32 v8, 16, v8
	s_delay_alu instid0(VALU_DEP_2) | instskip(SKIP_1) | instid1(VALU_DEP_2)
	v_lshlrev_b64_e32 v[6:7], 1, v[6:7]
	s_wait_alu 0xf1ff
	v_cndmask_b32_e64 v8, 0x7fc0, v8, s3
	s_wait_kmcnt 0x0
	s_delay_alu instid0(VALU_DEP_2)
	v_add_co_u32 v6, s3, s8, v6
	s_wait_alu 0xf1ff
	v_add_co_ci_u32_e64 v7, null, s9, v7, s3
	global_store_b16 v[6:7], v8, off
	s_wait_alu 0xfffe
	s_or_b32 exec_lo, exec_lo, s5
	s_and_saveexec_b32 s5, s2
	s_cbranch_execnz .LBB157_46
	s_branch .LBB157_47
.LBB157_78:
	v_bfe_u32 v7, v21, 16, 1
	s_delay_alu instid0(VALU_DEP_2) | instskip(SKIP_1) | instid1(VALU_DEP_3)
	v_add_nc_u32_e32 v6, v5, v0
	v_cmp_o_f32_e64 s3, v21, v21
	v_add3_u32 v8, v21, v7, 0x7fff
	v_mov_b32_e32 v7, 0
	s_delay_alu instid0(VALU_DEP_2) | instskip(NEXT) | instid1(VALU_DEP_2)
	v_lshrrev_b32_e32 v8, 16, v8
	v_lshlrev_b64_e32 v[6:7], 1, v[6:7]
	s_wait_alu 0xf1ff
	s_delay_alu instid0(VALU_DEP_2) | instskip(SKIP_1) | instid1(VALU_DEP_2)
	v_cndmask_b32_e64 v8, 0x7fc0, v8, s3
	s_wait_kmcnt 0x0
	v_add_co_u32 v6, s3, s8, v6
	s_wait_alu 0xf1ff
	v_add_co_ci_u32_e64 v7, null, s9, v7, s3
	global_store_b16 v[6:7], v8, off
	s_wait_alu 0xfffe
	s_or_b32 exec_lo, exec_lo, s5
	s_and_saveexec_b32 s5, s0
	s_cbranch_execz .LBB157_50
.LBB157_79:
	v_bfe_u32 v7, v20, 16, 1
	v_add_nc_u32_e32 v6, v5, v2
	v_cmp_o_f32_e64 s3, v20, v20
	s_delay_alu instid0(VALU_DEP_3) | instskip(SKIP_1) | instid1(VALU_DEP_2)
	v_add3_u32 v8, v20, v7, 0x7fff
	v_mov_b32_e32 v7, 0
	v_lshrrev_b32_e32 v8, 16, v8
	s_delay_alu instid0(VALU_DEP_2) | instskip(SKIP_1) | instid1(VALU_DEP_2)
	v_lshlrev_b64_e32 v[6:7], 1, v[6:7]
	s_wait_alu 0xf1ff
	v_cndmask_b32_e64 v8, 0x7fc0, v8, s3
	s_wait_kmcnt 0x0
	s_delay_alu instid0(VALU_DEP_2)
	v_add_co_u32 v6, s3, s8, v6
	s_wait_alu 0xf1ff
	v_add_co_ci_u32_e64 v7, null, s9, v7, s3
	global_store_b16 v[6:7], v8, off
	s_wait_alu 0xfffe
	s_or_b32 exec_lo, exec_lo, s5
	s_and_saveexec_b32 s5, s1
	s_cbranch_execz .LBB157_51
.LBB157_80:
	v_bfe_u32 v7, v19, 16, 1
	v_add_nc_u32_e32 v6, v5, v3
	v_cmp_o_f32_e64 s3, v19, v19
	s_delay_alu instid0(VALU_DEP_3) | instskip(SKIP_1) | instid1(VALU_DEP_2)
	v_add3_u32 v8, v19, v7, 0x7fff
	v_mov_b32_e32 v7, 0
	v_lshrrev_b32_e32 v8, 16, v8
	s_delay_alu instid0(VALU_DEP_2) | instskip(SKIP_1) | instid1(VALU_DEP_2)
	v_lshlrev_b64_e32 v[6:7], 1, v[6:7]
	s_wait_alu 0xf1ff
	v_cndmask_b32_e64 v8, 0x7fc0, v8, s3
	s_wait_kmcnt 0x0
	s_delay_alu instid0(VALU_DEP_2)
	v_add_co_u32 v6, s3, s8, v6
	s_wait_alu 0xf1ff
	v_add_co_ci_u32_e64 v7, null, s9, v7, s3
	global_store_b16 v[6:7], v8, off
	s_wait_alu 0xfffe
	s_or_b32 exec_lo, exec_lo, s5
	s_and_saveexec_b32 s5, s2
	s_cbranch_execnz .LBB157_52
	s_branch .LBB157_53
.LBB157_81:
	v_bfe_u32 v7, v17, 16, 1
	s_delay_alu instid0(VALU_DEP_2) | instskip(SKIP_1) | instid1(VALU_DEP_3)
	v_add_nc_u32_e32 v6, v5, v0
	v_cmp_o_f32_e64 s3, v17, v17
	v_add3_u32 v8, v17, v7, 0x7fff
	v_mov_b32_e32 v7, 0
	s_delay_alu instid0(VALU_DEP_2) | instskip(NEXT) | instid1(VALU_DEP_2)
	v_lshrrev_b32_e32 v8, 16, v8
	v_lshlrev_b64_e32 v[6:7], 1, v[6:7]
	s_wait_alu 0xf1ff
	s_delay_alu instid0(VALU_DEP_2) | instskip(SKIP_1) | instid1(VALU_DEP_2)
	v_cndmask_b32_e64 v8, 0x7fc0, v8, s3
	s_wait_kmcnt 0x0
	v_add_co_u32 v6, s3, s8, v6
	s_wait_alu 0xf1ff
	v_add_co_ci_u32_e64 v7, null, s9, v7, s3
	global_store_b16 v[6:7], v8, off
	s_wait_alu 0xfffe
	s_or_b32 exec_lo, exec_lo, s5
	s_and_saveexec_b32 s5, s0
	s_cbranch_execz .LBB157_56
.LBB157_82:
	v_bfe_u32 v7, v16, 16, 1
	v_add_nc_u32_e32 v6, v5, v2
	v_cmp_o_f32_e64 s3, v16, v16
	s_delay_alu instid0(VALU_DEP_3) | instskip(SKIP_1) | instid1(VALU_DEP_2)
	v_add3_u32 v8, v16, v7, 0x7fff
	v_mov_b32_e32 v7, 0
	v_lshrrev_b32_e32 v8, 16, v8
	s_delay_alu instid0(VALU_DEP_2) | instskip(SKIP_1) | instid1(VALU_DEP_2)
	v_lshlrev_b64_e32 v[6:7], 1, v[6:7]
	s_wait_alu 0xf1ff
	v_cndmask_b32_e64 v8, 0x7fc0, v8, s3
	s_wait_kmcnt 0x0
	s_delay_alu instid0(VALU_DEP_2)
	v_add_co_u32 v6, s3, s8, v6
	s_wait_alu 0xf1ff
	v_add_co_ci_u32_e64 v7, null, s9, v7, s3
	global_store_b16 v[6:7], v8, off
	s_wait_alu 0xfffe
	s_or_b32 exec_lo, exec_lo, s5
	s_and_saveexec_b32 s5, s1
	s_cbranch_execz .LBB157_57
.LBB157_83:
	v_bfe_u32 v7, v15, 16, 1
	v_add_nc_u32_e32 v6, v5, v3
	v_cmp_o_f32_e64 s3, v15, v15
	s_delay_alu instid0(VALU_DEP_3) | instskip(SKIP_1) | instid1(VALU_DEP_2)
	v_add3_u32 v8, v15, v7, 0x7fff
	v_mov_b32_e32 v7, 0
	v_lshrrev_b32_e32 v8, 16, v8
	s_delay_alu instid0(VALU_DEP_2) | instskip(SKIP_1) | instid1(VALU_DEP_2)
	v_lshlrev_b64_e32 v[6:7], 1, v[6:7]
	s_wait_alu 0xf1ff
	v_cndmask_b32_e64 v8, 0x7fc0, v8, s3
	s_wait_kmcnt 0x0
	s_delay_alu instid0(VALU_DEP_2)
	v_add_co_u32 v6, s3, s8, v6
	s_wait_alu 0xf1ff
	v_add_co_ci_u32_e64 v7, null, s9, v7, s3
	global_store_b16 v[6:7], v8, off
	s_wait_alu 0xfffe
	s_or_b32 exec_lo, exec_lo, s5
	s_and_saveexec_b32 s5, s2
	s_cbranch_execnz .LBB157_58
	s_branch .LBB157_59
.LBB157_84:
	v_bfe_u32 v6, v13, 16, 1
	s_delay_alu instid0(VALU_DEP_2) | instskip(SKIP_1) | instid1(VALU_DEP_3)
	v_add_nc_u32_e32 v5, v1, v0
	v_cmp_o_f32_e32 vcc_lo, v13, v13
	v_add3_u32 v0, v13, v6, 0x7fff
	v_mov_b32_e32 v6, 0
	s_delay_alu instid0(VALU_DEP_2) | instskip(NEXT) | instid1(VALU_DEP_2)
	v_lshrrev_b32_e32 v0, 16, v0
	v_lshlrev_b64_e32 v[5:6], 1, v[5:6]
	s_wait_alu 0xfffd
	s_delay_alu instid0(VALU_DEP_2) | instskip(SKIP_1) | instid1(VALU_DEP_2)
	v_cndmask_b32_e32 v0, 0x7fc0, v0, vcc_lo
	s_wait_kmcnt 0x0
	v_add_co_u32 v5, vcc_lo, s8, v5
	s_wait_alu 0xfffd
	v_add_co_ci_u32_e64 v6, null, s9, v6, vcc_lo
	global_store_b16 v[5:6], v0, off
	s_wait_alu 0xfffe
	s_or_b32 exec_lo, exec_lo, s3
	s_and_saveexec_b32 s3, s0
	s_cbranch_execz .LBB157_62
.LBB157_85:
	v_bfe_u32 v0, v12, 16, 1
	v_dual_mov_b32 v6, 0 :: v_dual_add_nc_u32 v5, v1, v2
	v_cmp_o_f32_e32 vcc_lo, v12, v12
	s_delay_alu instid0(VALU_DEP_3) | instskip(NEXT) | instid1(VALU_DEP_3)
	v_add3_u32 v0, v12, v0, 0x7fff
	v_lshlrev_b64_e32 v[5:6], 1, v[5:6]
	s_delay_alu instid0(VALU_DEP_2) | instskip(SKIP_1) | instid1(VALU_DEP_1)
	v_lshrrev_b32_e32 v0, 16, v0
	s_wait_alu 0xfffd
	v_cndmask_b32_e32 v0, 0x7fc0, v0, vcc_lo
	s_wait_kmcnt 0x0
	s_delay_alu instid0(VALU_DEP_3)
	v_add_co_u32 v5, vcc_lo, s8, v5
	s_wait_alu 0xfffd
	v_add_co_ci_u32_e64 v6, null, s9, v6, vcc_lo
	global_store_b16 v[5:6], v0, off
	s_wait_alu 0xfffe
	s_or_b32 exec_lo, exec_lo, s3
	s_and_saveexec_b32 s0, s1
	s_cbranch_execz .LBB157_63
.LBB157_86:
	v_bfe_u32 v0, v11, 16, 1
	v_dual_mov_b32 v3, 0 :: v_dual_add_nc_u32 v2, v1, v3
	v_cmp_o_f32_e32 vcc_lo, v11, v11
	s_delay_alu instid0(VALU_DEP_3) | instskip(NEXT) | instid1(VALU_DEP_3)
	v_add3_u32 v0, v11, v0, 0x7fff
	v_lshlrev_b64_e32 v[2:3], 1, v[2:3]
	s_delay_alu instid0(VALU_DEP_2) | instskip(SKIP_1) | instid1(VALU_DEP_1)
	v_lshrrev_b32_e32 v0, 16, v0
	s_wait_alu 0xfffd
	v_cndmask_b32_e32 v0, 0x7fc0, v0, vcc_lo
	s_wait_kmcnt 0x0
	s_delay_alu instid0(VALU_DEP_3)
	v_add_co_u32 v2, vcc_lo, s8, v2
	s_wait_alu 0xfffd
	v_add_co_ci_u32_e64 v3, null, s9, v3, vcc_lo
	global_store_b16 v[2:3], v0, off
	s_wait_alu 0xfffe
	s_or_b32 exec_lo, exec_lo, s0
	s_delay_alu instid0(SALU_CYCLE_1)
	s_and_b32 exec_lo, exec_lo, s2
	s_cbranch_execnz .LBB157_64
	s_branch .LBB157_65
	.section	.rodata,"a",@progbits
	.p2align	6, 0x0
	.amdhsa_kernel _ZL12mul_mat_q4_0IN3c108BFloat16ELb0EEvPKvS3_PT_iiiii
		.amdhsa_group_segment_fixed_size 30336
		.amdhsa_private_segment_fixed_size 104
		.amdhsa_kernarg_size 44
		.amdhsa_user_sgpr_count 2
		.amdhsa_user_sgpr_dispatch_ptr 0
		.amdhsa_user_sgpr_queue_ptr 0
		.amdhsa_user_sgpr_kernarg_segment_ptr 1
		.amdhsa_user_sgpr_dispatch_id 0
		.amdhsa_user_sgpr_private_segment_size 0
		.amdhsa_wavefront_size32 1
		.amdhsa_uses_dynamic_stack 0
		.amdhsa_enable_private_segment 1
		.amdhsa_system_sgpr_workgroup_id_x 1
		.amdhsa_system_sgpr_workgroup_id_y 1
		.amdhsa_system_sgpr_workgroup_id_z 0
		.amdhsa_system_sgpr_workgroup_info 0
		.amdhsa_system_vgpr_workitem_id 1
		.amdhsa_next_free_vgpr 256
		.amdhsa_next_free_sgpr 17
		.amdhsa_reserve_vcc 1
		.amdhsa_float_round_mode_32 0
		.amdhsa_float_round_mode_16_64 0
		.amdhsa_float_denorm_mode_32 3
		.amdhsa_float_denorm_mode_16_64 3
		.amdhsa_fp16_overflow 0
		.amdhsa_workgroup_processor_mode 1
		.amdhsa_memory_ordered 1
		.amdhsa_forward_progress 1
		.amdhsa_inst_pref_size 255
		.amdhsa_round_robin_scheduling 0
		.amdhsa_exception_fp_ieee_invalid_op 0
		.amdhsa_exception_fp_denorm_src 0
		.amdhsa_exception_fp_ieee_div_zero 0
		.amdhsa_exception_fp_ieee_overflow 0
		.amdhsa_exception_fp_ieee_underflow 0
		.amdhsa_exception_fp_ieee_inexact 0
		.amdhsa_exception_int_div_zero 0
	.end_amdhsa_kernel
	.section	.text._ZL12mul_mat_q4_0IN3c108BFloat16ELb0EEvPKvS3_PT_iiiii,"axG",@progbits,_ZL12mul_mat_q4_0IN3c108BFloat16ELb0EEvPKvS3_PT_iiiii,comdat
.Lfunc_end157:
	.size	_ZL12mul_mat_q4_0IN3c108BFloat16ELb0EEvPKvS3_PT_iiiii, .Lfunc_end157-_ZL12mul_mat_q4_0IN3c108BFloat16ELb0EEvPKvS3_PT_iiiii
                                        ; -- End function
	.set _ZL12mul_mat_q4_0IN3c108BFloat16ELb0EEvPKvS3_PT_iiiii.num_vgpr, 256
	.set _ZL12mul_mat_q4_0IN3c108BFloat16ELb0EEvPKvS3_PT_iiiii.num_agpr, 0
	.set _ZL12mul_mat_q4_0IN3c108BFloat16ELb0EEvPKvS3_PT_iiiii.numbered_sgpr, 17
	.set _ZL12mul_mat_q4_0IN3c108BFloat16ELb0EEvPKvS3_PT_iiiii.num_named_barrier, 0
	.set _ZL12mul_mat_q4_0IN3c108BFloat16ELb0EEvPKvS3_PT_iiiii.private_seg_size, 104
	.set _ZL12mul_mat_q4_0IN3c108BFloat16ELb0EEvPKvS3_PT_iiiii.uses_vcc, 1
	.set _ZL12mul_mat_q4_0IN3c108BFloat16ELb0EEvPKvS3_PT_iiiii.uses_flat_scratch, 1
	.set _ZL12mul_mat_q4_0IN3c108BFloat16ELb0EEvPKvS3_PT_iiiii.has_dyn_sized_stack, 0
	.set _ZL12mul_mat_q4_0IN3c108BFloat16ELb0EEvPKvS3_PT_iiiii.has_recursion, 0
	.set _ZL12mul_mat_q4_0IN3c108BFloat16ELb0EEvPKvS3_PT_iiiii.has_indirect_call, 0
	.section	.AMDGPU.csdata,"",@progbits
; Kernel info:
; codeLenInByte = 36372
; TotalNumSgprs: 19
; NumVgprs: 256
; ScratchSize: 104
; MemoryBound: 0
; FloatMode: 240
; IeeeMode: 1
; LDSByteSize: 30336 bytes/workgroup (compile time only)
; SGPRBlocks: 0
; VGPRBlocks: 31
; NumSGPRsForWavesPerEU: 19
; NumVGPRsForWavesPerEU: 256
; Occupancy: 5
; WaveLimiterHint : 0
; COMPUTE_PGM_RSRC2:SCRATCH_EN: 1
; COMPUTE_PGM_RSRC2:USER_SGPR: 2
; COMPUTE_PGM_RSRC2:TRAP_HANDLER: 0
; COMPUTE_PGM_RSRC2:TGID_X_EN: 1
; COMPUTE_PGM_RSRC2:TGID_Y_EN: 1
; COMPUTE_PGM_RSRC2:TGID_Z_EN: 0
; COMPUTE_PGM_RSRC2:TIDIG_COMP_CNT: 1
	.section	.text._ZL12mul_mat_q4_0IN3c108BFloat16ELb1EEvPKvS3_PT_iiiii,"axG",@progbits,_ZL12mul_mat_q4_0IN3c108BFloat16ELb1EEvPKvS3_PT_iiiii,comdat
	.globl	_ZL12mul_mat_q4_0IN3c108BFloat16ELb1EEvPKvS3_PT_iiiii ; -- Begin function _ZL12mul_mat_q4_0IN3c108BFloat16ELb1EEvPKvS3_PT_iiiii
	.p2align	8
	.type	_ZL12mul_mat_q4_0IN3c108BFloat16ELb1EEvPKvS3_PT_iiiii,@function
_ZL12mul_mat_q4_0IN3c108BFloat16ELb1EEvPKvS3_PT_iiiii: ; @_ZL12mul_mat_q4_0IN3c108BFloat16ELb1EEvPKvS3_PT_iiiii
; %bb.0:
	s_clause 0x1
	s_load_b128 s[4:7], s[0:1], 0x18
	s_load_b32 s12, s[0:1], 0x28
	v_bfe_u32 v45, v0, 10, 10
	v_and_b32_e32 v59, 0x3ff, v0
	s_lshl_b32 s13, ttmp7, 6
	s_wait_kmcnt 0x0
	s_cmp_gt_i32 s4, 31
	s_cbranch_scc1 .LBB158_2
; %bb.1:
	v_bfe_u32 v1, v0, 10, 10
	v_and_b32_e32 v2, 0x3ff, v0
	s_mov_b32 s2, 0
	s_delay_alu instid0(VALU_DEP_2)
	v_add_nc_u32_e32 v3, s13, v1
	s_branch .LBB158_3
.LBB158_2:
	s_mov_b32 s2, -1
                                        ; implicit-def: $vgpr1
                                        ; implicit-def: $vgpr2
                                        ; implicit-def: $vgpr3
.LBB158_3:
	s_load_b64 s[8:9], s[0:1], 0x10
	v_dual_mov_b32 v26, 0 :: v_dual_mov_b32 v49, 0
	v_dual_mov_b32 v30, 0 :: v_dual_mov_b32 v69, 0
	v_dual_mov_b32 v34, 0 :: v_dual_mov_b32 v27, 0
	v_dual_mov_b32 v38, 0 :: v_dual_mov_b32 v31, 0
	v_dual_mov_b32 v42, 0 :: v_dual_mov_b32 v35, 0
	v_dual_mov_b32 v64, 0 :: v_dual_mov_b32 v39, 0
	v_dual_mov_b32 v43, 0 :: v_dual_mov_b32 v50, 0
	v_dual_mov_b32 v65, 0 :: v_dual_mov_b32 v70, 0
	v_dual_mov_b32 v28, 0 :: v_dual_mov_b32 v47, 0
	v_dual_mov_b32 v32, 0 :: v_dual_mov_b32 v77, 0
	v_dual_mov_b32 v36, 0 :: v_dual_mov_b32 v29, 0
	v_dual_mov_b32 v40, 0 :: v_dual_mov_b32 v33, 0
	v_dual_mov_b32 v52, 0 :: v_dual_mov_b32 v37, 0
	v_dual_mov_b32 v66, 0 :: v_dual_mov_b32 v41, 0
	v_dual_mov_b32 v48, 0 :: v_dual_mov_b32 v67, 0
	v_mov_b32_e32 v58, 0
	v_mov_b32_e32 v46, 0
	s_and_not1_b32 vcc_lo, exec_lo, s2
	s_lshl_b32 s14, ttmp9, 7
	s_cbranch_vccnz .LBB158_15
; %bb.4:
	v_add_nc_u32_e32 v39, 40, v45
	s_not_b32 s16, s14
	s_ashr_i32 s10, s4, 31
	s_add_co_i32 s5, s5, s16
	s_lshr_b32 s10, s10, 27
	v_lshlrev_b32_e32 v18, 2, v59
	v_min_i32_e32 v1, s5, v45
	v_min_i32_e32 v7, s5, v39
	s_add_co_i32 s4, s4, s10
	v_dual_mov_b32 v67, 0 :: v_dual_add_nc_u32 v36, 16, v45
	s_wait_alu 0xfffe
	s_ashr_i32 s15, s4, 5
	v_dual_mov_b32 v58, 0 :: v_dual_add_nc_u32 v37, 24, v45
	v_add_nc_u32_e32 v38, 32, v45
	v_mul_lo_u32 v60, v1, s15
	v_mad_co_u64_u32 v[61:62], null, 0x84, v1, v[18:19]
	v_mad_co_u64_u32 v[1:2], null, 0x84, v7, v[18:19]
	v_min_i32_e32 v4, s5, v36
	v_dual_mov_b32 v46, 0 :: v_dual_add_nc_u32 v35, 8, v45
	v_min_i32_e32 v5, s5, v37
	v_min_i32_e32 v6, s5, v38
	v_add_nc_u32_e32 v40, 48, v45
	v_dual_mov_b32 v66, 0 :: v_dual_add_nc_u32 v41, 56, v45
	v_dual_mov_b32 v52, 0 :: v_dual_add_nc_u32 v9, 64, v45
	s_ashr_i32 s11, s7, 31
	v_mad_co_u64_u32 v[71:72], null, 0x84, v4, v[18:19]
	v_min_i32_e32 v3, s5, v35
	v_mul_lo_u32 v68, v4, s15
	v_mul_lo_u32 v4, v5, s15
	v_mad_co_u64_u32 v[72:73], null, 0x84, v5, v[18:19]
	v_mul_lo_u32 v5, v6, s15
	v_mad_co_u64_u32 v[75:76], null, 0x84, v6, v[18:19]
	v_mul_lo_u32 v6, v7, s15
	v_min_i32_e32 v8, s5, v40
	v_min_i32_e32 v10, s5, v41
	v_mov_b32_e32 v7, v1
	v_min_i32_e32 v11, s5, v9
	v_add_nc_u32_e32 v1, s13, v45
	s_lshr_b32 s4, s11, 27
	v_mad_co_u64_u32 v[63:64], null, 0x84, v3, v[18:19]
	s_wait_alu 0xfffe
	s_add_co_i32 s4, s7, s4
	s_add_co_i32 s7, s6, -1
	v_mul_lo_u32 v73, v8, s15
	v_mad_co_u64_u32 v[76:77], null, 0x84, v8, v[18:19]
	v_mul_lo_u32 v8, v10, s15
	v_mad_co_u64_u32 v[9:10], null, 0x84, v10, v[18:19]
	v_mad_co_u64_u32 v[80:81], null, 0x84, v11, v[18:19]
	v_cvt_f64_i32_e32 v[16:17], s7
	v_cvt_f64_u32_e32 v[19:20], v1
	v_add_nc_u32_e32 v10, 8, v1
	v_add_nc_u32_e32 v12, 16, v1
	v_dual_mov_b32 v77, 0 :: v_dual_add_nc_u32 v14, 32, v1
	v_mov_b32_e32 v65, 0
	s_delay_alu instid0(VALU_DEP_4)
	v_cvt_f64_u32_e32 v[21:22], v10
	v_add_nc_u32_e32 v10, 24, v1
	v_cvt_f64_u32_e32 v[23:24], v12
	v_add_nc_u32_e32 v12, 40, v1
	;; [unrolled: 2-line block ×4, first 2 shown]
	v_cvt_f64_u32_e32 v[29:30], v12
	v_mul_lo_u32 v78, v11, s15
	v_add_nc_u32_e32 v11, 0x48, v45
	v_add_nc_u32_e32 v13, 0x50, v45
	;; [unrolled: 1-line block ×4, first 2 shown]
	v_cvt_f64_u32_e32 v[31:32], v10
	v_cvt_f64_u32_e32 v[33:34], v14
	v_min_i32_e32 v11, s5, v11
	v_min_i32_e32 v13, s5, v13
	;; [unrolled: 1-line block ×4, first 2 shown]
	scratch_store_b32 off, v1, off offset:224 ; 4-byte Folded Spill
	v_mul_lo_u32 v10, v11, s15
	v_add_nc_u32_e32 v42, 0x68, v45
	v_add_nc_u32_e32 v44, 0x70, v45
	v_dual_mov_b32 v70, 0 :: v_dual_and_b32 v79, 7, v0
	v_mov_b32_e32 v64, 0
	s_delay_alu instid0(VALU_DEP_4)
	v_min_i32_e32 v42, s5, v42
	v_bfe_u32 v51, v0, 2, 8
	s_wait_alu 0xfffe
	s_ashr_i32 s4, s4, 5
	s_load_b128 s[0:3], s[0:1], 0x0
	s_mul_i32 s10, s15, s14
	v_mad_co_u64_u32 v[81:82], null, 0x84, v11, v[18:19]
	v_mul_lo_u32 v11, v13, s15
	v_mad_co_u64_u32 v[12:13], null, 0x84, v13, v[18:19]
	v_mad_co_u64_u32 v[83:84], null, 0x84, v14, v[18:19]
	;; [unrolled: 1-line block ×3, first 2 shown]
	v_min_num_f64_e32 v[19:20], v[19:20], v[16:17]
	v_min_num_f64_e32 v[21:22], v[21:22], v[16:17]
	;; [unrolled: 1-line block ×6, first 2 shown]
	v_bfe_u32 v82, v0, 3, 7
	v_mul_lo_u32 v13, v14, s15
	v_mul_lo_u32 v14, v15, s15
	;; [unrolled: 1-line block ×3, first 2 shown]
	v_mov_b32_e32 v69, 0
	v_lshl_add_u32 v43, v45, 2, v82
	v_min_num_f64_e32 v[31:32], v[31:32], v[16:17]
	v_min_num_f64_e32 v[33:34], v[33:34], v[16:17]
	v_and_b32_e32 v54, 12, v18
	v_mul_lo_u32 v62, v3, s15
	v_min_i32_e32 v47, s5, v43
	v_add_nc_u32_e32 v48, 32, v43
	v_add_nc_u32_e32 v50, 64, v43
	;; [unrolled: 1-line block ×3, first 2 shown]
	s_ashr_i32 s11, s10, 31
	v_ashrrev_i32_e32 v15, 31, v47
	v_min_i32_e32 v48, s5, v48
	v_min_i32_e32 v50, s5, v50
	v_mul_lo_u32 v107, v47, s15
	s_mul_u64 s[10:11], s[10:11], 18
	v_lshrrev_b32_e32 v15, 30, v15
	v_ashrrev_i32_e32 v49, 31, v48
	v_mul_lo_u32 v3, v50, s15
	s_wait_kmcnt 0x0
	s_add_nc_u64 s[0:1], s[0:1], s[10:11]
	v_mad_co_u64_u32 v[104:105], null, 0x84, v42, v[18:19]
	v_min_i32_e32 v42, s5, v44
	v_add_nc_u32_e32 v44, 0x78, v45
	v_cvt_i32_f64_e32 v21, v[21:22]
	v_cvt_i32_f64_e32 v23, v[23:24]
	;; [unrolled: 1-line block ×3, first 2 shown]
	v_mad_co_u64_u32 v[105:106], null, 0x84, v42, v[18:19]
	v_min_i32_e32 v17, s5, v44
	v_dual_mov_b32 v15, v1 :: v_dual_add_nc_u32 v44, v47, v15
	v_mul_lo_u32 v16, v42, s15
	v_cvt_i32_f64_e32 v26, v[27:28]
	s_delay_alu instid0(VALU_DEP_4)
	v_mul_lo_u32 v106, v17, s15
	v_mad_co_u64_u32 v[1:2], null, 0x84, v17, v[18:19]
	v_lshrrev_b32_e32 v17, 30, v49
	v_cvt_i32_f64_e32 v19, v[19:20]
	v_min_i32_e32 v20, s5, v43
	v_and_b32_e32 v42, -4, v44
	v_lshlrev_b32_e32 v44, 2, v79
	v_add_nc_u32_e32 v17, v48, v17
	v_cvt_i32_f64_e32 v27, v[29:30]
	v_ashrrev_i32_e32 v25, 31, v20
	v_lshl_add_u32 v30, v45, 3, v51
	v_cvt_i32_f64_e32 v29, v[31:32]
	v_and_b32_e32 v17, -4, v17
	v_ashrrev_i32_e32 v49, 31, v50
	v_and_b32_e32 v18, 28, v18
	v_and_b32_e32 v30, 63, v30
	v_mul_lo_u32 v2, v48, s15
	v_add3_u32 v28, v17, v44, 0x6200
	v_lshrrev_b32_e32 v17, 30, v25
	v_cvt_i32_f64_e32 v25, v[33:34]
	v_or_b32_e32 v34, s13, v30
	v_lshrrev_b32_e32 v22, 30, v49
	v_lshlrev_b32_e32 v31, 5, v48
	v_add_nc_u32_e32 v32, v20, v17
	v_and_b32_e32 v17, 3, v0
	v_min_i32_e32 v34, s7, v34
	v_add_nc_u32_e32 v22, v50, v22
	v_add3_u32 v42, v42, v44, 0x6200
	v_and_b32_e32 v32, -4, v32
	v_lshlrev_b32_e32 v43, 2, v17
	v_mad_co_u64_u32 v[48:49], null, v34, s4, v[17:18]
	v_and_b32_e32 v22, -4, v22
	s_delay_alu instid0(VALU_DEP_4) | instskip(NEXT) | instid1(VALU_DEP_4)
	v_add3_u32 v32, v32, v44, 0x6200
	v_lshl_or_b32 v30, v30, 4, v43
	v_dual_mov_b32 v41, 0 :: v_dual_lshlrev_b32 v34, 7, v41
	s_delay_alu instid0(VALU_DEP_4) | instskip(SKIP_1) | instid1(VALU_DEP_4)
	v_add3_u32 v22, v22, v44, 0x6200
	v_and_b32_e32 v44, 31, v0
	v_add_nc_u32_e32 v17, 0x7280, v30
	scratch_store_b64 off, v[48:49], off offset:96 ; 8-byte Folded Spill
	v_add_nc_u32_e32 v30, 32, v59
	v_and_b32_e32 v0, 0xfc, v0
	v_lshl_or_b32 v43, v44, 2, 0x4200
	scratch_store_b32 off, v17, off         ; 4-byte Folded Spill
	v_mul_lo_u32 v17, s4, v19
	v_mul_lo_u32 v19, s4, v21
	v_lshlrev_b32_e32 v21, 7, v35
	v_dual_mov_b32 v48, 0 :: v_dual_lshlrev_b32 v35, 5, v59
	v_lshlrev_b32_e32 v47, 5, v47
	v_lshlrev_b32_e32 v33, 5, v50
	v_mul_lo_u32 v55, v20, s15
	s_clause 0x1
	scratch_store_b32 off, v17, off offset:4
	scratch_store_b32 off, v19, off offset:8
	v_mul_lo_u32 v19, s4, v23
	v_lshlrev_b32_e32 v23, 7, v36
	v_and_b32_e32 v36, 0x1fc, v30
	v_lshrrev_b32_e32 v30, 3, v30
	v_add_nc_u32_e32 v0, v35, v0
	v_lshlrev_b32_e32 v17, 7, v45
	v_lshlrev_b32_e32 v20, 5, v20
	v_add_nc_u32_e32 v36, v35, v36
	s_clause 0x1
	scratch_store_b32 off, v19, off offset:12
	scratch_store_b32 off, v30, off offset:200
	v_mul_lo_u32 v19, s4, v24
	v_dual_mov_b32 v37, 0 :: v_dual_lshlrev_b32 v24, 7, v37
	v_dual_mov_b32 v32, 0 :: v_dual_add_nc_u32 v57, v32, v20
	v_mov_b32_e32 v50, 0
	v_dual_mov_b32 v47, 0 :: v_dual_add_nc_u32 v44, v42, v47
	scratch_store_b32 off, v19, off offset:16 ; 4-byte Folded Spill
	v_mul_lo_u32 v19, s4, v26
	v_dual_mov_b32 v49, 0 :: v_dual_lshlrev_b32 v26, 7, v38
	v_mov_b32_e32 v42, 0
	v_mov_b32_e32 v38, 0
	s_mov_b32 s5, 0
	s_add_co_i32 s7, s15, 3
	scratch_store_b32 off, v19, off offset:20 ; 4-byte Folded Spill
	v_mul_lo_u32 v19, s4, v27
	v_lshlrev_b32_e32 v27, 7, v39
	v_mov_b32_e32 v39, 0
	scratch_store_b32 off, v19, off offset:24 ; 4-byte Folded Spill
	v_mul_lo_u32 v19, s4, v29
	v_dual_mov_b32 v40, 0 :: v_dual_lshlrev_b32 v29, 7, v40
	scratch_store_b32 off, v19, off offset:28 ; 4-byte Folded Spill
	v_mul_lo_u32 v19, s4, v25
	v_add_nc_u32_e32 v25, 64, v59
	v_add_co_u32 v18, s4, s2, v18
	s_delay_alu instid0(VALU_DEP_2) | instskip(SKIP_3) | instid1(VALU_DEP_2)
	v_and_b32_e32 v25, 0x1fc, v25
	scratch_store_b32 off, v19, off offset:32 ; 4-byte Folded Spill
	v_add_nc_u32_e32 v19, 0x60, v59
	v_add_nc_u32_e32 v25, v35, v25
	v_and_b32_e32 v19, 0x1fc, v19
	s_delay_alu instid0(VALU_DEP_1)
	v_add_nc_u32_e32 v30, v35, v19
	s_wait_alu 0xf1ff
	v_add_co_ci_u32_e64 v19, null, s3, 0, s4
	s_wait_alu 0xfffe
	s_mov_b32 s4, s5
	v_add_nc_u32_e32 v35, 0x6e00, v30
	v_add_nc_u32_e32 v30, 0x6e10, v30
	scratch_store_b32 off, v35, off offset:104 ; 4-byte Folded Spill
	v_add_nc_u32_e32 v35, 0x6a00, v25
	v_add_nc_u32_e32 v25, 0x6a10, v25
	scratch_store_b32 off, v35, off offset:112 ; 4-byte Folded Spill
	v_add_nc_u32_e32 v35, 0x6600, v36
	scratch_store_b32 off, v35, off offset:116 ; 4-byte Folded Spill
	v_add_nc_u32_e32 v35, 0x6200, v0
	v_add_nc_u32_e32 v0, 0x6210, v0
	s_clause 0x1
	scratch_store_b32 off, v35, off offset:132
	scratch_store_b32 off, v45, off offset:220
	v_lshl_add_u32 v35, v45, 4, 0x7280
	scratch_store_b32 off, v0, off offset:216 ; 4-byte Folded Spill
	v_add_nc_u32_e32 v0, v43, v17
	s_clause 0x2
	scratch_store_b32 off, v35, off offset:36
	scratch_store_b32 off, v30, off offset:204
	;; [unrolled: 1-line block ×3, first 2 shown]
	v_add_nc_u32_e32 v35, 0x4200, v17
	v_add_nc_u32_e32 v0, v43, v21
	v_mov_b32_e32 v30, 0
	s_clause 0x2
	scratch_store_b32 off, v35, off offset:40
	scratch_store_b32 off, v25, off offset:208
	;; [unrolled: 1-line block ×3, first 2 shown]
	v_add_nc_u32_e32 v25, 0x6610, v36
	v_add_nc_u32_e32 v0, v43, v23
	v_dual_mov_b32 v36, 0 :: v_dual_mov_b32 v35, 0
	s_clause 0x1
	scratch_store_b32 off, v25, off offset:212
	scratch_store_b32 off, v0, off offset:52
	v_add_nc_u32_e32 v0, v43, v24
	scratch_store_b32 off, v0, off offset:56 ; 4-byte Folded Spill
	v_add_nc_u32_e32 v0, v43, v26
	v_mov_b32_e32 v26, 0
	v_dual_mov_b32 v33, 0 :: v_dual_add_nc_u32 v56, v22, v33
	scratch_store_b32 off, v0, off offset:60 ; 4-byte Folded Spill
	v_dual_mov_b32 v27, 0 :: v_dual_add_nc_u32 v0, v43, v27
	scratch_store_b32 off, v0, off offset:64 ; 4-byte Folded Spill
	;; [unrolled: 2-line block ×3, first 2 shown]
	v_dual_mov_b32 v43, 0 :: v_dual_add_nc_u32 v0, v43, v34
	v_dual_mov_b32 v34, 0 :: v_dual_add_nc_u32 v45, v28, v31
	v_dual_mov_b32 v28, 0 :: v_dual_mov_b32 v31, 0
	s_clause 0x13
	scratch_store_b32 off, v0, off offset:72
	scratch_store_b64 off, v[80:81], off offset:136
	scratch_store_b64 off, v[81:82], off offset:144
	scratch_store_b32 off, v11, off offset:152
	scratch_store_b64 off, v[12:13], off offset:156
	scratch_store_b32 off, v13, off offset:164
	scratch_store_b32 off, v82, off offset:168
	scratch_store_b64 off, v[83:84], off offset:172
	scratch_store_b32 off, v14, off offset:180
	scratch_store_b64 off, v[15:16], off offset:184
	scratch_store_b32 off, v84, off offset:192
	scratch_store_b32 off, v16, off offset:196
	scratch_store_b64 off, v[1:2], off offset:76
	scratch_store_b32 off, v2, off offset:84
	scratch_store_b32 off, v3, off offset:88
	;; [unrolled: 1-line block ×7, first 2 shown]
	s_branch .LBB158_7
.LBB158_5:                              ;   in Loop: Header=BB158_7 Depth=1
	s_clause 0x6
	scratch_load_b64 v[1:2], off, off offset:76
	scratch_load_b32 v3, off, off offset:88
	scratch_load_b32 v55, off, off offset:92
	;; [unrolled: 1-line block ×6, first 2 shown]
	s_wait_loadcnt 0x6
	scratch_load_b32 v2, off, off offset:84 ; 4-byte Folded Reload
.LBB158_6:                              ;   in Loop: Header=BB158_7 Depth=1
	s_add_co_i32 s4, s4, 8
	s_add_co_i32 s7, s7, -8
	s_wait_alu 0xfffe
	s_cmp_ge_i32 s4, s15
	s_cbranch_scc1 .LBB158_14
.LBB158_7:                              ; =>This Loop Header: Depth=1
                                        ;     Child Loop BB158_9 Depth 2
                                        ;     Child Loop BB158_12 Depth 2
	s_wait_alu 0xfffe
	s_mul_u64 s[10:11], s[4:5], 18
	s_cmp_gt_u32 s7, 3
	s_wait_alu 0xfffe
	s_add_nc_u64 s[10:11], s[0:1], s[10:11]
	s_wait_alu 0xfffe
	v_mad_co_u64_u32 v[20:21], null, v51, 18, s[10:11]
	s_delay_alu instid0(VALU_DEP_1) | instskip(SKIP_3) | instid1(VALU_DEP_4)
	v_mad_co_i64_i32 v[22:23], null, v60, 18, v[20:21]
	v_mad_co_i64_i32 v[24:25], null, v62, 18, v[20:21]
	;; [unrolled: 1-line block ×4, first 2 shown]
	v_add_co_u32 v22, vcc_lo, v22, v54
	v_mad_co_i64_i32 v[100:101], null, v5, 18, v[20:21]
	s_wait_alu 0xfffd
	v_add_co_ci_u32_e64 v23, null, 0, v23, vcc_lo
	v_add_co_u32 v24, vcc_lo, v24, v54
	v_mad_co_i64_i32 v[102:103], null, v6, 18, v[20:21]
	s_wait_alu 0xfffd
	v_add_co_ci_u32_e64 v25, null, 0, v25, vcc_lo
	v_add_co_u32 v94, vcc_lo, v94, v54
	v_mad_co_i64_i32 v[116:117], null, v73, 18, v[20:21]
	s_wait_alu 0xfffd
	v_add_co_ci_u32_e64 v95, null, 0, v95, vcc_lo
	v_add_co_u32 v96, vcc_lo, v96, v54
	v_mad_co_i64_i32 v[118:119], null, v8, 18, v[20:21]
	s_wait_alu 0xfffd
	v_add_co_ci_u32_e64 v97, null, 0, v97, vcc_lo
	v_add_co_u32 v100, vcc_lo, v100, v54
	s_wait_alu 0xfffd
	v_add_co_ci_u32_e64 v101, null, 0, v101, vcc_lo
	v_add_co_u32 v102, vcc_lo, v102, v54
	s_wait_alu 0xfffd
	v_add_co_ci_u32_e64 v103, null, 0, v103, vcc_lo
	;; [unrolled: 3-line block ×3, first 2 shown]
	v_add_co_u32 v118, vcc_lo, v118, v54
	v_mad_co_i64_i32 v[120:121], null, v78, 18, v[20:21]
	s_wait_alu 0xfffd
	v_add_co_ci_u32_e64 v119, null, 0, v119, vcc_lo
	s_clause 0x7
	global_load_b32 v0, v[22:23], off offset:2
	global_load_b32 v17, v[24:25], off offset:2
	global_load_b32 v53, v[94:95], off offset:2
	global_load_b32 v85, v[96:97], off offset:2
	global_load_b32 v86, v[100:101], off offset:2
	global_load_b32 v87, v[102:103], off offset:2
	global_load_b32 v88, v[116:117], off offset:2
	global_load_b32 v89, v[118:119], off offset:2
	v_mad_co_i64_i32 v[22:23], null, v10, 18, v[20:21]
	v_mad_co_u64_u32 v[102:103], null, v79, 18, s[10:11]
	v_mad_co_i64_i32 v[94:95], null, v11, 18, v[20:21]
	v_mad_co_i64_i32 v[96:97], null, v13, 18, v[20:21]
	v_add_co_u32 v24, vcc_lo, v120, v54
	v_mad_co_i64_i32 v[100:101], null, v14, 18, v[20:21]
	s_wait_alu 0xfffd
	v_add_co_ci_u32_e64 v25, null, 0, v121, vcc_lo
	v_add_co_u32 v22, vcc_lo, v22, v54
	v_mad_co_i64_i32 v[116:117], null, v84, 18, v[20:21]
	v_mad_co_i64_i32 v[118:119], null, v107, 18, v[102:103]
	s_wait_loadcnt 0x8
	v_mad_co_i64_i32 v[120:121], null, v2, 18, v[102:103]
	s_wait_alu 0xfffd
	v_add_co_ci_u32_e64 v23, null, 0, v23, vcc_lo
	v_add_co_u32 v94, vcc_lo, v94, v54
	v_mad_co_i64_i32 v[122:123], null, v3, 18, v[102:103]
	v_mad_co_i64_i32 v[124:125], null, v16, 18, v[20:21]
	;; [unrolled: 1-line block ×3, first 2 shown]
	s_wait_alu 0xfffd
	v_add_co_ci_u32_e64 v95, null, 0, v95, vcc_lo
	v_add_co_u32 v96, vcc_lo, v96, v54
	v_mad_co_i64_i32 v[20:21], null, v106, 18, v[20:21]
	s_wait_alu 0xfffd
	v_add_co_ci_u32_e64 v97, null, 0, v97, vcc_lo
	v_add_co_u32 v100, vcc_lo, v100, v54
	s_wait_alu 0xfffd
	v_add_co_ci_u32_e64 v101, null, 0, v101, vcc_lo
	s_clause 0x3
	global_load_u16 v90, v[118:119], off
	global_load_u16 v91, v[120:121], off
	;; [unrolled: 1-line block ×4, first 2 shown]
	v_add_co_u32 v102, vcc_lo, v116, v54
	s_wait_alu 0xfffd
	v_add_co_ci_u32_e64 v103, null, 0, v117, vcc_lo
	v_add_co_u32 v116, vcc_lo, v124, v54
	s_wait_alu 0xfffd
	v_add_co_ci_u32_e64 v117, null, 0, v125, vcc_lo
	;; [unrolled: 3-line block ×3, first 2 shown]
	s_clause 0x7
	global_load_b32 v24, v[24:25], off offset:2
	global_load_b32 v22, v[22:23], off offset:2
	;; [unrolled: 1-line block ×8, first 2 shown]
	s_wait_loadcnt 0xb
	v_cvt_f32_f16_e32 v21, v90
	s_wait_loadcnt 0xa
	v_cvt_f32_f16_e32 v90, v91
	;; [unrolled: 2-line block ×4, first 2 shown]
	ds_store_b32 v61, v0
	ds_store_b32 v44, v21
	;; [unrolled: 1-line block ×11, first 2 shown]
	s_wait_loadcnt 0x7
	ds_store_b32 v80, v24
	s_wait_loadcnt 0x6
	ds_store_b32 v81, v22
	;; [unrolled: 2-line block ×8, first 2 shown]
	ds_store_b32 v57, v92
	s_cbranch_scc0 .LBB158_6
; %bb.8:                                ;   in Loop: Header=BB158_7 Depth=1
	scratch_load_b64 v[1:2], off, off offset:96 ; 8-byte Folded Reload
	v_add_nc_u32_e32 v0, s4, v82
	v_mul_u32_u24_e32 v123, 0x84, v59
	s_mov_b32 s10, -4
	s_wait_loadcnt 0x0
	v_add_nc_u32_e32 v116, s4, v1
	scratch_load_b32 v1, off, off offset:4  ; 4-byte Folded Reload
	v_mad_co_u64_u32 v[119:120], null, v116, 36, s[2:3]
	s_wait_loadcnt 0x0
	v_add_nc_u32_e32 v17, v0, v1
	scratch_load_b32 v1, off, off offset:8  ; 4-byte Folded Reload
	v_mad_co_i64_i32 v[20:21], null, v17, 36, v[18:19]
	s_wait_loadcnt 0x0
	v_add_nc_u32_e32 v22, v0, v1
	scratch_load_b32 v1, off, off offset:12 ; 4-byte Folded Reload
	v_mad_co_i64_i32 v[22:23], null, v22, 36, v[18:19]
	s_wait_loadcnt 0x0
	v_add_nc_u32_e32 v24, v0, v1
	scratch_load_b32 v1, off, off offset:16 ; 4-byte Folded Reload
	;; [unrolled: 4-line block ×6, first 2 shown]
	v_mad_co_i64_i32 v[102:103], null, v85, 36, v[18:19]
	s_wait_loadcnt 0x0
	v_add_nc_u32_e32 v0, v0, v1
	s_delay_alu instid0(VALU_DEP_1)
	v_mad_co_i64_i32 v[117:118], null, v0, 36, v[18:19]
	s_clause 0x8
	global_load_b32 v0, v[96:97], off offset:4
	global_load_b32 v17, v[20:21], off offset:4
	;; [unrolled: 1-line block ×8, first 2 shown]
	global_load_b32 v53, v[119:120], off
	s_clause 0x6
	scratch_load_b32 v117, off, off offset:40
	scratch_load_b32 v118, off, off offset:36
	;; [unrolled: 1-line block ×7, first 2 shown]
	s_wait_loadcnt 0x0
	ds_store_b32 v1, v0
	scratch_load_b32 v0, off, off offset:44 ; 4-byte Folded Reload
	s_wait_loadcnt 0x0
	ds_store_b32 v0, v17
	scratch_load_b32 v0, off, off offset:48 ; 4-byte Folded Reload
	;; [unrolled: 3-line block ×7, first 2 shown]
	s_wait_loadcnt 0x0
	ds_store_b32 v0, v25
	scratch_load_b32 v0, off, off           ; 4-byte Folded Reload
	s_wait_loadcnt 0x0
	ds_store_b32 v0, v53
	s_wait_storecnt_dscnt 0x0
	s_barrier_signal -1
	s_barrier_wait -1
	global_inv scope:SCOPE_SE
.LBB158_9:                              ;   Parent Loop BB158_7 Depth=1
                                        ; =>  This Inner Loop Header: Depth=2
	ds_load_2addr_b32 v[20:21], v117 offset0:4 offset1:7
	ds_load_2addr_b32 v[94:95], v123 offset1:1
	ds_load_2addr_b32 v[96:97], v117 offset1:3
	ds_load_b32 v124, v120
	ds_load_2addr_b32 v[100:101], v117 offset0:1 offset1:2
	ds_load_2addr_b32 v[102:103], v117 offset0:5 offset1:6
	ds_load_2addr_b32 v[183:184], v123 offset0:2 offset1:3
	v_add_nc_u32_e32 v153, 0x400, v117
	v_add_nc_u32_e32 v120, 4, v120
	s_wait_alu 0xfffe
	s_add_co_i32 s10, s10, 4
	s_wait_alu 0xfffe
	s_cmp_lt_u32 s10, 12
	s_wait_dscnt 0x6
	v_bfe_i32 v0, v20, 16, 8
	s_wait_dscnt 0x5
	v_bfe_u32 v168, v94, 20, 4
	s_wait_dscnt 0x4
	v_bfe_i32 v17, v96, 16, 8
	v_bfe_u32 v125, v94, 16, 4
	s_wait_dscnt 0x2
	v_bfe_i32 v53, v100, 16, 8
	v_bfe_u32 v160, v95, 16, 4
	v_mul_i32_i24_e32 v22, v168, v0
	s_wait_dscnt 0x1
	v_bfe_i32 v85, v102, 16, 8
	v_bfe_u32 v149, v95, 20, 4
	v_lshrrev_b32_e32 v172, 28, v94
	v_mul_i32_i24_e32 v23, v53, v160
	v_mad_i32_i24 v22, v125, v17, v22
	v_ashrrev_i32_e32 v86, 24, v20
	v_mul_i32_i24_e32 v24, v85, v149
	v_bfe_u32 v126, v94, 24, 4
	v_ashrrev_i32_e32 v87, 24, v96
	v_bfe_u32 v171, v95, 24, 4
	v_lshrrev_b32_e32 v158, 28, v95
	v_add3_u32 v22, v22, v23, v24
	v_mul_i32_i24_e32 v23, v172, v86
	v_ashrrev_i32_e32 v88, 24, v100
	v_ashrrev_i32_e32 v89, 24, v102
	v_bfe_i32 v90, v20, 0, 8
	v_bfe_u32 v175, v94, 4, 4
	v_mad_i32_i24 v23, v126, v87, v23
	v_mul_i32_i24_e32 v24, v88, v171
	v_mul_i32_i24_e32 v25, v89, v158
	v_bfe_i32 v91, v96, 0, 8
	v_and_b32_e32 v127, 15, v94
	v_bfe_i32 v92, v100, 0, 8
	v_and_b32_e32 v165, 15, v95
	v_add3_u32 v23, v23, v24, v25
	v_mul_i32_i24_e32 v24, v175, v90
	v_bfe_i32 v98, v102, 0, 8
	v_bfe_u32 v161, v95, 4, 4
	v_mul_i32_i24_e32 v25, v92, v165
	s_wait_dscnt 0x0
	v_bfe_u32 v150, v183, 24, 4
	v_mad_i32_i24 v24, v127, v91, v24
	v_lshrrev_b32_e32 v142, 28, v183
	v_mul_i32_i24_e32 v128, v98, v161
	v_ashrrev_i32_e32 v198, 24, v101
	v_ashrrev_i32_e32 v215, 24, v103
	v_bfe_i32 v216, v101, 16, 8
	v_bfe_u32 v146, v183, 16, 4
	v_add3_u32 v24, v24, v25, v128
	v_mul_i32_i24_e32 v25, v198, v150
	v_mul_i32_i24_e32 v128, v215, v142
	v_bfe_i32 v217, v103, 16, 8
	v_bfe_u32 v136, v183, 20, 4
	v_bfe_i32 v218, v101, 0, 8
	v_and_b32_e32 v147, 15, v183
	v_add3_u32 v137, v23, v25, v128
	v_mul_i32_i24_e32 v23, v216, v146
	v_mul_i32_i24_e32 v25, v217, v136
	v_bfe_i32 v219, v103, 0, 8
	v_bfe_u32 v143, v183, 4, 4
	v_lshrrev_b16 v20, 8, v20
	v_bfe_i32 v255, v97, 16, 8
	v_add3_u32 v138, v22, v23, v25
	v_mul_i32_i24_e32 v22, v218, v147
	v_mul_i32_i24_e32 v23, v219, v143
	v_bfe_i32 v192, v20, 0, 8
	v_and_b32_e32 v20, 0xf0f0f0f, v95
	v_bfe_u32 v148, v184, 16, 4
	v_bfe_i32 v74, v21, 16, 8
	v_add3_u32 v139, v24, v22, v23
	v_lshrrev_b16 v22, 8, v96
	v_add_nc_u32_e32 v23, 0x2108, v123
	v_add_nc_u32_e32 v24, 0x1088, v123
	v_bfe_u32 v155, v184, 24, 4
	v_ashrrev_i32_e32 v44, 24, v97
	v_bfe_i32 v96, v22, 0, 8
	v_add_nc_u32_e32 v22, 0x2100, v123
	ds_load_2addr_b32 v[193:194], v22 offset1:1
	ds_load_2addr_b32 v[22:23], v23 offset1:1
	;; [unrolled: 1-line block ×3, first 2 shown]
	v_ashrrev_i32_e32 v93, 24, v21
	v_bfe_i32 v108, v97, 0, 8
	v_and_b32_e32 v151, 15, v184
	v_bfe_i32 v109, v21, 0, 8
	v_lshrrev_b32_e32 v95, 4, v95
	v_bfe_i32 v101, v101, 8, 8
	v_bfe_i32 v103, v103, 8, 8
	;; [unrolled: 1-line block ×4, first 2 shown]
	v_lshrrev_b16 v95, 8, v95
	s_delay_alu instid0(VALU_DEP_1)
	v_and_b32_e32 v95, 15, v95
	s_wait_dscnt 0x2
	v_and_b32_e32 v131, 15, v193
	v_bfe_u32 v130, v193, 8, 4
	v_bfe_u32 v128, v193, 16, 4
	;; [unrolled: 1-line block ×3, first 2 shown]
	s_wait_dscnt 0x0
	v_bfe_u32 v154, v195, 16, 4
	v_mul_i32_i24_e32 v24, v91, v131
	v_and_b32_e32 v159, 15, v195
	v_mul_i32_i24_e32 v25, v17, v128
	v_mul_i32_i24_e32 v132, v87, v129
	v_bfe_u32 v166, v195, 24, 4
	v_mad_i32_i24 v24, v96, v130, v24
	v_bfe_u32 v199, v193, 4, 4
	v_bfe_u32 v201, v193, 12, 4
	v_lshrrev_b32_e32 v169, 28, v195
	v_bfe_u32 v156, v196, 24, 4
	v_add3_u32 v140, v24, v25, v132
	v_add_nc_u32_e32 v24, 0x3180, v123
	v_add_nc_u32_e32 v25, 0x3188, v123
	v_add_nc_u32_e32 v132, 0x404, v117
	ds_load_2addr_b32 v[207:208], v24 offset1:1
	ds_load_2addr_b32 v[24:25], v25 offset1:1
	;; [unrolled: 1-line block ×3, first 2 shown]
	ds_load_2addr_b32 v[204:205], v153 offset0:4 offset1:7
	ds_load_2addr_b32 v[213:214], v153 offset1:3
	v_lshrrev_b32_e32 v203, 28, v193
	v_bfe_u32 v228, v194, 8, 4
	v_bfe_u32 v251, v194, 4, 4
	v_lshrrev_b32_e32 v250, 28, v194
	v_bfe_u32 v249, v194, 20, 4
	v_bfe_u32 v246, v22, 8, 4
	;; [unrolled: 1-line block ×3, first 2 shown]
	s_wait_dscnt 0x4
	v_and_b32_e32 v134, 15, v207
	v_bfe_u32 v135, v207, 8, 4
	v_bfe_u32 v133, v207, 24, 4
	s_wait_dscnt 0x2
	v_bfe_i32 v220, v209, 16, 8
	s_wait_dscnt 0x1
	v_bfe_i32 v157, v204, 16, 8
	v_mul_i32_i24_e32 v132, v91, v134
	v_bfe_i32 v224, v210, 16, 8
	v_mul_i32_i24_e32 v145, v87, v133
	v_bfe_i32 v225, v209, 0, 8
	v_bfe_i32 v179, v204, 0, 8
	v_mad_i32_i24 v141, v96, v135, v132
	v_bfe_u32 v132, v207, 16, 4
	v_bfe_i32 v232, v210, 0, 8
	v_ashrrev_i32_e32 v182, 24, v209
	v_ashrrev_i32_e32 v189, 24, v204
	;; [unrolled: 1-line block ×3, first 2 shown]
	v_mul_i32_i24_e32 v144, v17, v132
	v_bfe_u32 v197, v207, 4, 4
	v_bfe_u32 v200, v207, 12, 4
	s_wait_dscnt 0x0
	v_bfe_i32 v111, v214, 0, 8
	v_bfe_i32 v113, v214, 16, 8
	v_add3_u32 v152, v141, v144, v145
	v_add_nc_u32_e32 v141, 0x1080, v123
	v_add_nc_u32_e32 v144, 0x414, v117
	v_mul_i32_i24_e32 v145, v224, v154
	v_bfe_u32 v206, v207, 20, 4
	v_lshrrev_b32_e32 v207, 28, v207
	ds_load_2addr_b32 v[162:163], v141 offset1:1
	ds_load_2addr_b32 v[211:212], v144 offset1:1
	v_bfe_i32 v114, v213, 16, 8
	v_bfe_i32 v115, v205, 16, 8
	;; [unrolled: 1-line block ×4, first 2 shown]
	v_ashrrev_i32_e32 v55, 24, v213
	v_ashrrev_i32_e32 v1, 24, v205
	v_bfe_u32 v230, v208, 24, 4
	v_bfe_u32 v244, v208, 16, 4
	;; [unrolled: 1-line block ×3, first 2 shown]
	v_lshrrev_b32_e32 v254, 28, v208
	v_bfe_u32 v252, v208, 20, 4
	v_bfe_u32 v247, v24, 8, 4
	;; [unrolled: 1-line block ×4, first 2 shown]
	v_add_nc_u32_e32 v123, 16, v123
	s_wait_dscnt 0x1
	v_bfe_u32 v174, v163, 16, 4
	v_bfe_u32 v181, v162, 20, 4
	v_bfe_u32 v167, v163, 20, 4
	s_wait_dscnt 0x0
	v_bfe_i32 v223, v211, 16, 8
	v_and_b32_e32 v178, 15, v163
	v_mul_i32_i24_e32 v141, v220, v174
	v_bfe_u32 v187, v162, 4, 4
	v_bfe_u32 v173, v163, 4, 4
	v_mul_i32_i24_e32 v144, v223, v167
	v_bfe_i32 v226, v211, 0, 8
	v_mad_i32_i24 v141, v157, v181, v141
	v_bfe_u32 v180, v163, 24, 4
	v_lshrrev_b32_e32 v185, 28, v162
	v_lshrrev_b32_e32 v176, 28, v163
	v_ashrrev_i32_e32 v231, 24, v211
	v_add3_u32 v177, v141, v144, v145
	v_mul_i32_i24_e32 v141, v225, v178
	v_mul_i32_i24_e32 v144, v226, v173
	;; [unrolled: 1-line block ×3, first 2 shown]
	v_bfe_i32 v110, v212, 0, 8
	v_bfe_i32 v112, v212, 16, 8
	v_mad_i32_i24 v141, v179, v187, v141
	s_delay_alu instid0(VALU_DEP_1) | instskip(SKIP_3) | instid1(VALU_DEP_3)
	v_add3_u32 v164, v141, v144, v145
	v_mul_i32_i24_e32 v141, v182, v180
	v_mul_i32_i24_e32 v144, v231, v176
	;; [unrolled: 1-line block ×3, first 2 shown]
	v_mad_i32_i24 v141, v189, v185, v141
	s_delay_alu instid0(VALU_DEP_1) | instskip(SKIP_3) | instid1(VALU_DEP_3)
	v_add3_u32 v170, v141, v144, v145
	v_and_b32_e32 v141, 0xf0f0f0f, v94
	v_lshrrev_b32_e32 v94, 4, v94
	v_lshrrev_b16 v144, 8, v20
	v_lshrrev_b16 v141, 8, v141
	s_delay_alu instid0(VALU_DEP_3) | instskip(NEXT) | instid1(VALU_DEP_3)
	v_lshrrev_b16 v94, 8, v94
	v_and_b32_e32 v188, 0xffff, v144
	s_delay_alu instid0(VALU_DEP_3) | instskip(NEXT) | instid1(VALU_DEP_3)
	v_and_b32_e32 v20, 0xffff, v141
	v_and_b32_e32 v94, 15, v94
	s_delay_alu instid0(VALU_DEP_1) | instskip(SKIP_1) | instid1(VALU_DEP_4)
	v_and_b32_e32 v191, 0xffff, v94
	v_bfe_i32 v94, v100, 8, 8
	v_mul_i32_i24_e32 v100, v20, v96
	s_delay_alu instid0(VALU_DEP_3) | instskip(NEXT) | instid1(VALU_DEP_3)
	v_mul_i32_i24_e32 v144, v191, v192
	v_mul_i32_i24_e32 v141, v94, v188
	s_delay_alu instid0(VALU_DEP_1) | instskip(SKIP_2) | instid1(VALU_DEP_2)
	v_add3_u32 v100, v100, v144, v141
	v_bfe_u32 v141, v184, 20, 4
	v_mul_i32_i24_e32 v144, v255, v148
	v_mul_i32_i24_e32 v145, v74, v141
	s_delay_alu instid0(VALU_DEP_1) | instskip(SKIP_2) | instid1(VALU_DEP_2)
	v_add3_u32 v233, v138, v144, v145
	v_lshrrev_b32_e32 v144, 28, v184
	v_mul_i32_i24_e32 v138, v44, v155
	v_mul_i32_i24_e32 v145, v93, v144
	s_delay_alu instid0(VALU_DEP_1) | instskip(SKIP_2) | instid1(VALU_DEP_2)
	v_add3_u32 v235, v137, v138, v145
	v_bfe_u32 v145, v184, 4, 4
	v_mul_i32_i24_e32 v137, v108, v151
	v_mul_i32_i24_e32 v138, v109, v145
	s_delay_alu instid0(VALU_DEP_1) | instskip(SKIP_3) | instid1(VALU_DEP_2)
	v_add3_u32 v236, v139, v137, v138
	v_mul_i32_i24_e32 v137, v90, v199
	v_mul_i32_i24_e32 v138, v192, v201
	v_and_b32_e32 v139, 15, v162
	v_add3_u32 v202, v140, v138, v137
	v_mul_i32_i24_e32 v137, v90, v197
	v_mul_i32_i24_e32 v138, v192, v200
	s_delay_alu instid0(VALU_DEP_4) | instskip(SKIP_1) | instid1(VALU_DEP_3)
	v_mul_i32_i24_e32 v91, v139, v91
	v_mul_i32_i24_e32 v90, v187, v90
	v_add3_u32 v221, v152, v138, v137
	v_and_b32_e32 v137, 0xf0f0f0f, v162
	v_bfe_u32 v138, v162, 24, 4
	s_delay_alu instid0(VALU_DEP_2) | instskip(NEXT) | instid1(VALU_DEP_2)
	v_lshrrev_b16 v137, 8, v137
	v_mul_i32_i24_e32 v87, v138, v87
	s_delay_alu instid0(VALU_DEP_2) | instskip(SKIP_2) | instid1(VALU_DEP_3)
	v_and_b32_e32 v140, 0xffff, v137
	v_bfe_u32 v137, v162, 16, 4
	v_lshrrev_b32_e32 v162, 4, v162
	v_mad_i32_i24 v91, v140, v96, v91
	s_delay_alu instid0(VALU_DEP_3) | instskip(NEXT) | instid1(VALU_DEP_3)
	v_mul_i32_i24_e32 v17, v137, v17
	v_lshrrev_b16 v162, 8, v162
	s_delay_alu instid0(VALU_DEP_2) | instskip(SKIP_2) | instid1(VALU_DEP_4)
	v_add3_u32 v17, v91, v17, v87
	v_ashrrev_i32_e32 v87, 24, v212
	v_ashrrev_i32_e32 v91, 24, v214
	v_and_b32_e32 v162, 15, v162
	s_delay_alu instid0(VALU_DEP_3) | instskip(NEXT) | instid1(VALU_DEP_3)
	v_mul_i32_i24_e32 v96, v87, v169
	v_mul_i32_i24_e32 v152, v91, v156
	s_delay_alu instid0(VALU_DEP_1) | instskip(SKIP_2) | instid1(VALU_DEP_2)
	v_add3_u32 v96, v170, v96, v152
	v_bfe_u32 v170, v195, 4, 4
	v_and_b32_e32 v152, 15, v196
	v_mul_i32_i24_e32 v153, v110, v170
	s_delay_alu instid0(VALU_DEP_2) | instskip(NEXT) | instid1(VALU_DEP_1)
	v_mul_i32_i24_e32 v186, v111, v152
	v_add3_u32 v222, v164, v153, v186
	v_bfe_u32 v164, v195, 20, 4
	v_bfe_u32 v153, v196, 16, 4
	s_delay_alu instid0(VALU_DEP_2) | instskip(NEXT) | instid1(VALU_DEP_2)
	v_mul_i32_i24_e32 v186, v112, v164
	v_mul_i32_i24_e32 v190, v113, v153
	s_delay_alu instid0(VALU_DEP_1) | instskip(SKIP_3) | instid1(VALU_DEP_3)
	v_add3_u32 v177, v177, v186, v190
	v_lshrrev_b16 v186, 8, v204
	v_bfe_u32 v204, v193, 20, 4
	v_mul_i32_i24_e32 v193, v189, v203
	v_bfe_i32 v227, v186, 0, 8
	s_delay_alu instid0(VALU_DEP_3) | instskip(NEXT) | instid1(VALU_DEP_2)
	v_mul_i32_i24_e32 v190, v157, v204
	v_mul_i32_i24_e32 v186, v227, v201
	s_delay_alu instid0(VALU_DEP_1) | instskip(NEXT) | instid1(VALU_DEP_1)
	v_mad_i32_i24 v186, v179, v199, v186
	v_add3_u32 v229, v186, v190, v193
	v_mul_i32_i24_e32 v186, v227, v200
	v_mul_i32_i24_e32 v190, v157, v206
	;; [unrolled: 1-line block ×4, first 2 shown]
	s_delay_alu instid0(VALU_DEP_4) | instskip(NEXT) | instid1(VALU_DEP_1)
	v_mad_i32_i24 v186, v179, v197, v186
	v_add3_u32 v237, v186, v190, v193
	v_and_b32_e32 v186, 0xf0f0f0f, v183
	v_and_b32_e32 v190, 0xffff, v95
	v_bfe_i32 v95, v102, 8, 8
	s_delay_alu instid0(VALU_DEP_3) | instskip(NEXT) | instid1(VALU_DEP_2)
	v_lshrrev_b16 v186, 8, v186
	v_mul_i32_i24_e32 v193, v95, v190
	s_delay_alu instid0(VALU_DEP_2) | instskip(NEXT) | instid1(VALU_DEP_1)
	v_and_b32_e32 v186, 0xffff, v186
	v_mul_i32_i24_e32 v102, v101, v186
	s_delay_alu instid0(VALU_DEP_1) | instskip(SKIP_2) | instid1(VALU_DEP_1)
	v_add3_u32 v100, v100, v193, v102
	v_mul_i32_i24_e32 v102, v0, v204
	v_mul_i32_i24_e32 v193, v86, v203
	v_add3_u32 v102, v202, v102, v193
	v_mul_i32_i24_e32 v193, v0, v206
	v_mul_i32_i24_e32 v202, v86, v207
	;; [unrolled: 1-line block ×4, first 2 shown]
	s_delay_alu instid0(VALU_DEP_3) | instskip(SKIP_2) | instid1(VALU_DEP_2)
	v_add3_u32 v238, v221, v193, v202
	v_and_b32_e32 v202, 0xffff, v162
	v_mul_i32_i24_e32 v221, v182, v230
	v_mul_i32_i24_e32 v162, v202, v192
	v_bfe_i32 v192, v209, 8, 8
	v_bfe_i32 v209, v211, 8, 8
	s_delay_alu instid0(VALU_DEP_3) | instskip(SKIP_2) | instid1(VALU_DEP_3)
	v_add3_u32 v17, v17, v162, v90
	v_mul_i32_i24_e32 v90, v227, v191
	v_mul_i32_i24_e32 v162, v189, v172
	v_add3_u32 v0, v17, v0, v86
	s_delay_alu instid0(VALU_DEP_3) | instskip(SKIP_2) | instid1(VALU_DEP_3)
	v_mad_i32_i24 v90, v179, v175, v90
	v_mul_i32_i24_e32 v17, v182, v171
	v_mul_i32_i24_e32 v86, v192, v188
	v_add3_u32 v90, v90, v157, v162
	v_lshrrev_b32_e32 v157, 4, v163
	v_and_b32_e32 v162, 0xf0f0f0f, v163
	s_delay_alu instid0(VALU_DEP_3) | instskip(NEXT) | instid1(VALU_DEP_3)
	v_add3_u32 v17, v90, v17, v86
	v_lshrrev_b16 v157, 8, v157
	s_delay_alu instid0(VALU_DEP_3) | instskip(SKIP_2) | instid1(VALU_DEP_4)
	v_lshrrev_b16 v162, 8, v162
	v_bfe_i32 v86, v210, 8, 8
	v_bfe_i32 v90, v212, 8, 8
	v_and_b32_e32 v157, 15, v157
	s_delay_alu instid0(VALU_DEP_4) | instskip(NEXT) | instid1(VALU_DEP_2)
	v_and_b32_e32 v193, 0xffff, v162
	v_and_b32_e32 v189, 0xffff, v157
	v_mul_i32_i24_e32 v157, v227, v202
	s_delay_alu instid0(VALU_DEP_3) | instskip(SKIP_1) | instid1(VALU_DEP_4)
	v_mul_i32_i24_e32 v162, v192, v193
	v_bfe_u32 v227, v194, 24, 4
	v_mul_i32_i24_e32 v163, v209, v189
	s_delay_alu instid0(VALU_DEP_1) | instskip(SKIP_2) | instid1(VALU_DEP_2)
	v_add3_u32 v211, v157, v162, v163
	v_bfe_u32 v157, v196, 20, 4
	v_mul_i32_i24_e32 v162, v114, v137
	v_mul_i32_i24_e32 v163, v115, v157
	s_delay_alu instid0(VALU_DEP_1) | instskip(SKIP_2) | instid1(VALU_DEP_2)
	v_add3_u32 v239, v177, v163, v162
	v_bfe_u32 v162, v196, 4, 4
	v_mul_i32_i24_e32 v163, v99, v139
	v_mul_i32_i24_e32 v177, v45, v162
	s_delay_alu instid0(VALU_DEP_1) | instskip(SKIP_2) | instid1(VALU_DEP_2)
	v_add3_u32 v240, v222, v177, v163
	v_lshrrev_b32_e32 v163, 28, v196
	v_mul_i32_i24_e32 v177, v55, v138
	v_mul_i32_i24_e32 v179, v1, v163
	s_delay_alu instid0(VALU_DEP_1) | instskip(SKIP_3) | instid1(VALU_DEP_2)
	v_add3_u32 v96, v96, v179, v177
	v_mul_i32_i24_e32 v177, v192, v228
	v_mul_i32_i24_e32 v179, v182, v227
	v_lshrrev_b32_e32 v182, 4, v195
	v_add3_u32 v177, v229, v179, v177
	v_bfe_u32 v229, v208, 8, 4
	s_delay_alu instid0(VALU_DEP_3) | instskip(NEXT) | instid1(VALU_DEP_2)
	v_lshrrev_b16 v182, 8, v182
	v_mul_i32_i24_e32 v179, v192, v229
	v_and_b32_e32 v192, 0xf0f0f0f, v195
	s_delay_alu instid0(VALU_DEP_3) | instskip(NEXT) | instid1(VALU_DEP_3)
	v_and_b32_e32 v182, 15, v182
	v_add3_u32 v237, v237, v221, v179
	v_lshrrev_b32_e32 v179, 4, v183
	v_and_b32_e32 v183, 0xf0f0f0f, v184
	v_lshrrev_b16 v192, 8, v192
	v_and_b32_e32 v182, 0xffff, v182
	s_delay_alu instid0(VALU_DEP_4) | instskip(NEXT) | instid1(VALU_DEP_4)
	v_lshrrev_b16 v179, 8, v179
	v_lshrrev_b16 v183, 8, v183
	s_delay_alu instid0(VALU_DEP_4) | instskip(NEXT) | instid1(VALU_DEP_4)
	v_and_b32_e32 v192, 0xffff, v192
	v_mul_i32_i24_e32 v210, v90, v182
	s_delay_alu instid0(VALU_DEP_4) | instskip(NEXT) | instid1(VALU_DEP_4)
	v_and_b32_e32 v221, 15, v179
	v_and_b32_e32 v179, 0xffff, v183
	s_delay_alu instid0(VALU_DEP_4) | instskip(NEXT) | instid1(VALU_DEP_3)
	v_mul_i32_i24_e32 v195, v86, v192
	v_and_b32_e32 v183, 0xffff, v221
	s_delay_alu instid0(VALU_DEP_3) | instskip(NEXT) | instid1(VALU_DEP_3)
	v_mul_i32_i24_e32 v221, v97, v179
	v_add3_u32 v195, v211, v195, v210
	s_delay_alu instid0(VALU_DEP_3) | instskip(NEXT) | instid1(VALU_DEP_1)
	v_mul_i32_i24_e32 v222, v103, v183
	v_add3_u32 v100, v100, v222, v221
	v_and_b32_e32 v221, 15, v194
	v_mul_i32_i24_e32 v222, v94, v228
	s_delay_alu instid0(VALU_DEP_2) | instskip(SKIP_1) | instid1(VALU_DEP_2)
	v_mul_i32_i24_e32 v241, v92, v221
	v_mul_i32_i24_e32 v210, v225, v221
	v_add3_u32 v102, v102, v222, v241
	v_and_b32_e32 v222, 15, v208
	v_mul_i32_i24_e32 v241, v94, v229
	s_delay_alu instid0(VALU_DEP_2) | instskip(NEXT) | instid1(VALU_DEP_1)
	v_mul_i32_i24_e32 v242, v92, v222
	v_add3_u32 v238, v238, v241, v242
	v_bfe_u32 v242, v194, 16, 4
	v_bfe_u32 v241, v22, 16, 4
	s_delay_alu instid0(VALU_DEP_2) | instskip(NEXT) | instid1(VALU_DEP_1)
	v_mul_i32_i24_e32 v211, v220, v242
	v_add3_u32 v210, v177, v210, v211
	v_mul_i32_i24_e32 v177, v225, v222
	v_mul_i32_i24_e32 v211, v220, v244
	s_delay_alu instid0(VALU_DEP_1) | instskip(SKIP_4) | instid1(VALU_DEP_4)
	v_add3_u32 v211, v237, v177, v211
	v_lshrrev_b32_e32 v177, 4, v184
	v_mul_i32_i24_e32 v184, v88, v227
	v_bfe_u32 v237, v194, 12, 4
	v_mul_i32_i24_e32 v194, v223, v249
	v_lshrrev_b16 v21, 8, v177
	s_delay_alu instid0(VALU_DEP_1) | instskip(NEXT) | instid1(VALU_DEP_1)
	v_and_b32_e32 v21, 15, v21
	v_and_b32_e32 v177, 0xffff, v21
	s_delay_alu instid0(VALU_DEP_1) | instskip(NEXT) | instid1(VALU_DEP_1)
	v_mul_i32_i24_e32 v21, v56, v177
	v_add3_u32 v100, v100, v21, v235
	v_mul_i32_i24_e32 v21, v53, v242
	v_lshrrev_b32_e32 v235, 28, v22
	s_delay_alu instid0(VALU_DEP_3) | instskip(NEXT) | instid1(VALU_DEP_3)
	v_add3_u32 v100, v236, v233, v100
	v_add3_u32 v102, v102, v21, v184
	v_mul_i32_i24_e32 v21, v53, v244
	v_mul_i32_i24_e32 v184, v88, v230
	;; [unrolled: 1-line block ×4, first 2 shown]
	v_and_b32_e32 v233, 15, v24
	v_bfe_u32 v236, v22, 4, 4
	v_add3_u32 v212, v238, v21, v184
	v_mul_i32_i24_e32 v21, v92, v178
	v_mul_i32_i24_e32 v92, v94, v193
	v_bfe_i32 v94, v205, 8, 8
	v_bfe_u32 v238, v208, 12, 4
	v_bfe_u32 v208, v25, 12, 4
	s_delay_alu instid0(VALU_DEP_4)
	v_add3_u32 v0, v0, v92, v21
	v_mul_i32_i24_e32 v21, v225, v165
	v_mul_i32_i24_e32 v92, v220, v160
	v_bfe_u32 v220, v24, 12, 4
	v_bfe_u32 v225, v25, 8, 4
	v_add3_u32 v0, v0, v53, v88
	v_mul_i32_i24_e32 v53, v226, v161
	v_add3_u32 v17, v17, v21, v92
	v_lshrrev_b32_e32 v21, 4, v196
	v_and_b32_e32 v92, 0xf0f0f0f, v196
	v_mul_i32_i24_e32 v88, v231, v158
	s_delay_alu instid0(VALU_DEP_3) | instskip(NEXT) | instid1(VALU_DEP_3)
	v_lshrrev_b16 v21, 8, v21
	v_lshrrev_b16 v92, 8, v92
	s_delay_alu instid0(VALU_DEP_3)
	v_add3_u32 v17, v17, v88, v53
	v_lshrrev_b16 v53, 8, v213
	v_lshrrev_b32_e32 v213, 28, v23
	v_and_b32_e32 v21, 15, v21
	v_and_b32_e32 v184, 0xffff, v92
	v_bfe_i32 v92, v214, 8, 8
	v_bfe_i32 v53, v53, 0, 8
	v_bfe_u32 v214, v23, 4, 4
	v_and_b32_e32 v21, 0xffff, v21
	s_delay_alu instid0(VALU_DEP_4) | instskip(NEXT) | instid1(VALU_DEP_4)
	v_mul_i32_i24_e32 v196, v92, v184
	v_mul_i32_i24_e32 v88, v53, v140
	s_delay_alu instid0(VALU_DEP_3) | instskip(NEXT) | instid1(VALU_DEP_1)
	v_mul_i32_i24_e32 v205, v94, v21
	v_add3_u32 v195, v195, v196, v205
	v_mul_i32_i24_e32 v196, v226, v251
	v_mul_i32_i24_e32 v205, v231, v250
	s_delay_alu instid0(VALU_DEP_3) | instskip(SKIP_1) | instid1(VALU_DEP_3)
	v_add3_u32 v88, v195, v88, v96
	v_mul_i32_i24_e32 v96, v209, v237
	v_add3_u32 v196, v210, v205, v196
	v_mul_i32_i24_e32 v205, v226, v253
	v_mul_i32_i24_e32 v210, v231, v254
	;; [unrolled: 1-line block ×3, first 2 shown]
	v_and_b32_e32 v231, 15, v22
	v_add3_u32 v96, v196, v96, v194
	v_mul_i32_i24_e32 v194, v209, v238
	v_add3_u32 v205, v211, v210, v205
	v_mul_i32_i24_e32 v210, v98, v251
	v_mul_i32_i24_e32 v211, v95, v237
	;; [unrolled: 1-line block ×3, first 2 shown]
	v_add3_u32 v88, v240, v239, v88
	v_add3_u32 v194, v205, v194, v195
	v_mul_i32_i24_e32 v195, v85, v249
	v_add3_u32 v102, v102, v210, v211
	v_mul_i32_i24_e32 v210, v98, v253
	v_mul_i32_i24_e32 v211, v95, v238
	;; [unrolled: 1-line block ×4, first 2 shown]
	v_add3_u32 v102, v102, v195, v196
	v_mul_i32_i24_e32 v195, v85, v252
	v_mul_i32_i24_e32 v196, v89, v254
	;; [unrolled: 1-line block ×3, first 2 shown]
	v_add3_u32 v0, v0, v98, v95
	v_mul_i32_i24_e32 v95, v223, v149
	v_mul_i32_i24_e32 v98, v209, v190
	;; [unrolled: 1-line block ×3, first 2 shown]
	v_add3_u32 v210, v212, v210, v211
	v_bfe_u32 v239, v24, 4, 4
	v_lshrrev_b32_e32 v240, 28, v24
	v_add3_u32 v17, v17, v98, v95
	v_mul_i32_i24_e32 v95, v86, v246
	v_mul_i32_i24_e32 v98, v234, v245
	v_add3_u32 v0, v0, v85, v89
	v_mul_i32_i24_e32 v85, v234, v150
	v_mul_i32_i24_e32 v89, v224, v243
	v_add3_u32 v195, v210, v195, v196
	v_add3_u32 v95, v96, v98, v95
	v_mul_i32_i24_e32 v96, v86, v247
	v_mul_i32_i24_e32 v86, v86, v186
	;; [unrolled: 1-line block ×3, first 2 shown]
	v_bfe_u32 v234, v24, 20, 4
	v_mul_i32_i24_e32 v24, v90, v220
	v_bfe_u32 v223, v23, 24, 4
	v_add3_u32 v17, v17, v85, v86
	v_mul_i32_i24_e32 v85, v232, v231
	v_mul_i32_i24_e32 v86, v224, v241
	v_add3_u32 v96, v194, v98, v96
	v_mul_i32_i24_e32 v98, v101, v246
	v_mul_i32_i24_e32 v194, v218, v231
	v_bfe_u32 v226, v25, 24, 4
	v_add3_u32 v85, v95, v85, v86
	v_mul_i32_i24_e32 v86, v232, v233
	v_mul_i32_i24_e32 v95, v198, v245
	v_add3_u32 v98, v102, v98, v194
	v_mul_i32_i24_e32 v102, v101, v247
	v_mul_i32_i24_e32 v194, v218, v233
	;; [unrolled: 3-line block ×3, first 2 shown]
	v_and_b32_e32 v210, 15, v23
	v_add3_u32 v102, v195, v102, v194
	v_and_b32_e32 v211, 15, v25
	v_add3_u32 v89, v98, v89, v95
	v_mul_i32_i24_e32 v95, v216, v243
	v_mul_i32_i24_e32 v98, v101, v192
	v_bfe_u32 v205, v23, 12, 4
	v_bfe_u32 v209, v23, 20, 4
	;; [unrolled: 1-line block ×3, first 2 shown]
	v_add3_u32 v95, v102, v95, v96
	v_mul_i32_i24_e32 v96, v218, v159
	v_bfe_u32 v218, v22, 12, 4
	s_delay_alu instid0(VALU_DEP_2)
	v_add3_u32 v0, v0, v98, v96
	v_mul_i32_i24_e32 v96, v232, v147
	v_mul_i32_i24_e32 v98, v224, v146
	v_bfe_u32 v232, v22, 20, 4
	v_mul_i32_i24_e32 v22, v90, v218
	v_bfe_u32 v224, v23, 8, 4
	s_delay_alu instid0(VALU_DEP_4) | instskip(SKIP_2) | instid1(VALU_DEP_1)
	v_add3_u32 v17, v17, v96, v98
	v_mul_i32_i24_e32 v96, v110, v236
	v_mul_i32_i24_e32 v98, v87, v235
	v_add3_u32 v85, v85, v98, v96
	v_mul_i32_i24_e32 v96, v110, v239
	v_mul_i32_i24_e32 v98, v87, v240
	;; [unrolled: 1-line block ×3, first 2 shown]
	s_delay_alu instid0(VALU_DEP_2) | instskip(SKIP_2) | instid1(VALU_DEP_1)
	v_add3_u32 v86, v86, v98, v96
	v_mul_i32_i24_e32 v96, v219, v236
	v_mul_i32_i24_e32 v98, v103, v218
	v_add3_u32 v89, v89, v96, v98
	v_mul_i32_i24_e32 v96, v219, v239
	v_mul_i32_i24_e32 v98, v103, v220
	s_delay_alu instid0(VALU_DEP_1) | instskip(SKIP_3) | instid1(VALU_DEP_2)
	v_add3_u32 v95, v95, v96, v98
	v_mul_i32_i24_e32 v96, v198, v166
	v_mul_i32_i24_e32 v98, v216, v154
	v_lshrrev_b32_e32 v216, 28, v25
	v_add3_u32 v0, v0, v98, v96
	v_mul_i32_i24_e32 v96, v110, v143
	s_delay_alu instid0(VALU_DEP_1) | instskip(SKIP_1) | instid1(VALU_DEP_1)
	v_add3_u32 v17, v17, v87, v96
	v_mul_i32_i24_e32 v87, v112, v232
	v_add3_u32 v22, v85, v22, v87
	v_mul_i32_i24_e32 v85, v112, v234
	v_mul_i32_i24_e32 v87, v215, v240
	s_delay_alu instid0(VALU_DEP_2) | instskip(SKIP_2) | instid1(VALU_DEP_1)
	v_add3_u32 v24, v86, v24, v85
	v_mul_i32_i24_e32 v85, v217, v232
	v_mul_i32_i24_e32 v86, v215, v235
	v_add3_u32 v85, v89, v85, v86
	v_mul_i32_i24_e32 v86, v217, v234
	v_mul_i32_i24_e32 v89, v103, v182
	s_delay_alu instid0(VALU_DEP_2) | instskip(SKIP_2) | instid1(VALU_DEP_2)
	v_add3_u32 v86, v95, v86, v87
	v_mul_i32_i24_e32 v87, v219, v170
	v_bfe_u32 v219, v25, 16, 4
	v_add3_u32 v0, v0, v87, v89
	v_mul_i32_i24_e32 v87, v112, v136
	v_mul_i32_i24_e32 v89, v90, v183
	s_delay_alu instid0(VALU_DEP_1) | instskip(SKIP_2) | instid1(VALU_DEP_1)
	v_add3_u32 v17, v17, v89, v87
	v_mul_i32_i24_e32 v87, v92, v224
	v_mul_i32_i24_e32 v89, v91, v223
	v_add3_u32 v22, v22, v89, v87
	v_mul_i32_i24_e32 v87, v92, v225
	v_mul_i32_i24_e32 v89, v91, v226
	s_delay_alu instid0(VALU_DEP_1) | instskip(SKIP_2) | instid1(VALU_DEP_1)
	v_add3_u32 v24, v24, v89, v87
	v_mul_i32_i24_e32 v87, v97, v224
	v_mul_i32_i24_e32 v89, v108, v210
	v_add3_u32 v85, v85, v87, v89
	v_mul_i32_i24_e32 v87, v97, v225
	v_mul_i32_i24_e32 v89, v108, v211
	s_delay_alu instid0(VALU_DEP_1)
	v_add3_u32 v86, v86, v87, v89
	v_mul_i32_i24_e32 v87, v215, v169
	v_mul_i32_i24_e32 v89, v217, v164
	v_bfe_u32 v217, v23, 16, 4
	v_bfe_u32 v215, v25, 4, 4
	v_mul_i32_i24_e32 v23, v115, v209
	v_mul_i32_i24_e32 v25, v93, v216
	v_add3_u32 v0, v0, v89, v87
	v_mul_i32_i24_e32 v87, v91, v155
	v_mul_i32_i24_e32 v89, v92, v179
	v_add_nc_u32_e32 v92, 0xc04, v117
	s_delay_alu instid0(VALU_DEP_2) | instskip(SKIP_2) | instid1(VALU_DEP_1)
	v_add3_u32 v17, v17, v87, v89
	v_mul_i32_i24_e32 v87, v111, v210
	v_mul_i32_i24_e32 v89, v113, v217
	v_add3_u32 v22, v22, v87, v89
	v_mul_i32_i24_e32 v87, v111, v211
	v_mul_i32_i24_e32 v89, v113, v219
	s_delay_alu instid0(VALU_DEP_1) | instskip(SKIP_2) | instid1(VALU_DEP_1)
	v_add3_u32 v24, v24, v87, v89
	v_mul_i32_i24_e32 v87, v255, v217
	v_mul_i32_i24_e32 v89, v44, v223
	v_add3_u32 v85, v85, v87, v89
	v_mul_i32_i24_e32 v87, v255, v219
	v_mul_i32_i24_e32 v89, v44, v226
	;; [unrolled: 1-line block ×3, first 2 shown]
	s_delay_alu instid0(VALU_DEP_2) | instskip(SKIP_2) | instid1(VALU_DEP_1)
	v_add3_u32 v86, v86, v87, v89
	v_mul_i32_i24_e32 v87, v108, v152
	v_mul_i32_i24_e32 v89, v97, v184
	v_add3_u32 v0, v0, v89, v87
	v_mul_i32_i24_e32 v87, v111, v151
	v_mul_i32_i24_e32 v89, v113, v148
	s_delay_alu instid0(VALU_DEP_1) | instskip(SKIP_2) | instid1(VALU_DEP_1)
	v_add3_u32 v17, v17, v87, v89
	v_mul_i32_i24_e32 v87, v45, v214
	v_mul_i32_i24_e32 v89, v1, v213
	v_add3_u32 v22, v22, v89, v87
	v_mul_i32_i24_e32 v87, v45, v215
	v_mul_i32_i24_e32 v89, v1, v216
	;; [unrolled: 1-line block ×3, first 2 shown]
	s_delay_alu instid0(VALU_DEP_2) | instskip(SKIP_2) | instid1(VALU_DEP_1)
	v_add3_u32 v24, v24, v89, v87
	v_mul_i32_i24_e32 v87, v109, v214
	v_mul_i32_i24_e32 v89, v56, v205
	v_add3_u32 v85, v85, v87, v89
	v_mul_i32_i24_e32 v87, v109, v215
	v_mul_i32_i24_e32 v89, v56, v208
	s_delay_alu instid0(VALU_DEP_1) | instskip(SKIP_1) | instid1(VALU_DEP_1)
	v_add3_u32 v86, v86, v87, v89
	v_mul_i32_i24_e32 v87, v255, v153
	v_add3_u32 v0, v0, v87, v44
	v_mul_i32_i24_e32 v44, v45, v145
	s_delay_alu instid0(VALU_DEP_1) | instskip(SKIP_2) | instid1(VALU_DEP_2)
	v_add3_u32 v1, v17, v1, v44
	v_mul_i32_i24_e32 v17, v94, v205
	v_mul_i32_i24_e32 v44, v56, v21
	v_add3_u32 v17, v22, v17, v23
	v_mul_i32_i24_e32 v22, v94, v208
	v_mul_i32_i24_e32 v23, v115, v212
	s_delay_alu instid0(VALU_DEP_1) | instskip(SKIP_2) | instid1(VALU_DEP_1)
	v_add3_u32 v22, v24, v22, v23
	v_mul_i32_i24_e32 v23, v74, v209
	v_mul_i32_i24_e32 v24, v93, v213
	v_add3_u32 v24, v85, v23, v24
	v_mul_i32_i24_e32 v23, v74, v212
	s_delay_alu instid0(VALU_DEP_2) | instskip(NEXT) | instid1(VALU_DEP_2)
	v_cvt_f32_i32_e32 v24, v24
	v_add3_u32 v25, v86, v23, v25
	v_mul_i32_i24_e32 v23, v109, v162
	s_delay_alu instid0(VALU_DEP_2) | instskip(NEXT) | instid1(VALU_DEP_2)
	v_cvt_f32_i32_e32 v25, v25
	v_add3_u32 v0, v0, v23, v44
	v_mul_i32_i24_e32 v23, v115, v141
	v_mul_i32_i24_e32 v44, v94, v177
	ds_load_2addr_b32 v[94:95], v118 offset1:32
	v_add3_u32 v1, v1, v44, v23
	v_mul_i32_i24_e32 v23, v99, v131
	v_mul_i32_i24_e32 v44, v53, v130
	s_delay_alu instid0(VALU_DEP_1) | instskip(SKIP_2) | instid1(VALU_DEP_1)
	v_add3_u32 v17, v17, v23, v44
	v_mul_i32_i24_e32 v23, v99, v134
	v_mul_i32_i24_e32 v44, v53, v135
	v_add3_u32 v22, v22, v23, v44
	v_mul_i32_i24_e32 v23, v74, v157
	v_mul_i32_i24_e32 v44, v93, v163
	s_delay_alu instid0(VALU_DEP_1) | instskip(SKIP_2) | instid1(VALU_DEP_3)
	v_add3_u32 v0, v0, v23, v44
	v_mul_i32_i24_e32 v23, v99, v127
	v_mul_i32_i24_e32 v44, v53, v20
	v_cvt_f32_i32_e32 v0, v0
	s_delay_alu instid0(VALU_DEP_2) | instskip(SKIP_2) | instid1(VALU_DEP_1)
	v_add3_u32 v1, v1, v23, v44
	v_mul_i32_i24_e32 v23, v114, v128
	v_mul_i32_i24_e32 v44, v55, v129
	v_add3_u32 v17, v17, v23, v44
	v_mul_i32_i24_e32 v23, v114, v132
	v_mul_i32_i24_e32 v44, v55, v133
	s_delay_alu instid0(VALU_DEP_3) | instskip(NEXT) | instid1(VALU_DEP_2)
	v_cvt_f32_i32_e32 v17, v17
	v_add3_u32 v44, v22, v23, v44
	v_mul_i32_i24_e32 v22, v114, v125
	v_mul_i32_i24_e32 v23, v55, v126
	s_delay_alu instid0(VALU_DEP_3) | instskip(NEXT) | instid1(VALU_DEP_2)
	v_cvt_f32_i32_e32 v44, v44
	v_add3_u32 v1, v1, v22, v23
	s_wait_dscnt 0x0
	v_lshrrev_b32_e32 v22, 16, v94
	v_cvt_f32_i32_e32 v23, v100
	s_delay_alu instid0(VALU_DEP_3) | instskip(NEXT) | instid1(VALU_DEP_3)
	v_cvt_f32_i32_e32 v1, v1
	v_cvt_f32_f16_e32 v22, v22
	s_delay_alu instid0(VALU_DEP_1) | instskip(NEXT) | instid1(VALU_DEP_1)
	v_mul_f32_e32 v22, 0x41000000, v22
	v_fma_mix_f32 v23, v94, v23, -v22 op_sel_hi:[1,0,0]
	v_fma_mix_f32 v196, v94, v24, -v22 op_sel_hi:[1,0,0]
	;; [unrolled: 1-line block ×4, first 2 shown]
	v_lshrrev_b32_e32 v0, 16, v95
	v_cvt_f32_i32_e32 v24, v88
	s_delay_alu instid0(VALU_DEP_3) | instskip(NEXT) | instid1(VALU_DEP_3)
	v_fmac_f32_e32 v77, v124, v22
	v_cvt_f32_f16_e32 v0, v0
	s_delay_alu instid0(VALU_DEP_1) | instskip(NEXT) | instid1(VALU_DEP_1)
	v_mul_f32_e32 v0, 0x41000000, v0
	v_fma_mix_f32 v24, v95, v24, -v0 op_sel_hi:[1,0,0]
	v_fma_mix_f32 v198, v95, v17, -v0 op_sel_hi:[1,0,0]
	;; [unrolled: 1-line block ×4, first 2 shown]
	v_add_nc_u32_e32 v0, 0x800, v117
	v_fmac_f32_e32 v66, v124, v24
	ds_load_2addr_b32 v[94:95], v0 offset0:4 offset1:7
	s_wait_dscnt 0x0
	v_bfe_i32 v1, v94, 8, 8
	v_bfe_i32 v17, v94, 0, 8
	;; [unrolled: 1-line block ×3, first 2 shown]
	v_ashrrev_i32_e32 v53, 24, v94
	s_delay_alu instid0(VALU_DEP_4) | instskip(NEXT) | instid1(VALU_DEP_3)
	v_mul_i32_i24_e32 v44, v1, v201
	v_mul_i32_i24_e32 v55, v45, v204
	s_delay_alu instid0(VALU_DEP_3) | instskip(SKIP_1) | instid1(VALU_DEP_4)
	v_mul_i32_i24_e32 v56, v53, v203
	v_mul_i32_i24_e32 v74, v53, v207
	v_mad_i32_i24 v44, v17, v199, v44
	v_mul_i32_i24_e32 v108, v172, v53
	s_delay_alu instid0(VALU_DEP_2) | instskip(SKIP_2) | instid1(VALU_DEP_2)
	v_add3_u32 v44, v44, v55, v56
	v_mul_i32_i24_e32 v55, v1, v200
	v_mul_i32_i24_e32 v56, v45, v206
	v_mad_i32_i24 v55, v17, v197, v55
	s_delay_alu instid0(VALU_DEP_1)
	v_add3_u32 v55, v55, v56, v74
	v_add_nc_u32_e32 v56, 0xc00, v117
	ds_load_2addr_b32 v[96:97], v56 offset0:4 offset1:7
	s_wait_dscnt 0x0
	v_bfe_i32 v74, v96, 8, 8
	v_bfe_i32 v87, v96, 0, 8
	v_bfe_i32 v88, v96, 16, 8
	v_ashrrev_i32_e32 v89, 24, v96
	s_delay_alu instid0(VALU_DEP_4) | instskip(NEXT) | instid1(VALU_DEP_3)
	v_mul_i32_i24_e32 v85, v74, v201
	v_mul_i32_i24_e32 v86, v88, v204
	s_delay_alu instid0(VALU_DEP_3) | instskip(SKIP_1) | instid1(VALU_DEP_4)
	v_mul_i32_i24_e32 v90, v89, v203
	v_mul_i32_i24_e32 v91, v89, v207
	v_mad_i32_i24 v85, v87, v199, v85
	v_mul_i32_i24_e32 v110, v172, v89
	s_delay_alu instid0(VALU_DEP_2) | instskip(SKIP_2) | instid1(VALU_DEP_2)
	v_add3_u32 v90, v85, v86, v90
	v_mul_i32_i24_e32 v85, v74, v200
	v_mul_i32_i24_e32 v86, v88, v206
	v_mad_i32_i24 v85, v87, v197, v85
	s_delay_alu instid0(VALU_DEP_1)
	v_add3_u32 v91, v85, v86, v91
	v_add_nc_u32_e32 v85, 0x804, v117
	v_add_nc_u32_e32 v86, 0x814, v117
	ds_load_2addr_b32 v[100:101], v85 offset1:1
	ds_load_2addr_b32 v[102:103], v86 offset1:1
	;; [unrolled: 1-line block ×3, first 2 shown]
	s_wait_dscnt 0x2
	v_bfe_i32 v92, v100, 8, 8
	v_ashrrev_i32_e32 v93, 24, v100
	s_delay_alu instid0(VALU_DEP_2) | instskip(NEXT) | instid1(VALU_DEP_2)
	v_mul_i32_i24_e32 v94, v92, v228
	v_mul_i32_i24_e32 v96, v93, v227
	s_delay_alu instid0(VALU_DEP_1) | instskip(SKIP_2) | instid1(VALU_DEP_1)
	v_add3_u32 v44, v44, v96, v94
	v_mul_i32_i24_e32 v94, v92, v229
	v_mul_i32_i24_e32 v96, v93, v230
	v_add3_u32 v55, v55, v96, v94
	s_wait_dscnt 0x0
	v_bfe_i32 v94, v85, 8, 8
	v_ashrrev_i32_e32 v96, 24, v85
	s_delay_alu instid0(VALU_DEP_2) | instskip(NEXT) | instid1(VALU_DEP_2)
	v_mul_i32_i24_e32 v98, v94, v228
	v_mul_i32_i24_e32 v99, v96, v227
	s_delay_alu instid0(VALU_DEP_1) | instskip(SKIP_2) | instid1(VALU_DEP_1)
	v_add3_u32 v90, v90, v99, v98
	v_mul_i32_i24_e32 v98, v94, v229
	v_mul_i32_i24_e32 v99, v96, v230
	v_add3_u32 v91, v91, v99, v98
	v_mul_i32_i24_e32 v98, v191, v1
	v_mul_i32_i24_e32 v99, v168, v45
	;; [unrolled: 1-line block ×3, first 2 shown]
	s_delay_alu instid0(VALU_DEP_3) | instskip(NEXT) | instid1(VALU_DEP_2)
	v_mad_i32_i24 v98, v175, v17, v98
	v_mad_i32_i24 v1, v187, v17, v1
	v_mul_i32_i24_e32 v17, v181, v45
	v_mul_i32_i24_e32 v45, v185, v53
	s_delay_alu instid0(VALU_DEP_4) | instskip(SKIP_2) | instid1(VALU_DEP_4)
	v_add3_u32 v98, v98, v99, v108
	v_bfe_i32 v99, v100, 0, 8
	v_bfe_i32 v100, v100, 16, 8
	v_add3_u32 v1, v1, v17, v45
	v_bfe_i32 v17, v102, 0, 8
	s_delay_alu instid0(VALU_DEP_4) | instskip(NEXT) | instid1(VALU_DEP_4)
	v_mul_i32_i24_e32 v108, v99, v221
	v_mul_i32_i24_e32 v109, v100, v242
	v_ashrrev_i32_e32 v45, 24, v102
	s_delay_alu instid0(VALU_DEP_4) | instskip(NEXT) | instid1(VALU_DEP_3)
	v_mul_i32_i24_e32 v53, v17, v251
	v_add3_u32 v44, v44, v108, v109
	v_mul_i32_i24_e32 v108, v99, v222
	v_mul_i32_i24_e32 v109, v100, v244
	s_delay_alu instid0(VALU_DEP_1) | instskip(SKIP_3) | instid1(VALU_DEP_3)
	v_add3_u32 v55, v55, v108, v109
	v_mul_i32_i24_e32 v108, v191, v74
	v_mul_i32_i24_e32 v109, v168, v88
	;; [unrolled: 1-line block ×3, first 2 shown]
	v_mad_i32_i24 v108, v175, v87, v108
	s_delay_alu instid0(VALU_DEP_2) | instskip(SKIP_2) | instid1(VALU_DEP_4)
	v_mad_i32_i24 v74, v187, v87, v74
	v_mul_i32_i24_e32 v87, v181, v88
	v_mul_i32_i24_e32 v88, v185, v89
	v_add3_u32 v108, v108, v109, v110
	v_bfe_i32 v109, v85, 0, 8
	v_bfe_i32 v85, v85, 16, 8
	s_delay_alu instid0(VALU_DEP_4) | instskip(SKIP_1) | instid1(VALU_DEP_4)
	v_add3_u32 v74, v74, v87, v88
	v_add_nc_u32_e32 v87, 0xc14, v117
	v_mul_i32_i24_e32 v110, v109, v221
	s_delay_alu instid0(VALU_DEP_4) | instskip(SKIP_4) | instid1(VALU_DEP_1)
	v_mul_i32_i24_e32 v111, v85, v242
	ds_load_2addr_b32 v[87:88], v87 offset1:1
	v_add3_u32 v90, v90, v110, v111
	v_mul_i32_i24_e32 v110, v109, v222
	v_mul_i32_i24_e32 v111, v85, v244
	v_add3_u32 v91, v91, v110, v111
	v_mul_i32_i24_e32 v110, v93, v171
	v_mul_i32_i24_e32 v111, v92, v188
	;; [unrolled: 1-line block ×4, first 2 shown]
	s_delay_alu instid0(VALU_DEP_3) | instskip(SKIP_1) | instid1(VALU_DEP_3)
	v_add3_u32 v98, v98, v110, v111
	v_mul_i32_i24_e32 v110, v45, v250
	v_add3_u32 v1, v1, v93, v92
	v_bfe_i32 v92, v102, 8, 8
	s_wait_dscnt 0x0
	v_bfe_i32 v89, v87, 0, 8
	v_bfe_i32 v93, v102, 16, 8
	v_add3_u32 v44, v44, v110, v53
	v_mul_i32_i24_e32 v53, v17, v253
	v_mul_i32_i24_e32 v110, v45, v254
	;; [unrolled: 1-line block ×3, first 2 shown]
	s_delay_alu instid0(VALU_DEP_2) | instskip(SKIP_4) | instid1(VALU_DEP_3)
	v_add3_u32 v53, v55, v110, v53
	v_mul_i32_i24_e32 v55, v96, v171
	v_mul_i32_i24_e32 v110, v94, v188
	;; [unrolled: 1-line block ×4, first 2 shown]
	v_add3_u32 v55, v108, v55, v110
	v_ashrrev_i32_e32 v108, 24, v87
	v_mul_i32_i24_e32 v110, v89, v251
	s_delay_alu instid0(VALU_DEP_4) | instskip(SKIP_3) | instid1(VALU_DEP_3)
	v_add3_u32 v74, v74, v96, v94
	v_bfe_i32 v94, v87, 8, 8
	v_bfe_i32 v87, v87, 16, 8
	v_mul_i32_i24_e32 v111, v108, v250
	v_mul_i32_i24_e32 v96, v94, v237
	s_delay_alu instid0(VALU_DEP_2) | instskip(SKIP_2) | instid1(VALU_DEP_1)
	v_add3_u32 v90, v90, v111, v110
	v_mul_i32_i24_e32 v110, v89, v253
	v_mul_i32_i24_e32 v111, v108, v254
	v_add3_u32 v91, v91, v111, v110
	v_mul_i32_i24_e32 v110, v99, v165
	v_mul_i32_i24_e32 v111, v100, v160
	s_delay_alu instid0(VALU_DEP_1) | instskip(SKIP_1) | instid1(VALU_DEP_1)
	v_add3_u32 v98, v98, v110, v111
	v_mul_i32_i24_e32 v110, v93, v249
	v_add3_u32 v44, v44, v102, v110
	v_mul_i32_i24_e32 v102, v92, v238
	v_mul_i32_i24_e32 v110, v93, v252
	s_delay_alu instid0(VALU_DEP_1) | instskip(SKIP_3) | instid1(VALU_DEP_2)
	v_add3_u32 v53, v53, v102, v110
	v_mul_i32_i24_e32 v102, v109, v165
	v_mul_i32_i24_e32 v110, v85, v160
	;; [unrolled: 1-line block ×3, first 2 shown]
	v_add3_u32 v55, v55, v102, v110
	v_mul_i32_i24_e32 v102, v87, v249
	s_delay_alu instid0(VALU_DEP_1) | instskip(SKIP_2) | instid1(VALU_DEP_1)
	v_add3_u32 v90, v90, v96, v102
	v_mul_i32_i24_e32 v96, v94, v238
	v_mul_i32_i24_e32 v102, v87, v252
	v_add3_u32 v91, v91, v96, v102
	v_mul_i32_i24_e32 v96, v17, v161
	v_mul_i32_i24_e32 v102, v45, v158
	;; [unrolled: 1-line block ×4, first 2 shown]
	s_delay_alu instid0(VALU_DEP_3) | instskip(SKIP_2) | instid1(VALU_DEP_1)
	v_add3_u32 v96, v98, v102, v96
	v_mul_i32_i24_e32 v98, v99, v178
	v_mul_i32_i24_e32 v99, v100, v174
	v_add3_u32 v1, v1, v98, v99
	v_bfe_i32 v98, v101, 8, 8
	v_ashrrev_i32_e32 v99, 24, v101
	s_delay_alu instid0(VALU_DEP_3) | instskip(NEXT) | instid1(VALU_DEP_3)
	v_add3_u32 v1, v1, v45, v17
	v_mul_i32_i24_e32 v100, v98, v246
	s_delay_alu instid0(VALU_DEP_3) | instskip(SKIP_2) | instid1(VALU_DEP_3)
	v_mul_i32_i24_e32 v102, v99, v245
	v_bfe_i32 v17, v101, 0, 8
	v_bfe_i32 v45, v101, 16, 8
	v_add3_u32 v44, v44, v102, v100
	v_mul_i32_i24_e32 v100, v98, v247
	v_mul_i32_i24_e32 v102, v99, v248
	;; [unrolled: 1-line block ×3, first 2 shown]
	s_delay_alu instid0(VALU_DEP_2) | instskip(SKIP_3) | instid1(VALU_DEP_2)
	v_add3_u32 v53, v53, v102, v100
	v_mul_i32_i24_e32 v100, v89, v161
	v_mul_i32_i24_e32 v102, v108, v158
	;; [unrolled: 1-line block ×3, first 2 shown]
	v_add3_u32 v55, v55, v102, v100
	v_mul_i32_i24_e32 v100, v109, v178
	s_delay_alu instid0(VALU_DEP_1) | instskip(SKIP_2) | instid1(VALU_DEP_2)
	v_add3_u32 v74, v74, v100, v85
	v_bfe_i32 v85, v86, 8, 8
	v_ashrrev_i32_e32 v100, 24, v86
	v_mul_i32_i24_e32 v102, v85, v246
	s_delay_alu instid0(VALU_DEP_2) | instskip(NEXT) | instid1(VALU_DEP_1)
	v_mul_i32_i24_e32 v109, v100, v245
	v_add3_u32 v90, v90, v109, v102
	v_mul_i32_i24_e32 v102, v85, v247
	v_mul_i32_i24_e32 v109, v100, v248
	s_delay_alu instid0(VALU_DEP_1) | instskip(SKIP_4) | instid1(VALU_DEP_3)
	v_add3_u32 v91, v91, v109, v102
	v_mul_i32_i24_e32 v102, v93, v149
	v_mul_i32_i24_e32 v109, v92, v190
	;; [unrolled: 1-line block ×4, first 2 shown]
	v_add3_u32 v96, v96, v109, v102
	v_mul_i32_i24_e32 v102, v45, v241
	s_delay_alu instid0(VALU_DEP_3)
	v_add3_u32 v1, v1, v92, v93
	v_bfe_i32 v92, v103, 0, 8
	v_ashrrev_i32_e32 v93, 24, v103
	v_add_nc_u32_e32 v109, 0x1404, v117
	v_add3_u32 v44, v44, v101, v102
	v_mul_i32_i24_e32 v101, v17, v233
	v_mul_i32_i24_e32 v102, v45, v243
	s_delay_alu instid0(VALU_DEP_1) | instskip(SKIP_4) | instid1(VALU_DEP_3)
	v_add3_u32 v53, v53, v101, v102
	v_mul_i32_i24_e32 v101, v87, v149
	v_mul_i32_i24_e32 v102, v94, v190
	;; [unrolled: 1-line block ×4, first 2 shown]
	v_add3_u32 v55, v55, v102, v101
	v_mul_i32_i24_e32 v101, v108, v176
	s_delay_alu instid0(VALU_DEP_1) | instskip(SKIP_2) | instid1(VALU_DEP_3)
	v_add3_u32 v74, v74, v101, v89
	v_bfe_i32 v89, v86, 0, 8
	v_bfe_i32 v101, v86, 16, 8
	v_add3_u32 v74, v74, v94, v87
	s_delay_alu instid0(VALU_DEP_3) | instskip(NEXT) | instid1(VALU_DEP_3)
	v_mul_i32_i24_e32 v86, v89, v231
	v_mul_i32_i24_e32 v102, v101, v241
	v_bfe_i32 v94, v88, 0, 8
	s_delay_alu instid0(VALU_DEP_2) | instskip(SKIP_2) | instid1(VALU_DEP_4)
	v_add3_u32 v86, v90, v86, v102
	v_mul_i32_i24_e32 v90, v89, v233
	v_mul_i32_i24_e32 v102, v101, v243
	v_mul_i32_i24_e32 v87, v94, v236
	s_delay_alu instid0(VALU_DEP_2) | instskip(SKIP_3) | instid1(VALU_DEP_2)
	v_add3_u32 v90, v91, v90, v102
	v_mul_i32_i24_e32 v91, v99, v150
	v_mul_i32_i24_e32 v102, v98, v186
	;; [unrolled: 1-line block ×3, first 2 shown]
	v_add3_u32 v91, v96, v91, v102
	v_mul_i32_i24_e32 v96, v92, v236
	v_mul_i32_i24_e32 v102, v93, v235
	s_delay_alu instid0(VALU_DEP_1) | instskip(SKIP_2) | instid1(VALU_DEP_1)
	v_add3_u32 v44, v44, v102, v96
	v_mul_i32_i24_e32 v96, v92, v239
	v_mul_i32_i24_e32 v102, v93, v240
	v_add3_u32 v53, v53, v102, v96
	v_mul_i32_i24_e32 v96, v100, v150
	v_mul_i32_i24_e32 v102, v85, v186
	;; [unrolled: 1-line block ×3, first 2 shown]
	s_delay_alu instid0(VALU_DEP_2) | instskip(SKIP_1) | instid1(VALU_DEP_1)
	v_add3_u32 v55, v55, v96, v102
	v_ashrrev_i32_e32 v96, 24, v88
	v_mul_i32_i24_e32 v102, v96, v235
	s_delay_alu instid0(VALU_DEP_1) | instskip(SKIP_2) | instid1(VALU_DEP_1)
	v_add3_u32 v86, v86, v102, v87
	v_mul_i32_i24_e32 v87, v94, v239
	v_mul_i32_i24_e32 v102, v96, v240
	v_add3_u32 v87, v90, v102, v87
	v_mul_i32_i24_e32 v90, v17, v147
	v_mul_i32_i24_e32 v102, v45, v146
	;; [unrolled: 1-line block ×4, first 2 shown]
	s_delay_alu instid0(VALU_DEP_3) | instskip(SKIP_1) | instid1(VALU_DEP_1)
	v_add3_u32 v90, v91, v90, v102
	v_mul_i32_i24_e32 v91, v99, v166
	v_add3_u32 v1, v1, v91, v98
	v_bfe_i32 v91, v103, 8, 8
	v_bfe_i32 v98, v103, 16, 8
	s_delay_alu instid0(VALU_DEP_3) | instskip(NEXT) | instid1(VALU_DEP_3)
	v_add3_u32 v1, v1, v17, v45
	v_mul_i32_i24_e32 v99, v91, v218
	s_delay_alu instid0(VALU_DEP_3) | instskip(NEXT) | instid1(VALU_DEP_1)
	v_mul_i32_i24_e32 v102, v98, v232
	v_add3_u32 v44, v44, v99, v102
	v_mul_i32_i24_e32 v99, v91, v220
	v_mul_i32_i24_e32 v102, v98, v234
	s_delay_alu instid0(VALU_DEP_1) | instskip(SKIP_2) | instid1(VALU_DEP_1)
	v_add3_u32 v53, v53, v99, v102
	v_mul_i32_i24_e32 v99, v89, v147
	v_mul_i32_i24_e32 v102, v101, v146
	v_add3_u32 v55, v55, v99, v102
	v_mul_i32_i24_e32 v99, v100, v166
	v_bfe_i32 v100, v88, 16, 8
	s_delay_alu instid0(VALU_DEP_2) | instskip(SKIP_1) | instid1(VALU_DEP_3)
	v_add3_u32 v74, v74, v99, v85
	v_bfe_i32 v99, v88, 8, 8
	v_mul_i32_i24_e32 v88, v100, v232
	s_delay_alu instid0(VALU_DEP_2) | instskip(NEXT) | instid1(VALU_DEP_1)
	v_mul_i32_i24_e32 v85, v99, v218
	v_add3_u32 v102, v86, v85, v88
	v_mul_i32_i24_e32 v85, v99, v220
	v_mul_i32_i24_e32 v86, v100, v234
	s_delay_alu instid0(VALU_DEP_1) | instskip(SKIP_4) | instid1(VALU_DEP_3)
	v_add3_u32 v103, v87, v85, v86
	v_mul_i32_i24_e32 v85, v92, v143
	v_mul_i32_i24_e32 v86, v93, v142
	v_mul_i32_i24_e32 v92, v92, v170
	v_mul_i32_i24_e32 v93, v93, v169
	v_add3_u32 v90, v90, v86, v85
	ds_load_2addr_b32 v[85:86], v0 offset1:3
	v_add3_u32 v1, v1, v93, v92
	s_wait_dscnt 0x0
	v_bfe_i32 v0, v86, 8, 8
	v_ashrrev_i32_e32 v17, 24, v86
	v_bfe_i32 v92, v86, 0, 8
	v_bfe_i32 v86, v86, 16, 8
	s_delay_alu instid0(VALU_DEP_4) | instskip(NEXT) | instid1(VALU_DEP_4)
	v_mul_i32_i24_e32 v45, v0, v224
	v_mul_i32_i24_e32 v87, v17, v223
	s_delay_alu instid0(VALU_DEP_4) | instskip(NEXT) | instid1(VALU_DEP_2)
	v_mul_i32_i24_e32 v93, v92, v210
	v_add3_u32 v44, v44, v87, v45
	v_mul_i32_i24_e32 v45, v0, v225
	v_mul_i32_i24_e32 v87, v17, v226
	s_delay_alu instid0(VALU_DEP_1) | instskip(SKIP_2) | instid1(VALU_DEP_1)
	v_add3_u32 v45, v53, v87, v45
	v_mul_i32_i24_e32 v53, v94, v143
	v_mul_i32_i24_e32 v87, v96, v142
	v_add3_u32 v53, v55, v87, v53
	v_mul_i32_i24_e32 v55, v89, v159
	v_mul_i32_i24_e32 v87, v101, v154
	s_delay_alu instid0(VALU_DEP_1) | instskip(SKIP_4) | instid1(VALU_DEP_2)
	v_add3_u32 v55, v74, v55, v87
	ds_load_2addr_b32 v[87:88], v56 offset1:3
	s_wait_dscnt 0x0
	v_bfe_i32 v56, v88, 8, 8
	v_ashrrev_i32_e32 v74, 24, v88
	v_mul_i32_i24_e32 v89, v56, v224
	s_delay_alu instid0(VALU_DEP_2) | instskip(NEXT) | instid1(VALU_DEP_1)
	v_mul_i32_i24_e32 v101, v74, v223
	v_add3_u32 v89, v102, v101, v89
	v_mul_i32_i24_e32 v101, v56, v225
	v_mul_i32_i24_e32 v102, v74, v226
	s_delay_alu instid0(VALU_DEP_1) | instskip(SKIP_3) | instid1(VALU_DEP_2)
	v_add3_u32 v101, v103, v102, v101
	v_mul_i32_i24_e32 v102, v98, v136
	v_mul_i32_i24_e32 v103, v91, v183
	;; [unrolled: 1-line block ×3, first 2 shown]
	v_add3_u32 v90, v90, v103, v102
	v_mul_i32_i24_e32 v102, v86, v217
	s_delay_alu instid0(VALU_DEP_1) | instskip(SKIP_2) | instid1(VALU_DEP_1)
	v_add3_u32 v44, v44, v93, v102
	v_mul_i32_i24_e32 v93, v92, v211
	v_mul_i32_i24_e32 v102, v86, v219
	v_add3_u32 v45, v45, v93, v102
	v_mul_i32_i24_e32 v93, v100, v136
	v_mul_i32_i24_e32 v102, v99, v183
	;; [unrolled: 1-line block ×3, first 2 shown]
	s_delay_alu instid0(VALU_DEP_2) | instskip(SKIP_2) | instid1(VALU_DEP_1)
	v_add3_u32 v53, v53, v102, v93
	v_mul_i32_i24_e32 v93, v94, v170
	v_mul_i32_i24_e32 v94, v96, v169
	v_add3_u32 v55, v55, v94, v93
	v_bfe_i32 v93, v88, 0, 8
	v_bfe_i32 v88, v88, 16, 8
	s_delay_alu instid0(VALU_DEP_2) | instskip(NEXT) | instid1(VALU_DEP_2)
	v_mul_i32_i24_e32 v94, v93, v210
	v_mul_i32_i24_e32 v96, v88, v217
	s_delay_alu instid0(VALU_DEP_1) | instskip(SKIP_2) | instid1(VALU_DEP_1)
	v_add3_u32 v89, v89, v94, v96
	v_mul_i32_i24_e32 v94, v93, v211
	v_mul_i32_i24_e32 v96, v88, v219
	v_add3_u32 v94, v101, v94, v96
	v_mul_i32_i24_e32 v96, v17, v155
	v_mul_i32_i24_e32 v101, v0, v179
	;; [unrolled: 1-line block ×4, first 2 shown]
	s_delay_alu instid0(VALU_DEP_3) | instskip(SKIP_1) | instid1(VALU_DEP_1)
	v_add3_u32 v90, v90, v96, v101
	v_mul_i32_i24_e32 v96, v98, v164
	v_add3_u32 v1, v1, v91, v96
	v_bfe_i32 v91, v95, 0, 8
	v_ashrrev_i32_e32 v96, 24, v95
	s_delay_alu instid0(VALU_DEP_3) | instskip(NEXT) | instid1(VALU_DEP_3)
	v_add3_u32 v0, v1, v17, v0
	v_mul_i32_i24_e32 v98, v91, v214
	s_delay_alu instid0(VALU_DEP_3) | instskip(SKIP_2) | instid1(VALU_DEP_3)
	v_mul_i32_i24_e32 v101, v96, v213
	v_bfe_i32 v1, v95, 8, 8
	v_bfe_i32 v17, v95, 16, 8
	v_add3_u32 v44, v44, v101, v98
	v_mul_i32_i24_e32 v98, v91, v215
	v_mul_i32_i24_e32 v101, v96, v216
	;; [unrolled: 1-line block ×3, first 2 shown]
	s_delay_alu instid0(VALU_DEP_2) | instskip(SKIP_4) | instid1(VALU_DEP_3)
	v_add3_u32 v45, v45, v101, v98
	v_mul_i32_i24_e32 v98, v74, v155
	v_mul_i32_i24_e32 v101, v56, v179
	;; [unrolled: 1-line block ×4, first 2 shown]
	v_add3_u32 v53, v53, v98, v101
	v_mul_i32_i24_e32 v98, v100, v164
	s_delay_alu instid0(VALU_DEP_1) | instskip(SKIP_2) | instid1(VALU_DEP_3)
	v_add3_u32 v55, v55, v99, v98
	v_bfe_i32 v98, v97, 0, 8
	v_ashrrev_i32_e32 v99, 24, v97
	v_add3_u32 v55, v55, v74, v56
	s_delay_alu instid0(VALU_DEP_3) | instskip(NEXT) | instid1(VALU_DEP_3)
	v_mul_i32_i24_e32 v100, v98, v214
	v_mul_i32_i24_e32 v101, v99, v213
	v_bfe_i32 v56, v97, 8, 8
	v_bfe_i32 v74, v97, 16, 8
	s_delay_alu instid0(VALU_DEP_3) | instskip(SKIP_2) | instid1(VALU_DEP_4)
	v_add3_u32 v89, v89, v101, v100
	v_mul_i32_i24_e32 v100, v98, v215
	v_mul_i32_i24_e32 v101, v99, v216
	v_mul_i32_i24_e32 v97, v74, v209
	s_delay_alu instid0(VALU_DEP_2) | instskip(SKIP_4) | instid1(VALU_DEP_3)
	v_add3_u32 v94, v94, v101, v100
	v_mul_i32_i24_e32 v100, v92, v151
	v_mul_i32_i24_e32 v101, v86, v148
	;; [unrolled: 1-line block ×4, first 2 shown]
	v_add3_u32 v90, v90, v100, v101
	v_mul_i32_i24_e32 v100, v17, v209
	s_delay_alu instid0(VALU_DEP_3) | instskip(SKIP_2) | instid1(VALU_DEP_4)
	v_add3_u32 v0, v0, v92, v86
	v_bfe_i32 v86, v85, 0, 8
	v_bfe_i32 v92, v85, 8, 8
	v_add3_u32 v44, v44, v95, v100
	v_mul_i32_i24_e32 v95, v1, v208
	v_mul_i32_i24_e32 v100, v17, v212
	s_delay_alu instid0(VALU_DEP_1) | instskip(SKIP_4) | instid1(VALU_DEP_3)
	v_add3_u32 v45, v45, v95, v100
	v_mul_i32_i24_e32 v95, v93, v151
	v_mul_i32_i24_e32 v100, v88, v148
	;; [unrolled: 1-line block ×4, first 2 shown]
	v_add3_u32 v53, v53, v95, v100
	v_mul_i32_i24_e32 v95, v56, v205
	s_delay_alu instid0(VALU_DEP_3) | instskip(SKIP_2) | instid1(VALU_DEP_4)
	v_add3_u32 v55, v55, v93, v88
	v_bfe_i32 v88, v87, 0, 8
	v_bfe_i32 v93, v87, 8, 8
	v_add3_u32 v89, v89, v95, v97
	v_mul_i32_i24_e32 v95, v56, v208
	v_mul_i32_i24_e32 v97, v74, v212
	s_delay_alu instid0(VALU_DEP_1) | instskip(SKIP_3) | instid1(VALU_DEP_2)
	v_add3_u32 v94, v94, v95, v97
	v_mul_i32_i24_e32 v95, v91, v145
	v_mul_i32_i24_e32 v97, v96, v144
	;; [unrolled: 1-line block ×3, first 2 shown]
	v_add3_u32 v90, v90, v97, v95
	v_mul_i32_i24_e32 v95, v86, v131
	v_mul_i32_i24_e32 v97, v92, v130
	s_delay_alu instid0(VALU_DEP_1) | instskip(SKIP_2) | instid1(VALU_DEP_1)
	v_add3_u32 v44, v44, v95, v97
	v_mul_i32_i24_e32 v95, v86, v134
	v_mul_i32_i24_e32 v97, v92, v135
	v_add3_u32 v45, v45, v95, v97
	v_mul_i32_i24_e32 v95, v98, v145
	v_mul_i32_i24_e32 v97, v99, v144
	s_delay_alu instid0(VALU_DEP_1) | instskip(SKIP_2) | instid1(VALU_DEP_1)
	v_add3_u32 v53, v53, v97, v95
	v_mul_i32_i24_e32 v95, v88, v131
	v_mul_i32_i24_e32 v97, v93, v130
	v_add3_u32 v89, v89, v95, v97
	v_mul_i32_i24_e32 v95, v88, v134
	v_mul_i32_i24_e32 v97, v93, v135
	s_delay_alu instid0(VALU_DEP_1) | instskip(SKIP_4) | instid1(VALU_DEP_3)
	v_add3_u32 v94, v94, v95, v97
	v_mul_i32_i24_e32 v95, v17, v141
	v_mul_i32_i24_e32 v97, v1, v177
	v_mul_i32_i24_e32 v17, v17, v157
	v_mul_i32_i24_e32 v1, v1, v21
	v_add3_u32 v90, v90, v97, v95
	v_mul_i32_i24_e32 v95, v96, v163
	s_delay_alu instid0(VALU_DEP_1) | instskip(SKIP_2) | instid1(VALU_DEP_3)
	v_add3_u32 v0, v0, v95, v91
	v_bfe_i32 v91, v85, 16, 8
	v_ashrrev_i32_e32 v85, 24, v85
	v_add3_u32 v0, v0, v1, v17
	s_delay_alu instid0(VALU_DEP_3) | instskip(NEXT) | instid1(VALU_DEP_3)
	v_mul_i32_i24_e32 v95, v91, v128
	v_mul_i32_i24_e32 v96, v85, v129
	;; [unrolled: 1-line block ×4, first 2 shown]
	s_delay_alu instid0(VALU_DEP_3) | instskip(SKIP_2) | instid1(VALU_DEP_3)
	v_add3_u32 v44, v44, v95, v96
	v_mul_i32_i24_e32 v95, v91, v132
	v_mul_i32_i24_e32 v96, v85, v133
	v_cvt_f32_i32_e32 v44, v44
	s_delay_alu instid0(VALU_DEP_2) | instskip(SKIP_2) | instid1(VALU_DEP_3)
	v_add3_u32 v45, v45, v95, v96
	v_mul_i32_i24_e32 v95, v74, v141
	v_mul_i32_i24_e32 v96, v56, v177
	v_cvt_f32_i32_e32 v45, v45
	s_delay_alu instid0(VALU_DEP_2) | instskip(SKIP_2) | instid1(VALU_DEP_3)
	v_add3_u32 v53, v53, v96, v95
	v_mul_i32_i24_e32 v95, v98, v162
	v_mul_i32_i24_e32 v96, v99, v163
	v_add3_u32 v1, v53, v1, v17
	v_mul_i32_i24_e32 v17, v74, v157
	s_delay_alu instid0(VALU_DEP_3) | instskip(SKIP_4) | instid1(VALU_DEP_4)
	v_add3_u32 v55, v55, v96, v95
	v_bfe_i32 v95, v87, 16, 8
	v_ashrrev_i32_e32 v87, 24, v87
	v_mul_i32_i24_e32 v53, v56, v21
	v_mul_i32_i24_e32 v56, v140, v92
	;; [unrolled: 1-line block ×3, first 2 shown]
	s_delay_alu instid0(VALU_DEP_4) | instskip(NEXT) | instid1(VALU_DEP_4)
	v_mul_i32_i24_e32 v97, v87, v129
	v_add3_u32 v17, v55, v53, v17
	v_mul_i32_i24_e32 v53, v125, v91
	v_mul_i32_i24_e32 v55, v126, v85
	s_delay_alu instid0(VALU_DEP_4) | instskip(SKIP_2) | instid1(VALU_DEP_1)
	v_add3_u32 v89, v89, v96, v97
	v_mul_i32_i24_e32 v96, v95, v132
	v_mul_i32_i24_e32 v97, v87, v133
	v_add3_u32 v94, v94, v96, v97
	v_mul_i32_i24_e32 v96, v127, v86
	v_mul_i32_i24_e32 v97, v20, v92
	s_delay_alu instid0(VALU_DEP_1) | instskip(NEXT) | instid1(VALU_DEP_1)
	v_add3_u32 v90, v90, v96, v97
	v_add3_u32 v53, v90, v53, v55
	v_mul_i32_i24_e32 v55, v139, v86
	s_delay_alu instid0(VALU_DEP_1) | instskip(SKIP_2) | instid1(VALU_DEP_1)
	v_add3_u32 v0, v0, v55, v56
	v_mul_i32_i24_e32 v55, v125, v95
	v_mul_i32_i24_e32 v56, v126, v87
	v_add3_u32 v1, v1, v55, v56
	v_mul_i32_i24_e32 v55, v139, v88
	v_mul_i32_i24_e32 v56, v140, v93
	s_delay_alu instid0(VALU_DEP_3) | instskip(NEXT) | instid1(VALU_DEP_2)
	v_cvt_f32_i32_e32 v1, v1
	v_add3_u32 v17, v17, v55, v56
	v_mul_i32_i24_e32 v56, v138, v85
	ds_load_2addr_b32 v[85:86], v118 offset0:64 offset1:96
	v_mul_i32_i24_e32 v55, v137, v91
	s_delay_alu instid0(VALU_DEP_1) | instskip(SKIP_2) | instid1(VALU_DEP_1)
	v_add3_u32 v0, v0, v55, v56
	v_mul_i32_i24_e32 v55, v137, v95
	v_mul_i32_i24_e32 v56, v138, v87
	v_add3_u32 v17, v17, v55, v56
	s_delay_alu instid0(VALU_DEP_1) | instskip(SKIP_2) | instid1(VALU_DEP_1)
	v_cvt_f32_i32_e32 v17, v17
	s_wait_dscnt 0x0
	v_lshrrev_b32_e32 v55, 16, v85
	v_cvt_f32_f16_e32 v55, v55
	s_delay_alu instid0(VALU_DEP_1) | instskip(NEXT) | instid1(VALU_DEP_1)
	v_mul_f32_e32 v55, 0x41000000, v55
	v_fma_mix_f32 v103, v85, v44, -v55 op_sel_hi:[1,0,0]
	v_cvt_f32_i32_e32 v44, v53
	v_fma_mix_f32 v101, v85, v45, -v55 op_sel_hi:[1,0,0]
	v_cvt_f32_i32_e32 v45, v0
	s_delay_alu instid0(VALU_DEP_3) | instskip(SKIP_1) | instid1(VALU_DEP_3)
	v_fma_mix_f32 v0, v85, v44, -v55 op_sel_hi:[1,0,0]
	v_lshrrev_b32_e32 v44, 16, v86
	v_fma_mix_f32 v255, v85, v45, -v55 op_sel_hi:[1,0,0]
	v_cvt_f32_i32_e32 v45, v89
	v_cvt_f32_i32_e32 v55, v94
	s_delay_alu instid0(VALU_DEP_4) | instskip(NEXT) | instid1(VALU_DEP_4)
	v_cvt_f32_f16_e32 v44, v44
	v_fmac_f32_e32 v52, v124, v255
	s_delay_alu instid0(VALU_DEP_2) | instskip(NEXT) | instid1(VALU_DEP_1)
	v_mul_f32_e32 v44, 0x41000000, v44
	v_fma_mix_f32 v102, v86, v1, -v44 op_sel_hi:[1,0,0]
	v_add_nc_u32_e32 v1, 0x1000, v117
	v_fma_mix_f32 v53, v86, v45, -v44 op_sel_hi:[1,0,0]
	v_fma_mix_f32 v98, v86, v55, -v44 op_sel_hi:[1,0,0]
	v_fma_mix_f32 v100, v86, v17, -v44 op_sel_hi:[1,0,0]
	ds_load_2addr_b32 v[85:86], v1 offset0:4 offset1:7
	v_fmac_f32_e32 v47, v124, v100
	s_wait_dscnt 0x0
	v_bfe_i32 v17, v85, 8, 8
	v_bfe_i32 v44, v85, 0, 8
	v_bfe_i32 v55, v85, 16, 8
	v_ashrrev_i32_e32 v56, 24, v85
	s_delay_alu instid0(VALU_DEP_4) | instskip(NEXT) | instid1(VALU_DEP_3)
	v_mul_i32_i24_e32 v45, v17, v201
	v_mul_i32_i24_e32 v74, v55, v204
	s_delay_alu instid0(VALU_DEP_3) | instskip(SKIP_1) | instid1(VALU_DEP_4)
	v_mul_i32_i24_e32 v85, v56, v203
	v_mul_i32_i24_e32 v87, v56, v207
	v_mad_i32_i24 v45, v44, v199, v45
	v_mul_i32_i24_e32 v115, v172, v56
	s_delay_alu instid0(VALU_DEP_2) | instskip(SKIP_2) | instid1(VALU_DEP_2)
	v_add3_u32 v45, v45, v74, v85
	v_mul_i32_i24_e32 v74, v17, v200
	v_mul_i32_i24_e32 v85, v55, v206
	v_mad_i32_i24 v74, v44, v197, v74
	s_delay_alu instid0(VALU_DEP_1)
	v_add3_u32 v74, v74, v85, v87
	v_add_nc_u32_e32 v85, 0x1400, v117
	ds_load_2addr_b32 v[87:88], v85 offset0:4 offset1:7
	s_wait_dscnt 0x0
	v_bfe_i32 v91, v87, 8, 8
	v_bfe_i32 v92, v87, 0, 8
	;; [unrolled: 1-line block ×3, first 2 shown]
	v_ashrrev_i32_e32 v87, 24, v87
	s_delay_alu instid0(VALU_DEP_4) | instskip(NEXT) | instid1(VALU_DEP_3)
	v_mul_i32_i24_e32 v89, v91, v201
	v_mul_i32_i24_e32 v90, v93, v204
	s_delay_alu instid0(VALU_DEP_3) | instskip(SKIP_1) | instid1(VALU_DEP_4)
	v_mul_i32_i24_e32 v94, v87, v203
	v_mul_i32_i24_e32 v57, v172, v87
	v_mad_i32_i24 v89, v92, v199, v89
	s_delay_alu instid0(VALU_DEP_1) | instskip(SKIP_4) | instid1(VALU_DEP_4)
	v_add3_u32 v99, v89, v90, v94
	v_mul_i32_i24_e32 v89, v91, v200
	v_mul_i32_i24_e32 v90, v93, v206
	;; [unrolled: 1-line block ×4, first 2 shown]
	v_mad_i32_i24 v89, v92, v197, v89
	s_delay_alu instid0(VALU_DEP_1)
	v_add3_u32 v108, v89, v90, v94
	v_add_nc_u32_e32 v89, 0x1004, v117
	v_add_nc_u32_e32 v90, 0x1014, v117
	ds_load_2addr_b32 v[94:95], v89 offset1:1
	ds_load_2addr_b32 v[96:97], v90 offset1:1
	;; [unrolled: 1-line block ×3, first 2 shown]
	s_wait_dscnt 0x2
	v_bfe_i32 v109, v94, 8, 8
	v_ashrrev_i32_e32 v110, 24, v94
	s_delay_alu instid0(VALU_DEP_2) | instskip(NEXT) | instid1(VALU_DEP_2)
	v_mul_i32_i24_e32 v111, v109, v228
	v_mul_i32_i24_e32 v112, v110, v227
	s_delay_alu instid0(VALU_DEP_1) | instskip(SKIP_2) | instid1(VALU_DEP_1)
	v_add3_u32 v45, v45, v112, v111
	v_mul_i32_i24_e32 v111, v109, v229
	v_mul_i32_i24_e32 v112, v110, v230
	v_add3_u32 v74, v74, v112, v111
	s_wait_dscnt 0x0
	v_bfe_i32 v111, v89, 8, 8
	v_ashrrev_i32_e32 v112, 24, v89
	s_delay_alu instid0(VALU_DEP_2) | instskip(NEXT) | instid1(VALU_DEP_2)
	v_mul_i32_i24_e32 v113, v111, v228
	v_mul_i32_i24_e32 v114, v112, v227
	s_delay_alu instid0(VALU_DEP_1) | instskip(SKIP_2) | instid1(VALU_DEP_1)
	v_add3_u32 v99, v99, v114, v113
	v_mul_i32_i24_e32 v113, v111, v229
	v_mul_i32_i24_e32 v114, v112, v230
	v_add3_u32 v108, v108, v114, v113
	v_mul_i32_i24_e32 v113, v191, v17
	v_mul_i32_i24_e32 v114, v168, v55
	;; [unrolled: 1-line block ×3, first 2 shown]
	s_delay_alu instid0(VALU_DEP_3) | instskip(NEXT) | instid1(VALU_DEP_2)
	v_mad_i32_i24 v113, v175, v44, v113
	v_mad_i32_i24 v17, v187, v44, v17
	v_mul_i32_i24_e32 v44, v181, v55
	v_mul_i32_i24_e32 v55, v185, v56
	s_delay_alu instid0(VALU_DEP_4) | instskip(SKIP_2) | instid1(VALU_DEP_4)
	v_add3_u32 v113, v113, v114, v115
	v_bfe_i32 v114, v94, 0, 8
	v_bfe_i32 v94, v94, 16, 8
	v_add3_u32 v17, v17, v44, v55
	v_bfe_i32 v44, v96, 0, 8
	s_delay_alu instid0(VALU_DEP_4) | instskip(NEXT) | instid1(VALU_DEP_4)
	v_mul_i32_i24_e32 v115, v114, v221
	v_mul_i32_i24_e32 v2, v94, v242
	v_ashrrev_i32_e32 v55, 24, v96
	s_delay_alu instid0(VALU_DEP_4) | instskip(NEXT) | instid1(VALU_DEP_3)
	v_mul_i32_i24_e32 v56, v44, v251
	v_add3_u32 v2, v45, v115, v2
	v_mul_i32_i24_e32 v45, v114, v222
	v_mul_i32_i24_e32 v115, v94, v244
	s_delay_alu instid0(VALU_DEP_1) | instskip(SKIP_2) | instid1(VALU_DEP_2)
	v_add3_u32 v45, v74, v45, v115
	v_mul_i32_i24_e32 v74, v191, v91
	v_mul_i32_i24_e32 v115, v168, v93
	v_mad_i32_i24 v74, v175, v92, v74
	s_delay_alu instid0(VALU_DEP_1) | instskip(SKIP_2) | instid1(VALU_DEP_2)
	v_add3_u32 v57, v74, v115, v57
	v_bfe_i32 v74, v89, 0, 8
	v_bfe_i32 v89, v89, 16, 8
	v_mul_i32_i24_e32 v115, v74, v221
	s_delay_alu instid0(VALU_DEP_2) | instskip(NEXT) | instid1(VALU_DEP_1)
	v_mul_i32_i24_e32 v3, v89, v242
	v_add3_u32 v3, v99, v115, v3
	v_mul_i32_i24_e32 v99, v74, v222
	v_mul_i32_i24_e32 v115, v89, v244
	s_delay_alu instid0(VALU_DEP_1) | instskip(SKIP_4) | instid1(VALU_DEP_3)
	v_add3_u32 v99, v108, v99, v115
	v_mul_i32_i24_e32 v108, v110, v171
	v_mul_i32_i24_e32 v115, v109, v188
	;; [unrolled: 1-line block ×4, first 2 shown]
	v_add3_u32 v108, v113, v108, v115
	v_mul_i32_i24_e32 v113, v55, v250
	s_delay_alu instid0(VALU_DEP_3) | instskip(SKIP_2) | instid1(VALU_DEP_4)
	v_add3_u32 v17, v17, v110, v109
	v_bfe_i32 v109, v96, 8, 8
	v_bfe_i32 v96, v96, 16, 8
	v_add3_u32 v2, v2, v113, v56
	v_mul_i32_i24_e32 v56, v44, v253
	v_mul_i32_i24_e32 v113, v55, v254
	;; [unrolled: 1-line block ×3, first 2 shown]
	s_delay_alu instid0(VALU_DEP_2) | instskip(SKIP_3) | instid1(VALU_DEP_2)
	v_add3_u32 v45, v45, v113, v56
	v_mul_i32_i24_e32 v56, v112, v171
	v_mul_i32_i24_e32 v113, v111, v188
	;; [unrolled: 1-line block ×3, first 2 shown]
	v_add3_u32 v56, v57, v56, v113
	v_mul_i32_i24_e32 v57, v202, v91
	v_mul_i32_i24_e32 v91, v181, v93
	s_delay_alu instid0(VALU_DEP_2) | instskip(NEXT) | instid1(VALU_DEP_1)
	v_mad_i32_i24 v57, v187, v92, v57
	v_add3_u32 v57, v57, v91, v87
	v_add_nc_u32_e32 v87, 0x1414, v117
	ds_load_2addr_b32 v[91:92], v87 offset1:1
	s_wait_dscnt 0x0
	v_bfe_i32 v87, v91, 0, 8
	v_ashrrev_i32_e32 v93, 24, v91
	s_delay_alu instid0(VALU_DEP_2) | instskip(NEXT) | instid1(VALU_DEP_2)
	v_mul_i32_i24_e32 v113, v87, v251
	v_mul_i32_i24_e32 v115, v93, v250
	s_delay_alu instid0(VALU_DEP_1) | instskip(SKIP_2) | instid1(VALU_DEP_1)
	v_add3_u32 v3, v3, v115, v113
	v_mul_i32_i24_e32 v113, v87, v253
	v_mul_i32_i24_e32 v115, v93, v254
	v_add3_u32 v99, v99, v115, v113
	v_mul_i32_i24_e32 v113, v114, v165
	v_mul_i32_i24_e32 v115, v94, v160
	;; [unrolled: 1-line block ×3, first 2 shown]
	s_delay_alu instid0(VALU_DEP_2) | instskip(SKIP_1) | instid1(VALU_DEP_1)
	v_add3_u32 v108, v108, v113, v115
	v_mul_i32_i24_e32 v113, v96, v249
	v_add3_u32 v2, v2, v110, v113
	v_mul_i32_i24_e32 v110, v109, v238
	v_mul_i32_i24_e32 v113, v96, v252
	s_delay_alu instid0(VALU_DEP_1) | instskip(SKIP_4) | instid1(VALU_DEP_3)
	v_add3_u32 v45, v45, v110, v113
	v_mul_i32_i24_e32 v110, v74, v165
	v_mul_i32_i24_e32 v113, v89, v160
	;; [unrolled: 1-line block ×4, first 2 shown]
	v_add3_u32 v56, v56, v110, v113
	v_mul_i32_i24_e32 v110, v112, v180
	s_delay_alu instid0(VALU_DEP_1) | instskip(SKIP_2) | instid1(VALU_DEP_3)
	v_add3_u32 v57, v57, v110, v111
	v_bfe_i32 v110, v91, 8, 8
	v_bfe_i32 v91, v91, 16, 8
	v_add3_u32 v57, v57, v74, v89
	s_delay_alu instid0(VALU_DEP_3) | instskip(NEXT) | instid1(VALU_DEP_3)
	v_mul_i32_i24_e32 v111, v110, v237
	v_mul_i32_i24_e32 v112, v91, v249
	v_bfe_i32 v74, v90, 8, 8
	v_ashrrev_i32_e32 v89, 24, v90
	s_delay_alu instid0(VALU_DEP_3) | instskip(SKIP_2) | instid1(VALU_DEP_1)
	v_add3_u32 v3, v3, v111, v112
	v_mul_i32_i24_e32 v111, v110, v238
	v_mul_i32_i24_e32 v112, v91, v252
	v_add3_u32 v99, v99, v111, v112
	v_mul_i32_i24_e32 v111, v44, v161
	v_mul_i32_i24_e32 v112, v55, v158
	v_mul_i32_i24_e32 v44, v44, v173
	v_mul_i32_i24_e32 v55, v55, v176
	s_delay_alu instid0(VALU_DEP_3) | instskip(SKIP_1) | instid1(VALU_DEP_1)
	v_add3_u32 v108, v108, v112, v111
	v_mul_i32_i24_e32 v111, v114, v178
	v_add3_u32 v17, v17, v111, v94
	v_bfe_i32 v94, v95, 8, 8
	v_ashrrev_i32_e32 v111, 24, v95
	s_delay_alu instid0(VALU_DEP_3) | instskip(NEXT) | instid1(VALU_DEP_3)
	v_add3_u32 v17, v17, v55, v44
	v_mul_i32_i24_e32 v112, v94, v246
	s_delay_alu instid0(VALU_DEP_3) | instskip(SKIP_2) | instid1(VALU_DEP_3)
	v_mul_i32_i24_e32 v113, v111, v245
	v_bfe_i32 v44, v95, 0, 8
	v_bfe_i32 v55, v95, 16, 8
	v_add3_u32 v2, v2, v113, v112
	v_mul_i32_i24_e32 v112, v94, v247
	v_mul_i32_i24_e32 v113, v111, v248
	;; [unrolled: 1-line block ×3, first 2 shown]
	s_delay_alu instid0(VALU_DEP_2) | instskip(SKIP_4) | instid1(VALU_DEP_3)
	v_add3_u32 v45, v45, v113, v112
	v_mul_i32_i24_e32 v112, v87, v161
	v_mul_i32_i24_e32 v113, v93, v158
	;; [unrolled: 1-line block ×4, first 2 shown]
	v_add3_u32 v56, v56, v113, v112
	v_mul_i32_i24_e32 v112, v74, v246
	v_mul_i32_i24_e32 v113, v89, v245
	s_delay_alu instid0(VALU_DEP_4) | instskip(SKIP_2) | instid1(VALU_DEP_4)
	v_add3_u32 v57, v57, v93, v87
	v_bfe_i32 v87, v90, 0, 8
	v_bfe_i32 v93, v90, 16, 8
	v_add3_u32 v3, v3, v113, v112
	v_mul_i32_i24_e32 v112, v74, v247
	v_mul_i32_i24_e32 v113, v89, v248
	v_mul_i32_i24_e32 v90, v87, v231
	s_delay_alu instid0(VALU_DEP_2) | instskip(SKIP_3) | instid1(VALU_DEP_2)
	v_add3_u32 v99, v99, v113, v112
	v_mul_i32_i24_e32 v112, v96, v149
	v_mul_i32_i24_e32 v113, v109, v190
	v_mul_i32_i24_e32 v96, v96, v167
	v_add3_u32 v108, v108, v113, v112
	v_mul_i32_i24_e32 v112, v55, v241
	s_delay_alu instid0(VALU_DEP_1) | instskip(SKIP_2) | instid1(VALU_DEP_1)
	v_add3_u32 v2, v2, v95, v112
	v_mul_i32_i24_e32 v95, v44, v233
	v_mul_i32_i24_e32 v112, v55, v243
	v_add3_u32 v45, v45, v95, v112
	v_mul_i32_i24_e32 v95, v91, v149
	v_mul_i32_i24_e32 v112, v110, v190
	;; [unrolled: 1-line block ×3, first 2 shown]
	s_delay_alu instid0(VALU_DEP_2) | instskip(SKIP_2) | instid1(VALU_DEP_2)
	v_add3_u32 v56, v56, v112, v95
	v_mul_i32_i24_e32 v95, v93, v241
	v_add_nc_u32_e32 v112, 0x1c04, v117
	v_add3_u32 v3, v3, v90, v95
	v_mul_i32_i24_e32 v90, v87, v233
	v_mul_i32_i24_e32 v95, v93, v243
	s_delay_alu instid0(VALU_DEP_1) | instskip(SKIP_3) | instid1(VALU_DEP_2)
	v_add3_u32 v90, v99, v90, v95
	v_mul_i32_i24_e32 v95, v111, v150
	v_mul_i32_i24_e32 v99, v94, v186
	;; [unrolled: 1-line block ×3, first 2 shown]
	v_add3_u32 v95, v108, v95, v99
	v_mul_i32_i24_e32 v99, v109, v189
	s_delay_alu instid0(VALU_DEP_1) | instskip(SKIP_2) | instid1(VALU_DEP_2)
	v_add3_u32 v17, v17, v99, v96
	v_bfe_i32 v96, v97, 0, 8
	v_ashrrev_i32_e32 v99, 24, v97
	v_mul_i32_i24_e32 v108, v96, v236
	s_delay_alu instid0(VALU_DEP_2) | instskip(NEXT) | instid1(VALU_DEP_1)
	v_mul_i32_i24_e32 v109, v99, v235
	v_add3_u32 v2, v2, v109, v108
	v_mul_i32_i24_e32 v108, v96, v239
	v_mul_i32_i24_e32 v109, v99, v240
	s_delay_alu instid0(VALU_DEP_1) | instskip(SKIP_4) | instid1(VALU_DEP_3)
	v_add3_u32 v45, v45, v109, v108
	v_mul_i32_i24_e32 v108, v89, v150
	v_mul_i32_i24_e32 v109, v74, v186
	;; [unrolled: 1-line block ×4, first 2 shown]
	v_add3_u32 v56, v56, v108, v109
	v_mul_i32_i24_e32 v108, v110, v189
	v_ashrrev_i32_e32 v109, 24, v92
	s_delay_alu instid0(VALU_DEP_2) | instskip(SKIP_1) | instid1(VALU_DEP_3)
	v_add3_u32 v57, v57, v108, v91
	v_bfe_i32 v108, v92, 0, 8
	v_mul_i32_i24_e32 v110, v109, v235
	s_delay_alu instid0(VALU_DEP_3) | instskip(NEXT) | instid1(VALU_DEP_3)
	v_add3_u32 v57, v57, v89, v74
	v_mul_i32_i24_e32 v91, v108, v236
	v_bfe_i32 v74, v92, 8, 8
	s_delay_alu instid0(VALU_DEP_2) | instskip(SKIP_2) | instid1(VALU_DEP_4)
	v_add3_u32 v3, v3, v110, v91
	v_mul_i32_i24_e32 v91, v108, v239
	v_mul_i32_i24_e32 v110, v109, v240
	;; [unrolled: 1-line block ×3, first 2 shown]
	s_delay_alu instid0(VALU_DEP_2) | instskip(SKIP_4) | instid1(VALU_DEP_3)
	v_add3_u32 v90, v90, v110, v91
	v_mul_i32_i24_e32 v91, v44, v147
	v_mul_i32_i24_e32 v110, v55, v146
	;; [unrolled: 1-line block ×4, first 2 shown]
	v_add3_u32 v91, v95, v91, v110
	v_mul_i32_i24_e32 v95, v111, v166
	s_delay_alu instid0(VALU_DEP_1) | instskip(SKIP_2) | instid1(VALU_DEP_3)
	v_add3_u32 v17, v17, v95, v94
	v_bfe_i32 v94, v97, 8, 8
	v_bfe_i32 v95, v97, 16, 8
	v_add3_u32 v17, v17, v44, v55
	s_delay_alu instid0(VALU_DEP_3) | instskip(NEXT) | instid1(VALU_DEP_3)
	v_mul_i32_i24_e32 v97, v94, v218
	v_mul_i32_i24_e32 v110, v95, v232
	s_delay_alu instid0(VALU_DEP_1) | instskip(SKIP_2) | instid1(VALU_DEP_1)
	v_add3_u32 v2, v2, v97, v110
	v_mul_i32_i24_e32 v97, v94, v220
	v_mul_i32_i24_e32 v110, v95, v234
	v_add3_u32 v45, v45, v97, v110
	v_mul_i32_i24_e32 v97, v87, v147
	v_mul_i32_i24_e32 v110, v93, v146
	s_delay_alu instid0(VALU_DEP_1) | instskip(SKIP_1) | instid1(VALU_DEP_1)
	v_add3_u32 v56, v56, v97, v110
	v_bfe_i32 v97, v92, 16, 8
	v_mul_i32_i24_e32 v92, v97, v232
	s_delay_alu instid0(VALU_DEP_1) | instskip(SKIP_2) | instid1(VALU_DEP_1)
	v_add3_u32 v3, v3, v89, v92
	v_mul_i32_i24_e32 v89, v74, v220
	v_mul_i32_i24_e32 v92, v97, v234
	v_add3_u32 v110, v90, v89, v92
	v_mul_i32_i24_e32 v89, v96, v143
	v_mul_i32_i24_e32 v90, v99, v142
	;; [unrolled: 1-line block ×4, first 2 shown]
	s_delay_alu instid0(VALU_DEP_3)
	v_add3_u32 v111, v91, v90, v89
	ds_load_2addr_b32 v[89:90], v1 offset1:3
	v_add3_u32 v17, v17, v99, v96
	s_wait_dscnt 0x0
	v_bfe_i32 v1, v90, 8, 8
	v_ashrrev_i32_e32 v44, 24, v90
	v_bfe_i32 v96, v90, 0, 8
	v_bfe_i32 v90, v90, 16, 8
	s_delay_alu instid0(VALU_DEP_4) | instskip(NEXT) | instid1(VALU_DEP_4)
	v_mul_i32_i24_e32 v55, v1, v224
	v_mul_i32_i24_e32 v91, v44, v223
	s_delay_alu instid0(VALU_DEP_4) | instskip(NEXT) | instid1(VALU_DEP_2)
	v_mul_i32_i24_e32 v99, v96, v210
	v_add3_u32 v2, v2, v91, v55
	v_mul_i32_i24_e32 v55, v1, v225
	v_mul_i32_i24_e32 v91, v44, v226
	s_delay_alu instid0(VALU_DEP_1) | instskip(SKIP_2) | instid1(VALU_DEP_1)
	v_add3_u32 v45, v45, v91, v55
	v_mul_i32_i24_e32 v55, v108, v143
	v_mul_i32_i24_e32 v91, v109, v142
	v_add3_u32 v55, v56, v91, v55
	ds_load_2addr_b32 v[91:92], v85 offset1:3
	v_mul_i32_i24_e32 v56, v87, v159
	v_mul_i32_i24_e32 v87, v93, v154
	s_delay_alu instid0(VALU_DEP_1) | instskip(SKIP_3) | instid1(VALU_DEP_2)
	v_add3_u32 v56, v57, v56, v87
	s_wait_dscnt 0x0
	v_bfe_i32 v57, v92, 8, 8
	v_ashrrev_i32_e32 v85, 24, v92
	v_mul_i32_i24_e32 v87, v57, v224
	s_delay_alu instid0(VALU_DEP_2) | instskip(NEXT) | instid1(VALU_DEP_1)
	v_mul_i32_i24_e32 v93, v85, v223
	v_add3_u32 v3, v3, v93, v87
	v_mul_i32_i24_e32 v87, v57, v225
	v_mul_i32_i24_e32 v93, v85, v226
	s_delay_alu instid0(VALU_DEP_1) | instskip(SKIP_4) | instid1(VALU_DEP_3)
	v_add3_u32 v87, v110, v93, v87
	v_mul_i32_i24_e32 v93, v95, v136
	v_mul_i32_i24_e32 v110, v94, v183
	;; [unrolled: 1-line block ×4, first 2 shown]
	v_add3_u32 v93, v111, v110, v93
	v_mul_i32_i24_e32 v110, v90, v217
	s_delay_alu instid0(VALU_DEP_3) | instskip(SKIP_2) | instid1(VALU_DEP_4)
	v_add3_u32 v17, v17, v94, v95
	v_bfe_i32 v94, v86, 0, 8
	v_ashrrev_i32_e32 v95, 24, v86
	v_add3_u32 v2, v2, v99, v110
	v_mul_i32_i24_e32 v99, v96, v211
	v_mul_i32_i24_e32 v110, v90, v219
	s_delay_alu instid0(VALU_DEP_1) | instskip(SKIP_4) | instid1(VALU_DEP_3)
	v_add3_u32 v45, v45, v99, v110
	v_mul_i32_i24_e32 v99, v97, v136
	v_mul_i32_i24_e32 v110, v74, v183
	;; [unrolled: 1-line block ×4, first 2 shown]
	v_add3_u32 v55, v55, v110, v99
	v_mul_i32_i24_e32 v99, v108, v170
	v_mul_i32_i24_e32 v108, v109, v169
	s_delay_alu instid0(VALU_DEP_1) | instskip(SKIP_2) | instid1(VALU_DEP_3)
	v_add3_u32 v56, v56, v108, v99
	v_bfe_i32 v99, v92, 0, 8
	v_bfe_i32 v92, v92, 16, 8
	v_add3_u32 v56, v56, v74, v97
	s_delay_alu instid0(VALU_DEP_3) | instskip(NEXT) | instid1(VALU_DEP_3)
	v_mul_i32_i24_e32 v108, v99, v210
	v_mul_i32_i24_e32 v109, v92, v217
	v_bfe_i32 v74, v88, 0, 8
	v_ashrrev_i32_e32 v97, 24, v88
	s_delay_alu instid0(VALU_DEP_3) | instskip(SKIP_2) | instid1(VALU_DEP_1)
	v_add3_u32 v3, v3, v108, v109
	v_mul_i32_i24_e32 v108, v99, v211
	v_mul_i32_i24_e32 v109, v92, v219
	v_add3_u32 v87, v87, v108, v109
	v_mul_i32_i24_e32 v108, v44, v155
	v_mul_i32_i24_e32 v109, v1, v179
	v_mul_i32_i24_e32 v44, v44, v156
	v_mul_i32_i24_e32 v1, v1, v184
	s_delay_alu instid0(VALU_DEP_3) | instskip(SKIP_2) | instid1(VALU_DEP_4)
	v_add3_u32 v93, v93, v108, v109
	v_mul_i32_i24_e32 v108, v94, v214
	v_mul_i32_i24_e32 v109, v95, v213
	v_add3_u32 v1, v17, v44, v1
	v_bfe_i32 v17, v86, 8, 8
	v_bfe_i32 v44, v86, 16, 8
	s_delay_alu instid0(VALU_DEP_4) | instskip(SKIP_3) | instid1(VALU_DEP_2)
	v_add3_u32 v2, v2, v109, v108
	v_mul_i32_i24_e32 v108, v94, v215
	v_mul_i32_i24_e32 v109, v95, v216
	;; [unrolled: 1-line block ×3, first 2 shown]
	v_add3_u32 v45, v45, v109, v108
	v_mul_i32_i24_e32 v108, v85, v155
	v_mul_i32_i24_e32 v109, v57, v179
	;; [unrolled: 1-line block ×4, first 2 shown]
	s_delay_alu instid0(VALU_DEP_3) | instskip(SKIP_2) | instid1(VALU_DEP_4)
	v_add3_u32 v55, v55, v108, v109
	v_mul_i32_i24_e32 v108, v74, v214
	v_mul_i32_i24_e32 v109, v97, v213
	v_add3_u32 v56, v56, v85, v57
	v_bfe_i32 v57, v88, 8, 8
	v_bfe_i32 v85, v88, 16, 8
	s_delay_alu instid0(VALU_DEP_4) | instskip(SKIP_2) | instid1(VALU_DEP_4)
	v_add3_u32 v3, v3, v109, v108
	v_mul_i32_i24_e32 v108, v74, v215
	v_mul_i32_i24_e32 v109, v97, v216
	;; [unrolled: 1-line block ×3, first 2 shown]
	s_delay_alu instid0(VALU_DEP_2) | instskip(SKIP_3) | instid1(VALU_DEP_2)
	v_add3_u32 v87, v87, v109, v108
	v_mul_i32_i24_e32 v108, v96, v151
	v_mul_i32_i24_e32 v109, v90, v148
	;; [unrolled: 1-line block ×3, first 2 shown]
	v_add3_u32 v93, v93, v108, v109
	v_mul_i32_i24_e32 v108, v44, v209
	s_delay_alu instid0(VALU_DEP_1) | instskip(SKIP_2) | instid1(VALU_DEP_1)
	v_add3_u32 v2, v2, v86, v108
	v_mul_i32_i24_e32 v86, v17, v208
	v_mul_i32_i24_e32 v108, v44, v212
	v_add3_u32 v45, v45, v86, v108
	v_mul_i32_i24_e32 v86, v99, v151
	v_mul_i32_i24_e32 v108, v92, v148
	v_mul_i32_i24_e32 v92, v92, v153
	s_delay_alu instid0(VALU_DEP_2) | instskip(SKIP_1) | instid1(VALU_DEP_1)
	v_add3_u32 v55, v55, v86, v108
	v_mul_i32_i24_e32 v86, v57, v205
	v_add3_u32 v3, v3, v86, v88
	v_mul_i32_i24_e32 v86, v57, v208
	v_mul_i32_i24_e32 v88, v85, v212
	s_delay_alu instid0(VALU_DEP_1) | instskip(SKIP_4) | instid1(VALU_DEP_3)
	v_add3_u32 v86, v87, v86, v88
	v_mul_i32_i24_e32 v87, v94, v145
	v_mul_i32_i24_e32 v88, v95, v144
	;; [unrolled: 1-line block ×4, first 2 shown]
	v_add3_u32 v87, v93, v88, v87
	v_mul_i32_i24_e32 v88, v96, v152
	s_delay_alu instid0(VALU_DEP_1) | instskip(SKIP_2) | instid1(VALU_DEP_3)
	v_add3_u32 v1, v1, v88, v90
	v_bfe_i32 v88, v89, 0, 8
	v_bfe_i32 v90, v89, 8, 8
	v_add3_u32 v1, v1, v95, v94
	s_delay_alu instid0(VALU_DEP_3) | instskip(NEXT) | instid1(VALU_DEP_3)
	v_mul_i32_i24_e32 v93, v88, v131
	v_mul_i32_i24_e32 v96, v90, v130
	v_bfe_i32 v94, v89, 16, 8
	v_ashrrev_i32_e32 v89, 24, v89
	s_delay_alu instid0(VALU_DEP_3) | instskip(SKIP_3) | instid1(VALU_DEP_2)
	v_add3_u32 v2, v2, v93, v96
	v_mul_i32_i24_e32 v93, v88, v134
	v_mul_i32_i24_e32 v96, v90, v135
	;; [unrolled: 1-line block ×3, first 2 shown]
	v_add3_u32 v45, v45, v93, v96
	v_mul_i32_i24_e32 v93, v74, v145
	v_mul_i32_i24_e32 v96, v97, v144
	;; [unrolled: 1-line block ×3, first 2 shown]
	s_delay_alu instid0(VALU_DEP_2) | instskip(SKIP_1) | instid1(VALU_DEP_1)
	v_add3_u32 v55, v55, v96, v93
	v_mul_i32_i24_e32 v93, v99, v152
	v_add3_u32 v56, v56, v93, v92
	v_bfe_i32 v92, v91, 0, 8
	v_bfe_i32 v93, v91, 8, 8
	s_delay_alu instid0(VALU_DEP_2) | instskip(NEXT) | instid1(VALU_DEP_2)
	v_mul_i32_i24_e32 v96, v92, v131
	v_mul_i32_i24_e32 v99, v93, v130
	s_delay_alu instid0(VALU_DEP_1) | instskip(SKIP_2) | instid1(VALU_DEP_1)
	v_add3_u32 v3, v3, v96, v99
	v_mul_i32_i24_e32 v96, v92, v134
	v_mul_i32_i24_e32 v99, v93, v135
	v_add3_u32 v86, v86, v96, v99
	v_mul_i32_i24_e32 v96, v44, v141
	v_mul_i32_i24_e32 v99, v17, v177
	v_mul_i32_i24_e32 v44, v44, v157
	v_mul_i32_i24_e32 v17, v17, v21
	s_delay_alu instid0(VALU_DEP_3) | instskip(SKIP_1) | instid1(VALU_DEP_3)
	v_add3_u32 v87, v87, v99, v96
	v_mul_i32_i24_e32 v96, v89, v129
	v_add3_u32 v1, v1, v17, v44
	v_mul_i32_i24_e32 v17, v127, v92
	v_mul_i32_i24_e32 v44, v20, v93
	s_delay_alu instid0(VALU_DEP_4) | instskip(SKIP_2) | instid1(VALU_DEP_3)
	v_add3_u32 v2, v2, v95, v96
	v_mul_i32_i24_e32 v95, v94, v132
	v_mul_i32_i24_e32 v96, v89, v133
	v_cvt_f32_i32_e32 v2, v2
	s_delay_alu instid0(VALU_DEP_2) | instskip(SKIP_2) | instid1(VALU_DEP_3)
	v_add3_u32 v45, v45, v95, v96
	v_mul_i32_i24_e32 v95, v85, v141
	v_mul_i32_i24_e32 v96, v57, v177
	v_cvt_f32_i32_e32 v45, v45
	s_delay_alu instid0(VALU_DEP_2) | instskip(SKIP_1) | instid1(VALU_DEP_2)
	v_add3_u32 v55, v55, v96, v95
	v_mul_i32_i24_e32 v95, v97, v163
	v_add3_u32 v17, v55, v17, v44
	s_delay_alu instid0(VALU_DEP_2)
	v_add3_u32 v56, v56, v95, v74
	v_bfe_i32 v74, v91, 16, 8
	v_ashrrev_i32_e32 v91, 24, v91
	v_mul_i32_i24_e32 v44, v85, v157
	v_mul_i32_i24_e32 v55, v57, v21
	;; [unrolled: 1-line block ×5, first 2 shown]
	s_delay_alu instid0(VALU_DEP_4) | instskip(SKIP_2) | instid1(VALU_DEP_4)
	v_add3_u32 v44, v56, v55, v44
	v_mul_i32_i24_e32 v55, v125, v94
	v_mul_i32_i24_e32 v56, v126, v89
	v_add3_u32 v3, v3, v95, v96
	v_mul_i32_i24_e32 v95, v74, v132
	v_mul_i32_i24_e32 v96, v91, v133
	s_delay_alu instid0(VALU_DEP_3) | instskip(NEXT) | instid1(VALU_DEP_2)
	v_cvt_f32_i32_e32 v3, v3
	v_add3_u32 v97, v86, v95, v96
	v_mul_i32_i24_e32 v86, v127, v88
	v_mul_i32_i24_e32 v95, v20, v90
	s_delay_alu instid0(VALU_DEP_1) | instskip(NEXT) | instid1(VALU_DEP_1)
	v_add3_u32 v86, v87, v86, v95
	v_add3_u32 v55, v86, v55, v56
	v_mul_i32_i24_e32 v56, v139, v88
	ds_load_2addr_b32 v[85:86], v118 offset0:128 offset1:160
	v_add3_u32 v1, v1, v56, v57
	v_mul_i32_i24_e32 v56, v125, v74
	v_mul_i32_i24_e32 v57, v126, v91
	s_delay_alu instid0(VALU_DEP_1) | instskip(SKIP_3) | instid1(VALU_DEP_2)
	v_add3_u32 v56, v17, v56, v57
	v_mul_i32_i24_e32 v17, v139, v92
	v_mul_i32_i24_e32 v57, v140, v93
	v_add_nc_u32_e32 v93, 0x1c00, v117
	v_add3_u32 v17, v44, v17, v57
	v_mul_i32_i24_e32 v44, v137, v94
	v_mul_i32_i24_e32 v57, v138, v89
	s_delay_alu instid0(VALU_DEP_1) | instskip(SKIP_2) | instid1(VALU_DEP_3)
	v_add3_u32 v1, v1, v44, v57
	v_mul_i32_i24_e32 v44, v137, v74
	v_mul_i32_i24_e32 v57, v138, v91
	v_cvt_f32_i32_e32 v1, v1
	s_delay_alu instid0(VALU_DEP_2) | instskip(SKIP_2) | instid1(VALU_DEP_2)
	v_add3_u32 v44, v17, v44, v57
	s_wait_dscnt 0x0
	v_lshrrev_b32_e32 v17, 16, v85
	v_cvt_f32_i32_e32 v44, v44
	s_delay_alu instid0(VALU_DEP_2) | instskip(NEXT) | instid1(VALU_DEP_1)
	v_cvt_f32_f16_e32 v17, v17
	v_mul_f32_e32 v17, 0x41000000, v17
	s_delay_alu instid0(VALU_DEP_1) | instskip(SKIP_3) | instid1(VALU_DEP_3)
	v_fma_mix_f32 v96, v85, v45, -v17 op_sel_hi:[1,0,0]
	v_cvt_f32_i32_e32 v45, v55
	v_fma_mix_f32 v2, v85, v2, -v17 op_sel_hi:[1,0,0]
	v_cvt_f32_i32_e32 v55, v56
	v_fma_mix_f32 v95, v85, v45, -v17 op_sel_hi:[1,0,0]
	v_fma_mix_f32 v17, v85, v1, -v17 op_sel_hi:[1,0,0]
	v_lshrrev_b32_e32 v1, 16, v86
	v_cvt_f32_i32_e32 v45, v97
	s_delay_alu instid0(VALU_DEP_3) | instskip(NEXT) | instid1(VALU_DEP_3)
	v_fmac_f32_e32 v40, v124, v17
	v_cvt_f32_f16_e32 v1, v1
	s_delay_alu instid0(VALU_DEP_1) | instskip(NEXT) | instid1(VALU_DEP_1)
	v_mul_f32_e32 v1, 0x41000000, v1
	v_fma_mix_f32 v3, v86, v3, -v1 op_sel_hi:[1,0,0]
	v_fma_mix_f32 v45, v86, v45, -v1 op_sel_hi:[1,0,0]
	;; [unrolled: 1-line block ×4, first 2 shown]
	s_delay_alu instid0(VALU_DEP_1)
	v_dual_fmac_f32 v36, v124, v94 :: v_dual_add_nc_u32 v1, 0x1800, v117
	ds_load_2addr_b32 v[85:86], v1 offset0:4 offset1:7
	s_wait_dscnt 0x0
	v_bfe_i32 v44, v85, 8, 8
	v_bfe_i32 v55, v85, 0, 8
	;; [unrolled: 1-line block ×3, first 2 shown]
	v_ashrrev_i32_e32 v74, 24, v85
	s_delay_alu instid0(VALU_DEP_4) | instskip(NEXT) | instid1(VALU_DEP_3)
	v_mul_i32_i24_e32 v56, v44, v201
	v_mul_i32_i24_e32 v85, v57, v204
	s_delay_alu instid0(VALU_DEP_3) | instskip(SKIP_1) | instid1(VALU_DEP_4)
	v_mul_i32_i24_e32 v87, v74, v203
	v_mul_i32_i24_e32 v88, v74, v207
	v_mad_i32_i24 v56, v55, v199, v56
	s_delay_alu instid0(VALU_DEP_1) | instskip(SKIP_2) | instid1(VALU_DEP_2)
	v_add3_u32 v56, v56, v85, v87
	v_mul_i32_i24_e32 v85, v44, v200
	v_mul_i32_i24_e32 v87, v57, v206
	v_mad_i32_i24 v85, v55, v197, v85
	s_delay_alu instid0(VALU_DEP_1)
	v_add3_u32 v85, v85, v87, v88
	ds_load_2addr_b32 v[87:88], v93 offset0:4 offset1:7
	s_wait_dscnt 0x0
	v_bfe_i32 v99, v87, 8, 8
	v_bfe_i32 v108, v87, 0, 8
	;; [unrolled: 1-line block ×3, first 2 shown]
	v_ashrrev_i32_e32 v87, 24, v87
	s_delay_alu instid0(VALU_DEP_4) | instskip(NEXT) | instid1(VALU_DEP_3)
	v_mul_i32_i24_e32 v89, v99, v201
	v_mul_i32_i24_e32 v90, v109, v204
	s_delay_alu instid0(VALU_DEP_3) | instskip(SKIP_1) | instid1(VALU_DEP_4)
	v_mul_i32_i24_e32 v91, v87, v203
	v_mul_i32_i24_e32 v203, v172, v74
	v_mad_i32_i24 v89, v108, v199, v89
	v_mul_i32_i24_e32 v172, v172, v87
	v_mul_i32_i24_e32 v74, v185, v74
	s_delay_alu instid0(VALU_DEP_3) | instskip(SKIP_4) | instid1(VALU_DEP_4)
	v_add3_u32 v110, v89, v90, v91
	v_mul_i32_i24_e32 v89, v99, v200
	v_mul_i32_i24_e32 v90, v109, v206
	;; [unrolled: 1-line block ×4, first 2 shown]
	v_mad_i32_i24 v89, v108, v197, v89
	s_delay_alu instid0(VALU_DEP_1)
	v_add3_u32 v111, v89, v90, v91
	v_add_nc_u32_e32 v89, 0x1804, v117
	v_add_nc_u32_e32 v91, 0x1814, v117
	ds_load_2addr_b32 v[89:90], v89 offset1:1
	ds_load_2addr_b32 v[91:92], v91 offset1:1
	;; [unrolled: 1-line block ×3, first 2 shown]
	s_wait_dscnt 0x2
	v_bfe_i32 v112, v89, 8, 8
	v_ashrrev_i32_e32 v113, 24, v89
	s_wait_dscnt 0x0
	v_ashrrev_i32_e32 v197, 24, v199
	s_delay_alu instid0(VALU_DEP_3) | instskip(NEXT) | instid1(VALU_DEP_3)
	v_mul_i32_i24_e32 v114, v112, v228
	v_mul_i32_i24_e32 v115, v113, v227
	s_delay_alu instid0(VALU_DEP_3) | instskip(NEXT) | instid1(VALU_DEP_2)
	v_mul_i32_i24_e32 v201, v197, v227
	v_add3_u32 v56, v56, v115, v114
	v_mul_i32_i24_e32 v114, v112, v229
	v_mul_i32_i24_e32 v115, v113, v230
	s_delay_alu instid0(VALU_DEP_1) | instskip(SKIP_1) | instid1(VALU_DEP_1)
	v_add3_u32 v85, v85, v115, v114
	v_bfe_i32 v114, v199, 8, 8
	v_mul_i32_i24_e32 v115, v114, v228
	s_delay_alu instid0(VALU_DEP_1) | instskip(SKIP_2) | instid1(VALU_DEP_1)
	v_add3_u32 v110, v110, v201, v115
	v_mul_i32_i24_e32 v115, v114, v229
	v_mul_i32_i24_e32 v201, v197, v230
	v_add3_u32 v111, v111, v201, v115
	v_mul_i32_i24_e32 v115, v191, v44
	v_mul_i32_i24_e32 v191, v191, v99
	;; [unrolled: 1-line block ×5, first 2 shown]
	v_mad_i32_i24 v115, v175, v55, v115
	v_mad_i32_i24 v175, v175, v108, v191
	v_mul_i32_i24_e32 v99, v202, v99
	v_mul_i32_i24_e32 v57, v181, v57
	v_mad_i32_i24 v44, v187, v55, v44
	v_add3_u32 v115, v115, v201, v203
	v_add3_u32 v168, v175, v168, v172
	v_mad_i32_i24 v55, v187, v108, v99
	v_bfe_i32 v99, v199, 0, 8
	v_bfe_i32 v175, v199, 16, 8
	;; [unrolled: 1-line block ×4, first 2 shown]
	v_add3_u32 v44, v44, v57, v74
	v_mul_i32_i24_e32 v108, v99, v221
	v_mul_i32_i24_e32 v172, v175, v242
	;; [unrolled: 1-line block ×4, first 2 shown]
	v_bfe_i32 v57, v91, 0, 8
	v_ashrrev_i32_e32 v74, 24, v91
	v_add3_u32 v108, v110, v108, v172
	v_mul_i32_i24_e32 v110, v99, v222
	v_mul_i32_i24_e32 v172, v175, v244
	v_add3_u32 v56, v56, v203, v204
	v_mul_i32_i24_e32 v203, v201, v222
	v_mul_i32_i24_e32 v204, v89, v244
	;; [unrolled: 1-line block ×3, first 2 shown]
	v_add3_u32 v110, v111, v110, v172
	v_mul_i32_i24_e32 v111, v113, v171
	v_mul_i32_i24_e32 v172, v112, v188
	v_add3_u32 v85, v85, v203, v204
	v_add3_u32 v55, v55, v109, v87
	v_add_nc_u32_e32 v87, 0x1c14, v117
	v_mul_i32_i24_e32 v112, v112, v193
	v_add3_u32 v111, v115, v111, v172
	v_mul_i32_i24_e32 v115, v57, v251
	v_mul_i32_i24_e32 v172, v74, v250
	v_add_nc_u32_e32 v117, 32, v117
	s_delay_alu instid0(VALU_DEP_2) | instskip(SKIP_2) | instid1(VALU_DEP_1)
	v_add3_u32 v56, v56, v172, v115
	v_mul_i32_i24_e32 v115, v57, v253
	v_mul_i32_i24_e32 v172, v74, v254
	v_add3_u32 v85, v85, v172, v115
	v_mul_i32_i24_e32 v115, v197, v171
	v_mul_i32_i24_e32 v171, v114, v188
	;; [unrolled: 1-line block ×3, first 2 shown]
	s_delay_alu instid0(VALU_DEP_2) | instskip(SKIP_4) | instid1(VALU_DEP_2)
	v_add3_u32 v115, v168, v115, v171
	ds_load_2addr_b32 v[171:172], v87 offset1:1
	s_wait_dscnt 0x0
	v_bfe_i32 v87, v171, 0, 8
	v_ashrrev_i32_e32 v168, 24, v171
	v_mul_i32_i24_e32 v109, v87, v251
	s_delay_alu instid0(VALU_DEP_2) | instskip(NEXT) | instid1(VALU_DEP_1)
	v_mul_i32_i24_e32 v181, v168, v250
	v_add3_u32 v108, v108, v181, v109
	v_mul_i32_i24_e32 v109, v87, v253
	v_mul_i32_i24_e32 v181, v168, v254
	s_delay_alu instid0(VALU_DEP_1) | instskip(SKIP_3) | instid1(VALU_DEP_2)
	v_add3_u32 v109, v110, v181, v109
	v_mul_i32_i24_e32 v110, v201, v165
	v_mul_i32_i24_e32 v181, v89, v160
	;; [unrolled: 1-line block ×3, first 2 shown]
	v_add3_u32 v110, v111, v110, v181
	v_mul_i32_i24_e32 v111, v113, v180
	s_delay_alu instid0(VALU_DEP_1) | instskip(SKIP_2) | instid1(VALU_DEP_2)
	v_add3_u32 v44, v44, v111, v112
	v_bfe_i32 v111, v91, 8, 8
	v_bfe_i32 v91, v91, 16, 8
	v_mul_i32_i24_e32 v112, v111, v237
	s_delay_alu instid0(VALU_DEP_2) | instskip(NEXT) | instid1(VALU_DEP_1)
	v_mul_i32_i24_e32 v113, v91, v249
	v_add3_u32 v56, v56, v112, v113
	v_mul_i32_i24_e32 v112, v111, v238
	v_mul_i32_i24_e32 v113, v91, v252
	s_delay_alu instid0(VALU_DEP_1) | instskip(SKIP_3) | instid1(VALU_DEP_2)
	v_add3_u32 v85, v85, v112, v113
	v_mul_i32_i24_e32 v112, v99, v165
	v_mul_i32_i24_e32 v113, v175, v160
	;; [unrolled: 1-line block ×3, first 2 shown]
	v_add3_u32 v112, v115, v112, v113
	v_mul_i32_i24_e32 v113, v197, v180
	v_bfe_i32 v115, v171, 16, 8
	s_delay_alu instid0(VALU_DEP_2) | instskip(SKIP_1) | instid1(VALU_DEP_3)
	v_add3_u32 v55, v55, v113, v114
	v_bfe_i32 v113, v171, 8, 8
	v_mul_i32_i24_e32 v160, v115, v249
	s_delay_alu instid0(VALU_DEP_2) | instskip(NEXT) | instid1(VALU_DEP_1)
	v_mul_i32_i24_e32 v114, v113, v237
	v_add3_u32 v108, v108, v114, v160
	v_mul_i32_i24_e32 v114, v113, v238
	v_mul_i32_i24_e32 v160, v115, v252
	s_delay_alu instid0(VALU_DEP_1)
	v_add3_u32 v109, v109, v114, v160
	v_mul_i32_i24_e32 v114, v57, v161
	v_mul_i32_i24_e32 v160, v74, v158
	;; [unrolled: 1-line block ×5, first 2 shown]
	s_delay_alu instid0(VALU_DEP_4) | instskip(SKIP_1) | instid1(VALU_DEP_1)
	v_add3_u32 v110, v110, v160, v114
	v_mul_i32_i24_e32 v114, v201, v178
	v_add3_u32 v44, v44, v114, v89
	v_bfe_i32 v89, v90, 8, 8
	v_ashrrev_i32_e32 v114, 24, v90
	s_delay_alu instid0(VALU_DEP_3) | instskip(NEXT) | instid1(VALU_DEP_3)
	v_add3_u32 v44, v44, v74, v57
	v_mul_i32_i24_e32 v160, v89, v246
	s_delay_alu instid0(VALU_DEP_3) | instskip(SKIP_2) | instid1(VALU_DEP_3)
	v_mul_i32_i24_e32 v165, v114, v245
	v_bfe_i32 v57, v90, 0, 8
	v_bfe_i32 v74, v90, 16, 8
	v_add3_u32 v56, v56, v165, v160
	v_mul_i32_i24_e32 v160, v89, v247
	v_mul_i32_i24_e32 v165, v114, v248
	;; [unrolled: 1-line block ×3, first 2 shown]
	s_delay_alu instid0(VALU_DEP_2) | instskip(SKIP_2) | instid1(VALU_DEP_2)
	v_add3_u32 v85, v85, v165, v160
	v_mul_i32_i24_e32 v160, v87, v161
	v_mul_i32_i24_e32 v87, v87, v173
	v_add3_u32 v112, v112, v158, v160
	v_mul_i32_i24_e32 v158, v175, v174
	v_ashrrev_i32_e32 v160, 24, v200
	s_delay_alu instid0(VALU_DEP_2) | instskip(SKIP_1) | instid1(VALU_DEP_3)
	v_add3_u32 v55, v55, v99, v158
	v_bfe_i32 v99, v200, 8, 8
	v_mul_i32_i24_e32 v161, v160, v245
	s_delay_alu instid0(VALU_DEP_2) | instskip(NEXT) | instid1(VALU_DEP_1)
	v_mul_i32_i24_e32 v158, v99, v246
	v_add3_u32 v108, v108, v161, v158
	v_mul_i32_i24_e32 v158, v99, v247
	v_mul_i32_i24_e32 v161, v160, v248
	s_delay_alu instid0(VALU_DEP_1) | instskip(SKIP_4) | instid1(VALU_DEP_3)
	v_add3_u32 v109, v109, v161, v158
	v_mul_i32_i24_e32 v158, v91, v149
	v_mul_i32_i24_e32 v161, v111, v190
	;; [unrolled: 1-line block ×4, first 2 shown]
	v_add3_u32 v110, v110, v161, v158
	v_mul_i32_i24_e32 v158, v74, v241
	s_delay_alu instid0(VALU_DEP_3) | instskip(SKIP_1) | instid1(VALU_DEP_3)
	v_add3_u32 v44, v44, v111, v91
	v_bfe_i32 v111, v92, 0, 8
	v_add3_u32 v56, v56, v90, v158
	v_mul_i32_i24_e32 v90, v57, v233
	v_mul_i32_i24_e32 v158, v74, v243
	s_delay_alu instid0(VALU_DEP_4) | instskip(NEXT) | instid1(VALU_DEP_2)
	v_mul_i32_i24_e32 v91, v111, v236
	v_add3_u32 v85, v85, v90, v158
	v_mul_i32_i24_e32 v90, v115, v149
	v_mul_i32_i24_e32 v149, v113, v190
	;; [unrolled: 1-line block ×3, first 2 shown]
	s_delay_alu instid0(VALU_DEP_2) | instskip(SKIP_1) | instid1(VALU_DEP_1)
	v_add3_u32 v90, v112, v149, v90
	v_mul_i32_i24_e32 v112, v168, v176
	v_add3_u32 v55, v55, v112, v87
	v_bfe_i32 v87, v200, 0, 8
	v_bfe_i32 v112, v200, 16, 8
	s_delay_alu instid0(VALU_DEP_2) | instskip(NEXT) | instid1(VALU_DEP_2)
	v_mul_i32_i24_e32 v149, v87, v231
	v_mul_i32_i24_e32 v158, v112, v241
	s_delay_alu instid0(VALU_DEP_1) | instskip(SKIP_2) | instid1(VALU_DEP_1)
	v_add3_u32 v108, v108, v149, v158
	v_mul_i32_i24_e32 v149, v87, v233
	v_mul_i32_i24_e32 v158, v112, v243
	v_add3_u32 v109, v109, v149, v158
	v_mul_i32_i24_e32 v149, v114, v150
	v_mul_i32_i24_e32 v158, v89, v186
	;; [unrolled: 1-line block ×3, first 2 shown]
	s_delay_alu instid0(VALU_DEP_2) | instskip(SKIP_1) | instid1(VALU_DEP_1)
	v_add3_u32 v110, v110, v149, v158
	v_ashrrev_i32_e32 v149, 24, v92
	v_mul_i32_i24_e32 v158, v149, v235
	s_delay_alu instid0(VALU_DEP_1) | instskip(SKIP_2) | instid1(VALU_DEP_1)
	v_add3_u32 v56, v56, v158, v91
	v_mul_i32_i24_e32 v91, v111, v239
	v_mul_i32_i24_e32 v158, v149, v240
	v_add3_u32 v85, v85, v158, v91
	v_mul_i32_i24_e32 v91, v160, v150
	v_mul_i32_i24_e32 v150, v99, v186
	s_delay_alu instid0(VALU_DEP_1) | instskip(SKIP_2) | instid1(VALU_DEP_2)
	v_add3_u32 v90, v90, v91, v150
	v_mul_i32_i24_e32 v91, v115, v167
	v_ashrrev_i32_e32 v115, 24, v172
	v_add3_u32 v55, v55, v113, v91
	v_bfe_i32 v113, v172, 0, 8
	s_delay_alu instid0(VALU_DEP_3) | instskip(NEXT) | instid1(VALU_DEP_2)
	v_mul_i32_i24_e32 v150, v115, v235
	v_mul_i32_i24_e32 v91, v113, v236
	s_delay_alu instid0(VALU_DEP_1) | instskip(SKIP_2) | instid1(VALU_DEP_1)
	v_add3_u32 v91, v108, v150, v91
	v_mul_i32_i24_e32 v108, v113, v239
	v_mul_i32_i24_e32 v150, v115, v240
	v_add3_u32 v108, v109, v150, v108
	v_mul_i32_i24_e32 v109, v57, v147
	v_mul_i32_i24_e32 v150, v74, v146
	;; [unrolled: 1-line block ×4, first 2 shown]
	s_delay_alu instid0(VALU_DEP_3) | instskip(SKIP_2) | instid1(VALU_DEP_2)
	v_add3_u32 v109, v110, v109, v150
	v_mul_i32_i24_e32 v110, v114, v166
	v_bfe_i32 v114, v92, 16, 8
	v_add3_u32 v44, v44, v110, v89
	v_bfe_i32 v110, v92, 8, 8
	s_delay_alu instid0(VALU_DEP_3) | instskip(NEXT) | instid1(VALU_DEP_3)
	v_mul_i32_i24_e32 v92, v114, v232
	v_add3_u32 v44, v44, v57, v74
	s_delay_alu instid0(VALU_DEP_3) | instskip(NEXT) | instid1(VALU_DEP_1)
	v_mul_i32_i24_e32 v89, v110, v218
	v_add3_u32 v56, v56, v89, v92
	v_mul_i32_i24_e32 v89, v110, v220
	v_mul_i32_i24_e32 v92, v114, v234
	s_delay_alu instid0(VALU_DEP_1) | instskip(SKIP_4) | instid1(VALU_DEP_3)
	v_add3_u32 v85, v85, v89, v92
	v_mul_i32_i24_e32 v89, v87, v147
	v_mul_i32_i24_e32 v92, v112, v146
	v_bfe_i32 v146, v172, 16, 8
	v_mul_i32_i24_e32 v87, v87, v159
	v_add3_u32 v92, v90, v89, v92
	v_mul_i32_i24_e32 v89, v160, v166
	v_mul_i32_i24_e32 v90, v99, v192
	v_bfe_i32 v99, v172, 8, 8
	s_delay_alu instid0(VALU_DEP_2) | instskip(NEXT) | instid1(VALU_DEP_2)
	v_add3_u32 v55, v55, v89, v90
	v_mul_i32_i24_e32 v89, v99, v218
	v_mul_i32_i24_e32 v90, v146, v232
	s_delay_alu instid0(VALU_DEP_1) | instskip(SKIP_2) | instid1(VALU_DEP_1)
	v_add3_u32 v147, v91, v89, v90
	v_mul_i32_i24_e32 v89, v99, v220
	v_mul_i32_i24_e32 v90, v146, v234
	v_add3_u32 v108, v108, v89, v90
	v_mul_i32_i24_e32 v89, v111, v143
	v_mul_i32_i24_e32 v90, v149, v142
	;; [unrolled: 1-line block ×3, first 2 shown]
	s_delay_alu instid0(VALU_DEP_2) | instskip(SKIP_4) | instid1(VALU_DEP_2)
	v_add3_u32 v109, v109, v90, v89
	ds_load_2addr_b32 v[89:90], v1 offset1:3
	s_wait_dscnt 0x0
	v_bfe_i32 v1, v90, 8, 8
	v_ashrrev_i32_e32 v57, 24, v90
	v_mul_i32_i24_e32 v74, v1, v224
	s_delay_alu instid0(VALU_DEP_2) | instskip(NEXT) | instid1(VALU_DEP_1)
	v_mul_i32_i24_e32 v91, v57, v223
	v_add3_u32 v56, v56, v91, v74
	v_mul_i32_i24_e32 v74, v1, v225
	v_mul_i32_i24_e32 v91, v57, v226
	s_delay_alu instid0(VALU_DEP_1) | instskip(SKIP_4) | instid1(VALU_DEP_3)
	v_add3_u32 v74, v85, v91, v74
	v_mul_i32_i24_e32 v85, v113, v143
	v_mul_i32_i24_e32 v91, v115, v142
	;; [unrolled: 1-line block ×4, first 2 shown]
	v_add3_u32 v85, v92, v91, v85
	v_mul_i32_i24_e32 v91, v112, v154
	s_delay_alu instid0(VALU_DEP_1)
	v_add3_u32 v55, v55, v87, v91
	ds_load_2addr_b32 v[91:92], v93 offset1:3
	v_add3_u32 v55, v55, v115, v113
	s_wait_dscnt 0x0
	v_bfe_i32 v87, v92, 8, 8
	v_ashrrev_i32_e32 v112, 24, v92
	v_bfe_i32 v113, v92, 0, 8
	v_bfe_i32 v92, v92, 16, 8
	s_delay_alu instid0(VALU_DEP_4) | instskip(NEXT) | instid1(VALU_DEP_4)
	v_mul_i32_i24_e32 v93, v87, v224
	v_mul_i32_i24_e32 v142, v112, v223
	v_mul_i32_i24_e32 v143, v112, v226
	v_mul_i32_i24_e32 v115, v113, v210
	s_delay_alu instid0(VALU_DEP_3) | instskip(SKIP_1) | instid1(VALU_DEP_1)
	v_add3_u32 v93, v147, v142, v93
	v_mul_i32_i24_e32 v142, v87, v225
	v_add3_u32 v108, v108, v143, v142
	v_mul_i32_i24_e32 v142, v114, v136
	v_mul_i32_i24_e32 v143, v110, v183
	;; [unrolled: 1-line block ×5, first 2 shown]
	s_delay_alu instid0(VALU_DEP_4) | instskip(SKIP_1) | instid1(VALU_DEP_1)
	v_add3_u32 v109, v109, v143, v142
	v_mul_i32_i24_e32 v142, v149, v169
	v_add3_u32 v44, v44, v142, v111
	v_bfe_i32 v111, v90, 0, 8
	v_bfe_i32 v90, v90, 16, 8
	s_delay_alu instid0(VALU_DEP_3) | instskip(NEXT) | instid1(VALU_DEP_3)
	v_add3_u32 v44, v44, v110, v114
	v_mul_i32_i24_e32 v142, v111, v210
	s_delay_alu instid0(VALU_DEP_3) | instskip(SKIP_2) | instid1(VALU_DEP_3)
	v_mul_i32_i24_e32 v143, v90, v217
	v_bfe_i32 v110, v86, 0, 8
	v_ashrrev_i32_e32 v114, 24, v86
	v_add3_u32 v56, v56, v142, v143
	v_mul_i32_i24_e32 v142, v111, v211
	v_mul_i32_i24_e32 v143, v90, v219
	s_delay_alu instid0(VALU_DEP_1) | instskip(SKIP_2) | instid1(VALU_DEP_2)
	v_add3_u32 v74, v74, v142, v143
	v_mul_i32_i24_e32 v142, v99, v183
	v_mul_i32_i24_e32 v99, v99, v182
	v_add3_u32 v85, v85, v142, v136
	v_mul_i32_i24_e32 v136, v92, v217
	s_delay_alu instid0(VALU_DEP_1) | instskip(SKIP_2) | instid1(VALU_DEP_1)
	v_add3_u32 v93, v93, v115, v136
	v_mul_i32_i24_e32 v115, v113, v211
	v_mul_i32_i24_e32 v136, v92, v219
	v_add3_u32 v108, v108, v115, v136
	v_mul_i32_i24_e32 v115, v57, v155
	v_mul_i32_i24_e32 v136, v1, v179
	;; [unrolled: 1-line block ×4, first 2 shown]
	s_delay_alu instid0(VALU_DEP_3) | instskip(SKIP_2) | instid1(VALU_DEP_4)
	v_add3_u32 v109, v109, v115, v136
	v_mul_i32_i24_e32 v115, v110, v214
	v_mul_i32_i24_e32 v136, v114, v213
	v_add3_u32 v1, v44, v57, v1
	v_bfe_i32 v44, v86, 8, 8
	v_bfe_i32 v57, v86, 16, 8
	s_delay_alu instid0(VALU_DEP_4) | instskip(SKIP_3) | instid1(VALU_DEP_2)
	v_add3_u32 v56, v56, v136, v115
	v_mul_i32_i24_e32 v115, v110, v215
	v_mul_i32_i24_e32 v136, v114, v216
	;; [unrolled: 1-line block ×3, first 2 shown]
	v_add3_u32 v74, v74, v136, v115
	v_mul_i32_i24_e32 v115, v112, v155
	v_mul_i32_i24_e32 v136, v87, v179
	v_mul_i32_i24_e32 v87, v87, v184
	s_delay_alu instid0(VALU_DEP_2) | instskip(SKIP_2) | instid1(VALU_DEP_2)
	v_add3_u32 v85, v85, v115, v136
	v_mul_i32_i24_e32 v115, v146, v164
	v_ashrrev_i32_e32 v136, 24, v88
	v_add3_u32 v55, v55, v99, v115
	v_bfe_i32 v99, v88, 0, 8
	s_delay_alu instid0(VALU_DEP_3) | instskip(NEXT) | instid1(VALU_DEP_2)
	v_mul_i32_i24_e32 v142, v136, v213
	v_mul_i32_i24_e32 v115, v99, v214
	s_delay_alu instid0(VALU_DEP_1) | instskip(SKIP_2) | instid1(VALU_DEP_1)
	v_add3_u32 v93, v93, v142, v115
	v_mul_i32_i24_e32 v115, v99, v215
	v_mul_i32_i24_e32 v142, v136, v216
	v_add3_u32 v108, v108, v142, v115
	v_mul_i32_i24_e32 v115, v111, v151
	v_mul_i32_i24_e32 v142, v90, v148
	;; [unrolled: 1-line block ×3, first 2 shown]
	s_delay_alu instid0(VALU_DEP_2) | instskip(SKIP_1) | instid1(VALU_DEP_1)
	v_add3_u32 v109, v109, v115, v142
	v_mul_i32_i24_e32 v115, v57, v209
	v_add3_u32 v56, v56, v86, v115
	v_mul_i32_i24_e32 v86, v44, v208
	v_mul_i32_i24_e32 v115, v57, v212
	s_delay_alu instid0(VALU_DEP_1) | instskip(SKIP_3) | instid1(VALU_DEP_2)
	v_add3_u32 v74, v74, v86, v115
	v_mul_i32_i24_e32 v86, v113, v151
	v_mul_i32_i24_e32 v115, v92, v148
	;; [unrolled: 1-line block ×3, first 2 shown]
	v_add3_u32 v85, v85, v86, v115
	v_mul_i32_i24_e32 v86, v112, v156
	s_delay_alu instid0(VALU_DEP_1) | instskip(SKIP_2) | instid1(VALU_DEP_2)
	v_add3_u32 v55, v55, v86, v87
	v_bfe_i32 v86, v88, 8, 8
	v_bfe_i32 v87, v88, 16, 8
	v_mul_i32_i24_e32 v88, v86, v205
	s_delay_alu instid0(VALU_DEP_2) | instskip(NEXT) | instid1(VALU_DEP_1)
	v_mul_i32_i24_e32 v112, v87, v209
	v_add3_u32 v88, v93, v88, v112
	v_mul_i32_i24_e32 v93, v86, v208
	v_mul_i32_i24_e32 v112, v87, v212
	s_delay_alu instid0(VALU_DEP_1) | instskip(SKIP_3) | instid1(VALU_DEP_2)
	v_add3_u32 v93, v108, v93, v112
	v_mul_i32_i24_e32 v108, v110, v145
	v_mul_i32_i24_e32 v112, v114, v144
	;; [unrolled: 1-line block ×3, first 2 shown]
	v_add3_u32 v108, v109, v112, v108
	v_mul_i32_i24_e32 v109, v111, v152
	s_delay_alu instid0(VALU_DEP_1) | instskip(SKIP_2) | instid1(VALU_DEP_2)
	v_add3_u32 v1, v1, v109, v90
	v_bfe_i32 v90, v89, 0, 8
	v_bfe_i32 v109, v89, 8, 8
	v_mul_i32_i24_e32 v111, v90, v131
	s_delay_alu instid0(VALU_DEP_2) | instskip(NEXT) | instid1(VALU_DEP_1)
	v_mul_i32_i24_e32 v112, v109, v130
	v_add3_u32 v56, v56, v111, v112
	v_mul_i32_i24_e32 v111, v90, v134
	v_mul_i32_i24_e32 v112, v109, v135
	s_delay_alu instid0(VALU_DEP_1) | instskip(SKIP_3) | instid1(VALU_DEP_2)
	v_add3_u32 v74, v74, v111, v112
	v_mul_i32_i24_e32 v111, v99, v145
	v_mul_i32_i24_e32 v112, v136, v144
	v_mul_i32_i24_e32 v99, v99, v162
	v_add3_u32 v85, v85, v112, v111
	v_mul_i32_i24_e32 v111, v113, v152
	v_bfe_i32 v112, v91, 8, 8
	s_delay_alu instid0(VALU_DEP_2) | instskip(SKIP_1) | instid1(VALU_DEP_3)
	v_add3_u32 v55, v55, v111, v92
	v_bfe_i32 v92, v91, 0, 8
	v_mul_i32_i24_e32 v113, v112, v130
	s_delay_alu instid0(VALU_DEP_2) | instskip(NEXT) | instid1(VALU_DEP_1)
	v_mul_i32_i24_e32 v111, v92, v131
	v_add3_u32 v88, v88, v111, v113
	v_mul_i32_i24_e32 v111, v92, v134
	v_mul_i32_i24_e32 v113, v112, v135
	s_delay_alu instid0(VALU_DEP_1)
	v_add3_u32 v93, v93, v111, v113
	v_mul_i32_i24_e32 v111, v57, v141
	v_mul_i32_i24_e32 v113, v44, v177
	;; [unrolled: 1-line block ×5, first 2 shown]
	s_delay_alu instid0(VALU_DEP_4) | instskip(SKIP_1) | instid1(VALU_DEP_1)
	v_add3_u32 v108, v108, v113, v111
	v_mul_i32_i24_e32 v111, v114, v163
	v_add3_u32 v1, v1, v111, v110
	v_bfe_i32 v110, v89, 16, 8
	v_ashrrev_i32_e32 v89, 24, v89
	s_delay_alu instid0(VALU_DEP_3) | instskip(NEXT) | instid1(VALU_DEP_3)
	v_add3_u32 v1, v1, v44, v57
	v_mul_i32_i24_e32 v111, v110, v128
	s_delay_alu instid0(VALU_DEP_3) | instskip(SKIP_2) | instid1(VALU_DEP_3)
	v_mul_i32_i24_e32 v113, v89, v129
	v_mul_i32_i24_e32 v44, v127, v92
	;; [unrolled: 1-line block ×3, first 2 shown]
	v_add3_u32 v56, v56, v111, v113
	v_mul_i32_i24_e32 v111, v110, v132
	v_mul_i32_i24_e32 v113, v89, v133
	s_delay_alu instid0(VALU_DEP_3) | instskip(NEXT) | instid1(VALU_DEP_2)
	v_cvt_f32_i32_e32 v56, v56
	v_add3_u32 v74, v74, v111, v113
	v_mul_i32_i24_e32 v111, v87, v141
	v_mul_i32_i24_e32 v113, v86, v177
	s_delay_alu instid0(VALU_DEP_3) | instskip(NEXT) | instid1(VALU_DEP_2)
	v_cvt_f32_i32_e32 v74, v74
	v_add3_u32 v85, v85, v113, v111
	v_mul_i32_i24_e32 v111, v136, v163
	s_delay_alu instid0(VALU_DEP_1) | instskip(SKIP_2) | instid1(VALU_DEP_2)
	v_add3_u32 v55, v55, v111, v99
	v_bfe_i32 v99, v91, 16, 8
	v_ashrrev_i32_e32 v91, 24, v91
	v_mul_i32_i24_e32 v111, v99, v128
	s_delay_alu instid0(VALU_DEP_2) | instskip(NEXT) | instid1(VALU_DEP_1)
	v_mul_i32_i24_e32 v113, v91, v129
	v_add3_u32 v88, v88, v111, v113
	v_mul_i32_i24_e32 v111, v99, v132
	v_mul_i32_i24_e32 v113, v91, v133
	s_delay_alu instid0(VALU_DEP_1) | instskip(SKIP_3) | instid1(VALU_DEP_4)
	v_add3_u32 v93, v93, v111, v113
	v_mul_i32_i24_e32 v113, v20, v109
	v_mul_i32_i24_e32 v20, v20, v112
	;; [unrolled: 1-line block ×3, first 2 shown]
	v_cvt_f32_i32_e32 v86, v93
	s_delay_alu instid0(VALU_DEP_3) | instskip(SKIP_1) | instid1(VALU_DEP_4)
	v_add3_u32 v20, v85, v44, v20
	v_mul_i32_i24_e32 v44, v87, v157
	v_add3_u32 v108, v108, v111, v113
	s_delay_alu instid0(VALU_DEP_2) | instskip(SKIP_2) | instid1(VALU_DEP_1)
	v_add3_u32 v21, v55, v21, v44
	v_mul_i32_i24_e32 v44, v125, v110
	v_mul_i32_i24_e32 v55, v126, v89
	v_add3_u32 v44, v108, v44, v55
	v_mul_i32_i24_e32 v55, v139, v90
	s_delay_alu instid0(VALU_DEP_2) | instskip(NEXT) | instid1(VALU_DEP_2)
	v_cvt_f32_i32_e32 v44, v44
	v_add3_u32 v1, v1, v55, v57
	v_mul_i32_i24_e32 v55, v125, v99
	v_mul_i32_i24_e32 v57, v126, v91
	s_delay_alu instid0(VALU_DEP_1) | instskip(SKIP_2) | instid1(VALU_DEP_3)
	v_add3_u32 v55, v20, v55, v57
	v_mul_i32_i24_e32 v20, v139, v92
	v_mul_i32_i24_e32 v57, v140, v112
	v_cvt_f32_i32_e32 v55, v55
	s_delay_alu instid0(VALU_DEP_2) | instskip(SKIP_2) | instid1(VALU_DEP_1)
	v_add3_u32 v20, v21, v20, v57
	v_mul_i32_i24_e32 v21, v137, v110
	v_mul_i32_i24_e32 v57, v138, v89
	v_add3_u32 v1, v1, v21, v57
	v_mul_i32_i24_e32 v21, v137, v99
	v_mul_i32_i24_e32 v57, v138, v91
	s_delay_alu instid0(VALU_DEP_3) | instskip(NEXT) | instid1(VALU_DEP_2)
	v_cvt_f32_i32_e32 v1, v1
	v_add3_u32 v57, v20, v21, v57
	ds_load_2addr_b32 v[20:21], v118 offset0:192 offset1:224
	v_add_nc_u32_e32 v118, 4, v118
	v_cvt_f32_i32_e32 v57, v57
	s_wait_dscnt 0x0
	v_lshrrev_b32_e32 v85, 16, v20
	s_delay_alu instid0(VALU_DEP_1) | instskip(NEXT) | instid1(VALU_DEP_1)
	v_cvt_f32_f16_e32 v85, v85
	v_mul_f32_e32 v85, 0x41000000, v85
	s_delay_alu instid0(VALU_DEP_1)
	v_fma_mix_f32 v56, v20, v56, -v85 op_sel_hi:[1,0,0]
	v_fma_mix_f32 v74, v20, v74, -v85 op_sel_hi:[1,0,0]
	v_fma_mix_f32 v44, v20, v44, -v85 op_sel_hi:[1,0,0]
	v_fma_mix_f32 v1, v20, v1, -v85 op_sel_hi:[1,0,0]
	v_lshrrev_b32_e32 v20, 16, v21
	v_cvt_f32_i32_e32 v85, v88
	s_delay_alu instid0(VALU_DEP_3) | instskip(NEXT) | instid1(VALU_DEP_3)
	v_fmac_f32_e32 v32, v124, v1
	v_cvt_f32_f16_e32 v20, v20
	s_delay_alu instid0(VALU_DEP_1) | instskip(NEXT) | instid1(VALU_DEP_1)
	v_mul_f32_e32 v20, 0x41000000, v20
	v_fma_mix_f32 v85, v21, v85, -v20 op_sel_hi:[1,0,0]
	v_fma_mix_f32 v86, v21, v86, -v20 op_sel_hi:[1,0,0]
	v_fma_mix_f32 v55, v21, v55, -v20 op_sel_hi:[1,0,0]
	v_fma_mix_f32 v20, v21, v57, -v20 op_sel_hi:[1,0,0]
	ds_load_b32 v21, v121
	v_dual_fmac_f32 v28, v124, v20 :: v_dual_add_nc_u32 v121, 4, v121
	s_wait_dscnt 0x0
	v_fmac_f32_e32 v39, v21, v2
	ds_load_b32 v2, v122
	v_fmac_f32_e32 v70, v21, v196
	v_fmac_f32_e32 v50, v21, v103
	;; [unrolled: 1-line block ×7, first 2 shown]
	s_wait_dscnt 0x0
	v_dual_fmac_f32 v69, v2, v25 :: v_dual_add_nc_u32 v122, 4, v122
	v_fmac_f32_e32 v49, v2, v101
	v_fmac_f32_e32 v42, v2, v98
	;; [unrolled: 1-line block ×7, first 2 shown]
	ds_load_b32 v2, v119
	v_add_nc_u32_e32 v119, 4, v119
	s_wait_dscnt 0x0
	v_fmac_f32_e32 v46, v2, v23
	v_fmac_f32_e32 v67, v2, v194
	;; [unrolled: 1-line block ×8, first 2 shown]
	s_cbranch_scc1 .LBB158_9
; %bb.10:                               ;   in Loop: Header=BB158_7 Depth=1
	s_and_b32 s10, s7, -4
	s_wait_loadcnt 0x0
	s_wait_alu 0xfffe
	s_cmp_eq_u32 s10, 4
	s_barrier_signal -1
	s_barrier_wait -1
	global_inv scope:SCOPE_SE
	s_cbranch_scc1 .LBB158_5
; %bb.11:                               ;   in Loop: Header=BB158_7 Depth=1
	s_clause 0x3
	scratch_load_b32 v0, off, off offset:200
	scratch_load_b32 v1, off, off offset:4
	;; [unrolled: 1-line block ×4, first 2 shown]
	v_dual_mov_b32 v82, v76 :: v_dual_mov_b32 v15, v75
	v_dual_mov_b32 v76, v4 :: v_dual_mov_b32 v11, v63
	scratch_load_b32 v4, off, off offset:16 ; 4-byte Folded Reload
	v_dual_mov_b32 v16, v10 :: v_dual_mov_b32 v83, v9
	v_dual_mov_b32 v80, v7 :: v_dual_mov_b32 v13, v72
	;; [unrolled: 1-line block ×6, first 2 shown]
	v_mad_u32_u24 v122, 0x84, v59, 64
	s_mov_b32 s10, 12
	s_wait_loadcnt 0x4
	v_dual_mov_b32 v9, v59 :: v_dual_add_nc_u32 v0, s4, v0
	v_mov_b32_e32 v72, v62
	s_wait_loadcnt 0x1
	s_delay_alu instid0(VALU_DEP_2)
	v_dual_mov_b32 v10, v61 :: v_dual_add_nc_u32 v3, v0, v3
	v_add_nc_u32_e32 v1, v0, v1
	v_add_nc_u32_e32 v2, v0, v2
	s_wait_loadcnt 0x0
	v_add_nc_u32_e32 v17, v0, v4
	v_mad_co_i64_i32 v[24:25], null, v3, 36, v[18:19]
	v_mad_co_i64_i32 v[20:21], null, v1, 36, v[18:19]
	s_clause 0x1
	scratch_load_b32 v1, off, off offset:20
	scratch_load_b32 v3, off, off offset:28
	v_mad_co_i64_i32 v[22:23], null, v2, 36, v[18:19]
	scratch_load_b32 v2, off, off offset:32 ; 4-byte Folded Reload
	v_mad_co_i64_i32 v[85:86], null, v17, 36, v[18:19]
	s_wait_loadcnt 0x2
	v_add_nc_u32_e32 v1, v0, v1
	s_delay_alu instid0(VALU_DEP_1) | instskip(SKIP_3) | instid1(VALU_DEP_1)
	v_mad_co_i64_i32 v[87:88], null, v1, 36, v[18:19]
	scratch_load_b32 v1, off, off offset:24 ; 4-byte Folded Reload
	s_wait_loadcnt 0x1
	v_add_nc_u32_e32 v2, v0, v2
	v_mad_co_i64_i32 v[89:90], null, v2, 36, v[18:19]
	v_add_nc_u32_e32 v2, 4, v116
	s_delay_alu instid0(VALU_DEP_1) | instskip(SKIP_3) | instid1(VALU_DEP_2)
	v_mad_co_u64_u32 v[96:97], null, v2, 36, s[2:3]
	s_wait_loadcnt 0x0
	v_add_nc_u32_e32 v1, v0, v1
	v_add_nc_u32_e32 v0, v0, v3
	v_mad_co_i64_i32 v[91:92], null, v1, 36, v[18:19]
	s_delay_alu instid0(VALU_DEP_2)
	v_mad_co_i64_i32 v[94:95], null, v0, 36, v[18:19]
	s_clause 0x8
	global_load_b32 v0, v[89:90], off offset:4
	global_load_b32 v1, v[20:21], off offset:4
	;; [unrolled: 1-line block ×8, first 2 shown]
	global_load_b32 v23, v[96:97], off
	s_clause 0x6
	scratch_load_b32 v116, off, off offset:36
	scratch_load_b32 v117, off, off offset:40
	;; [unrolled: 1-line block ×7, first 2 shown]
	s_wait_loadcnt 0x0
	ds_store_b32 v4, v0
	scratch_load_b32 v0, off, off offset:44 ; 4-byte Folded Reload
	s_wait_loadcnt 0x0
	ds_store_b32 v0, v1
	scratch_load_b32 v0, off, off offset:48 ; 4-byte Folded Reload
	;; [unrolled: 3-line block ×7, first 2 shown]
	s_wait_loadcnt 0x0
	ds_store_b32 v0, v22
	scratch_load_b32 v0, off, off           ; 4-byte Folded Reload
	s_wait_loadcnt 0x0
	ds_store_b32 v0, v23
	s_wait_dscnt 0x0
	s_barrier_signal -1
	s_barrier_wait -1
	global_inv scope:SCOPE_SE
.LBB158_12:                             ;   Parent Loop BB158_7 Depth=1
                                        ; =>  This Inner Loop Header: Depth=2
	ds_load_2addr_b32 v[20:21], v117 offset0:4 offset1:7
	ds_load_2addr_b32 v[85:86], v122 offset1:1
	ds_load_2addr_b32 v[87:88], v117 offset1:3
	ds_load_b32 v123, v119
	ds_load_2addr_b32 v[89:90], v117 offset0:1 offset1:2
	ds_load_2addr_b32 v[91:92], v117 offset0:5 offset1:6
	;; [unrolled: 1-line block ×3, first 2 shown]
	v_add_nc_u32_e32 v115, 0x404, v117
	v_add_nc_u32_e32 v151, 0x400, v117
	;; [unrolled: 1-line block ×3, first 2 shown]
	s_wait_alu 0xfffe
	s_add_co_i32 s10, s10, 4
	s_wait_alu 0xfffe
	s_cmp_lt_u32 s10, 28
	s_wait_dscnt 0x6
	v_bfe_i32 v1, v20, 16, 8
	s_wait_dscnt 0x5
	v_bfe_u32 v167, v85, 20, 4
	s_wait_dscnt 0x4
	v_bfe_i32 v2, v87, 16, 8
	v_bfe_u32 v124, v85, 16, 4
	s_wait_dscnt 0x2
	v_bfe_i32 v3, v89, 16, 8
	v_bfe_u32 v159, v86, 16, 4
	v_mul_i32_i24_e32 v0, v167, v1
	s_wait_dscnt 0x1
	v_bfe_i32 v17, v91, 16, 8
	v_bfe_u32 v148, v86, 20, 4
	v_lshrrev_b32_e32 v171, 28, v85
	v_mul_i32_i24_e32 v22, v3, v159
	v_mad_i32_i24 v0, v124, v2, v0
	v_ashrrev_i32_e32 v44, 24, v20
	v_mul_i32_i24_e32 v23, v17, v148
	v_bfe_u32 v125, v85, 24, 4
	v_ashrrev_i32_e32 v45, 24, v87
	v_bfe_u32 v170, v86, 24, 4
	v_lshrrev_b32_e32 v157, 28, v86
	v_add3_u32 v22, v0, v22, v23
	v_mul_i32_i24_e32 v0, v171, v44
	v_ashrrev_i32_e32 v53, 24, v89
	v_ashrrev_i32_e32 v55, 24, v91
	v_bfe_i32 v56, v20, 0, 8
	v_bfe_u32 v174, v85, 4, 4
	v_mad_i32_i24 v0, v125, v45, v0
	v_mul_i32_i24_e32 v23, v53, v170
	v_mul_i32_i24_e32 v24, v55, v157
	v_bfe_i32 v57, v87, 0, 8
	v_and_b32_e32 v126, 15, v85
	v_bfe_i32 v74, v89, 0, 8
	v_and_b32_e32 v164, 15, v86
	v_add3_u32 v23, v0, v23, v24
	v_mul_i32_i24_e32 v0, v174, v56
	v_bfe_i32 v93, v91, 0, 8
	v_bfe_u32 v160, v86, 4, 4
	v_mul_i32_i24_e32 v24, v74, v164
	s_wait_dscnt 0x0
	v_bfe_u32 v149, v94, 24, 4
	v_mad_i32_i24 v0, v126, v57, v0
	v_lshrrev_b32_e32 v141, 28, v94
	v_mul_i32_i24_e32 v25, v93, v160
	v_ashrrev_i32_e32 v98, 24, v90
	v_bfe_i32 v108, v90, 16, 8
	v_bfe_u32 v145, v94, 16, 4
	v_bfe_i32 v109, v92, 16, 8
	v_add3_u32 v24, v0, v24, v25
	v_ashrrev_i32_e32 v0, 24, v92
	v_mul_i32_i24_e32 v25, v98, v149
	v_bfe_u32 v135, v94, 20, 4
	v_bfe_i32 v111, v90, 0, 8
	v_and_b32_e32 v146, 15, v94
	v_mul_i32_i24_e32 v96, v0, v141
	v_bfe_i32 v112, v92, 0, 8
	v_bfe_u32 v142, v94, 4, 4
	v_lshrrev_b16 v20, 8, v20
	v_bfe_i32 v254, v88, 16, 8
	v_add3_u32 v99, v23, v25, v96
	v_mul_i32_i24_e32 v23, v108, v145
	v_mul_i32_i24_e32 v25, v109, v135
	v_bfe_i32 v191, v20, 0, 8
	v_and_b32_e32 v20, 0xf0f0f0f, v86
	v_bfe_u32 v147, v95, 16, 4
	v_bfe_i32 v255, v21, 16, 8
	v_add3_u32 v110, v22, v23, v25
	v_mul_i32_i24_e32 v22, v111, v146
	v_mul_i32_i24_e32 v23, v112, v142
	v_bfe_u32 v140, v95, 20, 4
	v_bfe_u32 v154, v95, 24, 4
	v_lshrrev_b32_e32 v143, 28, v95
	v_ashrrev_i32_e32 v59, 24, v88
	v_add3_u32 v113, v24, v22, v23
	v_lshrrev_b16 v22, 8, v87
	v_add_nc_u32_e32 v23, 0x2108, v122
	v_add_nc_u32_e32 v24, 0x1088, v122
	v_ashrrev_i32_e32 v4, 24, v21
	v_bfe_i32 v215, v88, 0, 8
	v_bfe_i32 v87, v22, 0, 8
	v_add_nc_u32_e32 v22, 0x2100, v122
	ds_load_2addr_b32 v[96:97], v22 offset1:1
	ds_load_2addr_b32 v[22:23], v23 offset1:1
	;; [unrolled: 1-line block ×3, first 2 shown]
	v_and_b32_e32 v150, 15, v95
	v_bfe_i32 v60, v21, 0, 8
	v_bfe_u32 v144, v95, 4, 4
	v_lshrrev_b32_e32 v86, 4, v86
	v_bfe_i32 v90, v90, 8, 8
	v_bfe_i32 v92, v92, 8, 8
	;; [unrolled: 1-line block ×3, first 2 shown]
	s_delay_alu instid0(VALU_DEP_4) | instskip(NEXT) | instid1(VALU_DEP_1)
	v_lshrrev_b16 v86, 8, v86
	v_and_b32_e32 v86, 15, v86
	s_wait_dscnt 0x2
	v_and_b32_e32 v130, 15, v96
	v_bfe_u32 v129, v96, 8, 4
	v_bfe_u32 v127, v96, 16, 4
	;; [unrolled: 1-line block ×3, first 2 shown]
	s_wait_dscnt 0x0
	v_bfe_u32 v153, v100, 16, 4
	v_mul_i32_i24_e32 v24, v57, v130
	v_and_b32_e32 v158, 15, v100
	v_mul_i32_i24_e32 v25, v2, v127
	v_mul_i32_i24_e32 v102, v45, v128
	v_bfe_u32 v165, v100, 24, 4
	v_mad_i32_i24 v24, v87, v129, v24
	v_bfe_u32 v198, v96, 4, 4
	v_bfe_u32 v200, v96, 12, 4
	v_lshrrev_b32_e32 v168, 28, v100
	v_bfe_u32 v155, v101, 24, 4
	v_add3_u32 v114, v24, v25, v102
	v_add_nc_u32_e32 v24, 0x3180, v122
	v_add_nc_u32_e32 v25, 0x3188, v122
	ds_load_2addr_b32 v[102:103], v24 offset1:1
	ds_load_2addr_b32 v[24:25], v25 offset1:1
	;; [unrolled: 1-line block ×3, first 2 shown]
	ds_load_2addr_b32 v[192:193], v151 offset0:4 offset1:7
	ds_load_2addr_b32 v[207:208], v151 offset1:3
	v_bfe_u32 v169, v100, 4, 4
	v_bfe_u32 v203, v96, 20, 4
	v_lshrrev_b32_e32 v202, 28, v96
	v_bfe_u32 v227, v97, 8, 4
	v_bfe_u32 v226, v97, 24, 4
	v_and_b32_e32 v220, 15, v97
	v_bfe_u32 v241, v97, 16, 4
	v_bfe_u32 v250, v97, 4, 4
	v_lshrrev_b32_e32 v249, 28, v97
	v_bfe_u32 v236, v97, 12, 4
	v_bfe_u32 v248, v97, 20, 4
	;; [unrolled: 1-line block ×4, first 2 shown]
	v_mul_i32_i24_e32 v97, v55, v249
	v_and_b32_e32 v230, 15, v22
	s_wait_dscnt 0x4
	v_and_b32_e32 v133, 15, v102
	v_bfe_u32 v134, v102, 8, 4
	v_bfe_u32 v131, v102, 16, 4
	;; [unrolled: 1-line block ×3, first 2 shown]
	s_wait_dscnt 0x2
	v_bfe_i32 v197, v182, 16, 8
	v_mul_i32_i24_e32 v115, v57, v133
	s_wait_dscnt 0x1
	v_bfe_i32 v156, v192, 16, 8
	v_mul_i32_i24_e32 v136, v2, v131
	v_mul_i32_i24_e32 v137, v45, v132
	v_bfe_i32 v209, v183, 16, 8
	v_mad_i32_i24 v115, v87, v134, v115
	v_bfe_i32 v210, v182, 0, 8
	v_bfe_i32 v178, v192, 0, 8
	v_bfe_i32 v212, v183, 0, 8
	v_mul_i32_i24_e32 v138, v209, v153
	v_add3_u32 v115, v115, v136, v137
	v_add_nc_u32_e32 v136, 0x1080, v122
	v_add_nc_u32_e32 v137, 0x414, v117
	v_ashrrev_i32_e32 v181, 24, v182
	v_ashrrev_i32_e32 v188, 24, v192
	v_ashrrev_i32_e32 v214, 24, v183
	ds_load_2addr_b32 v[161:162], v136 offset1:1
	ds_load_2addr_b32 v[194:195], v137 offset1:1
	v_bfe_u32 v196, v102, 4, 4
	v_bfe_u32 v199, v102, 12, 4
	s_wait_dscnt 0x2
	v_bfe_i32 v5, v208, 0, 8
	v_bfe_i32 v61, v208, 16, 8
	v_mul_i32_i24_e32 v96, v156, v203
	v_bfe_u32 v205, v102, 20, 4
	v_lshrrev_b32_e32 v206, 28, v102
	v_bfe_i32 v6, v207, 16, 8
	v_bfe_i32 v62, v193, 16, 8
	;; [unrolled: 1-line block ×3, first 2 shown]
	v_mul_i32_i24_e32 v102, v156, v205
	v_bfe_i32 v63, v193, 0, 8
	v_ashrrev_i32_e32 v8, 24, v207
	v_ashrrev_i32_e32 v68, 24, v193
	v_bfe_u32 v228, v103, 8, 4
	v_bfe_u32 v229, v103, 24, 4
	v_and_b32_e32 v221, 15, v103
	v_bfe_u32 v243, v103, 16, 4
	s_wait_dscnt 0x1
	v_bfe_u32 v173, v162, 16, 4
	v_bfe_u32 v180, v161, 20, 4
	;; [unrolled: 1-line block ×3, first 2 shown]
	s_wait_dscnt 0x0
	v_bfe_i32 v204, v194, 16, 8
	v_and_b32_e32 v177, 15, v162
	v_mul_i32_i24_e32 v136, v197, v173
	v_bfe_u32 v186, v161, 4, 4
	v_bfe_u32 v172, v162, 4, 4
	v_mul_i32_i24_e32 v137, v204, v166
	v_bfe_i32 v211, v194, 0, 8
	v_mad_i32_i24 v136, v156, v180, v136
	v_bfe_u32 v179, v162, 24, 4
	v_lshrrev_b32_e32 v184, 28, v161
	v_lshrrev_b32_e32 v175, 28, v162
	v_ashrrev_i32_e32 v213, 24, v194
	v_add3_u32 v176, v136, v137, v138
	v_mul_i32_i24_e32 v136, v210, v177
	v_mul_i32_i24_e32 v137, v211, v172
	;; [unrolled: 1-line block ×3, first 2 shown]
	v_bfe_i32 v216, v195, 0, 8
	v_bfe_i32 v218, v195, 16, 8
	v_mad_i32_i24 v136, v178, v186, v136
	v_bfe_i32 v194, v194, 8, 8
	v_bfe_u32 v252, v103, 4, 4
	v_lshrrev_b32_e32 v253, 28, v103
	v_bfe_u32 v237, v103, 12, 4
	v_add3_u32 v152, v136, v137, v138
	v_mul_i32_i24_e32 v136, v181, v179
	v_mul_i32_i24_e32 v137, v213, v175
	;; [unrolled: 1-line block ×3, first 2 shown]
	v_bfe_u32 v251, v103, 20, 4
	v_bfe_u32 v246, v24, 8, 4
	v_mad_i32_i24 v136, v188, v184, v136
	v_bfe_u32 v247, v24, 24, 4
	v_bfe_u32 v240, v22, 16, 4
	v_and_b32_e32 v232, 15, v24
	v_bfe_u32 v242, v24, 16, 4
	v_add3_u32 v163, v136, v137, v138
	v_and_b32_e32 v136, 0xf0f0f0f, v85
	v_lshrrev_b32_e32 v85, 4, v85
	v_lshrrev_b16 v137, 8, v20
	v_and_b32_e32 v138, 15, v161
	v_bfe_u32 v235, v22, 4, 4
	v_lshrrev_b16 v136, 8, v136
	v_lshrrev_b16 v85, 8, v85
	v_and_b32_e32 v187, 0xffff, v137
	v_mul_i32_i24_e32 v57, v138, v57
	v_lshrrev_b32_e32 v234, 28, v22
	v_and_b32_e32 v20, 0xffff, v136
	v_and_b32_e32 v85, 15, v85
	v_bfe_u32 v238, v24, 4, 4
	v_lshrrev_b32_e32 v239, 28, v24
	v_bfe_u32 v231, v22, 20, 4
	v_bfe_u32 v233, v24, 20, 4
	v_and_b32_e32 v190, 0xffff, v85
	v_bfe_i32 v85, v89, 8, 8
	v_mul_i32_i24_e32 v89, v20, v87
	v_bfe_u32 v223, v23, 8, 4
	v_bfe_u32 v222, v23, 24, 4
	v_mul_i32_i24_e32 v137, v190, v191
	v_mul_i32_i24_e32 v136, v85, v187
	v_bfe_u32 v224, v25, 8, 4
	v_bfe_u32 v225, v25, 24, 4
	v_add_nc_u32_e32 v122, 16, v122
	s_delay_alu instid0(VALU_DEP_4) | instskip(SKIP_2) | instid1(VALU_DEP_1)
	v_add3_u32 v89, v89, v137, v136
	v_mul_i32_i24_e32 v136, v254, v147
	v_mul_i32_i24_e32 v137, v255, v140
	v_add3_u32 v110, v110, v136, v137
	v_mul_i32_i24_e32 v136, v59, v154
	v_mul_i32_i24_e32 v137, v4, v143
	s_delay_alu instid0(VALU_DEP_1) | instskip(SKIP_2) | instid1(VALU_DEP_1)
	v_add3_u32 v99, v99, v136, v137
	v_mul_i32_i24_e32 v136, v215, v150
	v_mul_i32_i24_e32 v137, v60, v144
	v_add3_u32 v113, v113, v136, v137
	v_mul_i32_i24_e32 v136, v56, v198
	v_mul_i32_i24_e32 v137, v191, v200
	s_delay_alu instid0(VALU_DEP_1) | instskip(SKIP_3) | instid1(VALU_DEP_2)
	v_add3_u32 v114, v114, v137, v136
	v_mul_i32_i24_e32 v136, v56, v196
	v_mul_i32_i24_e32 v137, v191, v199
	;; [unrolled: 1-line block ×3, first 2 shown]
	v_add3_u32 v115, v115, v137, v136
	v_and_b32_e32 v136, 0xf0f0f0f, v161
	v_bfe_u32 v137, v161, 24, 4
	s_delay_alu instid0(VALU_DEP_2) | instskip(NEXT) | instid1(VALU_DEP_2)
	v_lshrrev_b16 v136, 8, v136
	v_mul_i32_i24_e32 v45, v137, v45
	s_delay_alu instid0(VALU_DEP_2) | instskip(SKIP_1) | instid1(VALU_DEP_2)
	v_and_b32_e32 v139, 0xffff, v136
	v_bfe_u32 v136, v161, 16, 4
	v_mad_i32_i24 v57, v139, v87, v57
	s_delay_alu instid0(VALU_DEP_2) | instskip(NEXT) | instid1(VALU_DEP_1)
	v_mul_i32_i24_e32 v2, v136, v2
	v_add3_u32 v2, v57, v2, v45
	v_ashrrev_i32_e32 v45, 24, v195
	v_ashrrev_i32_e32 v57, 24, v208
	s_delay_alu instid0(VALU_DEP_2) | instskip(NEXT) | instid1(VALU_DEP_2)
	v_mul_i32_i24_e32 v87, v45, v168
	v_mul_i32_i24_e32 v151, v57, v155
	s_delay_alu instid0(VALU_DEP_1) | instskip(SKIP_2) | instid1(VALU_DEP_2)
	v_add3_u32 v87, v163, v87, v151
	v_and_b32_e32 v151, 15, v101
	v_mul_i32_i24_e32 v163, v216, v169
	v_mul_i32_i24_e32 v185, v5, v151
	s_delay_alu instid0(VALU_DEP_1) | instskip(SKIP_2) | instid1(VALU_DEP_2)
	v_add3_u32 v217, v152, v163, v185
	v_bfe_u32 v163, v100, 20, 4
	v_bfe_u32 v152, v101, 16, 4
	v_mul_i32_i24_e32 v185, v218, v163
	s_delay_alu instid0(VALU_DEP_2) | instskip(NEXT) | instid1(VALU_DEP_1)
	v_mul_i32_i24_e32 v189, v61, v152
	v_add3_u32 v176, v176, v185, v189
	v_lshrrev_b16 v185, 8, v192
	v_mul_i32_i24_e32 v189, v188, v202
	s_delay_alu instid0(VALU_DEP_2) | instskip(NEXT) | instid1(VALU_DEP_1)
	v_bfe_i32 v219, v185, 0, 8
	v_mul_i32_i24_e32 v185, v219, v200
	s_delay_alu instid0(VALU_DEP_1) | instskip(NEXT) | instid1(VALU_DEP_1)
	v_mad_i32_i24 v185, v178, v198, v185
	v_add3_u32 v96, v185, v96, v189
	v_mul_i32_i24_e32 v185, v219, v199
	v_mul_i32_i24_e32 v189, v188, v206
	s_delay_alu instid0(VALU_DEP_2) | instskip(NEXT) | instid1(VALU_DEP_1)
	v_mad_i32_i24 v185, v178, v196, v185
	v_add3_u32 v102, v185, v102, v189
	v_and_b32_e32 v185, 0xf0f0f0f, v94
	v_and_b32_e32 v189, 0xffff, v86
	v_bfe_i32 v86, v91, 8, 8
	v_lshrrev_b32_e32 v94, 4, v94
	s_delay_alu instid0(VALU_DEP_4) | instskip(NEXT) | instid1(VALU_DEP_3)
	v_lshrrev_b16 v185, 8, v185
	v_mul_i32_i24_e32 v192, v86, v189
	s_delay_alu instid0(VALU_DEP_3) | instskip(NEXT) | instid1(VALU_DEP_3)
	v_lshrrev_b16 v94, 8, v94
	v_and_b32_e32 v185, 0xffff, v185
	s_delay_alu instid0(VALU_DEP_2) | instskip(NEXT) | instid1(VALU_DEP_2)
	v_and_b32_e32 v94, 15, v94
	v_mul_i32_i24_e32 v91, v90, v185
	s_delay_alu instid0(VALU_DEP_1) | instskip(SKIP_2) | instid1(VALU_DEP_1)
	v_add3_u32 v89, v89, v192, v91
	v_mul_i32_i24_e32 v91, v1, v203
	v_mul_i32_i24_e32 v192, v44, v202
	v_add3_u32 v91, v114, v91, v192
	v_mul_i32_i24_e32 v114, v1, v205
	v_mul_i32_i24_e32 v192, v44, v206
	;; [unrolled: 1-line block ×4, first 2 shown]
	s_delay_alu instid0(VALU_DEP_3) | instskip(SKIP_1) | instid1(VALU_DEP_1)
	v_add3_u32 v114, v115, v114, v192
	v_lshrrev_b32_e32 v115, 4, v161
	v_lshrrev_b16 v115, 8, v115
	s_delay_alu instid0(VALU_DEP_1) | instskip(NEXT) | instid1(VALU_DEP_1)
	v_and_b32_e32 v115, 15, v115
	v_and_b32_e32 v201, 0xffff, v115
	s_delay_alu instid0(VALU_DEP_1) | instskip(SKIP_2) | instid1(VALU_DEP_3)
	v_mul_i32_i24_e32 v115, v201, v191
	v_bfe_i32 v191, v182, 8, 8
	v_and_b32_e32 v182, 0xffff, v94
	v_add3_u32 v2, v2, v115, v56
	v_mul_i32_i24_e32 v56, v219, v190
	v_mul_i32_i24_e32 v115, v156, v167
	;; [unrolled: 1-line block ×3, first 2 shown]
	s_delay_alu instid0(VALU_DEP_4) | instskip(NEXT) | instid1(VALU_DEP_4)
	v_add3_u32 v1, v2, v1, v44
	v_mad_i32_i24 v56, v178, v174, v56
	v_mul_i32_i24_e32 v2, v181, v170
	v_mul_i32_i24_e32 v44, v191, v187
	s_delay_alu instid0(VALU_DEP_3) | instskip(SKIP_2) | instid1(VALU_DEP_3)
	v_add3_u32 v56, v56, v115, v156
	v_lshrrev_b32_e32 v115, 4, v162
	v_and_b32_e32 v156, 0xf0f0f0f, v162
	v_add3_u32 v2, v56, v2, v44
	s_delay_alu instid0(VALU_DEP_3) | instskip(NEXT) | instid1(VALU_DEP_3)
	v_lshrrev_b16 v115, 8, v115
	v_lshrrev_b16 v156, 8, v156
	v_bfe_i32 v44, v183, 8, 8
	v_bfe_i32 v56, v195, 8, 8
	s_delay_alu instid0(VALU_DEP_4) | instskip(NEXT) | instid1(VALU_DEP_4)
	v_and_b32_e32 v115, 15, v115
	v_and_b32_e32 v192, 0xffff, v156
	s_delay_alu instid0(VALU_DEP_2) | instskip(SKIP_1) | instid1(VALU_DEP_3)
	v_and_b32_e32 v188, 0xffff, v115
	v_mul_i32_i24_e32 v115, v219, v201
	v_mul_i32_i24_e32 v156, v191, v192
	s_delay_alu instid0(VALU_DEP_3) | instskip(NEXT) | instid1(VALU_DEP_1)
	v_mul_i32_i24_e32 v161, v194, v188
	v_add3_u32 v115, v115, v156, v161
	v_bfe_u32 v156, v101, 20, 4
	v_mul_i32_i24_e32 v161, v6, v136
	s_delay_alu instid0(VALU_DEP_2) | instskip(NEXT) | instid1(VALU_DEP_1)
	v_mul_i32_i24_e32 v162, v62, v156
	v_add3_u32 v219, v176, v162, v161
	v_bfe_u32 v161, v101, 4, 4
	v_mul_i32_i24_e32 v162, v7, v138
	s_delay_alu instid0(VALU_DEP_2) | instskip(NEXT) | instid1(VALU_DEP_1)
	v_mul_i32_i24_e32 v176, v63, v161
	v_add3_u32 v217, v217, v176, v162
	v_lshrrev_b32_e32 v162, 28, v101
	v_mul_i32_i24_e32 v176, v8, v137
	s_delay_alu instid0(VALU_DEP_2) | instskip(NEXT) | instid1(VALU_DEP_1)
	v_mul_i32_i24_e32 v178, v68, v162
	v_add3_u32 v87, v87, v178, v176
	v_mul_i32_i24_e32 v176, v191, v227
	v_mul_i32_i24_e32 v178, v181, v226
	s_delay_alu instid0(VALU_DEP_1) | instskip(SKIP_2) | instid1(VALU_DEP_1)
	v_add3_u32 v96, v96, v178, v176
	v_mul_i32_i24_e32 v176, v191, v228
	v_mul_i32_i24_e32 v178, v181, v229
	v_add3_u32 v102, v102, v178, v176
	v_and_b32_e32 v176, 0xf0f0f0f, v95
	v_lshrrev_b32_e32 v95, 4, v95
	s_delay_alu instid0(VALU_DEP_2) | instskip(NEXT) | instid1(VALU_DEP_1)
	v_lshrrev_b16 v176, 8, v176
	v_and_b32_e32 v178, 0xffff, v176
	v_mul_i32_i24_e32 v176, v92, v182
	s_delay_alu instid0(VALU_DEP_2) | instskip(NEXT) | instid1(VALU_DEP_1)
	v_mul_i32_i24_e32 v94, v88, v178
	v_add3_u32 v89, v89, v176, v94
	v_mul_i32_i24_e32 v94, v85, v227
	v_mul_i32_i24_e32 v176, v74, v220
	s_delay_alu instid0(VALU_DEP_1) | instskip(SKIP_2) | instid1(VALU_DEP_1)
	v_add3_u32 v91, v91, v94, v176
	v_mul_i32_i24_e32 v94, v85, v228
	v_mul_i32_i24_e32 v176, v74, v221
	v_add3_u32 v94, v114, v94, v176
	v_lshrrev_b32_e32 v114, 4, v100
	v_and_b32_e32 v100, 0xf0f0f0f, v100
	s_delay_alu instid0(VALU_DEP_2) | instskip(NEXT) | instid1(VALU_DEP_2)
	v_lshrrev_b16 v114, 8, v114
	v_lshrrev_b16 v100, 8, v100
	s_delay_alu instid0(VALU_DEP_2) | instskip(NEXT) | instid1(VALU_DEP_2)
	v_and_b32_e32 v114, 15, v114
	v_and_b32_e32 v191, 0xffff, v100
	s_delay_alu instid0(VALU_DEP_2) | instskip(NEXT) | instid1(VALU_DEP_2)
	v_and_b32_e32 v181, 0xffff, v114
	v_mul_i32_i24_e32 v100, v44, v191
	s_delay_alu instid0(VALU_DEP_2) | instskip(NEXT) | instid1(VALU_DEP_1)
	v_mul_i32_i24_e32 v114, v56, v181
	v_add3_u32 v100, v115, v100, v114
	v_mul_i32_i24_e32 v114, v210, v220
	v_mul_i32_i24_e32 v115, v197, v241
	s_delay_alu instid0(VALU_DEP_1) | instskip(SKIP_2) | instid1(VALU_DEP_1)
	v_add3_u32 v96, v96, v114, v115
	v_mul_i32_i24_e32 v114, v210, v221
	v_mul_i32_i24_e32 v115, v197, v243
	v_add3_u32 v102, v102, v114, v115
	v_bfe_i32 v114, v21, 8, 8
	v_lshrrev_b16 v21, 8, v95
	v_mul_i32_i24_e32 v95, v53, v226
	s_delay_alu instid0(VALU_DEP_2) | instskip(NEXT) | instid1(VALU_DEP_1)
	v_and_b32_e32 v21, 15, v21
	v_and_b32_e32 v176, 0xffff, v21
	s_delay_alu instid0(VALU_DEP_1) | instskip(NEXT) | instid1(VALU_DEP_1)
	v_mul_i32_i24_e32 v21, v114, v176
	v_add3_u32 v89, v89, v21, v99
	v_mul_i32_i24_e32 v21, v3, v241
	s_delay_alu instid0(VALU_DEP_2) | instskip(NEXT) | instid1(VALU_DEP_2)
	v_add3_u32 v89, v113, v110, v89
	v_add3_u32 v91, v91, v21, v95
	v_mul_i32_i24_e32 v21, v3, v243
	v_mul_i32_i24_e32 v95, v53, v229
	;; [unrolled: 1-line block ×4, first 2 shown]
	s_delay_alu instid0(VALU_DEP_3) | instskip(SKIP_3) | instid1(VALU_DEP_2)
	v_add3_u32 v94, v94, v21, v95
	v_mul_i32_i24_e32 v21, v74, v177
	v_mul_i32_i24_e32 v74, v85, v192
	v_bfe_i32 v85, v193, 8, 8
	v_add3_u32 v1, v1, v74, v21
	v_mul_i32_i24_e32 v21, v210, v164
	v_mul_i32_i24_e32 v74, v197, v159
	v_and_b32_e32 v210, 15, v25
	s_delay_alu instid0(VALU_DEP_4) | instskip(SKIP_1) | instid1(VALU_DEP_4)
	v_add3_u32 v1, v1, v3, v53
	v_mul_i32_i24_e32 v3, v211, v160
	v_add3_u32 v2, v2, v21, v74
	v_lshrrev_b32_e32 v21, 4, v101
	v_and_b32_e32 v74, 0xf0f0f0f, v101
	v_mul_i32_i24_e32 v53, v213, v157
	v_mul_i32_i24_e32 v101, v86, v236
	s_delay_alu instid0(VALU_DEP_4) | instskip(NEXT) | instid1(VALU_DEP_4)
	v_lshrrev_b16 v21, 8, v21
	v_lshrrev_b16 v74, 8, v74
	s_delay_alu instid0(VALU_DEP_4)
	v_add3_u32 v2, v2, v53, v3
	v_lshrrev_b16 v3, 8, v207
	v_bfe_u32 v207, v25, 12, 4
	v_and_b32_e32 v21, 15, v21
	v_and_b32_e32 v183, 0xffff, v74
	v_bfe_i32 v74, v208, 8, 8
	v_bfe_i32 v3, v3, 0, 8
	v_bfe_u32 v208, v23, 20, 4
	v_and_b32_e32 v21, 0xffff, v21
	s_delay_alu instid0(VALU_DEP_4) | instskip(NEXT) | instid1(VALU_DEP_4)
	v_mul_i32_i24_e32 v95, v74, v183
	v_mul_i32_i24_e32 v53, v3, v139
	s_delay_alu instid0(VALU_DEP_3) | instskip(NEXT) | instid1(VALU_DEP_1)
	v_mul_i32_i24_e32 v99, v85, v21
	v_add3_u32 v95, v100, v95, v99
	v_mul_i32_i24_e32 v99, v211, v250
	v_mul_i32_i24_e32 v100, v213, v249
	s_delay_alu instid0(VALU_DEP_3) | instskip(SKIP_1) | instid1(VALU_DEP_3)
	v_add3_u32 v53, v95, v53, v87
	v_mul_i32_i24_e32 v87, v194, v236
	v_add3_u32 v96, v96, v100, v99
	v_mul_i32_i24_e32 v99, v211, v252
	v_mul_i32_i24_e32 v100, v213, v253
	;; [unrolled: 1-line block ×3, first 2 shown]
	v_add3_u32 v53, v217, v219, v53
	v_bfe_u32 v217, v22, 12, 4
	v_bfe_u32 v219, v24, 12, 4
	v_add3_u32 v99, v102, v100, v99
	v_mul_i32_i24_e32 v100, v93, v250
	v_add3_u32 v87, v96, v87, v95
	v_mul_i32_i24_e32 v95, v194, v237
	v_mul_i32_i24_e32 v96, v204, v251
	;; [unrolled: 1-line block ×3, first 2 shown]
	v_add3_u32 v91, v91, v100, v101
	v_mul_i32_i24_e32 v100, v93, v252
	v_mul_i32_i24_e32 v101, v86, v237
	;; [unrolled: 1-line block ×4, first 2 shown]
	v_add3_u32 v95, v99, v95, v96
	v_mul_i32_i24_e32 v96, v17, v248
	v_add3_u32 v94, v94, v100, v101
	v_mul_i32_i24_e32 v24, v218, v233
	;; [unrolled: 2-line block ×3, first 2 shown]
	v_mul_i32_i24_e32 v93, v194, v189
	v_add3_u32 v91, v91, v96, v97
	v_mul_i32_i24_e32 v96, v17, v251
	v_mul_i32_i24_e32 v97, v55, v253
	;; [unrolled: 1-line block ×3, first 2 shown]
	v_add3_u32 v2, v2, v93, v86
	v_mul_i32_i24_e32 v86, v44, v245
	v_mul_i32_i24_e32 v93, v214, v244
	;; [unrolled: 1-line block ×3, first 2 shown]
	v_add3_u32 v94, v94, v96, v97
	v_bfe_u32 v213, v23, 4, 4
	v_bfe_u32 v204, v23, 12, 4
	v_add3_u32 v86, v87, v93, v86
	v_mul_i32_i24_e32 v87, v44, v246
	v_add3_u32 v1, v1, v17, v55
	v_mul_i32_i24_e32 v17, v214, v149
	v_mul_i32_i24_e32 v44, v44, v185
	;; [unrolled: 1-line block ×4, first 2 shown]
	v_bfe_u32 v214, v25, 4, 4
	v_bfe_u32 v211, v25, 20, 4
	v_add3_u32 v2, v2, v17, v44
	v_mul_i32_i24_e32 v17, v212, v230
	v_mul_i32_i24_e32 v44, v209, v240
	v_add3_u32 v87, v95, v93, v87
	v_mul_i32_i24_e32 v93, v111, v230
	v_mul_i32_i24_e32 v95, v90, v245
	s_delay_alu instid0(VALU_DEP_4) | instskip(SKIP_2) | instid1(VALU_DEP_4)
	v_add3_u32 v17, v86, v17, v44
	v_mul_i32_i24_e32 v44, v212, v232
	v_mul_i32_i24_e32 v86, v98, v244
	v_add3_u32 v91, v91, v95, v93
	v_mul_i32_i24_e32 v93, v111, v232
	v_mul_i32_i24_e32 v95, v90, v246
	;; [unrolled: 3-line block ×3, first 2 shown]
	v_mul_i32_i24_e32 v90, v90, v191
	v_add3_u32 v93, v94, v95, v93
	s_delay_alu instid0(VALU_DEP_4) | instskip(SKIP_1) | instid1(VALU_DEP_1)
	v_add3_u32 v55, v91, v55, v86
	v_mul_i32_i24_e32 v86, v108, v242
	v_add3_u32 v86, v93, v86, v87
	v_mul_i32_i24_e32 v87, v111, v158
	s_delay_alu instid0(VALU_DEP_1) | instskip(SKIP_4) | instid1(VALU_DEP_3)
	v_add3_u32 v1, v1, v90, v87
	v_mul_i32_i24_e32 v87, v212, v146
	v_mul_i32_i24_e32 v90, v209, v145
	v_and_b32_e32 v209, 15, v23
	v_lshrrev_b32_e32 v212, 28, v23
	v_add3_u32 v2, v2, v87, v90
	v_mul_i32_i24_e32 v87, v216, v235
	v_mul_i32_i24_e32 v90, v45, v234
	s_delay_alu instid0(VALU_DEP_1) | instskip(SKIP_3) | instid1(VALU_DEP_2)
	v_add3_u32 v17, v17, v90, v87
	v_mul_i32_i24_e32 v87, v216, v238
	v_mul_i32_i24_e32 v90, v45, v239
	;; [unrolled: 1-line block ×3, first 2 shown]
	v_add3_u32 v44, v44, v90, v87
	v_mul_i32_i24_e32 v87, v112, v235
	v_mul_i32_i24_e32 v90, v92, v217
	s_delay_alu instid0(VALU_DEP_1) | instskip(SKIP_2) | instid1(VALU_DEP_1)
	v_add3_u32 v55, v55, v87, v90
	v_mul_i32_i24_e32 v87, v112, v238
	v_mul_i32_i24_e32 v90, v92, v219
	v_add3_u32 v86, v86, v87, v90
	v_mul_i32_i24_e32 v87, v98, v165
	v_mul_i32_i24_e32 v90, v108, v153
	s_delay_alu instid0(VALU_DEP_1) | instskip(SKIP_3) | instid1(VALU_DEP_3)
	v_add3_u32 v1, v1, v90, v87
	v_mul_i32_i24_e32 v87, v216, v142
	v_bfe_u32 v216, v23, 16, 4
	v_mul_i32_i24_e32 v23, v85, v204
	v_add3_u32 v2, v2, v45, v87
	v_mul_i32_i24_e32 v45, v218, v231
	s_delay_alu instid0(VALU_DEP_1) | instskip(SKIP_2) | instid1(VALU_DEP_2)
	v_add3_u32 v17, v17, v22, v45
	v_mul_i32_i24_e32 v22, v56, v219
	v_mul_i32_i24_e32 v45, v0, v239
	v_add3_u32 v22, v44, v22, v24
	v_mul_i32_i24_e32 v24, v109, v231
	v_mul_i32_i24_e32 v44, v0, v234
	;; [unrolled: 1-line block ×3, first 2 shown]
	s_delay_alu instid0(VALU_DEP_2) | instskip(SKIP_2) | instid1(VALU_DEP_2)
	v_add3_u32 v24, v55, v24, v44
	v_mul_i32_i24_e32 v44, v109, v233
	v_mul_i32_i24_e32 v55, v92, v181
	v_add3_u32 v44, v86, v44, v45
	v_mul_i32_i24_e32 v45, v112, v169
	s_delay_alu instid0(VALU_DEP_1) | instskip(SKIP_3) | instid1(VALU_DEP_2)
	v_add3_u32 v1, v1, v45, v55
	v_mul_i32_i24_e32 v45, v218, v135
	v_mul_i32_i24_e32 v55, v56, v182
	v_bfe_u32 v218, v25, 16, 4
	v_add3_u32 v2, v2, v55, v45
	v_mul_i32_i24_e32 v45, v74, v223
	v_mul_i32_i24_e32 v55, v57, v222
	s_delay_alu instid0(VALU_DEP_1) | instskip(SKIP_2) | instid1(VALU_DEP_1)
	v_add3_u32 v17, v17, v55, v45
	v_mul_i32_i24_e32 v45, v74, v224
	v_mul_i32_i24_e32 v55, v57, v225
	v_add3_u32 v22, v22, v55, v45
	v_mul_i32_i24_e32 v45, v215, v209
	v_mul_i32_i24_e32 v55, v88, v223
	s_delay_alu instid0(VALU_DEP_1) | instskip(SKIP_2) | instid1(VALU_DEP_1)
	v_add3_u32 v24, v24, v55, v45
	v_mul_i32_i24_e32 v45, v215, v210
	v_mul_i32_i24_e32 v55, v88, v224
	v_add3_u32 v44, v44, v55, v45
	v_mul_i32_i24_e32 v45, v109, v163
	s_delay_alu instid0(VALU_DEP_1) | instskip(SKIP_2) | instid1(VALU_DEP_1)
	v_add3_u32 v0, v1, v45, v0
	v_mul_i32_i24_e32 v1, v57, v154
	v_mul_i32_i24_e32 v45, v74, v178
	v_add3_u32 v1, v2, v1, v45
	v_mul_i32_i24_e32 v2, v5, v209
	v_mul_i32_i24_e32 v45, v61, v216
	s_delay_alu instid0(VALU_DEP_1) | instskip(SKIP_3) | instid1(VALU_DEP_2)
	v_add3_u32 v2, v17, v2, v45
	v_mul_i32_i24_e32 v17, v5, v210
	v_mul_i32_i24_e32 v45, v61, v218
	;; [unrolled: 1-line block ×3, first 2 shown]
	v_add3_u32 v17, v22, v17, v45
	v_mul_i32_i24_e32 v22, v254, v216
	v_mul_i32_i24_e32 v45, v59, v222
	s_delay_alu instid0(VALU_DEP_1) | instskip(SKIP_2) | instid1(VALU_DEP_1)
	v_add3_u32 v22, v24, v22, v45
	v_mul_i32_i24_e32 v24, v254, v218
	v_mul_i32_i24_e32 v45, v59, v225
	v_add3_u32 v24, v44, v24, v45
	v_mul_i32_i24_e32 v44, v215, v151
	v_mul_i32_i24_e32 v45, v88, v183
	v_lshrrev_b32_e32 v215, 28, v25
	s_delay_alu instid0(VALU_DEP_2) | instskip(SKIP_1) | instid1(VALU_DEP_1)
	v_add3_u32 v0, v0, v45, v44
	v_mul_i32_i24_e32 v44, v61, v147
	v_add3_u32 v1, v1, v5, v44
	v_mul_i32_i24_e32 v5, v63, v213
	v_mul_i32_i24_e32 v44, v68, v212
	s_delay_alu instid0(VALU_DEP_1) | instskip(SKIP_2) | instid1(VALU_DEP_1)
	v_add3_u32 v2, v2, v44, v5
	v_mul_i32_i24_e32 v5, v63, v214
	v_mul_i32_i24_e32 v44, v68, v215
	v_add3_u32 v5, v17, v44, v5
	v_mul_i32_i24_e32 v17, v60, v213
	v_mul_i32_i24_e32 v44, v114, v204
	s_delay_alu instid0(VALU_DEP_1) | instskip(SKIP_2) | instid1(VALU_DEP_1)
	v_add3_u32 v17, v22, v17, v44
	v_mul_i32_i24_e32 v22, v60, v214
	v_mul_i32_i24_e32 v44, v114, v207
	v_add3_u32 v22, v24, v22, v44
	v_mul_i32_i24_e32 v24, v254, v152
	v_mul_i32_i24_e32 v44, v59, v155
	v_add_nc_u32_e32 v59, 0xc04, v117
	s_delay_alu instid0(VALU_DEP_2) | instskip(SKIP_2) | instid1(VALU_DEP_1)
	v_add3_u32 v0, v0, v24, v44
	v_mul_i32_i24_e32 v24, v63, v144
	v_mul_i32_i24_e32 v44, v68, v143
	v_add3_u32 v1, v1, v44, v24
	v_mul_i32_i24_e32 v24, v62, v208
	s_delay_alu instid0(VALU_DEP_1) | instskip(SKIP_2) | instid1(VALU_DEP_1)
	v_add3_u32 v2, v2, v23, v24
	v_mul_i32_i24_e32 v23, v85, v207
	v_mul_i32_i24_e32 v24, v62, v211
	v_add3_u32 v5, v5, v23, v24
	v_mul_i32_i24_e32 v23, v255, v208
	v_mul_i32_i24_e32 v24, v4, v212
	s_delay_alu instid0(VALU_DEP_1) | instskip(SKIP_3) | instid1(VALU_DEP_2)
	v_add3_u32 v17, v17, v23, v24
	v_mul_i32_i24_e32 v23, v255, v211
	v_mul_i32_i24_e32 v24, v4, v215
	;; [unrolled: 1-line block ×3, first 2 shown]
	v_add3_u32 v22, v22, v23, v24
	v_mul_i32_i24_e32 v23, v60, v161
	v_mul_i32_i24_e32 v24, v114, v21
	s_delay_alu instid0(VALU_DEP_1)
	v_add3_u32 v0, v0, v23, v24
	v_mul_i32_i24_e32 v23, v62, v140
	v_mul_i32_i24_e32 v24, v85, v176
	ds_load_2addr_b32 v[85:86], v116 offset1:32
	v_add3_u32 v1, v1, v24, v23
	v_mul_i32_i24_e32 v23, v7, v130
	v_mul_i32_i24_e32 v24, v3, v129
	s_delay_alu instid0(VALU_DEP_1) | instskip(SKIP_3) | instid1(VALU_DEP_2)
	v_add3_u32 v2, v2, v23, v24
	v_mul_i32_i24_e32 v23, v7, v133
	v_mul_i32_i24_e32 v24, v3, v134
	;; [unrolled: 1-line block ×3, first 2 shown]
	v_add3_u32 v5, v5, v23, v24
	v_mul_i32_i24_e32 v23, v255, v156
	s_delay_alu instid0(VALU_DEP_1) | instskip(SKIP_1) | instid1(VALU_DEP_2)
	v_add3_u32 v0, v0, v23, v4
	v_mul_i32_i24_e32 v4, v7, v126
	v_cvt_f32_i32_e32 v0, v0
	s_delay_alu instid0(VALU_DEP_2) | instskip(SKIP_2) | instid1(VALU_DEP_1)
	v_add3_u32 v1, v1, v4, v3
	v_mul_i32_i24_e32 v3, v6, v127
	v_mul_i32_i24_e32 v4, v8, v128
	v_add3_u32 v2, v2, v3, v4
	v_mul_i32_i24_e32 v3, v6, v131
	v_mul_i32_i24_e32 v4, v8, v132
	s_delay_alu instid0(VALU_DEP_3) | instskip(NEXT) | instid1(VALU_DEP_2)
	v_cvt_f32_i32_e32 v2, v2
	v_add3_u32 v3, v5, v3, v4
	v_mul_i32_i24_e32 v4, v6, v124
	v_mul_i32_i24_e32 v5, v8, v125
	v_cvt_f32_i32_e32 v6, v22
	s_delay_alu instid0(VALU_DEP_4) | instskip(NEXT) | instid1(VALU_DEP_3)
	v_cvt_f32_i32_e32 v3, v3
	v_add3_u32 v1, v1, v4, v5
	s_wait_dscnt 0x0
	v_lshrrev_b32_e32 v4, 16, v85
	v_cvt_f32_i32_e32 v5, v89
	s_delay_alu instid0(VALU_DEP_3) | instskip(NEXT) | instid1(VALU_DEP_3)
	v_cvt_f32_i32_e32 v1, v1
	v_cvt_f32_f16_e32 v4, v4
	s_delay_alu instid0(VALU_DEP_1) | instskip(NEXT) | instid1(VALU_DEP_1)
	v_mul_f32_e32 v4, 0x41000000, v4
	v_fma_mix_f32 v22, v85, v0, -v4 op_sel_hi:[1,0,0]
	v_lshrrev_b32_e32 v0, 16, v86
	v_fma_mix_f32 v23, v85, v5, -v4 op_sel_hi:[1,0,0]
	v_cvt_f32_i32_e32 v5, v17
	v_fma_mix_f32 v25, v85, v6, -v4 op_sel_hi:[1,0,0]
	v_fmac_f32_e32 v77, v123, v22
	v_cvt_f32_f16_e32 v0, v0
	s_delay_alu instid0(VALU_DEP_4) | instskip(SKIP_1) | instid1(VALU_DEP_3)
	v_fma_mix_f32 v195, v85, v5, -v4 op_sel_hi:[1,0,0]
	v_cvt_f32_i32_e32 v4, v53
	v_mul_f32_e32 v0, 0x41000000, v0
	s_delay_alu instid0(VALU_DEP_1)
	v_fma_mix_f32 v24, v86, v4, -v0 op_sel_hi:[1,0,0]
	v_fma_mix_f32 v197, v86, v2, -v0 op_sel_hi:[1,0,0]
	;; [unrolled: 1-line block ×4, first 2 shown]
	v_add_nc_u32_e32 v0, 0x800, v117
	v_fmac_f32_e32 v66, v123, v24
	ds_load_2addr_b32 v[85:86], v0 offset0:4 offset1:7
	s_wait_dscnt 0x0
	v_bfe_i32 v1, v85, 8, 8
	v_bfe_i32 v2, v85, 0, 8
	;; [unrolled: 1-line block ×3, first 2 shown]
	v_ashrrev_i32_e32 v5, 24, v85
	s_delay_alu instid0(VALU_DEP_4) | instskip(NEXT) | instid1(VALU_DEP_3)
	v_mul_i32_i24_e32 v3, v1, v200
	v_mul_i32_i24_e32 v6, v4, v203
	s_delay_alu instid0(VALU_DEP_3) | instskip(SKIP_1) | instid1(VALU_DEP_4)
	v_mul_i32_i24_e32 v7, v5, v202
	v_mul_i32_i24_e32 v8, v5, v206
	v_mad_i32_i24 v3, v2, v198, v3
	v_mul_i32_i24_e32 v63, v171, v5
	s_delay_alu instid0(VALU_DEP_2) | instskip(SKIP_2) | instid1(VALU_DEP_2)
	v_add3_u32 v3, v3, v6, v7
	v_mul_i32_i24_e32 v6, v1, v199
	v_mul_i32_i24_e32 v7, v4, v205
	v_mad_i32_i24 v6, v2, v196, v6
	s_delay_alu instid0(VALU_DEP_1)
	v_add3_u32 v6, v6, v7, v8
	v_add_nc_u32_e32 v7, 0xc00, v117
	ds_load_2addr_b32 v[87:88], v7 offset0:4 offset1:7
	s_wait_dscnt 0x0
	v_bfe_i32 v8, v87, 8, 8
	v_bfe_i32 v17, v87, 0, 8
	;; [unrolled: 1-line block ×3, first 2 shown]
	v_ashrrev_i32_e32 v53, 24, v87
	s_delay_alu instid0(VALU_DEP_4) | instskip(NEXT) | instid1(VALU_DEP_3)
	v_mul_i32_i24_e32 v44, v8, v200
	v_mul_i32_i24_e32 v55, v45, v203
	s_delay_alu instid0(VALU_DEP_3) | instskip(SKIP_1) | instid1(VALU_DEP_4)
	v_mul_i32_i24_e32 v56, v53, v202
	v_mul_i32_i24_e32 v57, v53, v206
	v_mad_i32_i24 v44, v17, v198, v44
	v_mul_i32_i24_e32 v85, v171, v53
	s_delay_alu instid0(VALU_DEP_2) | instskip(SKIP_2) | instid1(VALU_DEP_2)
	v_add3_u32 v44, v44, v55, v56
	v_mul_i32_i24_e32 v55, v8, v199
	v_mul_i32_i24_e32 v56, v45, v205
	v_mad_i32_i24 v55, v17, v196, v55
	s_delay_alu instid0(VALU_DEP_1)
	v_add3_u32 v55, v55, v56, v57
	v_add_nc_u32_e32 v56, 0x804, v117
	v_add_nc_u32_e32 v57, 0x814, v117
	ds_load_2addr_b32 v[89:90], v56 offset1:1
	ds_load_2addr_b32 v[91:92], v57 offset1:1
	;; [unrolled: 1-line block ×3, first 2 shown]
	s_wait_dscnt 0x2
	v_bfe_i32 v56, v89, 8, 8
	v_ashrrev_i32_e32 v57, 24, v89
	s_delay_alu instid0(VALU_DEP_2) | instskip(NEXT) | instid1(VALU_DEP_2)
	v_mul_i32_i24_e32 v59, v56, v227
	v_mul_i32_i24_e32 v60, v57, v226
	s_delay_alu instid0(VALU_DEP_1) | instskip(SKIP_2) | instid1(VALU_DEP_1)
	v_add3_u32 v3, v3, v60, v59
	v_mul_i32_i24_e32 v59, v56, v228
	v_mul_i32_i24_e32 v60, v57, v229
	v_add3_u32 v6, v6, v60, v59
	s_wait_dscnt 0x0
	v_bfe_i32 v59, v94, 8, 8
	v_ashrrev_i32_e32 v60, 24, v94
	s_delay_alu instid0(VALU_DEP_2) | instskip(NEXT) | instid1(VALU_DEP_2)
	v_mul_i32_i24_e32 v61, v59, v227
	v_mul_i32_i24_e32 v62, v60, v226
	s_delay_alu instid0(VALU_DEP_1) | instskip(SKIP_2) | instid1(VALU_DEP_1)
	v_add3_u32 v44, v44, v62, v61
	v_mul_i32_i24_e32 v61, v59, v228
	v_mul_i32_i24_e32 v62, v60, v229
	v_add3_u32 v55, v55, v62, v61
	v_mul_i32_i24_e32 v61, v190, v1
	v_mul_i32_i24_e32 v62, v167, v4
	;; [unrolled: 1-line block ×3, first 2 shown]
	s_delay_alu instid0(VALU_DEP_3) | instskip(NEXT) | instid1(VALU_DEP_2)
	v_mad_i32_i24 v61, v174, v2, v61
	v_mad_i32_i24 v1, v186, v2, v1
	v_mul_i32_i24_e32 v2, v180, v4
	v_mul_i32_i24_e32 v4, v184, v5
	s_delay_alu instid0(VALU_DEP_4) | instskip(SKIP_2) | instid1(VALU_DEP_4)
	v_add3_u32 v61, v61, v62, v63
	v_bfe_i32 v62, v89, 0, 8
	v_bfe_i32 v63, v89, 16, 8
	v_add3_u32 v1, v1, v2, v4
	v_bfe_i32 v2, v91, 0, 8
	s_delay_alu instid0(VALU_DEP_4) | instskip(NEXT) | instid1(VALU_DEP_4)
	v_mul_i32_i24_e32 v68, v62, v220
	v_mul_i32_i24_e32 v74, v63, v241
	v_ashrrev_i32_e32 v4, 24, v91
	s_delay_alu instid0(VALU_DEP_4) | instskip(NEXT) | instid1(VALU_DEP_3)
	v_mul_i32_i24_e32 v5, v2, v250
	v_add3_u32 v3, v3, v68, v74
	v_mul_i32_i24_e32 v68, v62, v221
	v_mul_i32_i24_e32 v74, v63, v243
	s_delay_alu instid0(VALU_DEP_1) | instskip(SKIP_3) | instid1(VALU_DEP_3)
	v_add3_u32 v6, v6, v68, v74
	v_mul_i32_i24_e32 v68, v190, v8
	v_mul_i32_i24_e32 v74, v167, v45
	v_mul_i32_i24_e32 v8, v201, v8
	v_mad_i32_i24 v68, v174, v17, v68
	s_delay_alu instid0(VALU_DEP_2) | instskip(SKIP_2) | instid1(VALU_DEP_4)
	v_mad_i32_i24 v8, v186, v17, v8
	v_mul_i32_i24_e32 v17, v180, v45
	v_mul_i32_i24_e32 v45, v184, v53
	v_add3_u32 v68, v68, v74, v85
	v_bfe_i32 v74, v94, 0, 8
	v_bfe_i32 v85, v94, 16, 8
	s_delay_alu instid0(VALU_DEP_4) | instskip(SKIP_1) | instid1(VALU_DEP_4)
	v_add3_u32 v8, v8, v17, v45
	v_add_nc_u32_e32 v17, 0xc14, v117
	v_mul_i32_i24_e32 v87, v74, v220
	s_delay_alu instid0(VALU_DEP_4) | instskip(SKIP_4) | instid1(VALU_DEP_1)
	v_mul_i32_i24_e32 v89, v85, v241
	ds_load_2addr_b32 v[96:97], v17 offset1:1
	v_add3_u32 v44, v44, v87, v89
	v_mul_i32_i24_e32 v87, v74, v221
	v_mul_i32_i24_e32 v89, v85, v243
	v_add3_u32 v55, v55, v87, v89
	v_mul_i32_i24_e32 v87, v57, v170
	v_mul_i32_i24_e32 v89, v56, v187
	;; [unrolled: 1-line block ×4, first 2 shown]
	s_delay_alu instid0(VALU_DEP_3) | instskip(SKIP_1) | instid1(VALU_DEP_3)
	v_add3_u32 v61, v61, v87, v89
	v_mul_i32_i24_e32 v87, v4, v249
	v_add3_u32 v1, v1, v57, v56
	v_bfe_i32 v56, v91, 8, 8
	s_wait_dscnt 0x0
	v_bfe_i32 v17, v96, 0, 8
	v_ashrrev_i32_e32 v45, 24, v96
	v_add3_u32 v3, v3, v87, v5
	v_mul_i32_i24_e32 v5, v2, v252
	v_mul_i32_i24_e32 v87, v4, v253
	;; [unrolled: 1-line block ×3, first 2 shown]
	v_bfe_i32 v57, v91, 16, 8
	s_delay_alu instid0(VALU_DEP_3) | instskip(SKIP_4) | instid1(VALU_DEP_3)
	v_add3_u32 v5, v6, v87, v5
	v_mul_i32_i24_e32 v6, v60, v170
	v_mul_i32_i24_e32 v87, v59, v187
	;; [unrolled: 1-line block ×4, first 2 shown]
	v_add3_u32 v6, v68, v6, v87
	v_mul_i32_i24_e32 v68, v45, v249
	s_delay_alu instid0(VALU_DEP_3) | instskip(SKIP_2) | instid1(VALU_DEP_4)
	v_add3_u32 v8, v8, v60, v59
	v_bfe_i32 v59, v96, 8, 8
	v_bfe_i32 v60, v96, 16, 8
	v_add3_u32 v44, v44, v68, v53
	v_mul_i32_i24_e32 v53, v17, v252
	v_mul_i32_i24_e32 v68, v45, v253
	s_delay_alu instid0(VALU_DEP_1) | instskip(SKIP_2) | instid1(VALU_DEP_1)
	v_add3_u32 v53, v55, v68, v53
	v_mul_i32_i24_e32 v55, v62, v164
	v_mul_i32_i24_e32 v68, v63, v159
	v_add3_u32 v55, v61, v55, v68
	v_mul_i32_i24_e32 v61, v56, v236
	v_mul_i32_i24_e32 v68, v57, v248
	s_delay_alu instid0(VALU_DEP_1) | instskip(SKIP_2) | instid1(VALU_DEP_1)
	v_add3_u32 v3, v3, v61, v68
	v_mul_i32_i24_e32 v61, v56, v237
	v_mul_i32_i24_e32 v68, v57, v251
	;; [unrolled: 7-line block ×3, first 2 shown]
	v_add3_u32 v44, v44, v61, v68
	v_mul_i32_i24_e32 v61, v59, v237
	v_mul_i32_i24_e32 v68, v60, v251
	s_delay_alu instid0(VALU_DEP_1) | instskip(SKIP_4) | instid1(VALU_DEP_3)
	v_add3_u32 v53, v53, v61, v68
	v_mul_i32_i24_e32 v61, v2, v160
	v_mul_i32_i24_e32 v68, v4, v157
	;; [unrolled: 1-line block ×4, first 2 shown]
	v_add3_u32 v55, v55, v68, v61
	v_mul_i32_i24_e32 v61, v62, v177
	v_mul_i32_i24_e32 v62, v63, v173
	s_delay_alu instid0(VALU_DEP_1) | instskip(SKIP_2) | instid1(VALU_DEP_3)
	v_add3_u32 v1, v1, v61, v62
	v_bfe_i32 v61, v90, 8, 8
	v_ashrrev_i32_e32 v62, 24, v90
	v_add3_u32 v1, v1, v4, v2
	s_delay_alu instid0(VALU_DEP_3) | instskip(NEXT) | instid1(VALU_DEP_3)
	v_mul_i32_i24_e32 v63, v61, v245
	v_mul_i32_i24_e32 v68, v62, v244
	v_bfe_i32 v2, v90, 0, 8
	v_bfe_i32 v4, v90, 16, 8
	ds_load_2addr_b32 v[89:90], v0 offset1:3
	v_add3_u32 v3, v3, v68, v63
	v_mul_i32_i24_e32 v63, v61, v246
	v_mul_i32_i24_e32 v68, v62, v247
	s_delay_alu instid0(VALU_DEP_1) | instskip(SKIP_4) | instid1(VALU_DEP_3)
	v_add3_u32 v5, v5, v68, v63
	v_mul_i32_i24_e32 v63, v17, v160
	v_mul_i32_i24_e32 v68, v45, v157
	;; [unrolled: 1-line block ×4, first 2 shown]
	v_add3_u32 v6, v6, v68, v63
	v_mul_i32_i24_e32 v63, v74, v177
	v_mul_i32_i24_e32 v68, v85, v173
	s_wait_dscnt 0x0
	v_bfe_i32 v0, v90, 8, 8
	s_delay_alu instid0(VALU_DEP_2) | instskip(SKIP_2) | instid1(VALU_DEP_3)
	v_add3_u32 v8, v8, v63, v68
	v_bfe_i32 v63, v95, 8, 8
	v_ashrrev_i32_e32 v68, 24, v95
	v_add3_u32 v8, v8, v45, v17
	s_delay_alu instid0(VALU_DEP_3) | instskip(NEXT) | instid1(VALU_DEP_3)
	v_mul_i32_i24_e32 v74, v63, v245
	v_mul_i32_i24_e32 v85, v68, v244
	v_bfe_i32 v17, v95, 0, 8
	v_bfe_i32 v45, v95, 16, 8
	s_delay_alu instid0(VALU_DEP_3) | instskip(SKIP_2) | instid1(VALU_DEP_1)
	v_add3_u32 v44, v44, v85, v74
	v_mul_i32_i24_e32 v74, v63, v246
	v_mul_i32_i24_e32 v85, v68, v247
	v_add3_u32 v53, v53, v85, v74
	v_mul_i32_i24_e32 v74, v57, v148
	v_mul_i32_i24_e32 v85, v56, v189
	;; [unrolled: 1-line block ×4, first 2 shown]
	s_delay_alu instid0(VALU_DEP_3) | instskip(SKIP_2) | instid1(VALU_DEP_4)
	v_add3_u32 v55, v55, v85, v74
	v_mul_i32_i24_e32 v74, v2, v230
	v_mul_i32_i24_e32 v85, v4, v240
	v_add3_u32 v1, v1, v56, v57
	v_bfe_i32 v56, v92, 0, 8
	v_ashrrev_i32_e32 v57, 24, v92
	s_delay_alu instid0(VALU_DEP_4) | instskip(SKIP_2) | instid1(VALU_DEP_1)
	v_add3_u32 v3, v3, v74, v85
	v_mul_i32_i24_e32 v74, v2, v232
	v_mul_i32_i24_e32 v85, v4, v242
	v_add3_u32 v5, v5, v74, v85
	v_mul_i32_i24_e32 v74, v60, v148
	v_mul_i32_i24_e32 v85, v59, v189
	;; [unrolled: 1-line block ×4, first 2 shown]
	s_delay_alu instid0(VALU_DEP_3) | instskip(SKIP_2) | instid1(VALU_DEP_4)
	v_add3_u32 v6, v6, v85, v74
	v_mul_i32_i24_e32 v74, v17, v230
	v_mul_i32_i24_e32 v85, v45, v240
	v_add3_u32 v8, v8, v59, v60
	v_bfe_i32 v59, v97, 0, 8
	v_ashrrev_i32_e32 v60, 24, v97
	s_delay_alu instid0(VALU_DEP_4) | instskip(SKIP_2) | instid1(VALU_DEP_1)
	v_add3_u32 v44, v44, v74, v85
	v_mul_i32_i24_e32 v74, v17, v232
	v_mul_i32_i24_e32 v85, v45, v242
	v_add3_u32 v53, v53, v74, v85
	v_mul_i32_i24_e32 v74, v62, v149
	v_mul_i32_i24_e32 v85, v61, v185
	;; [unrolled: 1-line block ×4, first 2 shown]
	s_delay_alu instid0(VALU_DEP_3) | instskip(SKIP_2) | instid1(VALU_DEP_4)
	v_add3_u32 v55, v55, v74, v85
	v_mul_i32_i24_e32 v74, v56, v235
	v_mul_i32_i24_e32 v85, v57, v234
	v_add3_u32 v1, v1, v62, v61
	v_bfe_i32 v61, v92, 8, 8
	v_bfe_i32 v62, v92, 16, 8
	ds_load_2addr_b32 v[91:92], v7 offset1:3
	v_add3_u32 v3, v3, v85, v74
	v_mul_i32_i24_e32 v74, v56, v238
	v_mul_i32_i24_e32 v85, v57, v239
	s_delay_alu instid0(VALU_DEP_1) | instskip(SKIP_4) | instid1(VALU_DEP_3)
	v_add3_u32 v5, v5, v85, v74
	v_mul_i32_i24_e32 v74, v68, v149
	v_mul_i32_i24_e32 v85, v63, v185
	;; [unrolled: 1-line block ×4, first 2 shown]
	v_add3_u32 v6, v6, v74, v85
	v_mul_i32_i24_e32 v74, v59, v235
	v_mul_i32_i24_e32 v85, v60, v234
	s_delay_alu instid0(VALU_DEP_4)
	v_add3_u32 v8, v8, v68, v63
	v_bfe_i32 v63, v97, 8, 8
	v_bfe_i32 v68, v97, 16, 8
	s_wait_dscnt 0x0
	v_bfe_i32 v7, v92, 8, 8
	v_add3_u32 v44, v44, v85, v74
	v_mul_i32_i24_e32 v74, v59, v238
	v_mul_i32_i24_e32 v85, v60, v239
	s_delay_alu instid0(VALU_DEP_1) | instskip(SKIP_4) | instid1(VALU_DEP_3)
	v_add3_u32 v53, v53, v85, v74
	v_mul_i32_i24_e32 v74, v2, v146
	v_mul_i32_i24_e32 v85, v4, v145
	v_mul_i32_i24_e32 v2, v2, v158
	v_mul_i32_i24_e32 v4, v4, v153
	v_add3_u32 v55, v55, v74, v85
	v_mul_i32_i24_e32 v74, v61, v217
	v_mul_i32_i24_e32 v85, v62, v231
	s_delay_alu instid0(VALU_DEP_4) | instskip(SKIP_2) | instid1(VALU_DEP_4)
	v_add3_u32 v1, v1, v2, v4
	v_ashrrev_i32_e32 v2, 24, v90
	v_mul_i32_i24_e32 v4, v0, v223
	v_add3_u32 v3, v3, v74, v85
	v_mul_i32_i24_e32 v74, v61, v219
	v_mul_i32_i24_e32 v85, v62, v233
	s_delay_alu instid0(VALU_DEP_1) | instskip(SKIP_2) | instid1(VALU_DEP_1)
	v_add3_u32 v5, v5, v74, v85
	v_mul_i32_i24_e32 v74, v17, v146
	v_mul_i32_i24_e32 v85, v45, v145
	v_add3_u32 v6, v6, v74, v85
	v_mul_i32_i24_e32 v74, v63, v217
	v_mul_i32_i24_e32 v85, v68, v231
	s_delay_alu instid0(VALU_DEP_1) | instskip(SKIP_2) | instid1(VALU_DEP_1)
	v_add3_u32 v44, v44, v74, v85
	v_mul_i32_i24_e32 v74, v63, v219
	v_mul_i32_i24_e32 v85, v68, v233
	v_add3_u32 v53, v53, v74, v85
	v_mul_i32_i24_e32 v74, v56, v142
	v_mul_i32_i24_e32 v85, v57, v141
	s_delay_alu instid0(VALU_DEP_1) | instskip(SKIP_1) | instid1(VALU_DEP_1)
	v_add3_u32 v55, v55, v85, v74
	v_mul_i32_i24_e32 v74, v2, v222
	v_add3_u32 v3, v3, v74, v4
	v_mul_i32_i24_e32 v4, v0, v224
	v_mul_i32_i24_e32 v74, v2, v225
	s_delay_alu instid0(VALU_DEP_1) | instskip(SKIP_2) | instid1(VALU_DEP_1)
	v_add3_u32 v4, v5, v74, v4
	v_mul_i32_i24_e32 v5, v59, v142
	v_mul_i32_i24_e32 v74, v60, v141
	v_add3_u32 v5, v6, v74, v5
	v_mul_i32_i24_e32 v6, v17, v158
	v_mul_i32_i24_e32 v17, v45, v153
	s_delay_alu instid0(VALU_DEP_1) | instskip(SKIP_2) | instid1(VALU_DEP_2)
	v_add3_u32 v6, v8, v6, v17
	v_ashrrev_i32_e32 v8, 24, v92
	v_mul_i32_i24_e32 v17, v7, v223
	v_mul_i32_i24_e32 v45, v8, v222
	s_delay_alu instid0(VALU_DEP_1) | instskip(SKIP_2) | instid1(VALU_DEP_1)
	v_add3_u32 v17, v44, v45, v17
	v_mul_i32_i24_e32 v44, v7, v224
	v_mul_i32_i24_e32 v45, v8, v225
	v_add3_u32 v44, v53, v45, v44
	v_mul_i32_i24_e32 v45, v62, v135
	v_mul_i32_i24_e32 v53, v61, v182
	s_delay_alu instid0(VALU_DEP_1) | instskip(SKIP_2) | instid1(VALU_DEP_1)
	v_add3_u32 v45, v55, v53, v45
	v_mul_i32_i24_e32 v53, v56, v169
	v_mul_i32_i24_e32 v55, v57, v168
	v_add3_u32 v1, v1, v55, v53
	v_bfe_i32 v53, v90, 0, 8
	v_bfe_i32 v55, v90, 16, 8
	s_delay_alu instid0(VALU_DEP_2) | instskip(NEXT) | instid1(VALU_DEP_2)
	v_mul_i32_i24_e32 v56, v53, v209
	v_mul_i32_i24_e32 v57, v55, v216
	s_delay_alu instid0(VALU_DEP_1) | instskip(SKIP_2) | instid1(VALU_DEP_1)
	v_add3_u32 v3, v3, v56, v57
	v_mul_i32_i24_e32 v56, v53, v210
	v_mul_i32_i24_e32 v57, v55, v218
	v_add3_u32 v4, v4, v56, v57
	v_mul_i32_i24_e32 v56, v68, v135
	v_mul_i32_i24_e32 v57, v63, v182
	s_delay_alu instid0(VALU_DEP_1) | instskip(SKIP_2) | instid1(VALU_DEP_1)
	v_add3_u32 v5, v5, v57, v56
	v_mul_i32_i24_e32 v56, v59, v169
	v_mul_i32_i24_e32 v57, v60, v168
	v_add3_u32 v6, v6, v57, v56
	v_bfe_i32 v56, v92, 0, 8
	v_bfe_i32 v57, v92, 16, 8
	s_delay_alu instid0(VALU_DEP_2) | instskip(NEXT) | instid1(VALU_DEP_2)
	v_mul_i32_i24_e32 v59, v56, v209
	v_mul_i32_i24_e32 v60, v57, v216
	s_delay_alu instid0(VALU_DEP_1) | instskip(SKIP_2) | instid1(VALU_DEP_1)
	v_add3_u32 v17, v17, v59, v60
	v_mul_i32_i24_e32 v59, v56, v210
	v_mul_i32_i24_e32 v60, v57, v218
	v_add3_u32 v44, v44, v59, v60
	v_mul_i32_i24_e32 v59, v2, v154
	v_mul_i32_i24_e32 v60, v0, v178
	;; [unrolled: 1-line block ×4, first 2 shown]
	s_delay_alu instid0(VALU_DEP_3) | instskip(SKIP_2) | instid1(VALU_DEP_1)
	v_add3_u32 v45, v45, v59, v60
	v_mul_i32_i24_e32 v59, v62, v163
	v_mul_i32_i24_e32 v60, v61, v181
	v_add3_u32 v1, v1, v60, v59
	v_bfe_i32 v59, v86, 0, 8
	v_ashrrev_i32_e32 v60, 24, v86
	s_delay_alu instid0(VALU_DEP_3) | instskip(NEXT) | instid1(VALU_DEP_3)
	v_add3_u32 v0, v1, v2, v0
	v_mul_i32_i24_e32 v61, v59, v213
	s_delay_alu instid0(VALU_DEP_3)
	v_mul_i32_i24_e32 v62, v60, v212
	v_bfe_i32 v1, v86, 8, 8
	v_bfe_i32 v2, v86, 16, 8
	ds_load_2addr_b32 v[85:86], v116 offset0:64 offset1:96
	v_add3_u32 v3, v3, v62, v61
	v_mul_i32_i24_e32 v61, v59, v214
	v_mul_i32_i24_e32 v62, v60, v215
	s_delay_alu instid0(VALU_DEP_1) | instskip(SKIP_4) | instid1(VALU_DEP_3)
	v_add3_u32 v4, v4, v62, v61
	v_mul_i32_i24_e32 v61, v8, v154
	v_mul_i32_i24_e32 v62, v7, v178
	v_mul_i32_i24_e32 v8, v8, v155
	v_mul_i32_i24_e32 v7, v7, v183
	v_add3_u32 v5, v5, v61, v62
	v_mul_i32_i24_e32 v61, v68, v163
	v_mul_i32_i24_e32 v62, v63, v181
	s_delay_alu instid0(VALU_DEP_1) | instskip(SKIP_2) | instid1(VALU_DEP_3)
	v_add3_u32 v6, v6, v62, v61
	v_bfe_i32 v61, v88, 0, 8
	v_ashrrev_i32_e32 v62, 24, v88
	v_add3_u32 v6, v6, v8, v7
	s_delay_alu instid0(VALU_DEP_3) | instskip(NEXT) | instid1(VALU_DEP_3)
	v_mul_i32_i24_e32 v63, v61, v213
	v_mul_i32_i24_e32 v68, v62, v212
	v_bfe_i32 v7, v88, 8, 8
	v_bfe_i32 v8, v88, 16, 8
	s_delay_alu instid0(VALU_DEP_3) | instskip(SKIP_2) | instid1(VALU_DEP_1)
	v_add3_u32 v17, v17, v68, v63
	v_mul_i32_i24_e32 v63, v61, v214
	v_mul_i32_i24_e32 v68, v62, v215
	v_add3_u32 v44, v44, v68, v63
	v_mul_i32_i24_e32 v63, v53, v150
	v_mul_i32_i24_e32 v68, v55, v147
	;; [unrolled: 1-line block ×4, first 2 shown]
	s_delay_alu instid0(VALU_DEP_3) | instskip(SKIP_2) | instid1(VALU_DEP_4)
	v_add3_u32 v45, v45, v63, v68
	v_mul_i32_i24_e32 v63, v1, v204
	v_mul_i32_i24_e32 v68, v2, v208
	v_add3_u32 v0, v0, v53, v55
	v_bfe_i32 v53, v89, 0, 8
	v_bfe_i32 v55, v89, 8, 8
	s_delay_alu instid0(VALU_DEP_4) | instskip(SKIP_2) | instid1(VALU_DEP_1)
	v_add3_u32 v3, v3, v63, v68
	v_mul_i32_i24_e32 v63, v1, v207
	v_mul_i32_i24_e32 v68, v2, v211
	v_add3_u32 v4, v4, v63, v68
	v_mul_i32_i24_e32 v63, v56, v150
	v_mul_i32_i24_e32 v68, v57, v147
	;; [unrolled: 1-line block ×4, first 2 shown]
	s_delay_alu instid0(VALU_DEP_3) | instskip(SKIP_2) | instid1(VALU_DEP_4)
	v_add3_u32 v5, v5, v63, v68
	v_mul_i32_i24_e32 v63, v7, v204
	v_mul_i32_i24_e32 v68, v8, v208
	v_add3_u32 v6, v6, v56, v57
	v_bfe_i32 v56, v91, 0, 8
	v_bfe_i32 v57, v91, 8, 8
	s_delay_alu instid0(VALU_DEP_4) | instskip(SKIP_2) | instid1(VALU_DEP_1)
	v_add3_u32 v17, v17, v63, v68
	v_mul_i32_i24_e32 v63, v7, v207
	v_mul_i32_i24_e32 v68, v8, v211
	v_add3_u32 v44, v44, v63, v68
	v_mul_i32_i24_e32 v63, v59, v144
	v_mul_i32_i24_e32 v68, v60, v143
	;; [unrolled: 1-line block ×4, first 2 shown]
	s_delay_alu instid0(VALU_DEP_3) | instskip(SKIP_2) | instid1(VALU_DEP_4)
	v_add3_u32 v45, v45, v68, v63
	v_mul_i32_i24_e32 v63, v53, v130
	v_mul_i32_i24_e32 v68, v55, v129
	v_add3_u32 v0, v0, v60, v59
	v_bfe_i32 v59, v89, 16, 8
	v_ashrrev_i32_e32 v60, 24, v89
	s_delay_alu instid0(VALU_DEP_4) | instskip(SKIP_2) | instid1(VALU_DEP_1)
	v_add3_u32 v3, v3, v63, v68
	v_mul_i32_i24_e32 v63, v53, v133
	v_mul_i32_i24_e32 v68, v55, v134
	v_add3_u32 v4, v4, v63, v68
	v_mul_i32_i24_e32 v63, v61, v144
	v_mul_i32_i24_e32 v68, v62, v143
	;; [unrolled: 1-line block ×4, first 2 shown]
	s_delay_alu instid0(VALU_DEP_3) | instskip(SKIP_2) | instid1(VALU_DEP_4)
	v_add3_u32 v5, v5, v68, v63
	v_mul_i32_i24_e32 v63, v56, v130
	v_mul_i32_i24_e32 v68, v57, v129
	v_add3_u32 v6, v6, v62, v61
	v_bfe_i32 v61, v91, 16, 8
	v_ashrrev_i32_e32 v62, 24, v91
	s_delay_alu instid0(VALU_DEP_4) | instskip(SKIP_2) | instid1(VALU_DEP_1)
	v_add3_u32 v17, v17, v63, v68
	v_mul_i32_i24_e32 v63, v56, v133
	v_mul_i32_i24_e32 v68, v57, v134
	v_add3_u32 v44, v44, v63, v68
	v_mul_i32_i24_e32 v63, v2, v140
	v_mul_i32_i24_e32 v68, v1, v176
	;; [unrolled: 1-line block ×4, first 2 shown]
	s_delay_alu instid0(VALU_DEP_3) | instskip(SKIP_2) | instid1(VALU_DEP_4)
	v_add3_u32 v45, v45, v68, v63
	v_mul_i32_i24_e32 v63, v59, v127
	v_mul_i32_i24_e32 v68, v60, v128
	v_add3_u32 v0, v0, v1, v2
	v_mul_i32_i24_e32 v1, v126, v56
	v_mul_i32_i24_e32 v2, v20, v57
	s_delay_alu instid0(VALU_DEP_4) | instskip(SKIP_2) | instid1(VALU_DEP_3)
	v_add3_u32 v3, v3, v63, v68
	v_mul_i32_i24_e32 v63, v59, v131
	v_mul_i32_i24_e32 v68, v60, v132
	v_cvt_f32_i32_e32 v3, v3
	s_delay_alu instid0(VALU_DEP_2) | instskip(SKIP_2) | instid1(VALU_DEP_3)
	v_add3_u32 v4, v4, v63, v68
	v_mul_i32_i24_e32 v63, v8, v140
	v_mul_i32_i24_e32 v68, v7, v176
	v_cvt_f32_i32_e32 v4, v4
	s_delay_alu instid0(VALU_DEP_2) | instskip(SKIP_2) | instid1(VALU_DEP_3)
	v_add3_u32 v5, v5, v68, v63
	v_mul_i32_i24_e32 v63, v61, v127
	v_mul_i32_i24_e32 v68, v62, v128
	v_add3_u32 v1, v5, v1, v2
	v_mul_i32_i24_e32 v2, v8, v156
	s_delay_alu instid0(VALU_DEP_3) | instskip(SKIP_4) | instid1(VALU_DEP_3)
	v_add3_u32 v17, v17, v63, v68
	v_mul_i32_i24_e32 v63, v61, v131
	v_mul_i32_i24_e32 v68, v62, v132
	;; [unrolled: 1-line block ×4, first 2 shown]
	v_add3_u32 v44, v44, v63, v68
	v_mul_i32_i24_e32 v63, v126, v53
	v_mul_i32_i24_e32 v68, v20, v55
	v_add3_u32 v2, v6, v5, v2
	v_mul_i32_i24_e32 v5, v124, v59
	v_mul_i32_i24_e32 v6, v125, v60
	s_delay_alu instid0(VALU_DEP_4) | instskip(NEXT) | instid1(VALU_DEP_1)
	v_add3_u32 v45, v45, v63, v68
	v_add3_u32 v5, v45, v5, v6
	v_mul_i32_i24_e32 v6, v138, v53
	s_delay_alu instid0(VALU_DEP_1) | instskip(SKIP_2) | instid1(VALU_DEP_1)
	v_add3_u32 v0, v0, v6, v7
	v_mul_i32_i24_e32 v6, v124, v61
	v_mul_i32_i24_e32 v7, v125, v62
	v_add3_u32 v1, v1, v6, v7
	v_mul_i32_i24_e32 v6, v138, v56
	v_mul_i32_i24_e32 v7, v139, v57
	s_delay_alu instid0(VALU_DEP_3) | instskip(NEXT) | instid1(VALU_DEP_2)
	v_cvt_f32_i32_e32 v1, v1
	v_add3_u32 v2, v2, v6, v7
	v_mul_i32_i24_e32 v6, v136, v59
	v_mul_i32_i24_e32 v7, v137, v60
	s_delay_alu instid0(VALU_DEP_1) | instskip(SKIP_3) | instid1(VALU_DEP_2)
	v_add3_u32 v0, v0, v6, v7
	v_mul_i32_i24_e32 v6, v136, v61
	v_mul_i32_i24_e32 v7, v137, v62
	v_add_nc_u32_e32 v61, 0x1404, v117
	v_add3_u32 v2, v2, v6, v7
	s_wait_dscnt 0x0
	v_lshrrev_b32_e32 v6, 16, v85
	s_delay_alu instid0(VALU_DEP_2) | instskip(NEXT) | instid1(VALU_DEP_2)
	v_cvt_f32_i32_e32 v2, v2
	v_cvt_f32_f16_e32 v6, v6
	s_delay_alu instid0(VALU_DEP_1) | instskip(NEXT) | instid1(VALU_DEP_1)
	v_mul_f32_e32 v6, 0x41000000, v6
	v_fma_mix_f32 v103, v85, v3, -v6 op_sel_hi:[1,0,0]
	v_cvt_f32_i32_e32 v3, v5
	v_fma_mix_f32 v101, v85, v4, -v6 op_sel_hi:[1,0,0]
	v_cvt_f32_i32_e32 v4, v0
	v_cvt_f32_i32_e32 v5, v44
	s_delay_alu instid0(VALU_DEP_4) | instskip(SKIP_1) | instid1(VALU_DEP_4)
	v_fma_mix_f32 v0, v85, v3, -v6 op_sel_hi:[1,0,0]
	v_lshrrev_b32_e32 v3, 16, v86
	v_fma_mix_f32 v254, v85, v4, -v6 op_sel_hi:[1,0,0]
	v_cvt_f32_i32_e32 v4, v17
	s_delay_alu instid0(VALU_DEP_3) | instskip(NEXT) | instid1(VALU_DEP_1)
	v_cvt_f32_f16_e32 v3, v3
	v_dual_fmac_f32 v52, v123, v254 :: v_dual_mul_f32 v3, 0x41000000, v3
	s_delay_alu instid0(VALU_DEP_1)
	v_fma_mix_f32 v102, v86, v1, -v3 op_sel_hi:[1,0,0]
	v_add_nc_u32_e32 v1, 0x1000, v117
	v_fma_mix_f32 v53, v86, v4, -v3 op_sel_hi:[1,0,0]
	v_fma_mix_f32 v98, v86, v5, -v3 op_sel_hi:[1,0,0]
	;; [unrolled: 1-line block ×3, first 2 shown]
	ds_load_2addr_b32 v[85:86], v1 offset0:4 offset1:7
	v_fmac_f32_e32 v47, v123, v100
	s_wait_dscnt 0x0
	v_bfe_i32 v2, v85, 8, 8
	v_bfe_i32 v3, v85, 0, 8
	;; [unrolled: 1-line block ×3, first 2 shown]
	v_ashrrev_i32_e32 v6, 24, v85
	s_delay_alu instid0(VALU_DEP_4) | instskip(NEXT) | instid1(VALU_DEP_3)
	v_mul_i32_i24_e32 v4, v2, v200
	v_mul_i32_i24_e32 v7, v5, v203
	s_delay_alu instid0(VALU_DEP_3) | instskip(SKIP_1) | instid1(VALU_DEP_4)
	v_mul_i32_i24_e32 v8, v6, v202
	v_mul_i32_i24_e32 v17, v6, v206
	v_mad_i32_i24 v4, v3, v198, v4
	v_mul_i32_i24_e32 v74, v171, v6
	s_delay_alu instid0(VALU_DEP_2) | instskip(SKIP_2) | instid1(VALU_DEP_2)
	v_add3_u32 v4, v4, v7, v8
	v_mul_i32_i24_e32 v7, v2, v199
	v_mul_i32_i24_e32 v8, v5, v205
	v_mad_i32_i24 v7, v3, v196, v7
	s_delay_alu instid0(VALU_DEP_1)
	v_add3_u32 v7, v7, v8, v17
	v_add_nc_u32_e32 v8, 0x1400, v117
	ds_load_2addr_b32 v[87:88], v8 offset0:4 offset1:7
	s_wait_dscnt 0x0
	v_bfe_i32 v17, v87, 8, 8
	v_bfe_i32 v44, v87, 0, 8
	;; [unrolled: 1-line block ×3, first 2 shown]
	v_ashrrev_i32_e32 v56, 24, v87
	s_delay_alu instid0(VALU_DEP_4) | instskip(NEXT) | instid1(VALU_DEP_3)
	v_mul_i32_i24_e32 v45, v17, v200
	v_mul_i32_i24_e32 v57, v55, v203
	s_delay_alu instid0(VALU_DEP_3) | instskip(SKIP_1) | instid1(VALU_DEP_4)
	v_mul_i32_i24_e32 v59, v56, v202
	v_mul_i32_i24_e32 v60, v56, v206
	v_mad_i32_i24 v45, v44, v198, v45
	s_delay_alu instid0(VALU_DEP_1) | instskip(SKIP_2) | instid1(VALU_DEP_2)
	v_add3_u32 v45, v45, v57, v59
	v_mul_i32_i24_e32 v57, v17, v199
	v_mul_i32_i24_e32 v59, v55, v205
	v_mad_i32_i24 v57, v44, v196, v57
	s_delay_alu instid0(VALU_DEP_1)
	v_add3_u32 v57, v57, v59, v60
	v_add_nc_u32_e32 v59, 0x1004, v117
	v_add_nc_u32_e32 v60, 0x1014, v117
	ds_load_2addr_b32 v[89:90], v59 offset1:1
	ds_load_2addr_b32 v[91:92], v60 offset1:1
	;; [unrolled: 1-line block ×3, first 2 shown]
	s_wait_dscnt 0x2
	v_bfe_i32 v59, v89, 8, 8
	v_ashrrev_i32_e32 v60, 24, v89
	s_delay_alu instid0(VALU_DEP_2) | instskip(NEXT) | instid1(VALU_DEP_2)
	v_mul_i32_i24_e32 v61, v59, v227
	v_mul_i32_i24_e32 v62, v60, v226
	s_delay_alu instid0(VALU_DEP_1) | instskip(SKIP_2) | instid1(VALU_DEP_1)
	v_add3_u32 v4, v4, v62, v61
	v_mul_i32_i24_e32 v61, v59, v228
	v_mul_i32_i24_e32 v62, v60, v229
	v_add3_u32 v7, v7, v62, v61
	s_wait_dscnt 0x0
	v_bfe_i32 v61, v94, 8, 8
	v_ashrrev_i32_e32 v62, 24, v94
	s_delay_alu instid0(VALU_DEP_2) | instskip(NEXT) | instid1(VALU_DEP_2)
	v_mul_i32_i24_e32 v63, v61, v227
	v_mul_i32_i24_e32 v68, v62, v226
	s_delay_alu instid0(VALU_DEP_1) | instskip(SKIP_2) | instid1(VALU_DEP_1)
	v_add3_u32 v45, v45, v68, v63
	v_mul_i32_i24_e32 v63, v61, v228
	v_mul_i32_i24_e32 v68, v62, v229
	v_add3_u32 v57, v57, v68, v63
	v_mul_i32_i24_e32 v63, v190, v2
	v_mul_i32_i24_e32 v68, v167, v5
	;; [unrolled: 1-line block ×3, first 2 shown]
	s_delay_alu instid0(VALU_DEP_3) | instskip(NEXT) | instid1(VALU_DEP_2)
	v_mad_i32_i24 v63, v174, v3, v63
	v_mad_i32_i24 v2, v186, v3, v2
	v_mul_i32_i24_e32 v3, v180, v5
	v_mul_i32_i24_e32 v5, v184, v6
	s_delay_alu instid0(VALU_DEP_4)
	v_add3_u32 v63, v63, v68, v74
	v_bfe_i32 v68, v89, 0, 8
	v_bfe_i32 v74, v89, 16, 8
	v_mul_i32_i24_e32 v89, v171, v56
	v_add3_u32 v2, v2, v3, v5
	v_bfe_i32 v3, v91, 0, 8
	v_mul_i32_i24_e32 v85, v68, v220
	v_mul_i32_i24_e32 v87, v74, v241
	v_ashrrev_i32_e32 v5, 24, v91
	s_delay_alu instid0(VALU_DEP_4) | instskip(NEXT) | instid1(VALU_DEP_3)
	v_mul_i32_i24_e32 v6, v3, v250
	v_add3_u32 v4, v4, v85, v87
	v_mul_i32_i24_e32 v85, v68, v221
	v_mul_i32_i24_e32 v87, v74, v243
	s_delay_alu instid0(VALU_DEP_1) | instskip(SKIP_3) | instid1(VALU_DEP_3)
	v_add3_u32 v7, v7, v85, v87
	v_mul_i32_i24_e32 v85, v190, v17
	v_mul_i32_i24_e32 v87, v167, v55
	;; [unrolled: 1-line block ×3, first 2 shown]
	v_mad_i32_i24 v85, v174, v44, v85
	s_delay_alu instid0(VALU_DEP_2) | instskip(SKIP_2) | instid1(VALU_DEP_4)
	v_mad_i32_i24 v17, v186, v44, v17
	v_mul_i32_i24_e32 v44, v180, v55
	v_mul_i32_i24_e32 v55, v184, v56
	v_add3_u32 v85, v85, v87, v89
	v_bfe_i32 v87, v94, 0, 8
	v_bfe_i32 v89, v94, 16, 8
	s_delay_alu instid0(VALU_DEP_4) | instskip(SKIP_1) | instid1(VALU_DEP_4)
	v_add3_u32 v17, v17, v44, v55
	v_add_nc_u32_e32 v44, 0x1414, v117
	v_mul_i32_i24_e32 v93, v87, v220
	s_delay_alu instid0(VALU_DEP_4) | instskip(SKIP_4) | instid1(VALU_DEP_1)
	v_mul_i32_i24_e32 v94, v89, v241
	ds_load_2addr_b32 v[96:97], v44 offset1:1
	v_add3_u32 v45, v45, v93, v94
	v_mul_i32_i24_e32 v93, v87, v221
	v_mul_i32_i24_e32 v94, v89, v243
	v_add3_u32 v57, v57, v93, v94
	v_mul_i32_i24_e32 v93, v60, v170
	v_mul_i32_i24_e32 v94, v59, v187
	;; [unrolled: 1-line block ×4, first 2 shown]
	s_delay_alu instid0(VALU_DEP_3) | instskip(SKIP_1) | instid1(VALU_DEP_3)
	v_add3_u32 v63, v63, v93, v94
	v_mul_i32_i24_e32 v93, v5, v249
	v_add3_u32 v2, v2, v60, v59
	v_bfe_i32 v59, v91, 8, 8
	s_wait_dscnt 0x0
	v_bfe_i32 v44, v96, 0, 8
	v_ashrrev_i32_e32 v55, 24, v96
	v_add3_u32 v4, v4, v93, v6
	v_mul_i32_i24_e32 v6, v3, v252
	v_mul_i32_i24_e32 v93, v5, v253
	;; [unrolled: 1-line block ×3, first 2 shown]
	v_bfe_i32 v60, v91, 16, 8
	s_delay_alu instid0(VALU_DEP_3) | instskip(SKIP_4) | instid1(VALU_DEP_3)
	v_add3_u32 v6, v7, v93, v6
	v_mul_i32_i24_e32 v7, v62, v170
	v_mul_i32_i24_e32 v93, v61, v187
	;; [unrolled: 1-line block ×4, first 2 shown]
	v_add3_u32 v7, v85, v7, v93
	v_mul_i32_i24_e32 v85, v55, v249
	s_delay_alu instid0(VALU_DEP_3) | instskip(SKIP_2) | instid1(VALU_DEP_4)
	v_add3_u32 v17, v17, v62, v61
	v_bfe_i32 v61, v96, 8, 8
	v_bfe_i32 v62, v96, 16, 8
	v_add3_u32 v45, v45, v85, v56
	v_mul_i32_i24_e32 v56, v44, v252
	v_mul_i32_i24_e32 v85, v55, v253
	s_delay_alu instid0(VALU_DEP_1) | instskip(SKIP_2) | instid1(VALU_DEP_1)
	v_add3_u32 v56, v57, v85, v56
	v_mul_i32_i24_e32 v57, v68, v164
	v_mul_i32_i24_e32 v85, v74, v159
	v_add3_u32 v57, v63, v57, v85
	v_mul_i32_i24_e32 v63, v59, v236
	v_mul_i32_i24_e32 v85, v60, v248
	s_delay_alu instid0(VALU_DEP_1) | instskip(SKIP_2) | instid1(VALU_DEP_1)
	v_add3_u32 v4, v4, v63, v85
	v_mul_i32_i24_e32 v63, v59, v237
	v_mul_i32_i24_e32 v85, v60, v251
	;; [unrolled: 7-line block ×3, first 2 shown]
	v_add3_u32 v45, v45, v63, v85
	v_mul_i32_i24_e32 v63, v61, v237
	v_mul_i32_i24_e32 v85, v62, v251
	s_delay_alu instid0(VALU_DEP_1) | instskip(SKIP_4) | instid1(VALU_DEP_3)
	v_add3_u32 v56, v56, v63, v85
	v_mul_i32_i24_e32 v63, v3, v160
	v_mul_i32_i24_e32 v85, v5, v157
	;; [unrolled: 1-line block ×4, first 2 shown]
	v_add3_u32 v57, v57, v85, v63
	v_mul_i32_i24_e32 v63, v68, v177
	v_mul_i32_i24_e32 v68, v74, v173
	s_delay_alu instid0(VALU_DEP_1) | instskip(SKIP_2) | instid1(VALU_DEP_3)
	v_add3_u32 v2, v2, v63, v68
	v_bfe_i32 v63, v90, 8, 8
	v_ashrrev_i32_e32 v68, 24, v90
	v_add3_u32 v2, v2, v5, v3
	s_delay_alu instid0(VALU_DEP_3) | instskip(NEXT) | instid1(VALU_DEP_3)
	v_mul_i32_i24_e32 v74, v63, v245
	v_mul_i32_i24_e32 v85, v68, v244
	v_bfe_i32 v3, v90, 0, 8
	v_bfe_i32 v5, v90, 16, 8
	s_delay_alu instid0(VALU_DEP_3) | instskip(SKIP_2) | instid1(VALU_DEP_1)
	v_add3_u32 v4, v4, v85, v74
	v_mul_i32_i24_e32 v74, v63, v246
	v_mul_i32_i24_e32 v85, v68, v247
	v_add3_u32 v6, v6, v85, v74
	v_mul_i32_i24_e32 v74, v44, v160
	v_mul_i32_i24_e32 v85, v55, v157
	;; [unrolled: 1-line block ×4, first 2 shown]
	s_delay_alu instid0(VALU_DEP_3) | instskip(SKIP_2) | instid1(VALU_DEP_1)
	v_add3_u32 v7, v7, v85, v74
	v_mul_i32_i24_e32 v74, v87, v177
	v_mul_i32_i24_e32 v85, v89, v173
	v_add3_u32 v17, v17, v74, v85
	v_bfe_i32 v74, v95, 8, 8
	v_ashrrev_i32_e32 v85, 24, v95
	s_delay_alu instid0(VALU_DEP_3) | instskip(NEXT) | instid1(VALU_DEP_3)
	v_add3_u32 v17, v17, v55, v44
	v_mul_i32_i24_e32 v87, v74, v245
	s_delay_alu instid0(VALU_DEP_3) | instskip(SKIP_2) | instid1(VALU_DEP_3)
	v_mul_i32_i24_e32 v89, v85, v244
	v_bfe_i32 v44, v95, 0, 8
	v_bfe_i32 v55, v95, 16, 8
	v_add3_u32 v45, v45, v89, v87
	v_mul_i32_i24_e32 v87, v74, v246
	v_mul_i32_i24_e32 v89, v85, v247
	s_delay_alu instid0(VALU_DEP_1) | instskip(SKIP_4) | instid1(VALU_DEP_3)
	v_add3_u32 v56, v56, v89, v87
	v_mul_i32_i24_e32 v87, v60, v148
	v_mul_i32_i24_e32 v89, v59, v189
	;; [unrolled: 1-line block ×4, first 2 shown]
	v_add3_u32 v57, v57, v89, v87
	v_mul_i32_i24_e32 v87, v3, v230
	v_mul_i32_i24_e32 v89, v5, v240
	s_delay_alu instid0(VALU_DEP_4) | instskip(SKIP_2) | instid1(VALU_DEP_4)
	v_add3_u32 v2, v2, v59, v60
	v_bfe_i32 v59, v92, 0, 8
	v_ashrrev_i32_e32 v60, 24, v92
	v_add3_u32 v4, v4, v87, v89
	v_mul_i32_i24_e32 v87, v3, v232
	v_mul_i32_i24_e32 v89, v5, v242
	s_delay_alu instid0(VALU_DEP_1) | instskip(SKIP_4) | instid1(VALU_DEP_3)
	v_add3_u32 v6, v6, v87, v89
	v_mul_i32_i24_e32 v87, v62, v148
	v_mul_i32_i24_e32 v89, v61, v189
	;; [unrolled: 1-line block ×4, first 2 shown]
	v_add3_u32 v7, v7, v89, v87
	v_mul_i32_i24_e32 v87, v44, v230
	v_mul_i32_i24_e32 v89, v55, v240
	s_delay_alu instid0(VALU_DEP_4) | instskip(SKIP_2) | instid1(VALU_DEP_4)
	v_add3_u32 v17, v17, v61, v62
	v_bfe_i32 v61, v97, 0, 8
	v_ashrrev_i32_e32 v62, 24, v97
	v_add3_u32 v45, v45, v87, v89
	v_mul_i32_i24_e32 v87, v44, v232
	v_mul_i32_i24_e32 v89, v55, v242
	s_delay_alu instid0(VALU_DEP_1) | instskip(SKIP_4) | instid1(VALU_DEP_3)
	v_add3_u32 v56, v56, v87, v89
	v_mul_i32_i24_e32 v87, v68, v149
	v_mul_i32_i24_e32 v89, v63, v185
	;; [unrolled: 1-line block ×4, first 2 shown]
	v_add3_u32 v57, v57, v87, v89
	v_mul_i32_i24_e32 v87, v59, v235
	v_mul_i32_i24_e32 v89, v60, v234
	s_delay_alu instid0(VALU_DEP_4)
	v_add3_u32 v2, v2, v68, v63
	v_bfe_i32 v63, v92, 8, 8
	v_bfe_i32 v68, v92, 16, 8
	ds_load_2addr_b32 v[91:92], v8 offset1:3
	v_add3_u32 v4, v4, v89, v87
	v_mul_i32_i24_e32 v87, v59, v238
	v_mul_i32_i24_e32 v89, v60, v239
	s_delay_alu instid0(VALU_DEP_1) | instskip(SKIP_4) | instid1(VALU_DEP_3)
	v_add3_u32 v6, v6, v89, v87
	v_mul_i32_i24_e32 v87, v85, v149
	v_mul_i32_i24_e32 v89, v74, v185
	v_mul_i32_i24_e32 v85, v85, v165
	v_mul_i32_i24_e32 v74, v74, v191
	v_add3_u32 v7, v7, v87, v89
	v_mul_i32_i24_e32 v87, v61, v235
	v_mul_i32_i24_e32 v89, v62, v234
	s_delay_alu instid0(VALU_DEP_4)
	v_add3_u32 v17, v17, v85, v74
	v_bfe_i32 v74, v97, 8, 8
	v_bfe_i32 v85, v97, 16, 8
	s_wait_dscnt 0x0
	v_bfe_i32 v8, v92, 8, 8
	v_add3_u32 v45, v45, v89, v87
	v_mul_i32_i24_e32 v87, v61, v238
	v_mul_i32_i24_e32 v89, v62, v239
	s_delay_alu instid0(VALU_DEP_1) | instskip(SKIP_4) | instid1(VALU_DEP_3)
	v_add3_u32 v56, v56, v89, v87
	v_mul_i32_i24_e32 v87, v3, v146
	v_mul_i32_i24_e32 v89, v5, v145
	;; [unrolled: 1-line block ×4, first 2 shown]
	v_add3_u32 v57, v57, v87, v89
	v_mul_i32_i24_e32 v87, v63, v217
	v_mul_i32_i24_e32 v89, v68, v231
	s_delay_alu instid0(VALU_DEP_4) | instskip(NEXT) | instid1(VALU_DEP_2)
	v_add3_u32 v2, v2, v3, v5
	v_add3_u32 v4, v4, v87, v89
	v_mul_i32_i24_e32 v87, v63, v219
	v_mul_i32_i24_e32 v89, v68, v233
	s_delay_alu instid0(VALU_DEP_1) | instskip(SKIP_2) | instid1(VALU_DEP_1)
	v_add3_u32 v6, v6, v87, v89
	v_mul_i32_i24_e32 v87, v44, v146
	v_mul_i32_i24_e32 v89, v55, v145
	v_add3_u32 v7, v7, v87, v89
	v_mul_i32_i24_e32 v87, v74, v217
	v_mul_i32_i24_e32 v89, v85, v231
	s_delay_alu instid0(VALU_DEP_1) | instskip(SKIP_2) | instid1(VALU_DEP_1)
	v_add3_u32 v45, v45, v87, v89
	v_mul_i32_i24_e32 v87, v74, v219
	v_mul_i32_i24_e32 v89, v85, v233
	v_add3_u32 v56, v56, v87, v89
	v_mul_i32_i24_e32 v87, v59, v142
	v_mul_i32_i24_e32 v89, v60, v141
	s_delay_alu instid0(VALU_DEP_1) | instskip(SKIP_4) | instid1(VALU_DEP_2)
	v_add3_u32 v57, v57, v89, v87
	ds_load_2addr_b32 v[89:90], v1 offset1:3
	s_wait_dscnt 0x0
	v_bfe_i32 v1, v90, 8, 8
	v_ashrrev_i32_e32 v3, 24, v90
	v_mul_i32_i24_e32 v5, v1, v223
	s_delay_alu instid0(VALU_DEP_2) | instskip(NEXT) | instid1(VALU_DEP_1)
	v_mul_i32_i24_e32 v87, v3, v222
	v_add3_u32 v4, v4, v87, v5
	v_mul_i32_i24_e32 v5, v1, v224
	v_mul_i32_i24_e32 v87, v3, v225
	s_delay_alu instid0(VALU_DEP_1) | instskip(SKIP_2) | instid1(VALU_DEP_1)
	v_add3_u32 v5, v6, v87, v5
	v_mul_i32_i24_e32 v6, v61, v142
	v_mul_i32_i24_e32 v87, v62, v141
	v_add3_u32 v6, v7, v87, v6
	v_mul_i32_i24_e32 v7, v44, v158
	v_mul_i32_i24_e32 v44, v55, v153
	s_delay_alu instid0(VALU_DEP_1) | instskip(SKIP_2) | instid1(VALU_DEP_2)
	v_add3_u32 v7, v17, v7, v44
	v_ashrrev_i32_e32 v17, 24, v92
	v_mul_i32_i24_e32 v44, v8, v223
	v_mul_i32_i24_e32 v55, v17, v222
	s_delay_alu instid0(VALU_DEP_1) | instskip(SKIP_2) | instid1(VALU_DEP_1)
	v_add3_u32 v44, v45, v55, v44
	v_mul_i32_i24_e32 v45, v8, v224
	v_mul_i32_i24_e32 v55, v17, v225
	v_add3_u32 v45, v56, v55, v45
	v_mul_i32_i24_e32 v55, v68, v135
	v_mul_i32_i24_e32 v56, v63, v182
	s_delay_alu instid0(VALU_DEP_1) | instskip(SKIP_2) | instid1(VALU_DEP_1)
	v_add3_u32 v55, v57, v56, v55
	v_mul_i32_i24_e32 v56, v59, v169
	v_mul_i32_i24_e32 v57, v60, v168
	v_add3_u32 v2, v2, v57, v56
	v_bfe_i32 v56, v90, 0, 8
	v_bfe_i32 v57, v90, 16, 8
	s_delay_alu instid0(VALU_DEP_2) | instskip(NEXT) | instid1(VALU_DEP_2)
	v_mul_i32_i24_e32 v59, v56, v209
	v_mul_i32_i24_e32 v60, v57, v216
	s_delay_alu instid0(VALU_DEP_1) | instskip(SKIP_2) | instid1(VALU_DEP_1)
	v_add3_u32 v4, v4, v59, v60
	v_mul_i32_i24_e32 v59, v56, v210
	v_mul_i32_i24_e32 v60, v57, v218
	v_add3_u32 v5, v5, v59, v60
	v_mul_i32_i24_e32 v59, v85, v135
	v_mul_i32_i24_e32 v60, v74, v182
	s_delay_alu instid0(VALU_DEP_1) | instskip(SKIP_2) | instid1(VALU_DEP_1)
	v_add3_u32 v6, v6, v60, v59
	v_mul_i32_i24_e32 v59, v61, v169
	v_mul_i32_i24_e32 v60, v62, v168
	v_add3_u32 v7, v7, v60, v59
	v_bfe_i32 v59, v92, 0, 8
	v_bfe_i32 v60, v92, 16, 8
	s_delay_alu instid0(VALU_DEP_2) | instskip(NEXT) | instid1(VALU_DEP_2)
	v_mul_i32_i24_e32 v61, v59, v209
	v_mul_i32_i24_e32 v62, v60, v216
	s_delay_alu instid0(VALU_DEP_1) | instskip(SKIP_2) | instid1(VALU_DEP_1)
	v_add3_u32 v44, v44, v61, v62
	v_mul_i32_i24_e32 v61, v59, v210
	v_mul_i32_i24_e32 v62, v60, v218
	v_add3_u32 v45, v45, v61, v62
	v_mul_i32_i24_e32 v61, v3, v154
	v_mul_i32_i24_e32 v62, v1, v178
	;; [unrolled: 1-line block ×4, first 2 shown]
	s_delay_alu instid0(VALU_DEP_3) | instskip(SKIP_2) | instid1(VALU_DEP_1)
	v_add3_u32 v55, v55, v61, v62
	v_mul_i32_i24_e32 v61, v68, v163
	v_mul_i32_i24_e32 v62, v63, v181
	v_add3_u32 v2, v2, v62, v61
	v_bfe_i32 v61, v86, 0, 8
	v_ashrrev_i32_e32 v62, 24, v86
	s_delay_alu instid0(VALU_DEP_3) | instskip(NEXT) | instid1(VALU_DEP_3)
	v_add3_u32 v1, v2, v3, v1
	v_mul_i32_i24_e32 v63, v61, v213
	s_delay_alu instid0(VALU_DEP_3) | instskip(SKIP_2) | instid1(VALU_DEP_3)
	v_mul_i32_i24_e32 v68, v62, v212
	v_bfe_i32 v2, v86, 8, 8
	v_bfe_i32 v3, v86, 16, 8
	v_add3_u32 v4, v4, v68, v63
	v_mul_i32_i24_e32 v63, v61, v214
	v_mul_i32_i24_e32 v68, v62, v215
	s_delay_alu instid0(VALU_DEP_1) | instskip(SKIP_4) | instid1(VALU_DEP_3)
	v_add3_u32 v5, v5, v68, v63
	v_mul_i32_i24_e32 v63, v17, v154
	v_mul_i32_i24_e32 v68, v8, v178
	;; [unrolled: 1-line block ×4, first 2 shown]
	v_add3_u32 v6, v6, v63, v68
	v_mul_i32_i24_e32 v63, v85, v163
	v_mul_i32_i24_e32 v68, v74, v181
	s_delay_alu instid0(VALU_DEP_1) | instskip(SKIP_2) | instid1(VALU_DEP_3)
	v_add3_u32 v7, v7, v68, v63
	v_bfe_i32 v63, v88, 0, 8
	v_ashrrev_i32_e32 v68, 24, v88
	v_add3_u32 v7, v7, v17, v8
	s_delay_alu instid0(VALU_DEP_3) | instskip(NEXT) | instid1(VALU_DEP_3)
	v_mul_i32_i24_e32 v74, v63, v213
	v_mul_i32_i24_e32 v85, v68, v212
	v_bfe_i32 v8, v88, 8, 8
	v_bfe_i32 v17, v88, 16, 8
	s_delay_alu instid0(VALU_DEP_3) | instskip(SKIP_2) | instid1(VALU_DEP_1)
	v_add3_u32 v44, v44, v85, v74
	v_mul_i32_i24_e32 v74, v63, v214
	v_mul_i32_i24_e32 v85, v68, v215
	v_add3_u32 v45, v45, v85, v74
	v_mul_i32_i24_e32 v74, v56, v150
	v_mul_i32_i24_e32 v85, v57, v147
	;; [unrolled: 1-line block ×4, first 2 shown]
	s_delay_alu instid0(VALU_DEP_3) | instskip(SKIP_2) | instid1(VALU_DEP_4)
	v_add3_u32 v55, v55, v74, v85
	v_mul_i32_i24_e32 v74, v2, v204
	v_mul_i32_i24_e32 v85, v3, v208
	v_add3_u32 v1, v1, v56, v57
	v_bfe_i32 v56, v89, 0, 8
	v_bfe_i32 v57, v89, 8, 8
	s_delay_alu instid0(VALU_DEP_4) | instskip(SKIP_2) | instid1(VALU_DEP_1)
	v_add3_u32 v4, v4, v74, v85
	v_mul_i32_i24_e32 v74, v2, v207
	v_mul_i32_i24_e32 v85, v3, v211
	v_add3_u32 v5, v5, v74, v85
	v_mul_i32_i24_e32 v74, v59, v150
	v_mul_i32_i24_e32 v85, v60, v147
	;; [unrolled: 1-line block ×4, first 2 shown]
	s_delay_alu instid0(VALU_DEP_3) | instskip(SKIP_2) | instid1(VALU_DEP_4)
	v_add3_u32 v6, v6, v74, v85
	v_mul_i32_i24_e32 v74, v8, v204
	v_mul_i32_i24_e32 v85, v17, v208
	v_add3_u32 v7, v7, v59, v60
	v_bfe_i32 v59, v91, 0, 8
	v_bfe_i32 v60, v91, 8, 8
	s_delay_alu instid0(VALU_DEP_4) | instskip(SKIP_2) | instid1(VALU_DEP_1)
	v_add3_u32 v44, v44, v74, v85
	v_mul_i32_i24_e32 v74, v8, v207
	v_mul_i32_i24_e32 v85, v17, v211
	v_add3_u32 v45, v45, v74, v85
	v_mul_i32_i24_e32 v74, v61, v144
	v_mul_i32_i24_e32 v85, v62, v143
	;; [unrolled: 1-line block ×4, first 2 shown]
	s_delay_alu instid0(VALU_DEP_3) | instskip(SKIP_2) | instid1(VALU_DEP_4)
	v_add3_u32 v55, v55, v85, v74
	v_mul_i32_i24_e32 v74, v56, v130
	v_mul_i32_i24_e32 v85, v57, v129
	v_add3_u32 v1, v1, v62, v61
	v_bfe_i32 v61, v89, 16, 8
	v_ashrrev_i32_e32 v62, 24, v89
	s_delay_alu instid0(VALU_DEP_4) | instskip(SKIP_2) | instid1(VALU_DEP_1)
	v_add3_u32 v4, v4, v74, v85
	v_mul_i32_i24_e32 v74, v56, v133
	v_mul_i32_i24_e32 v85, v57, v134
	v_add3_u32 v5, v5, v74, v85
	v_mul_i32_i24_e32 v74, v63, v144
	v_mul_i32_i24_e32 v85, v68, v143
	;; [unrolled: 1-line block ×4, first 2 shown]
	s_delay_alu instid0(VALU_DEP_3) | instskip(SKIP_2) | instid1(VALU_DEP_4)
	v_add3_u32 v6, v6, v85, v74
	v_mul_i32_i24_e32 v74, v59, v130
	v_mul_i32_i24_e32 v85, v60, v129
	v_add3_u32 v7, v7, v68, v63
	v_bfe_i32 v63, v91, 16, 8
	v_ashrrev_i32_e32 v68, 24, v91
	s_delay_alu instid0(VALU_DEP_4) | instskip(SKIP_2) | instid1(VALU_DEP_1)
	v_add3_u32 v44, v44, v74, v85
	v_mul_i32_i24_e32 v74, v59, v133
	v_mul_i32_i24_e32 v85, v60, v134
	v_add3_u32 v45, v45, v74, v85
	v_mul_i32_i24_e32 v74, v3, v140
	v_mul_i32_i24_e32 v85, v2, v176
	;; [unrolled: 1-line block ×4, first 2 shown]
	s_delay_alu instid0(VALU_DEP_3) | instskip(SKIP_2) | instid1(VALU_DEP_4)
	v_add3_u32 v55, v55, v85, v74
	v_mul_i32_i24_e32 v74, v61, v127
	v_mul_i32_i24_e32 v85, v62, v128
	v_add3_u32 v1, v1, v2, v3
	v_mul_i32_i24_e32 v2, v126, v59
	v_mul_i32_i24_e32 v3, v20, v60
	s_delay_alu instid0(VALU_DEP_4) | instskip(SKIP_2) | instid1(VALU_DEP_3)
	v_add3_u32 v4, v4, v74, v85
	v_mul_i32_i24_e32 v74, v61, v131
	v_mul_i32_i24_e32 v85, v62, v132
	v_cvt_f32_i32_e32 v4, v4
	s_delay_alu instid0(VALU_DEP_2) | instskip(SKIP_2) | instid1(VALU_DEP_3)
	v_add3_u32 v5, v5, v74, v85
	v_mul_i32_i24_e32 v74, v17, v140
	v_mul_i32_i24_e32 v85, v8, v176
	v_cvt_f32_i32_e32 v5, v5
	s_delay_alu instid0(VALU_DEP_2) | instskip(SKIP_2) | instid1(VALU_DEP_3)
	v_add3_u32 v6, v6, v85, v74
	v_mul_i32_i24_e32 v74, v63, v127
	v_mul_i32_i24_e32 v85, v68, v128
	v_add3_u32 v2, v6, v2, v3
	v_mul_i32_i24_e32 v3, v17, v156
	s_delay_alu instid0(VALU_DEP_3) | instskip(SKIP_4) | instid1(VALU_DEP_3)
	v_add3_u32 v44, v44, v74, v85
	v_mul_i32_i24_e32 v74, v63, v131
	v_mul_i32_i24_e32 v85, v68, v132
	;; [unrolled: 1-line block ×4, first 2 shown]
	v_add3_u32 v45, v45, v74, v85
	v_mul_i32_i24_e32 v74, v126, v56
	v_mul_i32_i24_e32 v85, v20, v57
	v_add3_u32 v3, v7, v6, v3
	v_mul_i32_i24_e32 v6, v124, v61
	v_mul_i32_i24_e32 v7, v125, v62
	s_delay_alu instid0(VALU_DEP_4) | instskip(SKIP_4) | instid1(VALU_DEP_1)
	v_add3_u32 v55, v55, v74, v85
	ds_load_2addr_b32 v[85:86], v116 offset0:128 offset1:160
	v_add_nc_u32_e32 v74, 0x1c04, v117
	v_add3_u32 v6, v55, v6, v7
	v_mul_i32_i24_e32 v7, v138, v56
	v_add3_u32 v1, v1, v7, v8
	v_mul_i32_i24_e32 v7, v124, v63
	v_mul_i32_i24_e32 v8, v125, v68
	s_delay_alu instid0(VALU_DEP_1) | instskip(SKIP_2) | instid1(VALU_DEP_3)
	v_add3_u32 v2, v2, v7, v8
	v_mul_i32_i24_e32 v7, v138, v59
	v_mul_i32_i24_e32 v8, v139, v60
	v_cvt_f32_i32_e32 v2, v2
	s_delay_alu instid0(VALU_DEP_2) | instskip(SKIP_2) | instid1(VALU_DEP_1)
	v_add3_u32 v3, v3, v7, v8
	v_mul_i32_i24_e32 v7, v136, v61
	v_mul_i32_i24_e32 v8, v137, v62
	v_add3_u32 v1, v1, v7, v8
	v_mul_i32_i24_e32 v7, v136, v63
	v_mul_i32_i24_e32 v8, v137, v68
	s_delay_alu instid0(VALU_DEP_3) | instskip(NEXT) | instid1(VALU_DEP_2)
	v_cvt_f32_i32_e32 v1, v1
	v_add3_u32 v3, v3, v7, v8
	s_wait_dscnt 0x0
	v_lshrrev_b32_e32 v7, 16, v85
	s_delay_alu instid0(VALU_DEP_2) | instskip(NEXT) | instid1(VALU_DEP_2)
	v_cvt_f32_i32_e32 v3, v3
	v_cvt_f32_f16_e32 v7, v7
	s_delay_alu instid0(VALU_DEP_1) | instskip(NEXT) | instid1(VALU_DEP_1)
	v_mul_f32_e32 v7, 0x41000000, v7
	v_fma_mix_f32 v17, v85, v1, -v7 op_sel_hi:[1,0,0]
	v_lshrrev_b32_e32 v1, 16, v86
	v_fma_mix_f32 v96, v85, v5, -v7 op_sel_hi:[1,0,0]
	v_cvt_f32_i32_e32 v5, v6
	v_cvt_f32_i32_e32 v6, v45
	v_fma_mix_f32 v4, v85, v4, -v7 op_sel_hi:[1,0,0]
	v_cvt_f32_f16_e32 v1, v1
	v_fmac_f32_e32 v40, v123, v17
	v_fma_mix_f32 v95, v85, v5, -v7 op_sel_hi:[1,0,0]
	v_cvt_f32_i32_e32 v5, v44
	s_delay_alu instid0(VALU_DEP_4) | instskip(NEXT) | instid1(VALU_DEP_1)
	v_mul_f32_e32 v1, 0x41000000, v1
	v_fma_mix_f32 v5, v86, v5, -v1 op_sel_hi:[1,0,0]
	v_fma_mix_f32 v6, v86, v6, -v1 op_sel_hi:[1,0,0]
	;; [unrolled: 1-line block ×4, first 2 shown]
	s_delay_alu instid0(VALU_DEP_1)
	v_dual_fmac_f32 v36, v123, v94 :: v_dual_add_nc_u32 v1, 0x1800, v117
	ds_load_2addr_b32 v[85:86], v1 offset0:4 offset1:7
	s_wait_dscnt 0x0
	v_bfe_i32 v2, v85, 8, 8
	v_bfe_i32 v3, v85, 0, 8
	;; [unrolled: 1-line block ×3, first 2 shown]
	v_ashrrev_i32_e32 v44, 24, v85
	s_delay_alu instid0(VALU_DEP_4) | instskip(NEXT) | instid1(VALU_DEP_3)
	v_mul_i32_i24_e32 v7, v2, v200
	v_mul_i32_i24_e32 v45, v8, v203
	s_delay_alu instid0(VALU_DEP_3) | instskip(SKIP_1) | instid1(VALU_DEP_4)
	v_mul_i32_i24_e32 v55, v44, v202
	v_mul_i32_i24_e32 v56, v44, v206
	v_mad_i32_i24 v7, v3, v198, v7
	v_mul_i32_i24_e32 v99, v171, v44
	v_mul_i32_i24_e32 v44, v184, v44
	s_delay_alu instid0(VALU_DEP_3) | instskip(SKIP_2) | instid1(VALU_DEP_2)
	v_add3_u32 v7, v7, v45, v55
	v_mul_i32_i24_e32 v45, v2, v199
	v_mul_i32_i24_e32 v55, v8, v205
	v_mad_i32_i24 v45, v3, v196, v45
	s_delay_alu instid0(VALU_DEP_1)
	v_add3_u32 v45, v45, v55, v56
	v_add_nc_u32_e32 v55, 0x1c00, v117
	ds_load_2addr_b32 v[87:88], v55 offset0:4 offset1:7
	s_wait_dscnt 0x0
	v_bfe_i32 v56, v87, 8, 8
	v_bfe_i32 v59, v87, 0, 8
	;; [unrolled: 1-line block ×3, first 2 shown]
	v_ashrrev_i32_e32 v62, 24, v87
	s_delay_alu instid0(VALU_DEP_4) | instskip(NEXT) | instid1(VALU_DEP_3)
	v_mul_i32_i24_e32 v57, v56, v200
	v_mul_i32_i24_e32 v61, v60, v203
	s_delay_alu instid0(VALU_DEP_3) | instskip(SKIP_1) | instid1(VALU_DEP_4)
	v_mul_i32_i24_e32 v63, v62, v202
	v_mul_i32_i24_e32 v68, v62, v206
	v_mad_i32_i24 v57, v59, v198, v57
	v_mul_i32_i24_e32 v109, v171, v62
	v_mul_i32_i24_e32 v62, v184, v62
	s_delay_alu instid0(VALU_DEP_3) | instskip(SKIP_2) | instid1(VALU_DEP_2)
	v_add3_u32 v57, v57, v61, v63
	v_mul_i32_i24_e32 v61, v56, v199
	v_mul_i32_i24_e32 v63, v60, v205
	v_mad_i32_i24 v61, v59, v196, v61
	s_delay_alu instid0(VALU_DEP_1)
	v_add3_u32 v61, v61, v63, v68
	v_add_nc_u32_e32 v63, 0x1804, v117
	v_add_nc_u32_e32 v68, 0x1814, v117
	ds_load_2addr_b32 v[89:90], v63 offset1:1
	ds_load_2addr_b32 v[91:92], v68 offset1:1
	;; [unrolled: 1-line block ×3, first 2 shown]
	s_wait_dscnt 0x2
	v_bfe_i32 v63, v89, 8, 8
	v_ashrrev_i32_e32 v68, 24, v89
	s_wait_dscnt 0x0
	v_ashrrev_i32_e32 v87, 24, v198
	s_delay_alu instid0(VALU_DEP_3) | instskip(NEXT) | instid1(VALU_DEP_3)
	v_mul_i32_i24_e32 v74, v63, v227
	v_mul_i32_i24_e32 v85, v68, v226
	s_delay_alu instid0(VALU_DEP_3) | instskip(NEXT) | instid1(VALU_DEP_2)
	v_mul_i32_i24_e32 v93, v87, v226
	v_add3_u32 v7, v7, v85, v74
	v_mul_i32_i24_e32 v74, v63, v228
	v_mul_i32_i24_e32 v85, v68, v229
	s_delay_alu instid0(VALU_DEP_1) | instskip(SKIP_1) | instid1(VALU_DEP_1)
	v_add3_u32 v45, v45, v85, v74
	v_bfe_i32 v74, v198, 8, 8
	v_mul_i32_i24_e32 v85, v74, v227
	s_delay_alu instid0(VALU_DEP_1) | instskip(SKIP_2) | instid1(VALU_DEP_1)
	v_add3_u32 v57, v57, v93, v85
	v_mul_i32_i24_e32 v85, v74, v228
	v_mul_i32_i24_e32 v93, v87, v229
	v_add3_u32 v61, v61, v93, v85
	v_mul_i32_i24_e32 v85, v190, v2
	v_mul_i32_i24_e32 v93, v167, v8
	v_mul_i32_i24_e32 v2, v201, v2
	v_mul_i32_i24_e32 v8, v180, v8
	s_delay_alu instid0(VALU_DEP_4) | instskip(NEXT) | instid1(VALU_DEP_3)
	v_mad_i32_i24 v85, v174, v3, v85
	v_mad_i32_i24 v2, v186, v3, v2
	s_delay_alu instid0(VALU_DEP_2) | instskip(SKIP_2) | instid1(VALU_DEP_4)
	v_add3_u32 v85, v85, v93, v99
	v_bfe_i32 v93, v89, 0, 8
	v_bfe_i32 v89, v89, 16, 8
	v_add3_u32 v2, v2, v8, v44
	v_bfe_i32 v8, v91, 0, 8
	v_ashrrev_i32_e32 v44, 24, v91
	v_mul_i32_i24_e32 v99, v93, v220
	v_mul_i32_i24_e32 v108, v89, v241
	s_delay_alu instid0(VALU_DEP_1) | instskip(SKIP_2) | instid1(VALU_DEP_1)
	v_add3_u32 v7, v7, v99, v108
	v_mul_i32_i24_e32 v99, v93, v221
	v_mul_i32_i24_e32 v108, v89, v243
	v_add3_u32 v45, v45, v99, v108
	v_mul_i32_i24_e32 v99, v190, v56
	v_mul_i32_i24_e32 v108, v167, v60
	;; [unrolled: 1-line block ×4, first 2 shown]
	s_delay_alu instid0(VALU_DEP_4) | instskip(NEXT) | instid1(VALU_DEP_3)
	v_mad_i32_i24 v99, v174, v59, v99
	v_mad_i32_i24 v3, v186, v59, v56
	v_bfe_i32 v56, v198, 0, 8
	s_delay_alu instid0(VALU_DEP_3) | instskip(SKIP_1) | instid1(VALU_DEP_4)
	v_add3_u32 v99, v99, v108, v109
	v_bfe_i32 v108, v198, 16, 8
	v_add3_u32 v3, v3, v60, v62
	s_delay_alu instid0(VALU_DEP_4) | instskip(SKIP_3) | instid1(VALU_DEP_1)
	v_mul_i32_i24_e32 v59, v56, v220
	v_add_nc_u32_e32 v60, 0x1c14, v117
	v_add_nc_u32_e32 v117, 32, v117
	v_mul_i32_i24_e32 v109, v108, v241
	v_add3_u32 v57, v57, v59, v109
	v_mul_i32_i24_e32 v59, v56, v221
	v_mul_i32_i24_e32 v109, v108, v243
	s_delay_alu instid0(VALU_DEP_1) | instskip(SKIP_3) | instid1(VALU_DEP_2)
	v_add3_u32 v59, v61, v59, v109
	v_mul_i32_i24_e32 v61, v68, v170
	v_mul_i32_i24_e32 v109, v63, v187
	;; [unrolled: 1-line block ×3, first 2 shown]
	v_add3_u32 v61, v85, v61, v109
	v_mul_i32_i24_e32 v85, v8, v250
	v_mul_i32_i24_e32 v109, v44, v249
	s_delay_alu instid0(VALU_DEP_1) | instskip(SKIP_2) | instid1(VALU_DEP_1)
	v_add3_u32 v7, v7, v109, v85
	v_mul_i32_i24_e32 v85, v8, v252
	v_mul_i32_i24_e32 v109, v44, v253
	v_add3_u32 v45, v45, v109, v85
	v_mul_i32_i24_e32 v85, v87, v170
	ds_load_2addr_b32 v[170:171], v60 offset1:1
	v_mul_i32_i24_e32 v109, v74, v187
	v_mul_i32_i24_e32 v74, v74, v192
	s_delay_alu instid0(VALU_DEP_2) | instskip(SKIP_3) | instid1(VALU_DEP_2)
	v_add3_u32 v85, v99, v85, v109
	s_wait_dscnt 0x0
	v_bfe_i32 v60, v170, 0, 8
	v_ashrrev_i32_e32 v99, 24, v170
	v_mul_i32_i24_e32 v62, v60, v250
	s_delay_alu instid0(VALU_DEP_2) | instskip(NEXT) | instid1(VALU_DEP_1)
	v_mul_i32_i24_e32 v109, v99, v249
	v_add3_u32 v57, v57, v109, v62
	v_mul_i32_i24_e32 v62, v60, v252
	v_mul_i32_i24_e32 v109, v99, v253
	s_delay_alu instid0(VALU_DEP_1) | instskip(SKIP_3) | instid1(VALU_DEP_2)
	v_add3_u32 v59, v59, v109, v62
	v_mul_i32_i24_e32 v62, v93, v164
	v_mul_i32_i24_e32 v109, v89, v159
	;; [unrolled: 1-line block ×3, first 2 shown]
	v_add3_u32 v61, v61, v62, v109
	v_mul_i32_i24_e32 v62, v68, v179
	s_delay_alu instid0(VALU_DEP_1) | instskip(SKIP_2) | instid1(VALU_DEP_2)
	v_add3_u32 v2, v2, v62, v63
	v_bfe_i32 v62, v91, 8, 8
	v_bfe_i32 v63, v91, 16, 8
	v_mul_i32_i24_e32 v68, v62, v236
	s_delay_alu instid0(VALU_DEP_2) | instskip(NEXT) | instid1(VALU_DEP_1)
	v_mul_i32_i24_e32 v91, v63, v248
	v_add3_u32 v7, v7, v68, v91
	v_mul_i32_i24_e32 v68, v62, v237
	v_mul_i32_i24_e32 v91, v63, v251
	s_delay_alu instid0(VALU_DEP_1) | instskip(SKIP_3) | instid1(VALU_DEP_2)
	v_add3_u32 v45, v45, v68, v91
	v_mul_i32_i24_e32 v68, v56, v164
	v_mul_i32_i24_e32 v91, v108, v159
	;; [unrolled: 1-line block ×3, first 2 shown]
	v_add3_u32 v68, v85, v68, v91
	v_mul_i32_i24_e32 v85, v87, v179
	v_bfe_i32 v87, v170, 16, 8
	s_delay_alu instid0(VALU_DEP_2) | instskip(SKIP_1) | instid1(VALU_DEP_3)
	v_add3_u32 v3, v3, v85, v74
	v_bfe_i32 v74, v170, 8, 8
	v_mul_i32_i24_e32 v91, v87, v248
	s_delay_alu instid0(VALU_DEP_2) | instskip(NEXT) | instid1(VALU_DEP_1)
	v_mul_i32_i24_e32 v85, v74, v236
	v_add3_u32 v57, v57, v85, v91
	v_mul_i32_i24_e32 v85, v74, v237
	v_mul_i32_i24_e32 v91, v87, v251
	s_delay_alu instid0(VALU_DEP_1) | instskip(SKIP_4) | instid1(VALU_DEP_3)
	v_add3_u32 v59, v59, v85, v91
	v_mul_i32_i24_e32 v85, v8, v160
	v_mul_i32_i24_e32 v91, v44, v157
	;; [unrolled: 1-line block ×4, first 2 shown]
	v_add3_u32 v61, v61, v91, v85
	v_mul_i32_i24_e32 v85, v93, v177
	s_delay_alu instid0(VALU_DEP_1) | instskip(SKIP_2) | instid1(VALU_DEP_3)
	v_add3_u32 v2, v2, v85, v89
	v_bfe_i32 v85, v90, 8, 8
	v_ashrrev_i32_e32 v89, 24, v90
	v_add3_u32 v2, v2, v44, v8
	s_delay_alu instid0(VALU_DEP_3) | instskip(NEXT) | instid1(VALU_DEP_3)
	v_mul_i32_i24_e32 v91, v85, v245
	v_mul_i32_i24_e32 v93, v89, v244
	v_bfe_i32 v8, v90, 0, 8
	v_bfe_i32 v44, v90, 16, 8
	s_delay_alu instid0(VALU_DEP_3) | instskip(SKIP_3) | instid1(VALU_DEP_2)
	v_add3_u32 v7, v7, v93, v91
	v_mul_i32_i24_e32 v91, v85, v246
	v_mul_i32_i24_e32 v93, v89, v247
	;; [unrolled: 1-line block ×3, first 2 shown]
	v_add3_u32 v45, v45, v93, v91
	v_mul_i32_i24_e32 v91, v60, v160
	v_mul_i32_i24_e32 v93, v99, v157
	v_mul_i32_i24_e32 v60, v60, v172
	s_delay_alu instid0(VALU_DEP_2) | instskip(SKIP_2) | instid1(VALU_DEP_2)
	v_add3_u32 v68, v68, v93, v91
	v_mul_i32_i24_e32 v91, v108, v173
	v_ashrrev_i32_e32 v93, 24, v199
	v_add3_u32 v3, v3, v56, v91
	v_bfe_i32 v56, v199, 8, 8
	s_delay_alu instid0(VALU_DEP_3) | instskip(NEXT) | instid1(VALU_DEP_2)
	v_mul_i32_i24_e32 v108, v93, v244
	v_mul_i32_i24_e32 v91, v56, v245
	s_delay_alu instid0(VALU_DEP_1) | instskip(SKIP_2) | instid1(VALU_DEP_1)
	v_add3_u32 v57, v57, v108, v91
	v_mul_i32_i24_e32 v91, v56, v246
	v_mul_i32_i24_e32 v108, v93, v247
	v_add3_u32 v59, v59, v108, v91
	v_mul_i32_i24_e32 v91, v63, v148
	v_mul_i32_i24_e32 v108, v62, v189
	;; [unrolled: 1-line block ×4, first 2 shown]
	s_delay_alu instid0(VALU_DEP_3) | instskip(SKIP_1) | instid1(VALU_DEP_3)
	v_add3_u32 v61, v61, v108, v91
	v_mul_i32_i24_e32 v91, v44, v240
	v_add3_u32 v2, v2, v62, v63
	v_bfe_i32 v62, v92, 0, 8
	v_ashrrev_i32_e32 v63, 24, v92
	s_delay_alu instid0(VALU_DEP_4) | instskip(SKIP_2) | instid1(VALU_DEP_1)
	v_add3_u32 v7, v7, v90, v91
	v_mul_i32_i24_e32 v90, v8, v232
	v_mul_i32_i24_e32 v91, v44, v242
	v_add3_u32 v45, v45, v90, v91
	v_mul_i32_i24_e32 v90, v87, v148
	v_mul_i32_i24_e32 v91, v74, v189
	;; [unrolled: 1-line block ×4, first 2 shown]
	s_delay_alu instid0(VALU_DEP_3) | instskip(SKIP_2) | instid1(VALU_DEP_2)
	v_add3_u32 v68, v68, v91, v90
	v_mul_i32_i24_e32 v90, v99, v175
	v_bfe_i32 v91, v199, 16, 8
	v_add3_u32 v3, v3, v90, v60
	v_bfe_i32 v60, v199, 0, 8
	s_delay_alu instid0(VALU_DEP_3) | instskip(NEXT) | instid1(VALU_DEP_3)
	v_mul_i32_i24_e32 v99, v91, v240
	v_add3_u32 v3, v3, v74, v87
	s_delay_alu instid0(VALU_DEP_3) | instskip(SKIP_1) | instid1(VALU_DEP_2)
	v_mul_i32_i24_e32 v90, v60, v230
	v_bfe_i32 v74, v171, 0, 8
	v_add3_u32 v57, v57, v90, v99
	v_mul_i32_i24_e32 v90, v60, v232
	v_mul_i32_i24_e32 v99, v91, v242
	s_delay_alu instid0(VALU_DEP_4) | instskip(NEXT) | instid1(VALU_DEP_2)
	v_mul_i32_i24_e32 v87, v74, v235
	v_add3_u32 v59, v59, v90, v99
	v_mul_i32_i24_e32 v90, v89, v149
	v_mul_i32_i24_e32 v99, v85, v185
	;; [unrolled: 1-line block ×3, first 2 shown]
	s_delay_alu instid0(VALU_DEP_2) | instskip(SKIP_2) | instid1(VALU_DEP_1)
	v_add3_u32 v61, v61, v90, v99
	v_mul_i32_i24_e32 v90, v62, v235
	v_mul_i32_i24_e32 v99, v63, v234
	v_add3_u32 v7, v7, v99, v90
	v_mul_i32_i24_e32 v90, v62, v238
	v_mul_i32_i24_e32 v99, v63, v239
	s_delay_alu instid0(VALU_DEP_1) | instskip(SKIP_3) | instid1(VALU_DEP_2)
	v_add3_u32 v45, v45, v99, v90
	v_mul_i32_i24_e32 v90, v93, v149
	v_mul_i32_i24_e32 v99, v56, v185
	;; [unrolled: 1-line block ×3, first 2 shown]
	v_add3_u32 v68, v68, v90, v99
	v_ashrrev_i32_e32 v99, 24, v171
	s_delay_alu instid0(VALU_DEP_1) | instskip(NEXT) | instid1(VALU_DEP_1)
	v_mul_i32_i24_e32 v90, v99, v234
	v_add3_u32 v57, v57, v90, v87
	v_mul_i32_i24_e32 v87, v74, v238
	v_mul_i32_i24_e32 v90, v99, v239
	s_delay_alu instid0(VALU_DEP_1) | instskip(SKIP_4) | instid1(VALU_DEP_3)
	v_add3_u32 v59, v59, v90, v87
	v_mul_i32_i24_e32 v87, v8, v146
	v_mul_i32_i24_e32 v90, v44, v145
	;; [unrolled: 1-line block ×4, first 2 shown]
	v_add3_u32 v61, v61, v87, v90
	v_mul_i32_i24_e32 v87, v89, v165
	s_delay_alu instid0(VALU_DEP_1) | instskip(SKIP_2) | instid1(VALU_DEP_3)
	v_add3_u32 v2, v2, v87, v85
	v_bfe_i32 v85, v92, 8, 8
	v_bfe_i32 v87, v92, 16, 8
	v_add3_u32 v2, v2, v8, v44
	s_delay_alu instid0(VALU_DEP_3) | instskip(NEXT) | instid1(VALU_DEP_3)
	v_mul_i32_i24_e32 v89, v85, v217
	v_mul_i32_i24_e32 v90, v87, v231
	s_delay_alu instid0(VALU_DEP_1) | instskip(SKIP_2) | instid1(VALU_DEP_1)
	v_add3_u32 v7, v7, v89, v90
	v_mul_i32_i24_e32 v89, v85, v219
	v_mul_i32_i24_e32 v90, v87, v233
	v_add3_u32 v45, v45, v89, v90
	v_mul_i32_i24_e32 v89, v60, v146
	v_mul_i32_i24_e32 v90, v91, v145
	;; [unrolled: 1-line block ×3, first 2 shown]
	s_delay_alu instid0(VALU_DEP_2) | instskip(SKIP_2) | instid1(VALU_DEP_2)
	v_add3_u32 v68, v68, v89, v90
	v_mul_i32_i24_e32 v89, v93, v165
	v_bfe_i32 v93, v171, 16, 8
	v_add3_u32 v3, v3, v89, v56
	v_bfe_i32 v56, v171, 8, 8
	s_delay_alu instid0(VALU_DEP_3) | instskip(NEXT) | instid1(VALU_DEP_2)
	v_mul_i32_i24_e32 v90, v93, v231
	v_mul_i32_i24_e32 v89, v56, v217
	s_delay_alu instid0(VALU_DEP_1) | instskip(SKIP_2) | instid1(VALU_DEP_1)
	v_add3_u32 v57, v57, v89, v90
	v_mul_i32_i24_e32 v89, v56, v219
	v_mul_i32_i24_e32 v90, v93, v233
	v_add3_u32 v59, v59, v89, v90
	v_mul_i32_i24_e32 v89, v62, v142
	v_mul_i32_i24_e32 v90, v63, v141
	s_delay_alu instid0(VALU_DEP_1) | instskip(SKIP_4) | instid1(VALU_DEP_2)
	v_add3_u32 v61, v61, v90, v89
	ds_load_2addr_b32 v[89:90], v1 offset1:3
	s_wait_dscnt 0x0
	v_bfe_i32 v1, v90, 8, 8
	v_ashrrev_i32_e32 v8, 24, v90
	v_mul_i32_i24_e32 v44, v1, v223
	s_delay_alu instid0(VALU_DEP_2) | instskip(NEXT) | instid1(VALU_DEP_1)
	v_mul_i32_i24_e32 v92, v8, v222
	v_add3_u32 v7, v7, v92, v44
	v_mul_i32_i24_e32 v44, v1, v224
	v_mul_i32_i24_e32 v92, v8, v225
	s_delay_alu instid0(VALU_DEP_1) | instskip(SKIP_2) | instid1(VALU_DEP_1)
	v_add3_u32 v44, v45, v92, v44
	v_mul_i32_i24_e32 v45, v74, v142
	v_mul_i32_i24_e32 v92, v99, v141
	v_add3_u32 v45, v68, v92, v45
	v_mul_i32_i24_e32 v68, v91, v153
	ds_load_2addr_b32 v[91:92], v55 offset1:3
	v_add3_u32 v3, v3, v60, v68
	s_wait_dscnt 0x0
	v_bfe_i32 v55, v92, 8, 8
	v_ashrrev_i32_e32 v68, 24, v92
	s_delay_alu instid0(VALU_DEP_2) | instskip(NEXT) | instid1(VALU_DEP_2)
	v_mul_i32_i24_e32 v60, v55, v223
	v_mul_i32_i24_e32 v108, v68, v222
	s_delay_alu instid0(VALU_DEP_1) | instskip(SKIP_2) | instid1(VALU_DEP_1)
	v_add3_u32 v57, v57, v108, v60
	v_mul_i32_i24_e32 v60, v55, v224
	v_mul_i32_i24_e32 v108, v68, v225
	v_add3_u32 v59, v59, v108, v60
	v_mul_i32_i24_e32 v60, v87, v135
	v_mul_i32_i24_e32 v108, v85, v182
	;; [unrolled: 1-line block ×3, first 2 shown]
	s_delay_alu instid0(VALU_DEP_2) | instskip(SKIP_2) | instid1(VALU_DEP_1)
	v_add3_u32 v60, v61, v108, v60
	v_mul_i32_i24_e32 v61, v62, v169
	v_mul_i32_i24_e32 v62, v63, v168
	v_add3_u32 v2, v2, v62, v61
	v_bfe_i32 v61, v90, 0, 8
	v_bfe_i32 v62, v90, 16, 8
	s_delay_alu instid0(VALU_DEP_2) | instskip(NEXT) | instid1(VALU_DEP_2)
	v_mul_i32_i24_e32 v63, v61, v209
	v_mul_i32_i24_e32 v90, v62, v216
	s_delay_alu instid0(VALU_DEP_1) | instskip(SKIP_2) | instid1(VALU_DEP_1)
	v_add3_u32 v7, v7, v63, v90
	v_mul_i32_i24_e32 v63, v61, v210
	v_mul_i32_i24_e32 v90, v62, v218
	v_add3_u32 v44, v44, v63, v90
	v_mul_i32_i24_e32 v63, v93, v135
	v_mul_i32_i24_e32 v90, v56, v182
	;; [unrolled: 1-line block ×3, first 2 shown]
	s_delay_alu instid0(VALU_DEP_2) | instskip(SKIP_3) | instid1(VALU_DEP_2)
	v_add3_u32 v45, v45, v90, v63
	v_mul_i32_i24_e32 v63, v74, v169
	v_mul_i32_i24_e32 v74, v99, v168
	v_bfe_i32 v90, v92, 16, 8
	v_add3_u32 v3, v3, v74, v63
	v_bfe_i32 v63, v92, 0, 8
	s_delay_alu instid0(VALU_DEP_3) | instskip(NEXT) | instid1(VALU_DEP_2)
	v_mul_i32_i24_e32 v92, v90, v216
	v_mul_i32_i24_e32 v74, v63, v209
	s_delay_alu instid0(VALU_DEP_1) | instskip(SKIP_2) | instid1(VALU_DEP_1)
	v_add3_u32 v57, v57, v74, v92
	v_mul_i32_i24_e32 v74, v63, v210
	v_mul_i32_i24_e32 v92, v90, v218
	v_add3_u32 v59, v59, v74, v92
	v_mul_i32_i24_e32 v74, v8, v154
	v_mul_i32_i24_e32 v92, v1, v178
	;; [unrolled: 1-line block ×4, first 2 shown]
	s_delay_alu instid0(VALU_DEP_3) | instskip(SKIP_1) | instid1(VALU_DEP_1)
	v_add3_u32 v60, v60, v74, v92
	v_mul_i32_i24_e32 v74, v87, v163
	v_add3_u32 v2, v2, v85, v74
	v_bfe_i32 v74, v86, 0, 8
	v_ashrrev_i32_e32 v85, 24, v86
	s_delay_alu instid0(VALU_DEP_3) | instskip(NEXT) | instid1(VALU_DEP_3)
	v_add3_u32 v1, v2, v8, v1
	v_mul_i32_i24_e32 v87, v74, v213
	s_delay_alu instid0(VALU_DEP_3) | instskip(SKIP_2) | instid1(VALU_DEP_3)
	v_mul_i32_i24_e32 v92, v85, v212
	v_bfe_i32 v2, v86, 8, 8
	v_bfe_i32 v8, v86, 16, 8
	v_add3_u32 v7, v7, v92, v87
	v_mul_i32_i24_e32 v87, v74, v214
	v_mul_i32_i24_e32 v92, v85, v215
	v_mul_i32_i24_e32 v86, v2, v204
	s_delay_alu instid0(VALU_DEP_2) | instskip(SKIP_4) | instid1(VALU_DEP_3)
	v_add3_u32 v44, v44, v92, v87
	v_mul_i32_i24_e32 v87, v68, v154
	v_mul_i32_i24_e32 v92, v55, v178
	;; [unrolled: 1-line block ×4, first 2 shown]
	v_add3_u32 v45, v45, v87, v92
	v_mul_i32_i24_e32 v87, v93, v163
	v_ashrrev_i32_e32 v92, 24, v88
	s_delay_alu instid0(VALU_DEP_2) | instskip(SKIP_1) | instid1(VALU_DEP_3)
	v_add3_u32 v3, v3, v56, v87
	v_bfe_i32 v56, v88, 0, 8
	v_mul_i32_i24_e32 v93, v92, v212
	s_delay_alu instid0(VALU_DEP_3) | instskip(NEXT) | instid1(VALU_DEP_3)
	v_add3_u32 v3, v3, v68, v55
	v_mul_i32_i24_e32 v87, v56, v213
	v_bfe_i32 v55, v88, 8, 8
	v_bfe_i32 v68, v88, 16, 8
	s_delay_alu instid0(VALU_DEP_3) | instskip(SKIP_2) | instid1(VALU_DEP_1)
	v_add3_u32 v57, v57, v93, v87
	v_mul_i32_i24_e32 v87, v56, v214
	v_mul_i32_i24_e32 v93, v92, v215
	v_add3_u32 v59, v59, v93, v87
	v_mul_i32_i24_e32 v87, v61, v150
	v_mul_i32_i24_e32 v93, v62, v147
	;; [unrolled: 1-line block ×4, first 2 shown]
	s_delay_alu instid0(VALU_DEP_3) | instskip(SKIP_1) | instid1(VALU_DEP_3)
	v_add3_u32 v60, v60, v87, v93
	v_mul_i32_i24_e32 v87, v8, v208
	v_add3_u32 v1, v1, v61, v62
	v_bfe_i32 v61, v89, 0, 8
	v_bfe_i32 v62, v89, 8, 8
	s_delay_alu instid0(VALU_DEP_4) | instskip(SKIP_2) | instid1(VALU_DEP_1)
	v_add3_u32 v7, v7, v86, v87
	v_mul_i32_i24_e32 v86, v2, v207
	v_mul_i32_i24_e32 v87, v8, v211
	v_add3_u32 v44, v44, v86, v87
	v_mul_i32_i24_e32 v86, v63, v150
	v_mul_i32_i24_e32 v87, v90, v147
	;; [unrolled: 1-line block ×3, first 2 shown]
	s_delay_alu instid0(VALU_DEP_2) | instskip(SKIP_2) | instid1(VALU_DEP_1)
	v_add3_u32 v45, v45, v86, v87
	v_mul_i32_i24_e32 v86, v55, v204
	v_mul_i32_i24_e32 v87, v68, v208
	v_add3_u32 v57, v57, v86, v87
	v_mul_i32_i24_e32 v86, v55, v207
	v_mul_i32_i24_e32 v87, v68, v211
	s_delay_alu instid0(VALU_DEP_1) | instskip(SKIP_4) | instid1(VALU_DEP_3)
	v_add3_u32 v59, v59, v86, v87
	v_mul_i32_i24_e32 v86, v74, v144
	v_mul_i32_i24_e32 v87, v85, v143
	v_mul_i32_i24_e32 v74, v74, v161
	v_mul_i32_i24_e32 v85, v85, v162
	v_add3_u32 v60, v60, v87, v86
	v_mul_i32_i24_e32 v86, v61, v130
	v_mul_i32_i24_e32 v87, v62, v129
	s_delay_alu instid0(VALU_DEP_4) | instskip(SKIP_2) | instid1(VALU_DEP_4)
	v_add3_u32 v1, v1, v85, v74
	v_bfe_i32 v74, v89, 16, 8
	v_ashrrev_i32_e32 v85, 24, v89
	v_add3_u32 v7, v7, v86, v87
	v_mul_i32_i24_e32 v86, v61, v133
	v_mul_i32_i24_e32 v87, v62, v134
	s_delay_alu instid0(VALU_DEP_1) | instskip(SKIP_3) | instid1(VALU_DEP_2)
	v_add3_u32 v44, v44, v86, v87
	v_mul_i32_i24_e32 v86, v56, v144
	v_mul_i32_i24_e32 v87, v92, v143
	;; [unrolled: 1-line block ×3, first 2 shown]
	v_add3_u32 v45, v45, v87, v86
	v_mul_i32_i24_e32 v86, v90, v152
	v_bfe_i32 v87, v91, 8, 8
	s_delay_alu instid0(VALU_DEP_2) | instskip(SKIP_1) | instid1(VALU_DEP_3)
	v_add3_u32 v3, v3, v63, v86
	v_bfe_i32 v63, v91, 0, 8
	v_mul_i32_i24_e32 v88, v87, v129
	s_delay_alu instid0(VALU_DEP_2) | instskip(NEXT) | instid1(VALU_DEP_1)
	v_mul_i32_i24_e32 v86, v63, v130
	v_add3_u32 v57, v57, v86, v88
	v_mul_i32_i24_e32 v86, v63, v133
	v_mul_i32_i24_e32 v88, v87, v134
	s_delay_alu instid0(VALU_DEP_1) | instskip(SKIP_4) | instid1(VALU_DEP_3)
	v_add3_u32 v59, v59, v86, v88
	v_mul_i32_i24_e32 v86, v8, v140
	v_mul_i32_i24_e32 v88, v2, v176
	;; [unrolled: 1-line block ×4, first 2 shown]
	v_add3_u32 v60, v60, v88, v86
	v_mul_i32_i24_e32 v86, v74, v127
	v_mul_i32_i24_e32 v88, v85, v128
	s_delay_alu instid0(VALU_DEP_4) | instskip(SKIP_2) | instid1(VALU_DEP_4)
	v_add3_u32 v1, v1, v2, v8
	v_mul_i32_i24_e32 v2, v126, v63
	v_mul_i32_i24_e32 v8, v20, v87
	v_add3_u32 v7, v7, v86, v88
	v_mul_i32_i24_e32 v86, v74, v131
	v_mul_i32_i24_e32 v88, v85, v132
	s_delay_alu instid0(VALU_DEP_3) | instskip(NEXT) | instid1(VALU_DEP_2)
	v_cvt_f32_i32_e32 v7, v7
	v_add3_u32 v44, v44, v86, v88
	v_mul_i32_i24_e32 v86, v68, v140
	v_mul_i32_i24_e32 v88, v55, v176
	s_delay_alu instid0(VALU_DEP_3) | instskip(NEXT) | instid1(VALU_DEP_2)
	v_cvt_f32_i32_e32 v44, v44
	v_add3_u32 v45, v45, v88, v86
	v_mul_i32_i24_e32 v86, v92, v162
	s_delay_alu instid0(VALU_DEP_2) | instskip(NEXT) | instid1(VALU_DEP_2)
	v_add3_u32 v2, v45, v2, v8
	v_add3_u32 v3, v3, v86, v56
	v_bfe_i32 v56, v91, 16, 8
	v_ashrrev_i32_e32 v86, 24, v91
	v_mul_i32_i24_e32 v8, v68, v156
	s_delay_alu instid0(VALU_DEP_3) | instskip(NEXT) | instid1(VALU_DEP_3)
	v_mul_i32_i24_e32 v88, v56, v127
	v_mul_i32_i24_e32 v89, v86, v128
	s_delay_alu instid0(VALU_DEP_1) | instskip(SKIP_2) | instid1(VALU_DEP_1)
	v_add3_u32 v57, v57, v88, v89
	v_mul_i32_i24_e32 v88, v56, v131
	v_mul_i32_i24_e32 v89, v86, v132
	v_add3_u32 v59, v59, v88, v89
	v_mul_i32_i24_e32 v88, v126, v61
	v_mul_i32_i24_e32 v89, v20, v62
	;; [unrolled: 1-line block ×4, first 2 shown]
	v_cvt_f32_i32_e32 v55, v59
	s_delay_alu instid0(VALU_DEP_4) | instskip(NEXT) | instid1(VALU_DEP_4)
	v_add3_u32 v60, v60, v88, v89
	v_add3_u32 v3, v3, v20, v8
	v_mul_i32_i24_e32 v8, v124, v74
	v_mul_i32_i24_e32 v20, v125, v85
	s_delay_alu instid0(VALU_DEP_1) | instskip(SKIP_1) | instid1(VALU_DEP_2)
	v_add3_u32 v8, v60, v8, v20
	v_mul_i32_i24_e32 v20, v138, v61
	v_cvt_f32_i32_e32 v8, v8
	s_delay_alu instid0(VALU_DEP_2) | instskip(SKIP_2) | instid1(VALU_DEP_1)
	v_add3_u32 v1, v1, v20, v21
	v_mul_i32_i24_e32 v20, v124, v56
	v_mul_i32_i24_e32 v21, v125, v86
	v_add3_u32 v2, v2, v20, v21
	v_mul_i32_i24_e32 v20, v138, v63
	v_mul_i32_i24_e32 v21, v139, v87
	s_delay_alu instid0(VALU_DEP_3) | instskip(NEXT) | instid1(VALU_DEP_2)
	v_cvt_f32_i32_e32 v2, v2
	v_add3_u32 v3, v3, v20, v21
	v_mul_i32_i24_e32 v20, v136, v74
	v_mul_i32_i24_e32 v21, v137, v85
	s_delay_alu instid0(VALU_DEP_1) | instskip(SKIP_2) | instid1(VALU_DEP_3)
	v_add3_u32 v1, v1, v20, v21
	v_mul_i32_i24_e32 v20, v136, v56
	v_mul_i32_i24_e32 v21, v137, v86
	v_cvt_f32_i32_e32 v1, v1
	s_delay_alu instid0(VALU_DEP_2)
	v_add3_u32 v3, v3, v20, v21
	ds_load_2addr_b32 v[20:21], v116 offset0:192 offset1:224
	v_add_nc_u32_e32 v116, 4, v116
	v_cvt_f32_i32_e32 v3, v3
	s_wait_dscnt 0x0
	v_lshrrev_b32_e32 v45, 16, v20
	s_delay_alu instid0(VALU_DEP_1) | instskip(NEXT) | instid1(VALU_DEP_1)
	v_cvt_f32_f16_e32 v45, v45
	v_mul_f32_e32 v45, 0x41000000, v45
	s_delay_alu instid0(VALU_DEP_1)
	v_fma_mix_f32 v7, v20, v7, -v45 op_sel_hi:[1,0,0]
	v_fma_mix_f32 v44, v20, v44, -v45 op_sel_hi:[1,0,0]
	v_fma_mix_f32 v8, v20, v8, -v45 op_sel_hi:[1,0,0]
	v_fma_mix_f32 v1, v20, v1, -v45 op_sel_hi:[1,0,0]
	v_lshrrev_b32_e32 v20, 16, v21
	v_cvt_f32_i32_e32 v45, v57
	s_delay_alu instid0(VALU_DEP_3) | instskip(NEXT) | instid1(VALU_DEP_3)
	v_fmac_f32_e32 v32, v123, v1
	v_cvt_f32_f16_e32 v20, v20
	s_delay_alu instid0(VALU_DEP_1) | instskip(NEXT) | instid1(VALU_DEP_1)
	v_mul_f32_e32 v20, 0x41000000, v20
	v_fma_mix_f32 v45, v21, v45, -v20 op_sel_hi:[1,0,0]
	v_fma_mix_f32 v55, v21, v55, -v20 op_sel_hi:[1,0,0]
	;; [unrolled: 1-line block ×4, first 2 shown]
	ds_load_b32 v20, v120
	v_add_nc_u32_e32 v120, 4, v120
	s_wait_dscnt 0x0
	v_dual_fmac_f32 v28, v123, v3 :: v_dual_fmac_f32 v39, v20, v4
	ds_load_b32 v4, v121
	v_fmac_f32_e32 v70, v20, v195
	v_fmac_f32_e32 v50, v20, v103
	;; [unrolled: 1-line block ×7, first 2 shown]
	v_add_nc_u32_e32 v121, 4, v121
	s_wait_dscnt 0x0
	v_fmac_f32_e32 v69, v4, v25
	v_fmac_f32_e32 v49, v4, v101
	v_fmac_f32_e32 v42, v4, v98
	v_fmac_f32_e32 v38, v4, v96
	v_fmac_f32_e32 v34, v4, v6
	v_fmac_f32_e32 v30, v4, v44
	v_fmac_f32_e32 v26, v4, v55
	v_fmac_f32_e32 v64, v4, v194
	ds_load_b32 v4, v118
	v_add_nc_u32_e32 v118, 4, v118
	s_wait_dscnt 0x0
	v_fmac_f32_e32 v46, v4, v23
	v_fmac_f32_e32 v67, v4, v193
	;; [unrolled: 1-line block ×8, first 2 shown]
	s_cbranch_scc1 .LBB158_12
; %bb.13:                               ;   in Loop: Header=BB158_7 Depth=1
	s_wait_loadcnt 0x0
	s_barrier_signal -1
	s_barrier_wait -1
	global_inv scope:SCOPE_SE
	v_dual_mov_b32 v59, v9 :: v_dual_mov_b32 v60, v71
	v_dual_mov_b32 v71, v75 :: v_dual_mov_b32 v4, v76
	;; [unrolled: 1-line block ×5, first 2 shown]
	scratch_load_b64 v[80:81], off, off offset:136 ; 8-byte Folded Reload
	v_dual_mov_b32 v61, v10 :: v_dual_mov_b32 v62, v72
	v_dual_mov_b32 v63, v11 :: v_dual_mov_b32 v68, v12
	;; [unrolled: 1-line block ×3, first 2 shown]
	s_wait_loadcnt 0x0
	s_clause 0x2
	scratch_load_b64 v[81:82], off, off offset:144
	scratch_load_b32 v11, off, off offset:152
	scratch_load_b64 v[12:13], off, off offset:156
	v_dual_mov_b32 v9, v83 :: v_dual_mov_b32 v78, v84
	v_mov_b32_e32 v10, v16
	s_wait_loadcnt 0x0
	s_clause 0x4
	scratch_load_b32 v13, off, off offset:164
	scratch_load_b32 v82, off, off offset:168
	scratch_load_b64 v[83:84], off, off offset:172
	scratch_load_b32 v14, off, off offset:180
	scratch_load_b64 v[15:16], off, off offset:184
	s_wait_loadcnt 0x2
	scratch_load_b32 v84, off, off offset:192 ; 4-byte Folded Reload
	s_wait_loadcnt 0x1
	scratch_load_b32 v16, off, off offset:196 ; 4-byte Folded Reload
	s_branch .LBB158_5
.LBB158_14:
	scratch_load_b32 v1, off, off offset:220 th:TH_LOAD_LU ; 4-byte Folded Reload
	s_wait_loadcnt 0x7
	scratch_load_b32 v3, off, off offset:224 ; 4-byte Folded Reload
	s_wait_loadcnt 0x2
	v_mov_b32_e32 v2, v59
.LBB158_15:
	s_mov_b32 s0, exec_lo
	s_wait_loadcnt 0x0
	v_cmpx_gt_u32_e64 s6, v3
	s_cbranch_execz .LBB158_66
; %bb.16:
	v_add_nc_u32_e32 v0, s14, v2
	v_mul_lo_u32 v5, v3, s12
	s_delay_alu instid0(VALU_DEP_2)
	v_cmp_gt_u32_e32 vcc_lo, s12, v0
	s_and_saveexec_b32 s1, vcc_lo
	s_cbranch_execz .LBB158_18
; %bb.17:
	v_bfe_u32 v3, v46, 16, 1
	s_delay_alu instid0(VALU_DEP_3) | instskip(SKIP_1) | instid1(VALU_DEP_3)
	v_add_nc_u32_e32 v2, v0, v5
	v_cmp_o_f32_e64 s0, v46, v46
	v_add3_u32 v4, v46, v3, 0x7fff
	v_mov_b32_e32 v3, 0
	s_delay_alu instid0(VALU_DEP_2) | instskip(NEXT) | instid1(VALU_DEP_2)
	v_lshrrev_b32_e32 v4, 16, v4
	v_lshlrev_b64_e32 v[2:3], 1, v[2:3]
	s_delay_alu instid0(VALU_DEP_2) | instskip(SKIP_1) | instid1(VALU_DEP_2)
	v_cndmask_b32_e64 v4, 0x7fc0, v4, s0
	s_wait_kmcnt 0x0
	v_add_co_u32 v2, s0, s8, v2
	s_wait_alu 0xf1ff
	s_delay_alu instid0(VALU_DEP_3)
	v_add_co_ci_u32_e64 v3, null, s9, v3, s0
	global_store_b16 v[2:3], v4, off
.LBB158_18:
	s_or_b32 exec_lo, exec_lo, s1
	v_add_nc_u32_e32 v2, 32, v0
	s_delay_alu instid0(VALU_DEP_1)
	v_cmp_gt_u32_e64 s0, s12, v2
	s_and_saveexec_b32 s2, s0
	s_cbranch_execz .LBB158_20
; %bb.19:
	v_bfe_u32 v4, v77, 16, 1
	v_add_nc_u32_e32 v3, v2, v5
	v_cmp_o_f32_e64 s1, v77, v77
	s_delay_alu instid0(VALU_DEP_3) | instskip(SKIP_1) | instid1(VALU_DEP_2)
	v_add3_u32 v6, v77, v4, 0x7fff
	v_mov_b32_e32 v4, 0
	v_lshrrev_b32_e32 v6, 16, v6
	s_delay_alu instid0(VALU_DEP_2) | instskip(SKIP_1) | instid1(VALU_DEP_2)
	v_lshlrev_b64_e32 v[3:4], 1, v[3:4]
	s_wait_alu 0xf1ff
	v_cndmask_b32_e64 v6, 0x7fc0, v6, s1
	s_wait_kmcnt 0x0
	s_delay_alu instid0(VALU_DEP_2)
	v_add_co_u32 v3, s1, s8, v3
	s_wait_alu 0xf1ff
	v_add_co_ci_u32_e64 v4, null, s9, v4, s1
	global_store_b16 v[3:4], v6, off
.LBB158_20:
	s_wait_alu 0xfffe
	s_or_b32 exec_lo, exec_lo, s2
	v_add_nc_u32_e32 v3, 64, v0
	s_delay_alu instid0(VALU_DEP_1)
	v_cmp_gt_u32_e64 s1, s12, v3
	s_and_saveexec_b32 s3, s1
	s_cbranch_execz .LBB158_22
; %bb.21:
	v_bfe_u32 v4, v70, 16, 1
	v_dual_mov_b32 v7, 0 :: v_dual_add_nc_u32 v6, v3, v5
	v_cmp_o_f32_e64 s2, v70, v70
	s_delay_alu instid0(VALU_DEP_3) | instskip(NEXT) | instid1(VALU_DEP_3)
	v_add3_u32 v4, v70, v4, 0x7fff
	v_lshlrev_b64_e32 v[6:7], 1, v[6:7]
	s_delay_alu instid0(VALU_DEP_2) | instskip(SKIP_1) | instid1(VALU_DEP_1)
	v_lshrrev_b32_e32 v4, 16, v4
	s_wait_alu 0xf1ff
	v_cndmask_b32_e64 v4, 0x7fc0, v4, s2
	s_wait_kmcnt 0x0
	s_delay_alu instid0(VALU_DEP_3)
	v_add_co_u32 v6, s2, s8, v6
	s_wait_alu 0xf1ff
	v_add_co_ci_u32_e64 v7, null, s9, v7, s2
	global_store_b16 v[6:7], v4, off
.LBB158_22:
	s_wait_alu 0xfffe
	s_or_b32 exec_lo, exec_lo, s3
	v_add_nc_u32_e32 v4, 0x60, v0
	s_delay_alu instid0(VALU_DEP_1)
	v_cmp_gt_u32_e64 s2, s12, v4
	s_and_saveexec_b32 s4, s2
	s_cbranch_execz .LBB158_24
; %bb.23:
	v_bfe_u32 v6, v69, 16, 1
	v_add_nc_u32_e32 v5, v4, v5
	v_cmp_o_f32_e64 s3, v69, v69
	s_delay_alu instid0(VALU_DEP_3) | instskip(SKIP_1) | instid1(VALU_DEP_2)
	v_add3_u32 v7, v69, v6, 0x7fff
	v_mov_b32_e32 v6, 0
	v_lshrrev_b32_e32 v7, 16, v7
	s_delay_alu instid0(VALU_DEP_2) | instskip(SKIP_1) | instid1(VALU_DEP_2)
	v_lshlrev_b64_e32 v[5:6], 1, v[5:6]
	s_wait_alu 0xf1ff
	v_cndmask_b32_e64 v7, 0x7fc0, v7, s3
	s_wait_kmcnt 0x0
	s_delay_alu instid0(VALU_DEP_2)
	v_add_co_u32 v5, s3, s8, v5
	s_wait_alu 0xf1ff
	v_add_co_ci_u32_e64 v6, null, s9, v6, s3
	global_store_b16 v[5:6], v7, off
.LBB158_24:
	s_wait_alu 0xfffe
	s_or_b32 exec_lo, exec_lo, s4
	v_add3_u32 v5, v1, s13, 8
	s_delay_alu instid0(VALU_DEP_1)
	v_cmp_gt_u32_e64 s3, s6, v5
	s_and_b32 exec_lo, exec_lo, s3
	s_cbranch_execz .LBB158_66
; %bb.25:
	v_mul_lo_u32 v5, v5, s12
	s_and_saveexec_b32 s4, vcc_lo
	s_cbranch_execnz .LBB158_67
; %bb.26:
	s_wait_alu 0xfffe
	s_or_b32 exec_lo, exec_lo, s4
	s_and_saveexec_b32 s4, s0
	s_cbranch_execnz .LBB158_68
.LBB158_27:
	s_wait_alu 0xfffe
	s_or_b32 exec_lo, exec_lo, s4
	s_and_saveexec_b32 s4, s1
	s_cbranch_execnz .LBB158_69
.LBB158_28:
	s_wait_alu 0xfffe
	s_or_b32 exec_lo, exec_lo, s4
	s_and_saveexec_b32 s4, s2
	s_cbranch_execz .LBB158_30
.LBB158_29:
	v_bfe_u32 v6, v64, 16, 1
	v_add_nc_u32_e32 v5, v5, v4
	v_cmp_o_f32_e64 s3, v64, v64
	s_delay_alu instid0(VALU_DEP_3) | instskip(SKIP_1) | instid1(VALU_DEP_2)
	v_add3_u32 v7, v64, v6, 0x7fff
	v_mov_b32_e32 v6, 0
	v_lshrrev_b32_e32 v7, 16, v7
	s_delay_alu instid0(VALU_DEP_2) | instskip(SKIP_1) | instid1(VALU_DEP_2)
	v_lshlrev_b64_e32 v[5:6], 1, v[5:6]
	s_wait_alu 0xf1ff
	v_cndmask_b32_e64 v7, 0x7fc0, v7, s3
	s_wait_kmcnt 0x0
	s_delay_alu instid0(VALU_DEP_2)
	v_add_co_u32 v5, s3, s8, v5
	s_wait_alu 0xf1ff
	v_add_co_ci_u32_e64 v6, null, s9, v6, s3
	global_store_b16 v[5:6], v7, off
.LBB158_30:
	s_wait_alu 0xfffe
	s_or_b32 exec_lo, exec_lo, s4
	v_add3_u32 v5, v1, s13, 16
	s_delay_alu instid0(VALU_DEP_1)
	v_cmp_gt_u32_e64 s3, s6, v5
	s_and_b32 exec_lo, exec_lo, s3
	s_cbranch_execz .LBB158_66
; %bb.31:
	v_mul_lo_u32 v5, v5, s12
	s_and_saveexec_b32 s4, vcc_lo
	s_cbranch_execnz .LBB158_70
; %bb.32:
	s_wait_alu 0xfffe
	s_or_b32 exec_lo, exec_lo, s4
	s_and_saveexec_b32 s4, s0
	s_cbranch_execnz .LBB158_71
.LBB158_33:
	s_wait_alu 0xfffe
	s_or_b32 exec_lo, exec_lo, s4
	s_and_saveexec_b32 s4, s1
	s_cbranch_execnz .LBB158_72
.LBB158_34:
	s_wait_alu 0xfffe
	s_or_b32 exec_lo, exec_lo, s4
	s_and_saveexec_b32 s4, s2
	s_cbranch_execz .LBB158_36
.LBB158_35:
	v_bfe_u32 v6, v49, 16, 1
	v_add_nc_u32_e32 v5, v5, v4
	v_cmp_o_f32_e64 s3, v49, v49
	s_delay_alu instid0(VALU_DEP_3) | instskip(SKIP_1) | instid1(VALU_DEP_2)
	v_add3_u32 v7, v49, v6, 0x7fff
	v_mov_b32_e32 v6, 0
	v_lshrrev_b32_e32 v7, 16, v7
	s_delay_alu instid0(VALU_DEP_2) | instskip(SKIP_1) | instid1(VALU_DEP_2)
	v_lshlrev_b64_e32 v[5:6], 1, v[5:6]
	s_wait_alu 0xf1ff
	v_cndmask_b32_e64 v7, 0x7fc0, v7, s3
	s_wait_kmcnt 0x0
	s_delay_alu instid0(VALU_DEP_2)
	v_add_co_u32 v5, s3, s8, v5
	s_wait_alu 0xf1ff
	v_add_co_ci_u32_e64 v6, null, s9, v6, s3
	global_store_b16 v[5:6], v7, off
.LBB158_36:
	s_wait_alu 0xfffe
	s_or_b32 exec_lo, exec_lo, s4
	v_add3_u32 v5, v1, s13, 24
	s_delay_alu instid0(VALU_DEP_1)
	v_cmp_gt_u32_e64 s3, s6, v5
	s_and_b32 exec_lo, exec_lo, s3
	s_cbranch_execz .LBB158_66
; %bb.37:
	v_mul_lo_u32 v5, v5, s12
	s_and_saveexec_b32 s4, vcc_lo
	s_cbranch_execnz .LBB158_73
; %bb.38:
	s_wait_alu 0xfffe
	s_or_b32 exec_lo, exec_lo, s4
	s_and_saveexec_b32 s4, s0
	s_cbranch_execnz .LBB158_74
.LBB158_39:
	s_wait_alu 0xfffe
	s_or_b32 exec_lo, exec_lo, s4
	s_and_saveexec_b32 s4, s1
	s_cbranch_execnz .LBB158_75
.LBB158_40:
	s_wait_alu 0xfffe
	s_or_b32 exec_lo, exec_lo, s4
	s_and_saveexec_b32 s4, s2
	s_cbranch_execz .LBB158_42
.LBB158_41:
	v_bfe_u32 v6, v42, 16, 1
	v_add_nc_u32_e32 v5, v5, v4
	v_cmp_o_f32_e64 s3, v42, v42
	s_delay_alu instid0(VALU_DEP_3) | instskip(SKIP_1) | instid1(VALU_DEP_2)
	v_add3_u32 v7, v42, v6, 0x7fff
	v_mov_b32_e32 v6, 0
	v_lshrrev_b32_e32 v7, 16, v7
	s_delay_alu instid0(VALU_DEP_2) | instskip(SKIP_1) | instid1(VALU_DEP_2)
	v_lshlrev_b64_e32 v[5:6], 1, v[5:6]
	s_wait_alu 0xf1ff
	v_cndmask_b32_e64 v7, 0x7fc0, v7, s3
	s_wait_kmcnt 0x0
	s_delay_alu instid0(VALU_DEP_2)
	v_add_co_u32 v5, s3, s8, v5
	s_wait_alu 0xf1ff
	v_add_co_ci_u32_e64 v6, null, s9, v6, s3
	global_store_b16 v[5:6], v7, off
.LBB158_42:
	s_wait_alu 0xfffe
	s_or_b32 exec_lo, exec_lo, s4
	v_add3_u32 v5, v1, s13, 32
	s_delay_alu instid0(VALU_DEP_1)
	v_cmp_gt_u32_e64 s3, s6, v5
	s_and_b32 exec_lo, exec_lo, s3
	s_cbranch_execz .LBB158_66
; %bb.43:
	v_mul_lo_u32 v5, v5, s12
	s_and_saveexec_b32 s4, vcc_lo
	s_cbranch_execnz .LBB158_76
; %bb.44:
	s_wait_alu 0xfffe
	s_or_b32 exec_lo, exec_lo, s4
	s_and_saveexec_b32 s4, s0
	s_cbranch_execnz .LBB158_77
.LBB158_45:
	s_wait_alu 0xfffe
	s_or_b32 exec_lo, exec_lo, s4
	s_and_saveexec_b32 s4, s1
	s_cbranch_execnz .LBB158_78
.LBB158_46:
	s_wait_alu 0xfffe
	s_or_b32 exec_lo, exec_lo, s4
	s_and_saveexec_b32 s4, s2
	s_cbranch_execz .LBB158_48
.LBB158_47:
	v_bfe_u32 v6, v38, 16, 1
	v_add_nc_u32_e32 v5, v5, v4
	v_cmp_o_f32_e64 s3, v38, v38
	s_delay_alu instid0(VALU_DEP_3) | instskip(SKIP_1) | instid1(VALU_DEP_2)
	v_add3_u32 v7, v38, v6, 0x7fff
	v_mov_b32_e32 v6, 0
	v_lshrrev_b32_e32 v7, 16, v7
	s_delay_alu instid0(VALU_DEP_2) | instskip(SKIP_1) | instid1(VALU_DEP_2)
	v_lshlrev_b64_e32 v[5:6], 1, v[5:6]
	s_wait_alu 0xf1ff
	v_cndmask_b32_e64 v7, 0x7fc0, v7, s3
	s_wait_kmcnt 0x0
	s_delay_alu instid0(VALU_DEP_2)
	v_add_co_u32 v5, s3, s8, v5
	s_wait_alu 0xf1ff
	v_add_co_ci_u32_e64 v6, null, s9, v6, s3
	global_store_b16 v[5:6], v7, off
.LBB158_48:
	s_wait_alu 0xfffe
	s_or_b32 exec_lo, exec_lo, s4
	v_add3_u32 v5, v1, s13, 40
	s_delay_alu instid0(VALU_DEP_1)
	v_cmp_gt_u32_e64 s3, s6, v5
	s_and_b32 exec_lo, exec_lo, s3
	s_cbranch_execz .LBB158_66
; %bb.49:
	v_mul_lo_u32 v5, v5, s12
	s_and_saveexec_b32 s4, vcc_lo
	s_cbranch_execnz .LBB158_79
; %bb.50:
	s_wait_alu 0xfffe
	s_or_b32 exec_lo, exec_lo, s4
	s_and_saveexec_b32 s4, s0
	s_cbranch_execnz .LBB158_80
.LBB158_51:
	s_wait_alu 0xfffe
	s_or_b32 exec_lo, exec_lo, s4
	s_and_saveexec_b32 s4, s1
	s_cbranch_execnz .LBB158_81
.LBB158_52:
	s_wait_alu 0xfffe
	s_or_b32 exec_lo, exec_lo, s4
	s_and_saveexec_b32 s4, s2
	s_cbranch_execz .LBB158_54
.LBB158_53:
	v_bfe_u32 v6, v34, 16, 1
	v_add_nc_u32_e32 v5, v5, v4
	v_cmp_o_f32_e64 s3, v34, v34
	s_delay_alu instid0(VALU_DEP_3) | instskip(SKIP_1) | instid1(VALU_DEP_2)
	v_add3_u32 v7, v34, v6, 0x7fff
	v_mov_b32_e32 v6, 0
	v_lshrrev_b32_e32 v7, 16, v7
	s_delay_alu instid0(VALU_DEP_2) | instskip(SKIP_1) | instid1(VALU_DEP_2)
	v_lshlrev_b64_e32 v[5:6], 1, v[5:6]
	s_wait_alu 0xf1ff
	v_cndmask_b32_e64 v7, 0x7fc0, v7, s3
	s_wait_kmcnt 0x0
	s_delay_alu instid0(VALU_DEP_2)
	v_add_co_u32 v5, s3, s8, v5
	s_wait_alu 0xf1ff
	v_add_co_ci_u32_e64 v6, null, s9, v6, s3
	global_store_b16 v[5:6], v7, off
.LBB158_54:
	s_wait_alu 0xfffe
	s_or_b32 exec_lo, exec_lo, s4
	v_add3_u32 v5, v1, s13, 48
	s_delay_alu instid0(VALU_DEP_1)
	v_cmp_gt_u32_e64 s3, s6, v5
	s_and_b32 exec_lo, exec_lo, s3
	s_cbranch_execz .LBB158_66
; %bb.55:
	v_mul_lo_u32 v5, v5, s12
	s_and_saveexec_b32 s4, vcc_lo
	s_cbranch_execnz .LBB158_82
; %bb.56:
	s_wait_alu 0xfffe
	s_or_b32 exec_lo, exec_lo, s4
	s_and_saveexec_b32 s4, s0
	s_cbranch_execnz .LBB158_83
.LBB158_57:
	s_wait_alu 0xfffe
	s_or_b32 exec_lo, exec_lo, s4
	s_and_saveexec_b32 s4, s1
	s_cbranch_execnz .LBB158_84
.LBB158_58:
	s_wait_alu 0xfffe
	s_or_b32 exec_lo, exec_lo, s4
	s_and_saveexec_b32 s4, s2
	s_cbranch_execz .LBB158_60
.LBB158_59:
	v_bfe_u32 v6, v30, 16, 1
	v_add_nc_u32_e32 v5, v5, v4
	v_cmp_o_f32_e64 s3, v30, v30
	s_delay_alu instid0(VALU_DEP_3) | instskip(SKIP_1) | instid1(VALU_DEP_2)
	v_add3_u32 v7, v30, v6, 0x7fff
	v_mov_b32_e32 v6, 0
	v_lshrrev_b32_e32 v7, 16, v7
	s_delay_alu instid0(VALU_DEP_2) | instskip(SKIP_1) | instid1(VALU_DEP_2)
	v_lshlrev_b64_e32 v[5:6], 1, v[5:6]
	s_wait_alu 0xf1ff
	v_cndmask_b32_e64 v7, 0x7fc0, v7, s3
	s_wait_kmcnt 0x0
	s_delay_alu instid0(VALU_DEP_2)
	v_add_co_u32 v5, s3, s8, v5
	s_wait_alu 0xf1ff
	v_add_co_ci_u32_e64 v6, null, s9, v6, s3
	global_store_b16 v[5:6], v7, off
.LBB158_60:
	s_wait_alu 0xfffe
	s_or_b32 exec_lo, exec_lo, s4
	v_add3_u32 v1, v1, s13, 56
	s_delay_alu instid0(VALU_DEP_1)
	v_cmp_gt_u32_e64 s3, s6, v1
	s_and_b32 exec_lo, exec_lo, s3
	s_cbranch_execz .LBB158_66
; %bb.61:
	v_mul_lo_u32 v1, v1, s12
	s_and_saveexec_b32 s3, vcc_lo
	s_cbranch_execnz .LBB158_85
; %bb.62:
	s_wait_alu 0xfffe
	s_or_b32 exec_lo, exec_lo, s3
	s_and_saveexec_b32 s3, s0
	s_cbranch_execnz .LBB158_86
.LBB158_63:
	s_wait_alu 0xfffe
	s_or_b32 exec_lo, exec_lo, s3
	s_and_saveexec_b32 s0, s1
	s_cbranch_execnz .LBB158_87
.LBB158_64:
	s_wait_alu 0xfffe
	s_or_b32 exec_lo, exec_lo, s0
	s_delay_alu instid0(SALU_CYCLE_1)
	s_and_b32 exec_lo, exec_lo, s2
	s_cbranch_execz .LBB158_66
.LBB158_65:
	v_bfe_u32 v2, v26, 16, 1
	v_dual_mov_b32 v1, 0 :: v_dual_add_nc_u32 v0, v1, v4
	v_cmp_o_f32_e32 vcc_lo, v26, v26
	s_delay_alu instid0(VALU_DEP_3) | instskip(NEXT) | instid1(VALU_DEP_3)
	v_add3_u32 v2, v26, v2, 0x7fff
	v_lshlrev_b64_e32 v[0:1], 1, v[0:1]
	s_delay_alu instid0(VALU_DEP_2) | instskip(SKIP_1) | instid1(VALU_DEP_1)
	v_lshrrev_b32_e32 v2, 16, v2
	s_wait_alu 0xfffd
	v_cndmask_b32_e32 v2, 0x7fc0, v2, vcc_lo
	s_wait_kmcnt 0x0
	s_delay_alu instid0(VALU_DEP_3)
	v_add_co_u32 v0, vcc_lo, s8, v0
	s_wait_alu 0xfffd
	v_add_co_ci_u32_e64 v1, null, s9, v1, vcc_lo
	global_store_b16 v[0:1], v2, off
.LBB158_66:
	s_nop 0
	s_sendmsg sendmsg(MSG_DEALLOC_VGPRS)
	s_endpgm
.LBB158_67:
	v_bfe_u32 v7, v67, 16, 1
	s_delay_alu instid0(VALU_DEP_2) | instskip(SKIP_1) | instid1(VALU_DEP_3)
	v_add_nc_u32_e32 v6, v5, v0
	v_cmp_o_f32_e64 s3, v67, v67
	v_add3_u32 v8, v67, v7, 0x7fff
	v_mov_b32_e32 v7, 0
	s_delay_alu instid0(VALU_DEP_2) | instskip(NEXT) | instid1(VALU_DEP_2)
	v_lshrrev_b32_e32 v8, 16, v8
	v_lshlrev_b64_e32 v[6:7], 1, v[6:7]
	s_wait_alu 0xf1ff
	s_delay_alu instid0(VALU_DEP_2) | instskip(SKIP_1) | instid1(VALU_DEP_2)
	v_cndmask_b32_e64 v8, 0x7fc0, v8, s3
	s_wait_kmcnt 0x0
	v_add_co_u32 v6, s3, s8, v6
	s_wait_alu 0xf1ff
	v_add_co_ci_u32_e64 v7, null, s9, v7, s3
	global_store_b16 v[6:7], v8, off
	s_wait_alu 0xfffe
	s_or_b32 exec_lo, exec_lo, s4
	s_and_saveexec_b32 s4, s0
	s_cbranch_execz .LBB158_27
.LBB158_68:
	v_bfe_u32 v7, v66, 16, 1
	v_add_nc_u32_e32 v6, v5, v2
	v_cmp_o_f32_e64 s3, v66, v66
	s_delay_alu instid0(VALU_DEP_3) | instskip(SKIP_1) | instid1(VALU_DEP_2)
	v_add3_u32 v8, v66, v7, 0x7fff
	v_mov_b32_e32 v7, 0
	v_lshrrev_b32_e32 v8, 16, v8
	s_delay_alu instid0(VALU_DEP_2) | instskip(SKIP_1) | instid1(VALU_DEP_2)
	v_lshlrev_b64_e32 v[6:7], 1, v[6:7]
	s_wait_alu 0xf1ff
	v_cndmask_b32_e64 v8, 0x7fc0, v8, s3
	s_wait_kmcnt 0x0
	s_delay_alu instid0(VALU_DEP_2)
	v_add_co_u32 v6, s3, s8, v6
	s_wait_alu 0xf1ff
	v_add_co_ci_u32_e64 v7, null, s9, v7, s3
	global_store_b16 v[6:7], v8, off
	s_wait_alu 0xfffe
	s_or_b32 exec_lo, exec_lo, s4
	s_and_saveexec_b32 s4, s1
	s_cbranch_execz .LBB158_28
.LBB158_69:
	v_bfe_u32 v7, v65, 16, 1
	v_add_nc_u32_e32 v6, v5, v3
	v_cmp_o_f32_e64 s3, v65, v65
	s_delay_alu instid0(VALU_DEP_3) | instskip(SKIP_1) | instid1(VALU_DEP_2)
	v_add3_u32 v8, v65, v7, 0x7fff
	v_mov_b32_e32 v7, 0
	v_lshrrev_b32_e32 v8, 16, v8
	s_delay_alu instid0(VALU_DEP_2) | instskip(SKIP_1) | instid1(VALU_DEP_2)
	v_lshlrev_b64_e32 v[6:7], 1, v[6:7]
	s_wait_alu 0xf1ff
	v_cndmask_b32_e64 v8, 0x7fc0, v8, s3
	s_wait_kmcnt 0x0
	s_delay_alu instid0(VALU_DEP_2)
	v_add_co_u32 v6, s3, s8, v6
	s_wait_alu 0xf1ff
	v_add_co_ci_u32_e64 v7, null, s9, v7, s3
	global_store_b16 v[6:7], v8, off
	s_wait_alu 0xfffe
	s_or_b32 exec_lo, exec_lo, s4
	s_and_saveexec_b32 s4, s2
	s_cbranch_execnz .LBB158_29
	s_branch .LBB158_30
.LBB158_70:
	v_bfe_u32 v7, v58, 16, 1
	s_delay_alu instid0(VALU_DEP_2) | instskip(SKIP_1) | instid1(VALU_DEP_3)
	v_add_nc_u32_e32 v6, v5, v0
	v_cmp_o_f32_e64 s3, v58, v58
	v_add3_u32 v8, v58, v7, 0x7fff
	v_mov_b32_e32 v7, 0
	s_delay_alu instid0(VALU_DEP_2) | instskip(NEXT) | instid1(VALU_DEP_2)
	v_lshrrev_b32_e32 v8, 16, v8
	v_lshlrev_b64_e32 v[6:7], 1, v[6:7]
	s_wait_alu 0xf1ff
	s_delay_alu instid0(VALU_DEP_2) | instskip(SKIP_1) | instid1(VALU_DEP_2)
	v_cndmask_b32_e64 v8, 0x7fc0, v8, s3
	s_wait_kmcnt 0x0
	v_add_co_u32 v6, s3, s8, v6
	s_wait_alu 0xf1ff
	v_add_co_ci_u32_e64 v7, null, s9, v7, s3
	global_store_b16 v[6:7], v8, off
	s_wait_alu 0xfffe
	s_or_b32 exec_lo, exec_lo, s4
	s_and_saveexec_b32 s4, s0
	s_cbranch_execz .LBB158_33
.LBB158_71:
	v_bfe_u32 v7, v52, 16, 1
	v_add_nc_u32_e32 v6, v5, v2
	v_cmp_o_f32_e64 s3, v52, v52
	s_delay_alu instid0(VALU_DEP_3) | instskip(SKIP_1) | instid1(VALU_DEP_2)
	v_add3_u32 v8, v52, v7, 0x7fff
	v_mov_b32_e32 v7, 0
	v_lshrrev_b32_e32 v8, 16, v8
	s_delay_alu instid0(VALU_DEP_2) | instskip(SKIP_1) | instid1(VALU_DEP_2)
	v_lshlrev_b64_e32 v[6:7], 1, v[6:7]
	s_wait_alu 0xf1ff
	v_cndmask_b32_e64 v8, 0x7fc0, v8, s3
	s_wait_kmcnt 0x0
	s_delay_alu instid0(VALU_DEP_2)
	v_add_co_u32 v6, s3, s8, v6
	s_wait_alu 0xf1ff
	v_add_co_ci_u32_e64 v7, null, s9, v7, s3
	global_store_b16 v[6:7], v8, off
	s_wait_alu 0xfffe
	s_or_b32 exec_lo, exec_lo, s4
	s_and_saveexec_b32 s4, s1
	s_cbranch_execz .LBB158_34
.LBB158_72:
	v_bfe_u32 v7, v50, 16, 1
	v_add_nc_u32_e32 v6, v5, v3
	v_cmp_o_f32_e64 s3, v50, v50
	s_delay_alu instid0(VALU_DEP_3) | instskip(SKIP_1) | instid1(VALU_DEP_2)
	v_add3_u32 v8, v50, v7, 0x7fff
	v_mov_b32_e32 v7, 0
	v_lshrrev_b32_e32 v8, 16, v8
	s_delay_alu instid0(VALU_DEP_2) | instskip(SKIP_1) | instid1(VALU_DEP_2)
	v_lshlrev_b64_e32 v[6:7], 1, v[6:7]
	s_wait_alu 0xf1ff
	v_cndmask_b32_e64 v8, 0x7fc0, v8, s3
	s_wait_kmcnt 0x0
	s_delay_alu instid0(VALU_DEP_2)
	v_add_co_u32 v6, s3, s8, v6
	s_wait_alu 0xf1ff
	v_add_co_ci_u32_e64 v7, null, s9, v7, s3
	global_store_b16 v[6:7], v8, off
	s_wait_alu 0xfffe
	s_or_b32 exec_lo, exec_lo, s4
	s_and_saveexec_b32 s4, s2
	s_cbranch_execnz .LBB158_35
	s_branch .LBB158_36
.LBB158_73:
	v_bfe_u32 v7, v48, 16, 1
	s_delay_alu instid0(VALU_DEP_2) | instskip(SKIP_1) | instid1(VALU_DEP_3)
	v_add_nc_u32_e32 v6, v5, v0
	v_cmp_o_f32_e64 s3, v48, v48
	v_add3_u32 v8, v48, v7, 0x7fff
	v_mov_b32_e32 v7, 0
	s_delay_alu instid0(VALU_DEP_2) | instskip(NEXT) | instid1(VALU_DEP_2)
	v_lshrrev_b32_e32 v8, 16, v8
	v_lshlrev_b64_e32 v[6:7], 1, v[6:7]
	s_wait_alu 0xf1ff
	s_delay_alu instid0(VALU_DEP_2) | instskip(SKIP_1) | instid1(VALU_DEP_2)
	v_cndmask_b32_e64 v8, 0x7fc0, v8, s3
	s_wait_kmcnt 0x0
	v_add_co_u32 v6, s3, s8, v6
	s_wait_alu 0xf1ff
	v_add_co_ci_u32_e64 v7, null, s9, v7, s3
	global_store_b16 v[6:7], v8, off
	s_wait_alu 0xfffe
	s_or_b32 exec_lo, exec_lo, s4
	s_and_saveexec_b32 s4, s0
	s_cbranch_execz .LBB158_39
.LBB158_74:
	v_bfe_u32 v7, v47, 16, 1
	v_add_nc_u32_e32 v6, v5, v2
	v_cmp_o_f32_e64 s3, v47, v47
	s_delay_alu instid0(VALU_DEP_3) | instskip(SKIP_1) | instid1(VALU_DEP_2)
	v_add3_u32 v8, v47, v7, 0x7fff
	v_mov_b32_e32 v7, 0
	v_lshrrev_b32_e32 v8, 16, v8
	s_delay_alu instid0(VALU_DEP_2) | instskip(SKIP_1) | instid1(VALU_DEP_2)
	v_lshlrev_b64_e32 v[6:7], 1, v[6:7]
	s_wait_alu 0xf1ff
	v_cndmask_b32_e64 v8, 0x7fc0, v8, s3
	s_wait_kmcnt 0x0
	s_delay_alu instid0(VALU_DEP_2)
	v_add_co_u32 v6, s3, s8, v6
	s_wait_alu 0xf1ff
	v_add_co_ci_u32_e64 v7, null, s9, v7, s3
	global_store_b16 v[6:7], v8, off
	s_wait_alu 0xfffe
	s_or_b32 exec_lo, exec_lo, s4
	s_and_saveexec_b32 s4, s1
	s_cbranch_execz .LBB158_40
.LBB158_75:
	v_bfe_u32 v7, v43, 16, 1
	v_add_nc_u32_e32 v6, v5, v3
	v_cmp_o_f32_e64 s3, v43, v43
	s_delay_alu instid0(VALU_DEP_3) | instskip(SKIP_1) | instid1(VALU_DEP_2)
	v_add3_u32 v8, v43, v7, 0x7fff
	v_mov_b32_e32 v7, 0
	v_lshrrev_b32_e32 v8, 16, v8
	s_delay_alu instid0(VALU_DEP_2) | instskip(SKIP_1) | instid1(VALU_DEP_2)
	v_lshlrev_b64_e32 v[6:7], 1, v[6:7]
	s_wait_alu 0xf1ff
	v_cndmask_b32_e64 v8, 0x7fc0, v8, s3
	s_wait_kmcnt 0x0
	s_delay_alu instid0(VALU_DEP_2)
	v_add_co_u32 v6, s3, s8, v6
	s_wait_alu 0xf1ff
	v_add_co_ci_u32_e64 v7, null, s9, v7, s3
	global_store_b16 v[6:7], v8, off
	s_wait_alu 0xfffe
	s_or_b32 exec_lo, exec_lo, s4
	s_and_saveexec_b32 s4, s2
	s_cbranch_execnz .LBB158_41
	s_branch .LBB158_42
.LBB158_76:
	v_bfe_u32 v7, v41, 16, 1
	s_delay_alu instid0(VALU_DEP_2) | instskip(SKIP_1) | instid1(VALU_DEP_3)
	v_add_nc_u32_e32 v6, v5, v0
	v_cmp_o_f32_e64 s3, v41, v41
	v_add3_u32 v8, v41, v7, 0x7fff
	v_mov_b32_e32 v7, 0
	s_delay_alu instid0(VALU_DEP_2) | instskip(NEXT) | instid1(VALU_DEP_2)
	v_lshrrev_b32_e32 v8, 16, v8
	v_lshlrev_b64_e32 v[6:7], 1, v[6:7]
	s_wait_alu 0xf1ff
	s_delay_alu instid0(VALU_DEP_2) | instskip(SKIP_1) | instid1(VALU_DEP_2)
	v_cndmask_b32_e64 v8, 0x7fc0, v8, s3
	s_wait_kmcnt 0x0
	v_add_co_u32 v6, s3, s8, v6
	s_wait_alu 0xf1ff
	v_add_co_ci_u32_e64 v7, null, s9, v7, s3
	global_store_b16 v[6:7], v8, off
	s_wait_alu 0xfffe
	s_or_b32 exec_lo, exec_lo, s4
	s_and_saveexec_b32 s4, s0
	s_cbranch_execz .LBB158_45
.LBB158_77:
	v_bfe_u32 v7, v40, 16, 1
	v_add_nc_u32_e32 v6, v5, v2
	v_cmp_o_f32_e64 s3, v40, v40
	s_delay_alu instid0(VALU_DEP_3) | instskip(SKIP_1) | instid1(VALU_DEP_2)
	v_add3_u32 v8, v40, v7, 0x7fff
	v_mov_b32_e32 v7, 0
	v_lshrrev_b32_e32 v8, 16, v8
	s_delay_alu instid0(VALU_DEP_2) | instskip(SKIP_1) | instid1(VALU_DEP_2)
	v_lshlrev_b64_e32 v[6:7], 1, v[6:7]
	s_wait_alu 0xf1ff
	v_cndmask_b32_e64 v8, 0x7fc0, v8, s3
	s_wait_kmcnt 0x0
	s_delay_alu instid0(VALU_DEP_2)
	v_add_co_u32 v6, s3, s8, v6
	s_wait_alu 0xf1ff
	v_add_co_ci_u32_e64 v7, null, s9, v7, s3
	global_store_b16 v[6:7], v8, off
	s_wait_alu 0xfffe
	s_or_b32 exec_lo, exec_lo, s4
	s_and_saveexec_b32 s4, s1
	s_cbranch_execz .LBB158_46
.LBB158_78:
	v_bfe_u32 v7, v39, 16, 1
	v_add_nc_u32_e32 v6, v5, v3
	v_cmp_o_f32_e64 s3, v39, v39
	s_delay_alu instid0(VALU_DEP_3) | instskip(SKIP_1) | instid1(VALU_DEP_2)
	v_add3_u32 v8, v39, v7, 0x7fff
	v_mov_b32_e32 v7, 0
	v_lshrrev_b32_e32 v8, 16, v8
	s_delay_alu instid0(VALU_DEP_2) | instskip(SKIP_1) | instid1(VALU_DEP_2)
	v_lshlrev_b64_e32 v[6:7], 1, v[6:7]
	s_wait_alu 0xf1ff
	v_cndmask_b32_e64 v8, 0x7fc0, v8, s3
	s_wait_kmcnt 0x0
	s_delay_alu instid0(VALU_DEP_2)
	v_add_co_u32 v6, s3, s8, v6
	s_wait_alu 0xf1ff
	v_add_co_ci_u32_e64 v7, null, s9, v7, s3
	global_store_b16 v[6:7], v8, off
	s_wait_alu 0xfffe
	s_or_b32 exec_lo, exec_lo, s4
	s_and_saveexec_b32 s4, s2
	s_cbranch_execnz .LBB158_47
	s_branch .LBB158_48
.LBB158_79:
	v_bfe_u32 v7, v37, 16, 1
	s_delay_alu instid0(VALU_DEP_2) | instskip(SKIP_1) | instid1(VALU_DEP_3)
	v_add_nc_u32_e32 v6, v5, v0
	v_cmp_o_f32_e64 s3, v37, v37
	v_add3_u32 v8, v37, v7, 0x7fff
	v_mov_b32_e32 v7, 0
	s_delay_alu instid0(VALU_DEP_2) | instskip(NEXT) | instid1(VALU_DEP_2)
	v_lshrrev_b32_e32 v8, 16, v8
	v_lshlrev_b64_e32 v[6:7], 1, v[6:7]
	s_wait_alu 0xf1ff
	s_delay_alu instid0(VALU_DEP_2) | instskip(SKIP_1) | instid1(VALU_DEP_2)
	v_cndmask_b32_e64 v8, 0x7fc0, v8, s3
	s_wait_kmcnt 0x0
	v_add_co_u32 v6, s3, s8, v6
	s_wait_alu 0xf1ff
	v_add_co_ci_u32_e64 v7, null, s9, v7, s3
	global_store_b16 v[6:7], v8, off
	s_wait_alu 0xfffe
	s_or_b32 exec_lo, exec_lo, s4
	s_and_saveexec_b32 s4, s0
	s_cbranch_execz .LBB158_51
.LBB158_80:
	v_bfe_u32 v7, v36, 16, 1
	v_add_nc_u32_e32 v6, v5, v2
	v_cmp_o_f32_e64 s3, v36, v36
	s_delay_alu instid0(VALU_DEP_3) | instskip(SKIP_1) | instid1(VALU_DEP_2)
	v_add3_u32 v8, v36, v7, 0x7fff
	v_mov_b32_e32 v7, 0
	v_lshrrev_b32_e32 v8, 16, v8
	s_delay_alu instid0(VALU_DEP_2) | instskip(SKIP_1) | instid1(VALU_DEP_2)
	v_lshlrev_b64_e32 v[6:7], 1, v[6:7]
	s_wait_alu 0xf1ff
	v_cndmask_b32_e64 v8, 0x7fc0, v8, s3
	s_wait_kmcnt 0x0
	s_delay_alu instid0(VALU_DEP_2)
	v_add_co_u32 v6, s3, s8, v6
	s_wait_alu 0xf1ff
	v_add_co_ci_u32_e64 v7, null, s9, v7, s3
	global_store_b16 v[6:7], v8, off
	s_wait_alu 0xfffe
	s_or_b32 exec_lo, exec_lo, s4
	s_and_saveexec_b32 s4, s1
	s_cbranch_execz .LBB158_52
.LBB158_81:
	v_bfe_u32 v7, v35, 16, 1
	v_add_nc_u32_e32 v6, v5, v3
	v_cmp_o_f32_e64 s3, v35, v35
	s_delay_alu instid0(VALU_DEP_3) | instskip(SKIP_1) | instid1(VALU_DEP_2)
	v_add3_u32 v8, v35, v7, 0x7fff
	v_mov_b32_e32 v7, 0
	v_lshrrev_b32_e32 v8, 16, v8
	s_delay_alu instid0(VALU_DEP_2) | instskip(SKIP_1) | instid1(VALU_DEP_2)
	v_lshlrev_b64_e32 v[6:7], 1, v[6:7]
	s_wait_alu 0xf1ff
	v_cndmask_b32_e64 v8, 0x7fc0, v8, s3
	s_wait_kmcnt 0x0
	s_delay_alu instid0(VALU_DEP_2)
	v_add_co_u32 v6, s3, s8, v6
	s_wait_alu 0xf1ff
	v_add_co_ci_u32_e64 v7, null, s9, v7, s3
	global_store_b16 v[6:7], v8, off
	s_wait_alu 0xfffe
	s_or_b32 exec_lo, exec_lo, s4
	s_and_saveexec_b32 s4, s2
	s_cbranch_execnz .LBB158_53
	s_branch .LBB158_54
.LBB158_82:
	v_bfe_u32 v7, v33, 16, 1
	s_delay_alu instid0(VALU_DEP_2) | instskip(SKIP_1) | instid1(VALU_DEP_3)
	v_add_nc_u32_e32 v6, v5, v0
	v_cmp_o_f32_e64 s3, v33, v33
	v_add3_u32 v8, v33, v7, 0x7fff
	v_mov_b32_e32 v7, 0
	s_delay_alu instid0(VALU_DEP_2) | instskip(NEXT) | instid1(VALU_DEP_2)
	v_lshrrev_b32_e32 v8, 16, v8
	v_lshlrev_b64_e32 v[6:7], 1, v[6:7]
	s_wait_alu 0xf1ff
	s_delay_alu instid0(VALU_DEP_2) | instskip(SKIP_1) | instid1(VALU_DEP_2)
	v_cndmask_b32_e64 v8, 0x7fc0, v8, s3
	s_wait_kmcnt 0x0
	v_add_co_u32 v6, s3, s8, v6
	s_wait_alu 0xf1ff
	v_add_co_ci_u32_e64 v7, null, s9, v7, s3
	global_store_b16 v[6:7], v8, off
	s_wait_alu 0xfffe
	s_or_b32 exec_lo, exec_lo, s4
	s_and_saveexec_b32 s4, s0
	s_cbranch_execz .LBB158_57
.LBB158_83:
	v_bfe_u32 v7, v32, 16, 1
	v_add_nc_u32_e32 v6, v5, v2
	v_cmp_o_f32_e64 s3, v32, v32
	s_delay_alu instid0(VALU_DEP_3) | instskip(SKIP_1) | instid1(VALU_DEP_2)
	v_add3_u32 v8, v32, v7, 0x7fff
	v_mov_b32_e32 v7, 0
	v_lshrrev_b32_e32 v8, 16, v8
	s_delay_alu instid0(VALU_DEP_2) | instskip(SKIP_1) | instid1(VALU_DEP_2)
	v_lshlrev_b64_e32 v[6:7], 1, v[6:7]
	s_wait_alu 0xf1ff
	v_cndmask_b32_e64 v8, 0x7fc0, v8, s3
	s_wait_kmcnt 0x0
	s_delay_alu instid0(VALU_DEP_2)
	v_add_co_u32 v6, s3, s8, v6
	s_wait_alu 0xf1ff
	v_add_co_ci_u32_e64 v7, null, s9, v7, s3
	global_store_b16 v[6:7], v8, off
	s_wait_alu 0xfffe
	s_or_b32 exec_lo, exec_lo, s4
	s_and_saveexec_b32 s4, s1
	s_cbranch_execz .LBB158_58
.LBB158_84:
	v_bfe_u32 v7, v31, 16, 1
	v_add_nc_u32_e32 v6, v5, v3
	v_cmp_o_f32_e64 s3, v31, v31
	s_delay_alu instid0(VALU_DEP_3) | instskip(SKIP_1) | instid1(VALU_DEP_2)
	v_add3_u32 v8, v31, v7, 0x7fff
	v_mov_b32_e32 v7, 0
	v_lshrrev_b32_e32 v8, 16, v8
	s_delay_alu instid0(VALU_DEP_2) | instskip(SKIP_1) | instid1(VALU_DEP_2)
	v_lshlrev_b64_e32 v[6:7], 1, v[6:7]
	s_wait_alu 0xf1ff
	v_cndmask_b32_e64 v8, 0x7fc0, v8, s3
	s_wait_kmcnt 0x0
	s_delay_alu instid0(VALU_DEP_2)
	v_add_co_u32 v6, s3, s8, v6
	s_wait_alu 0xf1ff
	v_add_co_ci_u32_e64 v7, null, s9, v7, s3
	global_store_b16 v[6:7], v8, off
	s_wait_alu 0xfffe
	s_or_b32 exec_lo, exec_lo, s4
	s_and_saveexec_b32 s4, s2
	s_cbranch_execnz .LBB158_59
	s_branch .LBB158_60
.LBB158_85:
	v_bfe_u32 v6, v29, 16, 1
	s_delay_alu instid0(VALU_DEP_2) | instskip(SKIP_1) | instid1(VALU_DEP_3)
	v_add_nc_u32_e32 v5, v1, v0
	v_cmp_o_f32_e32 vcc_lo, v29, v29
	v_add3_u32 v0, v29, v6, 0x7fff
	v_mov_b32_e32 v6, 0
	s_delay_alu instid0(VALU_DEP_2) | instskip(NEXT) | instid1(VALU_DEP_2)
	v_lshrrev_b32_e32 v0, 16, v0
	v_lshlrev_b64_e32 v[5:6], 1, v[5:6]
	s_wait_alu 0xfffd
	s_delay_alu instid0(VALU_DEP_2) | instskip(SKIP_1) | instid1(VALU_DEP_2)
	v_cndmask_b32_e32 v0, 0x7fc0, v0, vcc_lo
	s_wait_kmcnt 0x0
	v_add_co_u32 v5, vcc_lo, s8, v5
	s_wait_alu 0xfffd
	v_add_co_ci_u32_e64 v6, null, s9, v6, vcc_lo
	global_store_b16 v[5:6], v0, off
	s_wait_alu 0xfffe
	s_or_b32 exec_lo, exec_lo, s3
	s_and_saveexec_b32 s3, s0
	s_cbranch_execz .LBB158_63
.LBB158_86:
	v_bfe_u32 v0, v28, 16, 1
	v_dual_mov_b32 v6, 0 :: v_dual_add_nc_u32 v5, v1, v2
	v_cmp_o_f32_e32 vcc_lo, v28, v28
	s_delay_alu instid0(VALU_DEP_3) | instskip(NEXT) | instid1(VALU_DEP_3)
	v_add3_u32 v0, v28, v0, 0x7fff
	v_lshlrev_b64_e32 v[5:6], 1, v[5:6]
	s_delay_alu instid0(VALU_DEP_2) | instskip(SKIP_1) | instid1(VALU_DEP_1)
	v_lshrrev_b32_e32 v0, 16, v0
	s_wait_alu 0xfffd
	v_cndmask_b32_e32 v0, 0x7fc0, v0, vcc_lo
	s_wait_kmcnt 0x0
	s_delay_alu instid0(VALU_DEP_3)
	v_add_co_u32 v5, vcc_lo, s8, v5
	s_wait_alu 0xfffd
	v_add_co_ci_u32_e64 v6, null, s9, v6, vcc_lo
	global_store_b16 v[5:6], v0, off
	s_wait_alu 0xfffe
	s_or_b32 exec_lo, exec_lo, s3
	s_and_saveexec_b32 s0, s1
	s_cbranch_execz .LBB158_64
.LBB158_87:
	v_bfe_u32 v0, v27, 16, 1
	v_dual_mov_b32 v3, 0 :: v_dual_add_nc_u32 v2, v1, v3
	v_cmp_o_f32_e32 vcc_lo, v27, v27
	s_delay_alu instid0(VALU_DEP_3) | instskip(NEXT) | instid1(VALU_DEP_3)
	v_add3_u32 v0, v27, v0, 0x7fff
	v_lshlrev_b64_e32 v[2:3], 1, v[2:3]
	s_delay_alu instid0(VALU_DEP_2) | instskip(SKIP_1) | instid1(VALU_DEP_1)
	v_lshrrev_b32_e32 v0, 16, v0
	s_wait_alu 0xfffd
	v_cndmask_b32_e32 v0, 0x7fc0, v0, vcc_lo
	s_wait_kmcnt 0x0
	s_delay_alu instid0(VALU_DEP_3)
	v_add_co_u32 v2, vcc_lo, s8, v2
	s_wait_alu 0xfffd
	v_add_co_ci_u32_e64 v3, null, s9, v3, vcc_lo
	global_store_b16 v[2:3], v0, off
	s_wait_alu 0xfffe
	s_or_b32 exec_lo, exec_lo, s0
	s_delay_alu instid0(SALU_CYCLE_1)
	s_and_b32 exec_lo, exec_lo, s2
	s_cbranch_execnz .LBB158_65
	s_branch .LBB158_66
	.section	.rodata,"a",@progbits
	.p2align	6, 0x0
	.amdhsa_kernel _ZL12mul_mat_q4_0IN3c108BFloat16ELb1EEvPKvS3_PT_iiiii
		.amdhsa_group_segment_fixed_size 30336
		.amdhsa_private_segment_fixed_size 232
		.amdhsa_kernarg_size 44
		.amdhsa_user_sgpr_count 2
		.amdhsa_user_sgpr_dispatch_ptr 0
		.amdhsa_user_sgpr_queue_ptr 0
		.amdhsa_user_sgpr_kernarg_segment_ptr 1
		.amdhsa_user_sgpr_dispatch_id 0
		.amdhsa_user_sgpr_private_segment_size 0
		.amdhsa_wavefront_size32 1
		.amdhsa_uses_dynamic_stack 0
		.amdhsa_enable_private_segment 1
		.amdhsa_system_sgpr_workgroup_id_x 1
		.amdhsa_system_sgpr_workgroup_id_y 1
		.amdhsa_system_sgpr_workgroup_id_z 0
		.amdhsa_system_sgpr_workgroup_info 0
		.amdhsa_system_vgpr_workitem_id 1
		.amdhsa_next_free_vgpr 256
		.amdhsa_next_free_sgpr 17
		.amdhsa_reserve_vcc 1
		.amdhsa_float_round_mode_32 0
		.amdhsa_float_round_mode_16_64 0
		.amdhsa_float_denorm_mode_32 3
		.amdhsa_float_denorm_mode_16_64 3
		.amdhsa_fp16_overflow 0
		.amdhsa_workgroup_processor_mode 1
		.amdhsa_memory_ordered 1
		.amdhsa_forward_progress 1
		.amdhsa_inst_pref_size 255
		.amdhsa_round_robin_scheduling 0
		.amdhsa_exception_fp_ieee_invalid_op 0
		.amdhsa_exception_fp_denorm_src 0
		.amdhsa_exception_fp_ieee_div_zero 0
		.amdhsa_exception_fp_ieee_overflow 0
		.amdhsa_exception_fp_ieee_underflow 0
		.amdhsa_exception_fp_ieee_inexact 0
		.amdhsa_exception_int_div_zero 0
	.end_amdhsa_kernel
	.section	.text._ZL12mul_mat_q4_0IN3c108BFloat16ELb1EEvPKvS3_PT_iiiii,"axG",@progbits,_ZL12mul_mat_q4_0IN3c108BFloat16ELb1EEvPKvS3_PT_iiiii,comdat
.Lfunc_end158:
	.size	_ZL12mul_mat_q4_0IN3c108BFloat16ELb1EEvPKvS3_PT_iiiii, .Lfunc_end158-_ZL12mul_mat_q4_0IN3c108BFloat16ELb1EEvPKvS3_PT_iiiii
                                        ; -- End function
	.set _ZL12mul_mat_q4_0IN3c108BFloat16ELb1EEvPKvS3_PT_iiiii.num_vgpr, 256
	.set _ZL12mul_mat_q4_0IN3c108BFloat16ELb1EEvPKvS3_PT_iiiii.num_agpr, 0
	.set _ZL12mul_mat_q4_0IN3c108BFloat16ELb1EEvPKvS3_PT_iiiii.numbered_sgpr, 17
	.set _ZL12mul_mat_q4_0IN3c108BFloat16ELb1EEvPKvS3_PT_iiiii.num_named_barrier, 0
	.set _ZL12mul_mat_q4_0IN3c108BFloat16ELb1EEvPKvS3_PT_iiiii.private_seg_size, 232
	.set _ZL12mul_mat_q4_0IN3c108BFloat16ELb1EEvPKvS3_PT_iiiii.uses_vcc, 1
	.set _ZL12mul_mat_q4_0IN3c108BFloat16ELb1EEvPKvS3_PT_iiiii.uses_flat_scratch, 1
	.set _ZL12mul_mat_q4_0IN3c108BFloat16ELb1EEvPKvS3_PT_iiiii.has_dyn_sized_stack, 0
	.set _ZL12mul_mat_q4_0IN3c108BFloat16ELb1EEvPKvS3_PT_iiiii.has_recursion, 0
	.set _ZL12mul_mat_q4_0IN3c108BFloat16ELb1EEvPKvS3_PT_iiiii.has_indirect_call, 0
	.section	.AMDGPU.csdata,"",@progbits
; Kernel info:
; codeLenInByte = 37768
; TotalNumSgprs: 19
; NumVgprs: 256
; ScratchSize: 232
; MemoryBound: 0
; FloatMode: 240
; IeeeMode: 1
; LDSByteSize: 30336 bytes/workgroup (compile time only)
; SGPRBlocks: 0
; VGPRBlocks: 31
; NumSGPRsForWavesPerEU: 19
; NumVGPRsForWavesPerEU: 256
; Occupancy: 5
; WaveLimiterHint : 0
; COMPUTE_PGM_RSRC2:SCRATCH_EN: 1
; COMPUTE_PGM_RSRC2:USER_SGPR: 2
; COMPUTE_PGM_RSRC2:TRAP_HANDLER: 0
; COMPUTE_PGM_RSRC2:TGID_X_EN: 1
; COMPUTE_PGM_RSRC2:TGID_Y_EN: 1
; COMPUTE_PGM_RSRC2:TGID_Z_EN: 0
; COMPUTE_PGM_RSRC2:TIDIG_COMP_CNT: 1
	.section	.text._ZL12mul_mat_q4_1IN3c108BFloat16ELb0EEvPKvS3_PT_iiiii,"axG",@progbits,_ZL12mul_mat_q4_1IN3c108BFloat16ELb0EEvPKvS3_PT_iiiii,comdat
	.globl	_ZL12mul_mat_q4_1IN3c108BFloat16ELb0EEvPKvS3_PT_iiiii ; -- Begin function _ZL12mul_mat_q4_1IN3c108BFloat16ELb0EEvPKvS3_PT_iiiii
	.p2align	8
	.type	_ZL12mul_mat_q4_1IN3c108BFloat16ELb0EEvPKvS3_PT_iiiii,@function
_ZL12mul_mat_q4_1IN3c108BFloat16ELb0EEvPKvS3_PT_iiiii: ; @_ZL12mul_mat_q4_1IN3c108BFloat16ELb0EEvPKvS3_PT_iiiii
; %bb.0:
	s_clause 0x1
	s_load_b32 s2, s[0:1], 0x18
	s_load_b96 s[4:6], s[0:1], 0x20
	v_bfe_u32 v1, v0, 10, 10
	s_lshl_b32 s7, ttmp7, 6
	scratch_store_b32 off, v1, off offset:500 ; 4-byte Folded Spill
	v_and_b32_e32 v1, 0x3ff, v0
	scratch_store_b32 off, v1, off offset:248 ; 4-byte Folded Spill
	s_wait_kmcnt 0x0
	s_cmp_gt_i32 s2, 31
	s_cbranch_scc1 .LBB159_2
; %bb.1:
	v_bfe_u32 v1, v0, 10, 10
	v_and_b32_e32 v2, 0x3ff, v0
	s_mov_b32 s3, 0
	s_delay_alu instid0(VALU_DEP_2)
	v_add_nc_u32_e32 v3, s7, v1
	scratch_store_b32 off, v3, off offset:496 ; 4-byte Folded Spill
	s_branch .LBB159_3
.LBB159_2:
	s_mov_b32 s3, -1
                                        ; implicit-def: $vgpr1
                                        ; implicit-def: $vgpr2
                                        ; implicit-def: $vgpr3
                                        ; kill: killed $vgpr3
.LBB159_3:
	s_load_b64 s[8:9], s[0:1], 0x10
	v_dual_mov_b32 v35, 0 :: v_dual_mov_b32 v60, 0
	v_dual_mov_b32 v39, 0 :: v_dual_mov_b32 v68, 0
	;; [unrolled: 1-line block ×15, first 2 shown]
	v_mov_b32_e32 v64, 0
	v_mov_b32_e32 v58, 0
	s_and_not1_b32 vcc_lo, exec_lo, s3
	s_lshl_b32 s14, ttmp9, 7
	s_cbranch_vccnz .LBB159_15
; %bb.4:
	v_bfe_u32 v38, v0, 10, 10
	s_add_co_i32 s10, s4, -1
	v_bfe_u32 v26, v0, 3, 7
	v_cvt_f64_i32_e32 v[1:2], s10
	v_bfe_u32 v62, v0, 2, 8
	v_dual_mov_b32 v59, 0 :: v_dual_add_nc_u32 v10, s7, v38
	v_dual_mov_b32 v56, 0 :: v_dual_and_b32 v19, 3, v0
	s_ashr_i32 s3, s2, 31
	s_delay_alu instid0(VALU_DEP_2)
	v_cvt_f64_u32_e32 v[3:4], v10
	v_dual_mov_b32 v58, 0 :: v_dual_add_nc_u32 v5, 8, v10
	v_dual_mov_b32 v64, 0 :: v_dual_add_nc_u32 v7, 16, v10
	;; [unrolled: 1-line block ×6, first 2 shown]
	v_add_nc_u32_e32 v17, 56, v10
	v_cvt_f64_u32_e32 v[5:6], v5
	v_cvt_f64_u32_e32 v[7:8], v7
	s_clause 0x1
	scratch_store_b32 off, v10, off offset:496
	scratch_store_b32 off, v26, off offset:352
	v_cvt_f64_u32_e32 v[9:10], v9
	v_cvt_f64_u32_e32 v[11:12], v11
	;; [unrolled: 1-line block ×5, first 2 shown]
	s_lshr_b32 s3, s3, 27
	s_ashr_i32 s12, s5, 31
	v_dual_mov_b32 v70, 0 :: v_dual_and_b32 v39, 0x3ff, v0
	v_dual_mov_b32 v60, 0 :: v_dual_lshlrev_b32 v27, 2, v19
	s_add_co_i32 s11, s2, s3
	s_lshr_b32 s12, s12, 27
	s_wait_alu 0xfffe
	s_ashr_i32 s15, s11, 5
	s_add_co_i32 s5, s5, s12
	v_dual_mov_b32 v57, 0 :: v_dual_lshlrev_b32 v20, 2, v39
	v_dual_mov_b32 v138, 0 :: v_dual_and_b32 v65, 7, v0
	s_ashr_i32 s5, s5, 5
	v_min_num_f64_e32 v[3:4], v[3:4], v[1:2]
	s_delay_alu instid0(VALU_DEP_3)
	v_dual_mov_b32 v41, 0 :: v_dual_and_b32 v72, 12, v20
	v_mad_u32_u24 v73, 0x84, v38, v20
	v_dual_mov_b32 v61, 0 :: v_dual_and_b32 v20, 28, v20
	v_dual_mov_b32 v44, 0 :: v_dual_add_nc_u32 v25, 32, v39
	s_load_b128 s[0:3], s[0:1], 0x0
	v_mul_lo_u32 v48, s15, v38
	v_dual_mov_b32 v162, 0 :: v_dual_add_nc_u32 v23, 0x60, v39
	s_lshl_b32 s16, s15, 3
	v_dual_mov_b32 v45, 0 :: v_dual_add_nc_u32 v24, 64, v39
	v_min_num_f64_e32 v[5:6], v[5:6], v[1:2]
	v_min_num_f64_e32 v[7:8], v[7:8], v[1:2]
	v_dual_mov_b32 v161, 0 :: v_dual_add_nc_u32 v66, s16, v48
	v_min_num_f64_e32 v[9:10], v[9:10], v[1:2]
	v_min_num_f64_e32 v[11:12], v[11:12], v[1:2]
	;; [unrolled: 1-line block ×5, first 2 shown]
	v_lshl_add_u32 v17, v38, 2, v26
	v_lshl_add_u32 v26, v38, 3, v62
	v_lshlrev_b32_e32 v18, 2, v65
	v_dual_mov_b32 v40, 0 :: v_dual_and_b32 v21, 31, v0
	s_delay_alu instid0(VALU_DEP_4)
	v_mul_lo_u32 v79, s15, v17
	v_and_b32_e32 v35, 0x7fc, v17
	v_lshlrev_b32_e32 v36, 5, v17
	v_add_nc_u32_e32 v37, 32, v17
	v_dual_mov_b32 v124, 0 :: v_dual_add_nc_u32 v67, s16, v66
	v_and_b32_e32 v0, 0xfc, v0
	v_dual_mov_b32 v49, 0 :: v_dual_lshlrev_b32 v22, 7, v38
	v_cvt_i32_f64_e32 v3, v[3:4]
	s_delay_alu instid0(VALU_DEP_4) | instskip(SKIP_1) | instid1(VALU_DEP_4)
	v_add_nc_u32_e32 v71, s16, v67
	v_lshl_or_b32 v21, v21, 2, 0x4200
	v_dual_mov_b32 v55, 0 :: v_dual_add_nc_u32 v28, 0x400, v22
	v_add_nc_u32_e32 v29, 0x800, v22
	v_dual_mov_b32 v137, 0 :: v_dual_add_nc_u32 v30, 0xc00, v22
	v_add_nc_u32_e32 v31, 0x1000, v22
	v_dual_mov_b32 v43, 0 :: v_dual_add_nc_u32 v32, 0x1400, v22
	v_mov_b32_e32 v69, 0
	s_and_not1_b32 s11, s11, 31
	v_add_nc_u32_e32 v33, 0x1800, v22
	s_wait_alu 0xfffe
	v_add_nc_u32_e32 v84, s11, v79
	v_cvt_i32_f64_e32 v4, v[5:6]
	v_cvt_i32_f64_e32 v5, v[7:8]
	v_mov_b32_e32 v68, 0
	v_add_nc_u32_e32 v34, 0x1c00, v22
	v_cvt_i32_f64_e32 v6, v[9:10]
	v_cvt_i32_f64_e32 v7, v[11:12]
	v_and_b32_e32 v11, 63, v26
	v_add_nc_u32_e32 v10, 0x60, v17
	v_cvt_i32_f64_e32 v1, v[1:2]
	v_add_nc_u32_e32 v2, 64, v17
	v_cvt_i32_f64_e32 v8, v[13:14]
	v_or_b32_e32 v17, s7, v11
	v_lshl_or_b32 v11, v11, 4, v27
	v_cvt_i32_f64_e32 v9, v[15:16]
	v_and_b32_e32 v13, 0xffc, v37
	v_and_b32_e32 v15, 0xffc, v2
	;; [unrolled: 1-line block ×3, first 2 shown]
	v_min_i32_e32 v17, s10, v17
	v_add_nc_u32_e32 v11, 0x7280, v11
	v_add3_u32 v12, v35, v18, 0x6200
	v_lshlrev_b32_e32 v14, 5, v37
	v_add3_u32 v13, v13, v18, 0x6200
	v_add3_u32 v15, v15, v18, 0x6200
	v_mul_lo_u32 v3, s5, v3
	v_add3_u32 v16, v16, v18, 0x6200
	scratch_store_b32 off, v11, off offset:252 ; 4-byte Folded Spill
	v_mov_b32_e32 v37, 0
	v_mad_co_u64_u32 v[17:18], null, v17, s5, v[19:20]
	v_add_nc_u32_e32 v90, v12, v36
	v_mov_b32_e32 v36, 0
	v_dual_mov_b32 v47, 0 :: v_dual_add_nc_u32 v74, s16, v71
	v_dual_mov_b32 v35, 0 :: v_dual_lshlrev_b32 v2, 5, v2
	v_lshlrev_b32_e32 v10, 5, v10
	s_delay_alu instid0(VALU_DEP_3)
	v_add_nc_u32_e32 v75, s16, v74
	v_add_nc_u32_e32 v86, s11, v84
	s_mul_i32 s12, s15, s14
	v_add_nc_u32_e32 v91, v13, v14
	s_ashr_i32 s13, s12, 31
	v_add_nc_u32_e32 v76, s16, v75
	v_add_nc_u32_e32 v88, s11, v86
	;; [unrolled: 1-line block ×4, first 2 shown]
	s_mul_u64 s[12:13], s[12:13], 20
	v_mul_lo_u32 v1, s5, v1
	scratch_store_b32 off, v3, off offset:256 ; 4-byte Folded Spill
	v_mul_lo_u32 v3, s5, v4
	scratch_store_b64 off, v[17:18], off offset:428 ; 8-byte Folded Spill
	v_and_b32_e32 v4, 0x1fc, v24
	v_add_nc_u32_e32 v77, s16, v76
	s_mov_b32 s11, 0
	s_wait_kmcnt 0x0
	s_add_nc_u64 s[0:1], s[0:1], s[12:13]
	scratch_store_b32 off, v1, off offset:284 ; 4-byte Folded Spill
	v_lshlrev_b32_e32 v1, 5, v39
	scratch_store_b32 off, v3, off offset:260 ; 4-byte Folded Spill
	v_mul_lo_u32 v3, s5, v5
	v_and_b32_e32 v5, 0x1fc, v25
	v_add_nc_u32_e32 v78, s16, v77
	v_add_nc_u32_e32 v4, v1, v4
	v_dual_mov_b32 v39, 0 :: v_dual_add_nc_u32 v0, v1, v0
	s_delay_alu instid0(VALU_DEP_4) | instskip(NEXT) | instid1(VALU_DEP_4)
	v_add_nc_u32_e32 v5, v1, v5
	v_add_nc_u32_e32 v80, s16, v78
	scratch_store_b32 off, v3, off offset:264 ; 4-byte Folded Spill
	v_mul_lo_u32 v3, s5, v6
	v_lshrrev_b32_e32 v6, 3, v25
	s_wait_alu 0xfffe
	s_mov_b32 s10, s11
	v_add_nc_u32_e32 v81, s16, v80
	s_clause 0x1
	scratch_store_b32 off, v6, off offset:476
	scratch_store_b32 off, v3, off offset:268
	v_mul_lo_u32 v3, s5, v7
	v_add_nc_u32_e32 v82, s16, v81
	s_delay_alu instid0(VALU_DEP_1) | instskip(SKIP_3) | instid1(VALU_DEP_1)
	v_add_nc_u32_e32 v83, s16, v82
	scratch_store_b32 off, v3, off offset:272 ; 4-byte Folded Spill
	v_mul_lo_u32 v3, s5, v8
	v_add_nc_u32_e32 v85, s16, v83
	v_add_nc_u32_e32 v87, s16, v85
	scratch_store_b32 off, v3, off offset:276 ; 4-byte Folded Spill
	v_mul_lo_u32 v3, s5, v9
	v_add_co_u32 v6, s5, s2, v20
	s_wait_alu 0xf1ff
	v_add_co_ci_u32_e64 v7, null, s3, 0, s5
	v_add_nc_u32_e32 v89, s16, v87
	s_add_co_i32 s5, s15, 3
	scratch_store_b32 off, v3, off offset:280 ; 4-byte Folded Spill
	v_and_b32_e32 v3, 0x1fc, v23
	s_delay_alu instid0(VALU_DEP_1) | instskip(NEXT) | instid1(VALU_DEP_1)
	v_add_nc_u32_e32 v3, v1, v3
	v_add_nc_u32_e32 v1, 0x6e00, v3
	scratch_store_b32 off, v1, off offset:444 ; 4-byte Folded Spill
	v_add_nc_u32_e32 v1, 0x6a00, v4
	scratch_store_b32 off, v1, off offset:448 ; 4-byte Folded Spill
	;; [unrolled: 2-line block ×3, first 2 shown]
	v_add_nc_u32_e32 v1, 0x6200, v0
	v_add_nc_u32_e32 v0, 0x6210, v0
	s_clause 0x1
	scratch_store_b32 off, v1, off offset:456
	scratch_store_b32 off, v0, off offset:492
	v_lshl_add_u32 v1, v38, 4, 0x7280
	scratch_store_b64 off, v[6:7], off offset:288 ; 8-byte Folded Spill
	v_add_nc_u32_e32 v0, v21, v22
	v_mov_b32_e32 v38, 0
	scratch_store_b32 off, v1, off offset:296 ; 4-byte Folded Spill
	v_add_nc_u32_e32 v1, 0x4200, v22
	scratch_store_b32 off, v0, off offset:304 ; 4-byte Folded Spill
	v_add_nc_u32_e32 v0, v21, v28
	;; [unrolled: 2-line block ×8, first 2 shown]
	s_clause 0x1
	scratch_store_b32 off, v1, off offset:488
	scratch_store_b32 off, v0, off offset:320
	v_add_nc_u32_e32 v0, v21, v32
	scratch_store_b32 off, v0, off offset:324 ; 4-byte Folded Spill
	v_add_nc_u32_e32 v0, v21, v33
	scratch_store_b32 off, v0, off offset:328 ; 4-byte Folded Spill
	v_add_nc_u32_e32 v0, v21, v34
	s_clause 0x1c
	scratch_store_b32 off, v0, off offset:332
	scratch_store_b32 off, v48, off offset:336
	;; [unrolled: 1-line block ×29, first 2 shown]
	s_branch .LBB159_7
.LBB159_5:                              ;   in Loop: Header=BB159_7 Depth=1
	s_clause 0x1b
	scratch_load_b32 v48, off, off offset:336
	scratch_load_b32 v62, off, off offset:340
	;; [unrolled: 1-line block ×28, first 2 shown]
.LBB159_6:                              ;   in Loop: Header=BB159_7 Depth=1
	s_add_co_i32 s10, s10, 8
	s_add_co_i32 s5, s5, -8
	s_wait_alu 0xfffe
	s_cmp_ge_i32 s10, s15
	s_cbranch_scc1 .LBB159_14
.LBB159_7:                              ; =>This Loop Header: Depth=1
                                        ;     Child Loop BB159_9 Depth 2
                                        ;     Child Loop BB159_12 Depth 2
	s_wait_alu 0xfffe
	s_mul_u64 s[12:13], s[10:11], 20
	s_cmp_gt_u32 s5, 3
	s_wait_alu 0xfffe
	s_add_nc_u64 s[12:13], s[0:1], s[12:13]
	s_wait_loadcnt 0x14
	v_add_nc_u32_e32 v32, 0x35a0, v73
	s_wait_alu 0xfffe
	v_mad_co_u64_u32 v[0:1], null, v62, 20, s[12:13]
	v_add_nc_u32_e32 v33, 0x39c0, v73
	v_add_nc_u32_e32 v34, 0x3de0, v73
	s_delay_alu instid0(VALU_DEP_3) | instskip(SKIP_3) | instid1(VALU_DEP_4)
	v_mad_co_u64_u32 v[2:3], null, v48, 20, v[0:1]
	v_mad_co_u64_u32 v[4:5], null, v66, 20, v[0:1]
	;; [unrolled: 1-line block ×4, first 2 shown]
	v_add_co_u32 v2, vcc_lo, v2, v72
	s_wait_loadcnt 0x13
	v_mad_co_u64_u32 v[10:11], null, v74, 20, v[0:1]
	s_wait_alu 0xfffd
	v_add_co_ci_u32_e64 v3, null, 0, v3, vcc_lo
	v_add_co_u32 v4, vcc_lo, v4, v72
	s_wait_loadcnt 0x12
	v_mad_co_u64_u32 v[12:13], null, v75, 20, v[0:1]
	s_wait_alu 0xfffd
	v_add_co_ci_u32_e64 v5, null, 0, v5, vcc_lo
	;; [unrolled: 5-line block ×4, first 2 shown]
	v_add_co_u32 v10, vcc_lo, v10, v72
	s_wait_alu 0xfffd
	v_add_co_ci_u32_e64 v11, null, 0, v11, vcc_lo
	v_add_co_u32 v12, vcc_lo, v12, v72
	s_wait_alu 0xfffd
	v_add_co_ci_u32_e64 v13, null, 0, v13, vcc_lo
	;; [unrolled: 3-line block ×3, first 2 shown]
	v_add_co_u32 v16, vcc_lo, v16, v72
	s_wait_loadcnt 0xf
	v_mad_co_u64_u32 v[18:19], null, v78, 20, v[0:1]
	s_wait_alu 0xfffd
	v_add_co_ci_u32_e64 v17, null, 0, v17, vcc_lo
	s_clause 0x7
	global_load_b32 v24, v[2:3], off offset:4
	global_load_b32 v25, v[4:5], off offset:4
	;; [unrolled: 1-line block ×8, first 2 shown]
	s_wait_loadcnt 0x15
	v_mad_co_u64_u32 v[2:3], null, v80, 20, v[0:1]
	s_wait_loadcnt 0x14
	v_mad_co_u64_u32 v[6:7], null, v81, 20, v[0:1]
	;; [unrolled: 2-line block ×3, first 2 shown]
	v_add_co_u32 v4, vcc_lo, v18, v72
	s_wait_loadcnt 0x12
	v_mad_co_u64_u32 v[10:11], null, v83, 20, v[0:1]
	s_wait_alu 0xfffd
	v_add_co_ci_u32_e64 v5, null, 0, v19, vcc_lo
	v_add_co_u32 v2, vcc_lo, v2, v72
	s_wait_loadcnt 0x10
	v_mad_co_u64_u32 v[12:13], null, v85, 20, v[0:1]
	s_wait_alu 0xfffd
	v_add_co_ci_u32_e64 v3, null, 0, v3, vcc_lo
	;; [unrolled: 5-line block ×4, first 2 shown]
	v_add_co_u32 v10, vcc_lo, v10, v72
	v_mad_co_u64_u32 v[16:17], null, v65, 20, s[12:13]
	s_wait_alu 0xfffd
	v_add_co_ci_u32_e64 v11, null, 0, v11, vcc_lo
	v_add_co_u32 v12, vcc_lo, v12, v72
	s_wait_alu 0xfffd
	v_add_co_ci_u32_e64 v13, null, 0, v13, vcc_lo
	v_add_co_u32 v14, vcc_lo, v14, v72
	;; [unrolled: 3-line block ×3, first 2 shown]
	s_wait_alu 0xfffd
	v_add_co_ci_u32_e64 v1, null, 0, v1, vcc_lo
	v_mad_co_u64_u32 v[18:19], null, v79, 20, v[16:17]
	v_mad_co_u64_u32 v[20:21], null, v84, 20, v[16:17]
	;; [unrolled: 1-line block ×4, first 2 shown]
	s_clause 0xb
	global_load_b32 v4, v[4:5], off offset:4
	global_load_b32 v2, v[2:3], off offset:4
	global_load_b32 v3, v[6:7], off offset:4
	global_load_b32 v5, v[8:9], off offset:4
	global_load_b32 v6, v[10:11], off offset:4
	global_load_b32 v7, v[12:13], off offset:4
	global_load_b32 v8, v[14:15], off offset:4
	global_load_b32 v0, v[0:1], off offset:4
	global_load_b32 v1, v[18:19], off
	global_load_b32 v9, v[20:21], off
	;; [unrolled: 1-line block ×4, first 2 shown]
	v_add_nc_u32_e32 v12, 0x420, v73
	v_add_nc_u32_e32 v13, 0x840, v73
	;; [unrolled: 1-line block ×12, first 2 shown]
	s_wait_loadcnt 0x13
	ds_store_b32 v73, v24
	s_wait_loadcnt 0x12
	ds_store_b32 v12, v25
	;; [unrolled: 2-line block ×20, first 2 shown]
	s_cbranch_scc0 .LBB159_6
; %bb.8:                                ;   in Loop: Header=BB159_7 Depth=1
	s_clause 0x4
	scratch_load_b32 v0, off, off offset:352
	scratch_load_b32 v9, off, off offset:284
	;; [unrolled: 1-line block ×3, first 2 shown]
	scratch_load_b64 v[15:16], off, off offset:288
	scratch_load_b32 v11, off, off offset:276
	s_mov_b32 s12, -4
	s_wait_loadcnt 0x4
	v_add_nc_u32_e32 v8, s10, v0
	scratch_load_b64 v[0:1], off, off offset:428 ; 8-byte Folded Reload
	s_wait_loadcnt 0x0
	scratch_load_b32 v1, off, off offset:260 ; 4-byte Folded Reload
	v_add_nc_u32_e32 v9, v8, v9
	v_add_nc_u32_e32 v10, v8, v10
	;; [unrolled: 1-line block ×3, first 2 shown]
	scratch_load_b32 v11, off, off offset:280 ; 4-byte Folded Reload
	v_mad_co_i64_i32 v[12:13], null, v12, 36, v[15:16]
	v_add_nc_u32_e32 v17, s10, v0
	scratch_load_b32 v0, off, off offset:256 ; 4-byte Folded Reload
	s_wait_loadcnt 0x2
	v_add_nc_u32_e32 v2, v8, v1
	scratch_load_b32 v1, off, off offset:264 ; 4-byte Folded Reload
	scratch_store_b32 off, v17, off offset:244 ; 4-byte Folded Spill
	v_mad_co_i64_i32 v[2:3], null, v2, 36, v[15:16]
	s_wait_loadcnt 0x2
	v_add_nc_u32_e32 v14, v8, v11
	v_mad_co_i64_i32 v[10:11], null, v10, 36, v[15:16]
	s_wait_loadcnt 0x1
	v_add_nc_u32_e32 v0, v8, v0
	s_wait_loadcnt 0x0
	v_add_nc_u32_e32 v4, v8, v1
	scratch_load_b32 v1, off, off offset:268 ; 4-byte Folded Reload
	v_mad_co_i64_i32 v[4:5], null, v4, 36, v[15:16]
	s_wait_loadcnt 0x0
	v_add_nc_u32_e32 v6, v8, v1
	v_mad_co_i64_i32 v[8:9], null, v9, 36, v[15:16]
	v_mad_co_i64_i32 v[0:1], null, v0, 36, v[15:16]
	s_delay_alu instid0(VALU_DEP_3)
	v_mad_co_i64_i32 v[6:7], null, v6, 36, v[15:16]
	v_mad_co_i64_i32 v[14:15], null, v14, 36, v[15:16]
	v_mad_co_u64_u32 v[16:17], null, v17, 36, s[2:3]
	s_clause 0x8
	global_load_b32 v8, v[8:9], off offset:4
	global_load_b32 v0, v[0:1], off offset:4
	;; [unrolled: 1-line block ×8, first 2 shown]
	global_load_b32 v7, v[16:17], off
	s_clause 0x2
	scratch_load_b32 v158, off, off offset:300
	scratch_load_b32 v159, off, off offset:296
	;; [unrolled: 1-line block ×3, first 2 shown]
	s_wait_loadcnt 0x0
	v_mul_u32_u24_e32 v164, 0x84, v9
	s_clause 0x4
	scratch_load_b32 v10, off, off offset:456
	scratch_load_b32 v11, off, off offset:452
	;; [unrolled: 1-line block ×5, first 2 shown]
	s_wait_loadcnt 0x0
	ds_store_b32 v9, v8
	scratch_load_b32 v8, off, off offset:304 ; 4-byte Folded Reload
	s_wait_loadcnt 0x0
	ds_store_b32 v8, v0
	scratch_load_b32 v0, off, off offset:308 ; 4-byte Folded Reload
	;; [unrolled: 3-line block ×8, first 2 shown]
	s_wait_loadcnt 0x0
	ds_store_b32 v0, v7
	s_wait_storecnt_dscnt 0x0
	s_barrier_signal -1
	s_barrier_wait -1
	global_inv scope:SCOPE_SE
.LBB159_9:                              ;   Parent Loop BB159_7 Depth=1
                                        ; =>  This Inner Loop Header: Depth=2
	s_clause 0x1c
	scratch_store_b32 off, v15, off offset:112
	scratch_store_b32 off, v14, off offset:108
	;; [unrolled: 1-line block ×28, first 2 shown]
	scratch_store_b32 off, v35, off
	ds_load_b32 v13, v10
	ds_load_b32 v12, v11
	;; [unrolled: 1-line block ×4, first 2 shown]
	ds_load_2addr_b32 v[4:5], v159 offset1:32
	ds_load_2addr_b32 v[8:9], v158 offset0:5 offset1:6
	v_add_nc_u32_e32 v38, 0x400, v158
	v_add_nc_u32_e32 v102, 0x1800, v158
	s_wait_alu 0xfffe
	s_add_co_i32 s12, s12, 4
	v_mov_b32_e32 v163, v47
	s_wait_alu 0xfffe
	s_cmp_lt_u32 s12, 12
	s_wait_dscnt 0x1
	v_pk_mul_f16 v0, v4, v13
	s_wait_dscnt 0x0
	v_bfe_i32 v210, v8, 16, 8
	v_ashrrev_i32_e32 v211, 24, v8
	v_bfe_i32 v215, v8, 0, 8
	v_ashrrev_i32_e32 v200, 24, v9
	scratch_store_b32 off, v0, off offset:120 ; 4-byte Folded Spill
	v_pk_mul_f16 v0, v4, v12
	v_bfe_i32 v201, v9, 16, 8
	v_bfe_i32 v203, v9, 0, 8
	;; [unrolled: 1-line block ×3, first 2 shown]
	scratch_store_b32 off, v0, off offset:116 ; 4-byte Folded Spill
	v_pk_mul_f16 v0, v4, v11
	ds_load_2addr_b32 v[27:28], v164 offset1:1
	ds_load_2addr_b32 v[6:7], v164 offset0:2 offset1:3
	ds_load_2addr_b32 v[15:16], v158 offset1:3
	ds_load_2addr_b32 v[29:30], v158 offset0:1 offset1:2
	scratch_store_b32 off, v0, off offset:188 ; 4-byte Folded Spill
	v_pk_mul_f16 v0, v4, v10
	scratch_store_b32 off, v0, off offset:184 ; 4-byte Folded Spill
	v_pk_mul_f16 v0, v13, v5
	;; [unrolled: 2-line block ×3, first 2 shown]
	s_wait_dscnt 0x3
	v_bfe_u32 v242, v27, 20, 4
	v_bfe_u32 v197, v27, 16, 4
	;; [unrolled: 1-line block ×3, first 2 shown]
	scratch_store_b32 off, v0, off offset:232 ; 4-byte Folded Spill
	v_pk_mul_f16 v0, v11, v5
	s_wait_dscnt 0x0
	v_bfe_i32 v224, v29, 16, 8
	v_bfe_u32 v214, v28, 20, 4
	v_lshrrev_b32_e32 v245, 28, v27
	v_bfe_u32 v198, v27, 24, 4
	scratch_store_b32 off, v0, off offset:180 ; 4-byte Folded Spill
	v_pk_mul_f16 v0, v10, v5
	ds_load_2addr_b32 v[4:5], v158 offset0:4 offset1:7
	v_mul_i32_i24_e32 v3, v210, v214
	v_bfe_u32 v233, v28, 24, 4
	v_lshrrev_b32_e32 v216, 28, v28
	scratch_store_b32 off, v0, off offset:176 ; 4-byte Folded Spill
	ds_load_2addr_b32 v[0:1], v159 offset0:64 offset1:96
	v_ashrrev_i32_e32 v227, 24, v29
	v_bfe_u32 v249, v27, 4, 4
	v_bfe_i32 v31, v15, 0, 8
	v_and_b32_e32 v199, 15, v27
	v_bfe_i32 v232, v29, 0, 8
	v_and_b32_e32 v229, 15, v28
	v_bfe_u32 v217, v28, 4, 4
	v_bfe_u32 v213, v6, 24, 4
	v_lshrrev_b32_e32 v204, 28, v6
	v_ashrrev_i32_e32 v206, 24, v30
	v_bfe_i32 v207, v30, 16, 8
	v_bfe_u32 v208, v6, 16, 4
	v_bfe_u32 v202, v6, 20, 4
	v_bfe_i32 v212, v30, 0, 8
	s_wait_dscnt 0x1
	v_bfe_i32 v237, v4, 16, 8
	v_ashrrev_i32_e32 v239, 24, v4
	v_bfe_i32 v238, v4, 0, 8
	v_and_b32_e32 v209, 15, v6
	v_bfe_u32 v205, v6, 4, 4
	s_wait_dscnt 0x0
	v_pk_mul_f16 v2, v13, v0
	v_lshrrev_b16 v4, 8, v4
	v_bfe_i32 v94, v29, 8, 8
	v_bfe_i32 v244, v16, 16, 8
	v_bfe_u32 v250, v7, 16, 4
	scratch_store_b32 off, v2, off offset:152 ; 4-byte Folded Spill
	v_pk_mul_f16 v2, v12, v0
	v_bfe_i32 v144, v4, 0, 8
	v_and_b32_e32 v4, 0xf0f0f0f, v28
	v_bfe_u32 v231, v7, 20, 4
	v_bfe_u32 v255, v7, 24, 4
	scratch_store_b32 off, v2, off offset:124 ; 4-byte Folded Spill
	v_pk_mul_f16 v2, v11, v0
	v_pk_mul_f16 v0, v10, v0
	v_lshrrev_b16 v4, 8, v4
	v_lshrrev_b32_e32 v235, 28, v7
	v_ashrrev_i32_e32 v247, 24, v16
	v_ashrrev_i32_e32 v230, 24, v5
	scratch_store_b32 off, v0, off offset:192 ; 4-byte Folded Spill
	v_pk_mul_f16 v0, v13, v1
	v_and_b32_e32 v93, 0xffff, v4
	v_bfe_i32 v254, v16, 0, 8
	v_and_b32_e32 v251, 15, v7
	v_bfe_i32 v234, v5, 0, 8
	scratch_store_b32 off, v0, off offset:156 ; 4-byte Folded Spill
	v_pk_mul_f16 v0, v12, v1
	scratch_store_b32 off, v2, off offset:200 ; 4-byte Folded Spill
	v_bfe_u32 v236, v7, 4, 4
	scratch_store_b32 off, v0, off offset:128 ; 4-byte Folded Spill
	v_pk_mul_f16 v0, v11, v1
	scratch_store_b32 off, v0, off offset:204 ; 4-byte Folded Spill
	v_pk_mul_f16 v0, v10, v1
	scratch_store_b32 off, v0, off offset:196 ; 4-byte Folded Spill
	ds_load_2addr_b32 v[0:1], v159 offset0:128 offset1:160
	s_wait_dscnt 0x0
	v_pk_mul_f16 v2, v13, v0
	scratch_store_b32 off, v2, off offset:160 ; 4-byte Folded Spill
	v_pk_mul_f16 v2, v12, v0
	scratch_store_b32 off, v2, off offset:132 ; 4-byte Folded Spill
	v_pk_mul_f16 v2, v11, v0
	v_pk_mul_f16 v0, v10, v0
	scratch_store_b32 off, v0, off offset:208 ; 4-byte Folded Spill
	v_pk_mul_f16 v0, v13, v1
	scratch_store_b32 off, v0, off offset:164 ; 4-byte Folded Spill
	v_pk_mul_f16 v0, v12, v1
	s_clause 0x1
	scratch_store_b32 off, v2, off offset:216
	scratch_store_b32 off, v0, off offset:136
	v_pk_mul_f16 v0, v11, v1
	scratch_store_b32 off, v0, off offset:220 ; 4-byte Folded Spill
	v_pk_mul_f16 v0, v10, v1
	scratch_store_b32 off, v0, off offset:212 ; 4-byte Folded Spill
	ds_load_2addr_b32 v[0:1], v159 offset0:192 offset1:224
	v_add_nc_u32_e32 v159, 4, v159
	s_wait_dscnt 0x0
	v_pk_mul_f16 v2, v13, v0
	scratch_store_b32 off, v2, off offset:172 ; 4-byte Folded Spill
	v_pk_mul_f16 v2, v13, v1
	scratch_store_b32 off, v2, off offset:168 ; 4-byte Folded Spill
	;; [unrolled: 2-line block ×3, first 2 shown]
	v_pk_mul_f16 v2, v12, v1
	v_mul_i32_i24_e32 v12, v215, v217
	scratch_store_b32 off, v2, off offset:140 ; 4-byte Folded Spill
	v_pk_mul_f16 v2, v11, v0
	v_pk_mul_f16 v0, v10, v0
	s_clause 0x1
	scratch_store_b32 off, v2, off offset:236
	scratch_store_b32 off, v0, off offset:240
	v_pk_mul_f16 v2, v11, v1
	v_pk_mul_f16 v0, v10, v1
	v_mul_i32_i24_e32 v1, v242, v237
	v_mul_i32_i24_e32 v10, v227, v233
	;; [unrolled: 1-line block ×3, first 2 shown]
	s_clause 0x1
	scratch_store_b32 off, v2, off offset:224
	scratch_store_b32 off, v0, off offset:228
	v_bfe_i32 v0, v15, 16, 8
	v_mul_i32_i24_e32 v2, v224, v228
	s_delay_alu instid0(VALU_DEP_2) | instskip(NEXT) | instid1(VALU_DEP_1)
	v_mad_i32_i24 v1, v197, v0, v1
	v_add3_u32 v2, v1, v2, v3
	v_ashrrev_i32_e32 v1, 24, v15
	v_mul_i32_i24_e32 v3, v245, v239
	s_delay_alu instid0(VALU_DEP_1) | instskip(NEXT) | instid1(VALU_DEP_1)
	v_mad_i32_i24 v3, v198, v1, v3
	v_add3_u32 v3, v3, v10, v11
	v_mul_i32_i24_e32 v10, v249, v238
	v_mul_i32_i24_e32 v11, v232, v229
	s_delay_alu instid0(VALU_DEP_2) | instskip(NEXT) | instid1(VALU_DEP_1)
	v_mad_i32_i24 v10, v199, v31, v10
	v_add3_u32 v10, v10, v11, v12
	v_mul_i32_i24_e32 v11, v206, v213
	v_mul_i32_i24_e32 v12, v200, v204
	s_delay_alu instid0(VALU_DEP_1) | instskip(SKIP_3) | instid1(VALU_DEP_2)
	v_add3_u32 v33, v3, v11, v12
	v_mul_i32_i24_e32 v3, v207, v208
	v_mul_i32_i24_e32 v11, v201, v202
	v_add_nc_u32_e32 v12, 0x1088, v164
	v_add3_u32 v35, v2, v3, v11
	v_mul_i32_i24_e32 v2, v212, v209
	v_mul_i32_i24_e32 v3, v203, v205
	s_delay_alu instid0(VALU_DEP_1) | instskip(SKIP_2) | instid1(VALU_DEP_2)
	v_add3_u32 v34, v10, v2, v3
	v_lshrrev_b16 v2, 8, v15
	v_add_nc_u32_e32 v10, 0x2100, v164
	v_bfe_i32 v32, v2, 0, 8
	v_add_nc_u32_e32 v2, 0x2108, v164
	ds_load_2addr_b32 v[54:55], v10 offset1:1
	ds_load_2addr_b32 v[10:11], v2 offset1:1
	;; [unrolled: 1-line block ×3, first 2 shown]
	s_wait_dscnt 0x2
	v_and_b32_e32 v222, 15, v54
	v_bfe_u32 v223, v54, 8, 4
	v_bfe_u32 v218, v54, 16, 4
	;; [unrolled: 1-line block ×3, first 2 shown]
	s_wait_dscnt 0x0
	v_bfe_u32 v143, v56, 16, 4
	v_mul_i32_i24_e32 v2, v31, v222
	v_and_b32_e32 v83, 15, v56
	v_mul_i32_i24_e32 v3, v0, v218
	v_mul_i32_i24_e32 v12, v1, v219
	v_bfe_u32 v127, v56, 24, 4
	v_mad_i32_i24 v2, v32, v223, v2
	v_bfe_u32 v42, v54, 12, 4
	v_bfe_u32 v43, v54, 4, 4
	;; [unrolled: 1-line block ×3, first 2 shown]
	v_lshrrev_b32_e32 v86, 28, v54
	v_add3_u32 v36, v2, v3, v12
	v_add_nc_u32_e32 v2, 0x3180, v164
	v_add_nc_u32_e32 v3, 0x414, v158
	;; [unrolled: 1-line block ×3, first 2 shown]
	ds_load_2addr_b32 v[58:59], v2 offset1:1
	ds_load_2addr_b32 v[64:65], v3 offset1:1
	;; [unrolled: 1-line block ×3, first 2 shown]
	v_lshrrev_b32_e32 v87, 28, v56
	v_bfe_u32 v252, v57, 24, 4
	v_bfe_u32 v135, v56, 4, 4
	v_and_b32_e32 v240, 15, v57
	v_bfe_u32 v142, v56, 20, 4
	v_bfe_u32 v241, v57, 16, 4
	;; [unrolled: 1-line block ×5, first 2 shown]
	v_lshrrev_b32_e32 v246, 28, v57
	v_and_b32_e32 v187, 15, v55
	v_bfe_u32 v188, v55, 16, 4
	s_wait_dscnt 0x2
	v_and_b32_e32 v225, 15, v58
	v_bfe_u32 v226, v58, 8, 4
	v_bfe_u32 v220, v58, 16, 4
	;; [unrolled: 1-line block ×3, first 2 shown]
	s_wait_dscnt 0x1
	v_bfe_i32 v149, v64, 16, 8
	v_mul_i32_i24_e32 v2, v31, v225
	v_bfe_i32 v78, v64, 0, 8
	v_mul_i32_i24_e32 v3, v0, v220
	v_mul_i32_i24_e32 v14, v1, v221
	v_ashrrev_i32_e32 v79, 24, v64
	v_mad_i32_i24 v2, v32, v226, v2
	v_bfe_u32 v45, v58, 12, 4
	v_bfe_u32 v46, v58, 4, 4
	;; [unrolled: 1-line block ×3, first 2 shown]
	v_lshrrev_b32_e32 v101, 28, v58
	v_add3_u32 v37, v2, v3, v14
	v_add_nc_u32_e32 v2, 0x1080, v164
	v_add_nc_u32_e32 v3, 0x404, v158
	ds_load_2addr_b32 v[68:69], v2 offset1:1
	ds_load_2addr_b32 v[70:71], v3 offset1:1
	ds_load_2addr_b32 v[60:61], v38 offset0:4 offset1:7
	ds_load_2addr_b32 v[23:24], v102 offset0:4 offset1:7
	v_bfe_i32 v58, v5, 16, 8
	ds_load_2addr_b32 v[62:63], v38 offset1:3
	v_bfe_i32 v128, v65, 16, 8
	v_bfe_u32 v166, v59, 8, 4
	v_bfe_u32 v167, v59, 24, 4
	v_and_b32_e32 v191, 15, v59
	v_bfe_u32 v192, v59, 16, 4
	v_add_nc_u32_e32 v164, 16, v164
	s_wait_dscnt 0x4
	v_bfe_u32 v150, v69, 16, 4
	s_wait_dscnt 0x3
	v_bfe_i32 v2, v70, 16, 8
	v_bfe_u32 v66, v68, 20, 4
	s_wait_dscnt 0x2
	v_bfe_i32 v72, v60, 16, 8
	v_bfe_u32 v131, v69, 20, 4
	v_bfe_i32 v129, v71, 16, 8
	v_mul_i32_i24_e32 v3, v2, v150
	v_and_b32_e32 v151, 15, v69
	v_bfe_u32 v73, v68, 4, 4
	v_mul_i32_i24_e32 v14, v149, v131
	v_mul_i32_i24_e32 v15, v129, v143
	v_mad_i32_i24 v3, v72, v66, v3
	v_bfe_i32 v74, v60, 0, 8
	v_bfe_u32 v134, v69, 4, 4
	v_bfe_i32 v130, v71, 0, 8
	v_bfe_u32 v77, v69, 24, 4
	v_add3_u32 v39, v3, v14, v15
	v_bfe_i32 v3, v70, 0, 8
	v_mul_i32_i24_e32 v15, v78, v134
	v_mul_i32_i24_e32 v17, v130, v83
	v_ashrrev_i32_e32 v80, 24, v70
	v_lshrrev_b32_e32 v67, 28, v68
	v_mul_i32_i24_e32 v14, v3, v151
	v_ashrrev_i32_e32 v81, 24, v60
	v_lshrrev_b32_e32 v132, 28, v69
	v_ashrrev_i32_e32 v133, 24, v71
	s_wait_dscnt 0x1
	v_bfe_i32 v122, v23, 8, 8
	v_mad_i32_i24 v14, v74, v73, v14
	v_bfe_i32 v123, v23, 0, 8
	v_bfe_i32 v157, v23, 16, 8
	v_ashrrev_i32_e32 v88, 24, v23
	s_wait_dscnt 0x0
	v_bfe_i32 v141, v63, 16, 8
	v_add3_u32 v40, v14, v15, v17
	v_mul_i32_i24_e32 v14, v80, v77
	v_mul_i32_i24_e32 v15, v79, v132
	;; [unrolled: 1-line block ×3, first 2 shown]
	v_bfe_i32 v253, v61, 16, 8
	v_bfe_i32 v243, v62, 0, 8
	v_mad_i32_i24 v14, v81, v67, v14
	s_delay_alu instid0(VALU_DEP_1)
	v_add3_u32 v41, v14, v15, v17
	v_add_nc_u32_e32 v14, 0x800, v158
	ds_load_2addr_b32 v[14:15], v14 offset0:4 offset1:7
	s_wait_dscnt 0x0
	v_bfe_i32 v82, v14, 8, 8
	v_bfe_i32 v85, v14, 0, 8
	v_bfe_i32 v97, v14, 16, 8
	v_ashrrev_i32_e32 v98, 24, v14
	s_delay_alu instid0(VALU_DEP_4) | instskip(NEXT) | instid1(VALU_DEP_3)
	v_mul_i32_i24_e32 v17, v82, v42
	v_mul_i32_i24_e32 v14, v97, v84
	s_delay_alu instid0(VALU_DEP_3) | instskip(NEXT) | instid1(VALU_DEP_3)
	v_mul_i32_i24_e32 v18, v98, v86
	v_mad_i32_i24 v17, v85, v43, v17
	s_delay_alu instid0(VALU_DEP_1) | instskip(SKIP_3) | instid1(VALU_DEP_3)
	v_add3_u32 v44, v17, v14, v18
	v_mul_i32_i24_e32 v14, v82, v45
	v_mul_i32_i24_e32 v17, v97, v100
	v_mul_i32_i24_e32 v18, v98, v101
	v_mad_i32_i24 v14, v85, v46, v14
	s_delay_alu instid0(VALU_DEP_1)
	v_add3_u32 v47, v14, v17, v18
	v_add_nc_u32_e32 v14, 0xc00, v158
	ds_load_2addr_b32 v[17:18], v14 offset0:4 offset1:7
	s_wait_dscnt 0x0
	v_bfe_i32 v103, v17, 8, 8
	v_bfe_i32 v107, v17, 0, 8
	v_bfe_i32 v108, v17, 16, 8
	v_ashrrev_i32_e32 v109, 24, v17
	s_delay_alu instid0(VALU_DEP_4) | instskip(NEXT) | instid1(VALU_DEP_3)
	v_mul_i32_i24_e32 v14, v103, v42
	v_mul_i32_i24_e32 v17, v108, v84
	s_delay_alu instid0(VALU_DEP_3) | instskip(NEXT) | instid1(VALU_DEP_3)
	v_mul_i32_i24_e32 v19, v109, v86
	v_mad_i32_i24 v14, v107, v43, v14
	s_delay_alu instid0(VALU_DEP_1) | instskip(SKIP_3) | instid1(VALU_DEP_3)
	v_add3_u32 v48, v14, v17, v19
	v_mul_i32_i24_e32 v14, v103, v45
	v_mul_i32_i24_e32 v17, v108, v100
	v_mul_i32_i24_e32 v19, v109, v101
	v_mad_i32_i24 v14, v107, v46, v14
	s_delay_alu instid0(VALU_DEP_1)
	v_add3_u32 v49, v14, v17, v19
	v_add_nc_u32_e32 v17, 0x1000, v158
	ds_load_2addr_b32 v[19:20], v17 offset0:4 offset1:7
	s_wait_dscnt 0x0
	v_bfe_i32 v110, v19, 8, 8
	v_bfe_i32 v111, v19, 0, 8
	v_bfe_i32 v113, v19, 16, 8
	v_ashrrev_i32_e32 v115, 24, v19
	s_delay_alu instid0(VALU_DEP_4) | instskip(NEXT) | instid1(VALU_DEP_3)
	v_mul_i32_i24_e32 v14, v110, v42
	v_mul_i32_i24_e32 v19, v113, v84
	s_delay_alu instid0(VALU_DEP_3) | instskip(NEXT) | instid1(VALU_DEP_3)
	v_mul_i32_i24_e32 v21, v115, v86
	v_mad_i32_i24 v14, v111, v43, v14
	s_delay_alu instid0(VALU_DEP_1) | instskip(SKIP_3) | instid1(VALU_DEP_3)
	v_add3_u32 v112, v14, v19, v21
	v_mul_i32_i24_e32 v14, v110, v45
	v_mul_i32_i24_e32 v19, v113, v100
	v_mul_i32_i24_e32 v21, v115, v101
	v_mad_i32_i24 v14, v111, v46, v14
	s_delay_alu instid0(VALU_DEP_1)
	v_add3_u32 v114, v14, v19, v21
	v_add_nc_u32_e32 v14, 0x1400, v158
	ds_load_2addr_b32 v[21:22], v14 offset0:4 offset1:7
	s_wait_dscnt 0x0
	v_bfe_i32 v116, v21, 8, 8
	v_bfe_i32 v117, v21, 0, 8
	v_bfe_i32 v118, v21, 16, 8
	v_ashrrev_i32_e32 v119, 24, v21
	s_delay_alu instid0(VALU_DEP_4) | instskip(NEXT) | instid1(VALU_DEP_3)
	v_mul_i32_i24_e32 v14, v116, v42
	v_mul_i32_i24_e32 v19, v118, v84
	s_delay_alu instid0(VALU_DEP_3) | instskip(NEXT) | instid1(VALU_DEP_3)
	v_mul_i32_i24_e32 v21, v119, v86
	v_mad_i32_i24 v14, v117, v43, v14
	s_delay_alu instid0(VALU_DEP_1) | instskip(SKIP_3) | instid1(VALU_DEP_3)
	v_add3_u32 v120, v14, v19, v21
	v_mul_i32_i24_e32 v14, v116, v45
	v_mul_i32_i24_e32 v19, v118, v100
	v_mul_i32_i24_e32 v21, v119, v101
	v_mad_i32_i24 v14, v117, v46, v14
	s_delay_alu instid0(VALU_DEP_1) | instskip(SKIP_3) | instid1(VALU_DEP_3)
	v_add3_u32 v121, v14, v19, v21
	v_mul_i32_i24_e32 v14, v122, v42
	v_mul_i32_i24_e32 v19, v157, v84
	v_mul_i32_i24_e32 v21, v88, v86
	v_mad_i32_i24 v14, v123, v43, v14
	s_delay_alu instid0(VALU_DEP_1) | instskip(SKIP_3) | instid1(VALU_DEP_3)
	v_add3_u32 v125, v14, v19, v21
	v_mul_i32_i24_e32 v14, v122, v45
	v_mul_i32_i24_e32 v19, v157, v100
	v_mul_i32_i24_e32 v21, v88, v101
	v_mad_i32_i24 v14, v123, v46, v14
	s_delay_alu instid0(VALU_DEP_1)
	v_add3_u32 v126, v14, v19, v21
	v_add_nc_u32_e32 v14, 0x1c00, v158
	ds_load_2addr_b32 v[25:26], v14 offset0:4 offset1:7
	s_wait_dscnt 0x0
	v_bfe_i32 v148, v25, 8, 8
	v_bfe_i32 v89, v25, 0, 8
	;; [unrolled: 1-line block ×3, first 2 shown]
	v_ashrrev_i32_e32 v91, 24, v25
	s_delay_alu instid0(VALU_DEP_4) | instskip(NEXT) | instid1(VALU_DEP_3)
	v_mul_i32_i24_e32 v14, v148, v42
	v_mul_i32_i24_e32 v19, v90, v84
	s_delay_alu instid0(VALU_DEP_3) | instskip(NEXT) | instid1(VALU_DEP_3)
	v_mul_i32_i24_e32 v21, v91, v86
	v_mad_i32_i24 v14, v89, v43, v14
	s_delay_alu instid0(VALU_DEP_1) | instskip(SKIP_3) | instid1(VALU_DEP_3)
	v_add3_u32 v139, v14, v19, v21
	v_mul_i32_i24_e32 v14, v148, v45
	v_mul_i32_i24_e32 v19, v90, v100
	v_mul_i32_i24_e32 v21, v91, v101
	v_mad_i32_i24 v14, v89, v46, v14
	s_delay_alu instid0(VALU_DEP_1) | instskip(SKIP_3) | instid1(VALU_DEP_3)
	v_add3_u32 v140, v14, v19, v21
	v_lshrrev_b32_e32 v19, 4, v27
	v_and_b32_e32 v14, 0xf0f0f0f, v27
	v_and_b32_e32 v21, 15, v68
	v_lshrrev_b16 v19, 8, v19
	s_delay_alu instid0(VALU_DEP_3) | instskip(NEXT) | instid1(VALU_DEP_2)
	v_lshrrev_b16 v14, 8, v14
	v_and_b32_e32 v19, 15, v19
	s_delay_alu instid0(VALU_DEP_2) | instskip(SKIP_1) | instid1(VALU_DEP_3)
	v_and_b32_e32 v25, 0xffff, v14
	v_mul_i32_i24_e32 v14, v94, v93
	v_and_b32_e32 v92, 0xffff, v19
	s_delay_alu instid0(VALU_DEP_3) | instskip(NEXT) | instid1(VALU_DEP_2)
	v_mul_i32_i24_e32 v4, v25, v32
	v_mul_i32_i24_e32 v19, v92, v144
	s_delay_alu instid0(VALU_DEP_1) | instskip(SKIP_3) | instid1(VALU_DEP_2)
	v_add3_u32 v145, v4, v19, v14
	v_mul_i32_i24_e32 v4, v244, v250
	v_mul_i32_i24_e32 v14, v58, v231
	v_bfe_u32 v19, v68, 24, 4
	v_add3_u32 v75, v35, v4, v14
	v_mul_i32_i24_e32 v4, v247, v255
	v_mul_i32_i24_e32 v14, v230, v235
	s_delay_alu instid0(VALU_DEP_4) | instskip(NEXT) | instid1(VALU_DEP_2)
	v_mul_i32_i24_e32 v1, v19, v1
	v_add3_u32 v95, v33, v4, v14
	v_mul_i32_i24_e32 v4, v254, v251
	v_mul_i32_i24_e32 v14, v234, v236
	s_delay_alu instid0(VALU_DEP_1) | instskip(SKIP_2) | instid1(VALU_DEP_1)
	v_add3_u32 v76, v34, v4, v14
	v_mul_i32_i24_e32 v4, v238, v43
	v_mul_i32_i24_e32 v14, v144, v42
	v_add3_u32 v146, v36, v14, v4
	v_mul_i32_i24_e32 v4, v238, v46
	v_mul_i32_i24_e32 v14, v144, v45
	s_delay_alu instid0(VALU_DEP_1) | instskip(SKIP_3) | instid1(VALU_DEP_3)
	v_add3_u32 v147, v37, v14, v4
	v_and_b32_e32 v4, 0xf0f0f0f, v68
	v_mul_i32_i24_e32 v14, v21, v31
	v_add_nc_u32_e32 v37, 0x1814, v158
	v_lshrrev_b16 v4, 8, v4
	s_delay_alu instid0(VALU_DEP_1) | instskip(NEXT) | instid1(VALU_DEP_1)
	v_and_b32_e32 v23, 0xffff, v4
	v_mad_i32_i24 v4, v23, v32, v14
	v_bfe_u32 v14, v68, 16, 4
	v_mul_i32_i24_e32 v32, v81, v86
	s_delay_alu instid0(VALU_DEP_2) | instskip(NEXT) | instid1(VALU_DEP_1)
	v_mul_i32_i24_e32 v0, v14, v0
	v_add3_u32 v153, v4, v0, v1
	v_ashrrev_i32_e32 v4, 24, v65
	v_ashrrev_i32_e32 v1, 24, v63
	s_delay_alu instid0(VALU_DEP_2) | instskip(NEXT) | instid1(VALU_DEP_2)
	v_mul_i32_i24_e32 v0, v4, v87
	v_mul_i32_i24_e32 v27, v1, v252
	s_delay_alu instid0(VALU_DEP_1) | instskip(SKIP_3) | instid1(VALU_DEP_3)
	v_add3_u32 v156, v41, v0, v27
	v_bfe_i32 v27, v65, 0, 8
	v_bfe_i32 v0, v63, 0, 8
	;; [unrolled: 1-line block ×3, first 2 shown]
	v_mul_i32_i24_e32 v29, v27, v135
	s_delay_alu instid0(VALU_DEP_3) | instskip(NEXT) | instid1(VALU_DEP_1)
	v_mul_i32_i24_e32 v31, v0, v240
	v_add3_u32 v155, v40, v29, v31
	v_mul_i32_i24_e32 v29, v128, v142
	v_mul_i32_i24_e32 v31, v141, v241
	s_delay_alu instid0(VALU_DEP_1) | instskip(SKIP_2) | instid1(VALU_DEP_2)
	v_add3_u32 v154, v39, v29, v31
	v_lshrrev_b16 v29, 8, v60
	v_mul_i32_i24_e32 v31, v72, v84
	v_bfe_i32 v60, v29, 0, 8
	s_delay_alu instid0(VALU_DEP_1) | instskip(NEXT) | instid1(VALU_DEP_1)
	v_mul_i32_i24_e32 v29, v60, v42
	v_mad_i32_i24 v29, v74, v43, v29
	s_delay_alu instid0(VALU_DEP_1) | instskip(SKIP_4) | instid1(VALU_DEP_4)
	v_add3_u32 v96, v29, v31, v32
	v_mul_i32_i24_e32 v29, v60, v45
	v_mul_i32_i24_e32 v31, v72, v100
	;; [unrolled: 1-line block ×4, first 2 shown]
	v_mad_i32_i24 v29, v74, v46, v29
	s_delay_alu instid0(VALU_DEP_1)
	v_add3_u32 v99, v29, v31, v32
	v_add_nc_u32_e32 v29, 0x804, v158
	v_add_nc_u32_e32 v32, 0xc14, v158
	v_add_nc_u32_e32 v31, 0x814, v158
	ds_load_2addr_b32 v[53:54], v29 offset1:1
	ds_load_2addr_b32 v[33:34], v32 offset1:1
	;; [unrolled: 1-line block ×3, first 2 shown]
	v_add_nc_u32_e32 v32, 0x1414, v158
	s_wait_dscnt 0x2
	v_bfe_i32 v106, v53, 8, 8
	v_ashrrev_i32_e32 v160, 24, v53
	v_bfe_i32 v189, v53, 0, 8
	v_bfe_i32 v190, v53, 16, 8
	s_delay_alu instid0(VALU_DEP_4) | instskip(NEXT) | instid1(VALU_DEP_4)
	v_mul_i32_i24_e32 v29, v106, v104
	v_mul_i32_i24_e32 v31, v160, v105
	s_delay_alu instid0(VALU_DEP_4) | instskip(NEXT) | instid1(VALU_DEP_2)
	v_mul_i32_i24_e32 v53, v189, v187
	v_add3_u32 v165, v44, v31, v29
	v_mul_i32_i24_e32 v29, v106, v166
	v_mul_i32_i24_e32 v31, v160, v167
	s_delay_alu instid0(VALU_DEP_1)
	v_add3_u32 v168, v47, v31, v29
	v_add_nc_u32_e32 v29, 0xc04, v158
	ds_load_2addr_b32 v[51:52], v29 offset1:1
	s_wait_dscnt 0x0
	v_bfe_i32 v169, v51, 8, 8
	v_ashrrev_i32_e32 v170, 24, v51
	s_delay_alu instid0(VALU_DEP_2) | instskip(NEXT) | instid1(VALU_DEP_2)
	v_mul_i32_i24_e32 v29, v169, v104
	v_mul_i32_i24_e32 v31, v170, v105
	s_delay_alu instid0(VALU_DEP_1) | instskip(SKIP_2) | instid1(VALU_DEP_1)
	v_add3_u32 v171, v48, v31, v29
	v_mul_i32_i24_e32 v29, v169, v166
	v_mul_i32_i24_e32 v31, v170, v167
	v_add3_u32 v172, v49, v31, v29
	v_add_nc_u32_e32 v29, 0x1004, v158
	v_add_nc_u32_e32 v31, 0x1014, v158
	ds_load_2addr_b32 v[49:50], v29 offset1:1
	ds_load_2addr_b32 v[35:36], v32 offset1:1
	;; [unrolled: 1-line block ×3, first 2 shown]
	s_wait_dscnt 0x2
	v_bfe_i32 v173, v49, 8, 8
	v_ashrrev_i32_e32 v174, 24, v49
	s_delay_alu instid0(VALU_DEP_2) | instskip(NEXT) | instid1(VALU_DEP_2)
	v_mul_i32_i24_e32 v29, v173, v104
	v_mul_i32_i24_e32 v31, v174, v105
	s_delay_alu instid0(VALU_DEP_1) | instskip(SKIP_2) | instid1(VALU_DEP_1)
	v_add3_u32 v112, v112, v31, v29
	v_mul_i32_i24_e32 v29, v173, v166
	v_mul_i32_i24_e32 v31, v174, v167
	v_add3_u32 v114, v114, v31, v29
	v_add_nc_u32_e32 v29, 0x1404, v158
	ds_load_2addr_b32 v[47:48], v29 offset1:1
	s_wait_dscnt 0x0
	v_bfe_i32 v175, v47, 8, 8
	v_ashrrev_i32_e32 v176, 24, v47
	s_delay_alu instid0(VALU_DEP_2) | instskip(NEXT) | instid1(VALU_DEP_2)
	v_mul_i32_i24_e32 v29, v175, v104
	v_mul_i32_i24_e32 v31, v176, v105
	s_delay_alu instid0(VALU_DEP_1) | instskip(SKIP_2) | instid1(VALU_DEP_1)
	v_add3_u32 v120, v120, v31, v29
	v_mul_i32_i24_e32 v29, v175, v166
	v_mul_i32_i24_e32 v31, v176, v167
	v_add3_u32 v121, v121, v31, v29
	v_add_nc_u32_e32 v29, 0x1804, v158
	v_add_nc_u32_e32 v31, 0x1c14, v158
	ds_load_2addr_b32 v[45:46], v29 offset1:1
	ds_load_2addr_b32 v[31:32], v31 offset1:1
	;; [unrolled: 1-line block ×3, first 2 shown]
	s_wait_dscnt 0x2
	v_bfe_i32 v177, v45, 8, 8
	v_ashrrev_i32_e32 v178, 24, v45
	s_delay_alu instid0(VALU_DEP_2) | instskip(NEXT) | instid1(VALU_DEP_2)
	v_mul_i32_i24_e32 v29, v177, v104
	v_mul_i32_i24_e32 v43, v178, v105
	s_delay_alu instid0(VALU_DEP_1) | instskip(SKIP_2) | instid1(VALU_DEP_1)
	v_add3_u32 v179, v125, v43, v29
	v_mul_i32_i24_e32 v29, v177, v166
	v_mul_i32_i24_e32 v43, v178, v167
	v_add3_u32 v180, v126, v43, v29
	v_add_nc_u32_e32 v29, 0x1c04, v158
	v_mul_i32_i24_e32 v126, v245, v98
	ds_load_2addr_b32 v[43:44], v29 offset1:1
	s_wait_dscnt 0x0
	v_bfe_i32 v181, v43, 8, 8
	v_ashrrev_i32_e32 v182, 24, v43
	s_delay_alu instid0(VALU_DEP_2) | instskip(NEXT) | instid1(VALU_DEP_2)
	v_mul_i32_i24_e32 v29, v181, v104
	v_mul_i32_i24_e32 v125, v182, v105
	s_delay_alu instid0(VALU_DEP_1) | instskip(SKIP_3) | instid1(VALU_DEP_2)
	v_add3_u32 v183, v139, v125, v29
	v_mul_i32_i24_e32 v29, v181, v166
	v_mul_i32_i24_e32 v125, v182, v167
	v_ashrrev_i32_e32 v139, 24, v61
	v_add3_u32 v184, v140, v125, v29
	v_lshrrev_b32_e32 v29, 4, v28
	v_bfe_i32 v28, v30, 8, 8
	v_and_b32_e32 v30, 0xf0f0f0f, v6
	v_bfe_i32 v140, v45, 16, 8
	v_lshrrev_b32_e32 v6, 4, v6
	v_lshrrev_b16 v29, 8, v29
	s_delay_alu instid0(VALU_DEP_4) | instskip(NEXT) | instid1(VALU_DEP_3)
	v_lshrrev_b16 v30, 8, v30
	v_lshrrev_b16 v6, 8, v6
	s_delay_alu instid0(VALU_DEP_3) | instskip(NEXT) | instid1(VALU_DEP_3)
	v_and_b32_e32 v125, 15, v29
	v_and_b32_e32 v29, 0xffff, v30
	s_delay_alu instid0(VALU_DEP_3) | instskip(NEXT) | instid1(VALU_DEP_3)
	v_and_b32_e32 v6, 15, v6
	v_and_b32_e32 v30, 0xffff, v125
	s_delay_alu instid0(VALU_DEP_3) | instskip(NEXT) | instid1(VALU_DEP_2)
	v_mul_i32_i24_e32 v8, v28, v29
	v_mul_i32_i24_e32 v125, v152, v30
	s_delay_alu instid0(VALU_DEP_1) | instskip(SKIP_4) | instid1(VALU_DEP_3)
	v_add3_u32 v185, v145, v125, v8
	v_mul_i32_i24_e32 v8, v237, v84
	v_mul_i32_i24_e32 v84, v239, v86
	;; [unrolled: 1-line block ×3, first 2 shown]
	v_bfe_i32 v145, v49, 16, 8
	v_add3_u32 v86, v146, v8, v84
	v_mul_i32_i24_e32 v8, v237, v100
	v_mul_i32_i24_e32 v84, v239, v101
	v_bfe_i32 v146, v51, 0, 8
	s_delay_alu instid0(VALU_DEP_2)
	v_add3_u32 v100, v147, v8, v84
	v_lshrrev_b32_e32 v8, 4, v68
	v_mul_i32_i24_e32 v68, v73, v238
	v_ashrrev_i32_e32 v238, 24, v62
	v_bfe_i32 v147, v51, 16, 8
	v_mul_i32_i24_e32 v51, v146, v187
	v_lshrrev_b16 v8, 8, v8
	s_delay_alu instid0(VALU_DEP_1) | instskip(NEXT) | instid1(VALU_DEP_1)
	v_and_b32_e32 v8, 15, v8
	v_and_b32_e32 v101, 0xffff, v8
	s_delay_alu instid0(VALU_DEP_1) | instskip(SKIP_1) | instid1(VALU_DEP_2)
	v_mul_i32_i24_e32 v8, v101, v144
	v_bfe_i32 v144, v61, 0, 8
	v_add3_u32 v68, v153, v8, v68
	v_mul_i32_i24_e32 v8, v60, v92
	v_bfe_i32 v153, v64, 8, 8
	v_mul_i32_i24_e32 v60, v60, v101
	s_delay_alu instid0(VALU_DEP_3) | instskip(SKIP_1) | instid1(VALU_DEP_1)
	v_mad_i32_i24 v8, v74, v249, v8
	v_mul_i32_i24_e32 v74, v81, v245
	v_add3_u32 v72, v8, v72, v74
	v_lshrrev_b32_e32 v8, 4, v69
	v_and_b32_e32 v69, 0xf0f0f0f, v69
	s_delay_alu instid0(VALU_DEP_2) | instskip(NEXT) | instid1(VALU_DEP_2)
	v_lshrrev_b16 v8, 8, v8
	v_lshrrev_b16 v69, 8, v69
	s_delay_alu instid0(VALU_DEP_2) | instskip(NEXT) | instid1(VALU_DEP_2)
	v_and_b32_e32 v8, 15, v8
	v_and_b32_e32 v74, 0xffff, v69
	v_bfe_i32 v69, v70, 8, 8
	s_delay_alu instid0(VALU_DEP_3) | instskip(NEXT) | instid1(VALU_DEP_2)
	v_and_b32_e32 v8, 0xffff, v8
	v_mul_i32_i24_e32 v64, v69, v74
	s_delay_alu instid0(VALU_DEP_2) | instskip(NEXT) | instid1(VALU_DEP_1)
	v_mul_i32_i24_e32 v70, v153, v8
	v_add3_u32 v70, v60, v64, v70
	v_bfe_i32 v60, v62, 16, 8
	v_bfe_u32 v64, v57, 20, 4
	s_delay_alu instid0(VALU_DEP_2) | instskip(NEXT) | instid1(VALU_DEP_2)
	v_mul_i32_i24_e32 v81, v60, v14
	v_mul_i32_i24_e32 v84, v253, v64
	s_delay_alu instid0(VALU_DEP_1) | instskip(SKIP_2) | instid1(VALU_DEP_1)
	v_add3_u32 v154, v154, v84, v81
	v_mul_i32_i24_e32 v81, v243, v21
	v_mul_i32_i24_e32 v84, v144, v248
	v_add3_u32 v155, v155, v84, v81
	v_mul_i32_i24_e32 v81, v238, v19
	v_mul_i32_i24_e32 v84, v139, v246
	s_delay_alu instid0(VALU_DEP_1) | instskip(SKIP_2) | instid1(VALU_DEP_2)
	v_add3_u32 v81, v156, v84, v81
	v_mul_i32_i24_e32 v84, v69, v104
	v_bfe_i32 v156, v45, 0, 8
	v_add3_u32 v96, v96, v125, v84
	v_mul_i32_i24_e32 v84, v69, v166
	v_mul_i32_i24_e32 v125, v80, v167
	s_delay_alu instid0(VALU_DEP_4) | instskip(NEXT) | instid1(VALU_DEP_2)
	v_mul_i32_i24_e32 v45, v156, v187
	v_add3_u32 v99, v99, v125, v84
	v_mul_i32_i24_e32 v84, v92, v82
	v_mul_i32_i24_e32 v125, v242, v97
	s_delay_alu instid0(VALU_DEP_2) | instskip(NEXT) | instid1(VALU_DEP_1)
	v_mad_i32_i24 v84, v249, v85, v84
	v_add3_u32 v186, v84, v125, v126
	v_mul_i32_i24_e32 v84, v190, v188
	v_mul_i32_i24_e32 v125, v245, v109
	v_bfe_i32 v126, v49, 0, 8
	s_delay_alu instid0(VALU_DEP_3) | instskip(SKIP_2) | instid1(VALU_DEP_4)
	v_add3_u32 v165, v165, v53, v84
	v_mul_i32_i24_e32 v53, v189, v191
	v_mul_i32_i24_e32 v84, v190, v192
	;; [unrolled: 1-line block ×3, first 2 shown]
	s_delay_alu instid0(VALU_DEP_2) | instskip(SKIP_2) | instid1(VALU_DEP_2)
	v_add3_u32 v168, v168, v53, v84
	v_mul_i32_i24_e32 v53, v92, v103
	v_mul_i32_i24_e32 v84, v242, v108
	v_mad_i32_i24 v53, v249, v107, v53
	s_delay_alu instid0(VALU_DEP_1) | instskip(SKIP_3) | instid1(VALU_DEP_3)
	v_add3_u32 v193, v53, v84, v125
	v_mul_i32_i24_e32 v53, v147, v188
	v_mul_i32_i24_e32 v84, v245, v115
	v_bfe_i32 v125, v47, 16, 8
	v_add3_u32 v171, v171, v51, v53
	v_mul_i32_i24_e32 v51, v146, v191
	v_mul_i32_i24_e32 v53, v147, v192
	s_delay_alu instid0(VALU_DEP_1) | instskip(SKIP_2) | instid1(VALU_DEP_2)
	v_add3_u32 v172, v172, v51, v53
	v_mul_i32_i24_e32 v51, v92, v110
	v_mul_i32_i24_e32 v53, v242, v113
	v_mad_i32_i24 v51, v249, v111, v51
	s_delay_alu instid0(VALU_DEP_1) | instskip(SKIP_3) | instid1(VALU_DEP_3)
	v_add3_u32 v194, v51, v53, v84
	v_mul_i32_i24_e32 v51, v145, v188
	v_mul_i32_i24_e32 v53, v145, v192
	;; [unrolled: 1-line block ×3, first 2 shown]
	v_add3_u32 v49, v112, v49, v51
	v_mul_i32_i24_e32 v51, v126, v191
	v_mul_i32_i24_e32 v112, v245, v88
	s_delay_alu instid0(VALU_DEP_2) | instskip(SKIP_3) | instid1(VALU_DEP_3)
	v_add3_u32 v195, v114, v51, v53
	v_mul_i32_i24_e32 v51, v92, v116
	v_mul_i32_i24_e32 v53, v242, v118
	v_lshrrev_b32_e32 v114, 28, v59
	v_mad_i32_i24 v51, v249, v117, v51
	s_delay_alu instid0(VALU_DEP_1) | instskip(SKIP_3) | instid1(VALU_DEP_3)
	v_add3_u32 v196, v51, v53, v84
	v_bfe_i32 v84, v47, 0, 8
	v_mul_i32_i24_e32 v51, v125, v188
	v_mul_i32_i24_e32 v53, v125, v192
	;; [unrolled: 1-line block ×3, first 2 shown]
	s_delay_alu instid0(VALU_DEP_1) | instskip(SKIP_1) | instid1(VALU_DEP_1)
	v_add3_u32 v47, v120, v47, v51
	v_mul_i32_i24_e32 v51, v84, v191
	v_add3_u32 v120, v121, v51, v53
	v_mul_i32_i24_e32 v51, v92, v122
	v_mul_i32_i24_e32 v53, v242, v157
	s_delay_alu instid0(VALU_DEP_2) | instskip(NEXT) | instid1(VALU_DEP_1)
	v_mad_i32_i24 v51, v249, v123, v51
	v_add3_u32 v121, v51, v53, v112
	v_mul_i32_i24_e32 v51, v140, v188
	v_mul_i32_i24_e32 v53, v140, v192
	v_lshrrev_b32_e32 v112, 28, v55
	s_delay_alu instid0(VALU_DEP_3) | instskip(SKIP_1) | instid1(VALU_DEP_1)
	v_add3_u32 v45, v179, v45, v51
	v_mul_i32_i24_e32 v51, v156, v191
	v_add3_u32 v179, v180, v51, v53
	v_mul_i32_i24_e32 v51, v92, v148
	v_mul_i32_i24_e32 v53, v242, v90
	;; [unrolled: 1-line block ×3, first 2 shown]
	v_bfe_i32 v245, v9, 8, 8
	v_and_b32_e32 v9, 0xf0f0f0f, v7
	v_mad_i32_i24 v51, v249, v89, v51
	v_bfe_i32 v249, v43, 0, 8
	v_and_b32_e32 v242, 0xffff, v6
	v_lshrrev_b32_e32 v7, 4, v7
	v_lshrrev_b16 v9, 8, v9
	v_add3_u32 v92, v51, v53, v92
	v_mul_i32_i24_e32 v51, v101, v82
	v_mul_i32_i24_e32 v53, v101, v103
	;; [unrolled: 1-line block ×6, first 2 shown]
	v_bfe_i32 v148, v43, 16, 8
	v_mad_i32_i24 v85, v73, v85, v51
	v_mul_i32_i24_e32 v43, v249, v187
	v_mad_i32_i24 v107, v73, v107, v53
	v_mad_i32_i24 v82, v73, v111, v82
	v_mul_i32_i24_e32 v51, v148, v188
	v_mul_i32_i24_e32 v53, v148, v192
	v_mad_i32_i24 v103, v73, v117, v103
	v_mad_i32_i24 v116, v73, v123, v110
	;; [unrolled: 1-line block ×3, first 2 shown]
	v_add3_u32 v43, v183, v43, v51
	v_mul_i32_i24_e32 v51, v249, v191
	v_bfe_i32 v110, v41, 0, 8
	v_ashrrev_i32_e32 v111, 24, v41
	s_delay_alu instid0(VALU_DEP_3) | instskip(SKIP_4) | instid1(VALU_DEP_3)
	v_add3_u32 v89, v184, v51, v53
	v_bfe_i32 v51, v16, 8, 8
	v_and_b32_e32 v53, 0xffff, v9
	v_mul_i32_i24_e32 v9, v245, v242
	v_and_b32_e32 v16, 0xf0f0f0f, v56
	v_mul_i32_i24_e32 v6, v51, v53
	s_delay_alu instid0(VALU_DEP_2) | instskip(NEXT) | instid1(VALU_DEP_2)
	v_lshrrev_b16 v16, 8, v16
	v_add3_u32 v117, v185, v9, v6
	v_mul_i32_i24_e32 v6, v94, v104
	v_mul_i32_i24_e32 v9, v232, v187
	s_delay_alu instid0(VALU_DEP_1) | instskip(SKIP_2) | instid1(VALU_DEP_1)
	v_add3_u32 v86, v86, v6, v9
	v_mul_i32_i24_e32 v6, v94, v166
	v_mul_i32_i24_e32 v9, v232, v191
	v_add3_u32 v104, v100, v6, v9
	v_mul_i32_i24_e32 v6, v66, v237
	v_mul_i32_i24_e32 v9, v67, v239
	v_ashrrev_i32_e32 v237, 24, v33
	v_bfe_i32 v239, v39, 0, 8
	s_delay_alu instid0(VALU_DEP_3) | instskip(SKIP_3) | instid1(VALU_DEP_2)
	v_add3_u32 v68, v68, v6, v9
	v_mul_i32_i24_e32 v6, v80, v233
	v_mul_i32_i24_e32 v9, v69, v93
	;; [unrolled: 1-line block ×3, first 2 shown]
	v_add3_u32 v69, v72, v6, v9
	v_lshrrev_b32_e32 v6, 4, v56
	v_bfe_i32 v9, v71, 8, 8
	v_mul_i32_i24_e32 v72, v2, v192
	s_delay_alu instid0(VALU_DEP_3) | instskip(NEXT) | instid1(VALU_DEP_1)
	v_lshrrev_b16 v6, 8, v6
	v_and_b32_e32 v56, 15, v6
	v_and_b32_e32 v6, 0xffff, v16
	s_delay_alu instid0(VALU_DEP_2) | instskip(NEXT) | instid1(VALU_DEP_2)
	v_and_b32_e32 v56, 0xffff, v56
	v_mul_i32_i24_e32 v16, v9, v6
	s_delay_alu instid0(VALU_DEP_2) | instskip(NEXT) | instid1(VALU_DEP_1)
	v_mul_i32_i24_e32 v71, v65, v56
	v_add3_u32 v70, v70, v16, v71
	v_mul_i32_i24_e32 v16, v3, v187
	v_mul_i32_i24_e32 v71, v2, v188
	;; [unrolled: 1-line block ×3, first 2 shown]
	s_delay_alu instid0(VALU_DEP_2) | instskip(SKIP_4) | instid1(VALU_DEP_4)
	v_add3_u32 v71, v96, v16, v71
	v_mul_i32_i24_e32 v16, v3, v191
	v_mul_i32_i24_e32 v96, v67, v98
	;; [unrolled: 1-line block ×4, first 2 shown]
	v_add3_u32 v72, v99, v16, v72
	v_mul_i32_i24_e32 v16, v160, v233
	s_delay_alu instid0(VALU_DEP_1) | instskip(SKIP_2) | instid1(VALU_DEP_2)
	v_add3_u32 v80, v186, v16, v80
	v_mul_i32_i24_e32 v16, v66, v97
	v_mul_i32_i24_e32 v97, v111, v112
	v_add3_u32 v85, v85, v16, v96
	v_bfe_u32 v96, v55, 4, 4
	s_delay_alu instid0(VALU_DEP_1) | instskip(NEXT) | instid1(VALU_DEP_1)
	v_mul_i32_i24_e32 v16, v110, v96
	v_add3_u32 v99, v165, v97, v16
	v_bfe_u32 v165, v59, 4, 4
	v_mul_i32_i24_e32 v97, v111, v114
	s_delay_alu instid0(VALU_DEP_2) | instskip(NEXT) | instid1(VALU_DEP_1)
	v_mul_i32_i24_e32 v16, v110, v165
	v_add3_u32 v122, v168, v97, v16
	v_mul_i32_i24_e32 v16, v170, v233
	v_mul_i32_i24_e32 v97, v169, v93
	s_delay_alu instid0(VALU_DEP_1) | instskip(SKIP_2) | instid1(VALU_DEP_1)
	v_add3_u32 v123, v193, v16, v97
	v_mul_i32_i24_e32 v16, v66, v108
	v_mul_i32_i24_e32 v97, v67, v109
	v_add3_u32 v108, v107, v16, v97
	v_bfe_i32 v16, v33, 0, 8
	v_ashrrev_i32_e32 v107, 24, v31
	s_delay_alu instid0(VALU_DEP_2) | instskip(NEXT) | instid1(VALU_DEP_1)
	v_mul_i32_i24_e32 v97, v16, v96
	v_add3_u32 v109, v171, v98, v97
	v_mul_i32_i24_e32 v97, v16, v165
	v_mul_i32_i24_e32 v98, v237, v114
	s_delay_alu instid0(VALU_DEP_1) | instskip(SKIP_2) | instid1(VALU_DEP_1)
	v_add3_u32 v166, v172, v98, v97
	v_mul_i32_i24_e32 v97, v174, v233
	v_mul_i32_i24_e32 v98, v173, v93
	v_add3_u32 v168, v194, v97, v98
	v_mul_i32_i24_e32 v97, v66, v113
	v_mul_i32_i24_e32 v98, v67, v115
	v_bfe_u32 v115, v55, 20, 4
	v_bfe_i32 v113, v41, 16, 8
	s_delay_alu instid0(VALU_DEP_3) | instskip(SKIP_2) | instid1(VALU_DEP_2)
	v_add3_u32 v82, v82, v97, v98
	v_ashrrev_i32_e32 v97, 24, v39
	v_mul_i32_i24_e32 v98, v239, v96
	v_mul_i32_i24_e32 v100, v97, v112
	s_delay_alu instid0(VALU_DEP_1) | instskip(SKIP_3) | instid1(VALU_DEP_2)
	v_add3_u32 v171, v49, v100, v98
	v_mul_i32_i24_e32 v49, v239, v165
	v_mul_i32_i24_e32 v98, v97, v114
	v_ashrrev_i32_e32 v100, 24, v35
	v_add3_u32 v172, v195, v98, v49
	v_mul_i32_i24_e32 v49, v176, v233
	v_mul_i32_i24_e32 v98, v175, v93
	s_delay_alu instid0(VALU_DEP_4) | instskip(NEXT) | instid1(VALU_DEP_2)
	v_mul_i32_i24_e32 v101, v100, v112
	v_add3_u32 v180, v196, v49, v98
	v_mul_i32_i24_e32 v49, v66, v118
	v_mul_i32_i24_e32 v98, v67, v119
	s_delay_alu instid0(VALU_DEP_1) | instskip(SKIP_2) | instid1(VALU_DEP_2)
	v_add3_u32 v183, v103, v49, v98
	v_bfe_i32 v98, v35, 0, 8
	v_ashrrev_i32_e32 v103, 24, v37
	v_mul_i32_i24_e32 v49, v98, v96
	s_delay_alu instid0(VALU_DEP_1) | instskip(SKIP_3) | instid1(VALU_DEP_2)
	v_add3_u32 v184, v47, v101, v49
	v_mul_i32_i24_e32 v47, v98, v165
	v_mul_i32_i24_e32 v49, v100, v114
	v_bfe_i32 v101, v37, 0, 8
	v_add3_u32 v185, v120, v49, v47
	v_mul_i32_i24_e32 v47, v178, v233
	v_mul_i32_i24_e32 v49, v177, v93
	s_delay_alu instid0(VALU_DEP_1) | instskip(SKIP_2) | instid1(VALU_DEP_1)
	v_add3_u32 v186, v121, v47, v49
	v_mul_i32_i24_e32 v47, v66, v157
	v_mul_i32_i24_e32 v49, v67, v88
	v_add3_u32 v88, v116, v47, v49
	v_mul_i32_i24_e32 v47, v101, v96
	v_mul_i32_i24_e32 v49, v103, v112
	v_bfe_u32 v116, v59, 20, 4
	s_delay_alu instid0(VALU_DEP_2)
	v_add3_u32 v187, v45, v49, v47
	v_mul_i32_i24_e32 v45, v101, v165
	v_mul_i32_i24_e32 v47, v103, v114
	v_bfe_i32 v49, v61, 8, 8
	v_bfe_i32 v61, v63, 8, 8
	v_bfe_i32 v63, v35, 16, 8
	s_delay_alu instid0(VALU_DEP_4) | instskip(SKIP_3) | instid1(VALU_DEP_2)
	v_add3_u32 v179, v179, v47, v45
	v_mul_i32_i24_e32 v45, v182, v233
	v_mul_i32_i24_e32 v47, v181, v93
	v_bfe_i32 v233, v31, 0, 8
	v_add3_u32 v92, v92, v45, v47
	v_mul_i32_i24_e32 v45, v66, v90
	v_mul_i32_i24_e32 v47, v67, v91
	s_delay_alu instid0(VALU_DEP_1) | instskip(SKIP_2) | instid1(VALU_DEP_1)
	v_add3_u32 v73, v73, v45, v47
	v_mul_i32_i24_e32 v45, v233, v96
	v_mul_i32_i24_e32 v47, v107, v112
	v_add3_u32 v90, v43, v47, v45
	v_bfe_i32 v47, v5, 8, 8
	v_lshrrev_b16 v5, 8, v7
	v_mul_i32_i24_e32 v43, v233, v165
	v_mul_i32_i24_e32 v45, v107, v114
	;; [unrolled: 1-line block ×3, first 2 shown]
	s_delay_alu instid0(VALU_DEP_4) | instskip(NEXT) | instid1(VALU_DEP_3)
	v_and_b32_e32 v5, 15, v5
	v_add3_u32 v89, v89, v45, v43
	s_delay_alu instid0(VALU_DEP_2) | instskip(NEXT) | instid1(VALU_DEP_1)
	v_and_b32_e32 v45, 0xffff, v5
	v_mul_i32_i24_e32 v5, v47, v45
	s_delay_alu instid0(VALU_DEP_1) | instskip(SKIP_4) | instid1(VALU_DEP_3)
	v_add3_u32 v91, v117, v5, v95
	v_add3_u32 v95, v69, v3, v2
	v_lshrrev_b32_e32 v2, 4, v57
	v_and_b32_e32 v3, 0xf0f0f0f, v57
	v_mul_i32_i24_e32 v5, v224, v188
	v_lshrrev_b16 v2, 8, v2
	s_delay_alu instid0(VALU_DEP_3) | instskip(NEXT) | instid1(VALU_DEP_3)
	v_lshrrev_b16 v3, 8, v3
	v_add3_u32 v86, v86, v5, v7
	v_mul_i32_i24_e32 v5, v224, v192
	v_mul_i32_i24_e32 v7, v227, v167
	v_and_b32_e32 v2, 15, v2
	v_and_b32_e32 v57, 0xffff, v3
	s_delay_alu instid0(VALU_DEP_3) | instskip(NEXT) | instid1(VALU_DEP_3)
	v_add3_u32 v93, v104, v5, v7
	v_and_b32_e32 v43, 0xffff, v2
	s_delay_alu instid0(VALU_DEP_3) | instskip(SKIP_4) | instid1(VALU_DEP_3)
	v_mul_i32_i24_e32 v2, v61, v57
	v_mul_i32_i24_e32 v5, v232, v151
	;; [unrolled: 1-line block ×3, first 2 shown]
	v_bfe_i32 v232, v37, 16, 8
	v_mul_i32_i24_e32 v3, v49, v43
	v_add3_u32 v94, v68, v7, v5
	v_bfe_i32 v5, v33, 8, 8
	s_delay_alu instid0(VALU_DEP_3) | instskip(SKIP_4) | instid1(VALU_DEP_3)
	v_add3_u32 v104, v70, v2, v3
	v_mul_i32_i24_e32 v2, v78, v96
	v_mul_i32_i24_e32 v3, v79, v112
	v_bfe_i32 v7, v39, 8, 8
	v_mul_i32_i24_e32 v112, v211, v112
	v_add3_u32 v105, v71, v3, v2
	v_mul_i32_i24_e32 v2, v78, v165
	v_mul_i32_i24_e32 v3, v79, v114
	s_delay_alu instid0(VALU_DEP_1) | instskip(SKIP_2) | instid1(VALU_DEP_1)
	v_add3_u32 v167, v72, v3, v2
	v_mul_i32_i24_e32 v2, v189, v229
	v_mul_i32_i24_e32 v3, v190, v228
	v_add3_u32 v188, v80, v2, v3
	v_mul_i32_i24_e32 v2, v160, v77
	v_mul_i32_i24_e32 v3, v106, v74
	v_bfe_u32 v80, v55, 12, 4
	v_bfe_i32 v55, v41, 8, 8
	v_bfe_u32 v106, v59, 12, 4
	v_bfe_i32 v41, v33, 16, 8
	v_add3_u32 v85, v85, v2, v3
	v_mul_i32_i24_e32 v3, v113, v115
	v_mul_i32_i24_e32 v2, v55, v80
	v_bfe_i32 v59, v39, 16, 8
	v_mul_i32_i24_e32 v33, v125, v228
	v_mul_i32_i24_e32 v39, v175, v74
	s_delay_alu instid0(VALU_DEP_4) | instskip(SKIP_2) | instid1(VALU_DEP_1)
	v_add3_u32 v99, v99, v2, v3
	v_mul_i32_i24_e32 v2, v55, v106
	v_mul_i32_i24_e32 v3, v113, v116
	v_add3_u32 v117, v122, v2, v3
	v_mul_i32_i24_e32 v2, v146, v229
	v_mul_i32_i24_e32 v3, v147, v228
	s_delay_alu instid0(VALU_DEP_1) | instskip(SKIP_2) | instid1(VALU_DEP_1)
	v_add3_u32 v118, v123, v2, v3
	v_mul_i32_i24_e32 v2, v170, v77
	v_mul_i32_i24_e32 v3, v169, v74
	v_add3_u32 v119, v108, v2, v3
	v_mul_i32_i24_e32 v2, v5, v80
	v_mul_i32_i24_e32 v3, v41, v115
	s_delay_alu instid0(VALU_DEP_1) | instskip(SKIP_2) | instid1(VALU_DEP_1)
	;; [unrolled: 7-line block ×3, first 2 shown]
	v_add3_u32 v122, v168, v2, v3
	v_mul_i32_i24_e32 v2, v174, v77
	v_mul_i32_i24_e32 v3, v173, v74
	v_add3_u32 v123, v82, v2, v3
	v_mul_i32_i24_e32 v2, v7, v80
	v_mul_i32_i24_e32 v3, v59, v115
	;; [unrolled: 1-line block ×3, first 2 shown]
	s_delay_alu instid0(VALU_DEP_2) | instskip(SKIP_2) | instid1(VALU_DEP_1)
	v_add3_u32 v157, v171, v2, v3
	v_mul_i32_i24_e32 v2, v7, v106
	v_mul_i32_i24_e32 v3, v59, v116
	v_add3_u32 v2, v172, v2, v3
	v_mul_i32_i24_e32 v3, v84, v229
	v_mul_i32_i24_e32 v84, v84, v151
	s_delay_alu instid0(VALU_DEP_2) | instskip(SKIP_1) | instid1(VALU_DEP_1)
	v_add3_u32 v3, v180, v3, v33
	v_mul_i32_i24_e32 v33, v176, v77
	v_add3_u32 v108, v183, v33, v39
	v_bfe_i32 v39, v35, 8, 8
	v_mul_i32_i24_e32 v35, v63, v115
	s_delay_alu instid0(VALU_DEP_2) | instskip(NEXT) | instid1(VALU_DEP_1)
	v_mul_i32_i24_e32 v33, v39, v80
	v_add3_u32 v109, v184, v33, v35
	v_mul_i32_i24_e32 v33, v39, v106
	v_mul_i32_i24_e32 v35, v63, v116
	s_delay_alu instid0(VALU_DEP_1) | instskip(SKIP_2) | instid1(VALU_DEP_1)
	v_add3_u32 v66, v185, v33, v35
	v_mul_i32_i24_e32 v33, v156, v229
	v_mul_i32_i24_e32 v35, v140, v228
	v_add3_u32 v67, v186, v33, v35
	v_mul_i32_i24_e32 v33, v178, v77
	v_mul_i32_i24_e32 v35, v177, v74
	s_delay_alu instid0(VALU_DEP_1) | instskip(SKIP_2) | instid1(VALU_DEP_2)
	v_add3_u32 v68, v88, v33, v35
	v_bfe_i32 v35, v37, 8, 8
	v_mul_i32_i24_e32 v37, v232, v115
	v_mul_i32_i24_e32 v33, v35, v80
	s_delay_alu instid0(VALU_DEP_1) | instskip(SKIP_2) | instid1(VALU_DEP_1)
	v_add3_u32 v69, v187, v33, v37
	v_mul_i32_i24_e32 v33, v35, v106
	v_mul_i32_i24_e32 v37, v232, v116
	v_add3_u32 v70, v179, v33, v37
	v_mul_i32_i24_e32 v33, v249, v229
	v_mul_i32_i24_e32 v37, v148, v228
	v_bfe_i32 v228, v31, 16, 8
	v_bfe_u32 v229, v10, 8, 4
	s_delay_alu instid0(VALU_DEP_3) | instskip(SKIP_3) | instid1(VALU_DEP_2)
	v_add3_u32 v71, v92, v33, v37
	v_mul_i32_i24_e32 v33, v181, v74
	v_mul_i32_i24_e32 v37, v182, v77
	;; [unrolled: 1-line block ×3, first 2 shown]
	v_add3_u32 v72, v73, v37, v33
	v_bfe_i32 v37, v31, 8, 8
	v_mul_i32_i24_e32 v33, v228, v115
	s_delay_alu instid0(VALU_DEP_2) | instskip(NEXT) | instid1(VALU_DEP_1)
	v_mul_i32_i24_e32 v31, v37, v80
	v_add3_u32 v73, v90, v31, v33
	v_mul_i32_i24_e32 v31, v37, v106
	v_mul_i32_i24_e32 v33, v228, v116
	s_delay_alu instid0(VALU_DEP_1)
	v_add3_u32 v74, v89, v31, v33
	v_add3_u32 v31, v76, v75, v91
	v_mul_i32_i24_e32 v33, v215, v96
	v_mul_i32_i24_e32 v75, v152, v80
	;; [unrolled: 1-line block ×3, first 2 shown]
	v_bfe_u32 v89, v12, 24, 4
	s_delay_alu instid0(VALU_DEP_3) | instskip(SKIP_2) | instid1(VALU_DEP_2)
	v_add3_u32 v75, v86, v33, v75
	v_mul_i32_i24_e32 v33, v215, v165
	v_mul_i32_i24_e32 v86, v190, v150
	v_add3_u32 v76, v93, v33, v76
	v_mul_i32_i24_e32 v33, v227, v77
	v_mul_i32_i24_e32 v77, v224, v150
	v_bfe_u32 v227, v10, 24, 4
	v_ashrrev_i32_e32 v224, 24, v54
	v_mul_i32_i24_e32 v93, v147, v150
	s_delay_alu instid0(VALU_DEP_4)
	v_add3_u32 v77, v94, v77, v33
	v_mul_i32_i24_e32 v33, v78, v217
	v_mul_i32_i24_e32 v78, v79, v216
	;; [unrolled: 1-line block ×4, first 2 shown]
	v_ashrrev_i32_e32 v94, 24, v52
	s_delay_alu instid0(VALU_DEP_4) | instskip(SKIP_1) | instid1(VALU_DEP_3)
	v_add3_u32 v78, v95, v78, v33
	v_lshrrev_b16 v33, 8, v62
	v_mul_i32_i24_e32 v96, v94, v227
	s_delay_alu instid0(VALU_DEP_2) | instskip(NEXT) | instid1(VALU_DEP_1)
	v_bfe_i32 v33, v33, 0, 8
	v_mul_i32_i24_e32 v62, v33, v23
	s_delay_alu instid0(VALU_DEP_1)
	v_add3_u32 v79, v104, v62, v81
	v_mul_i32_i24_e32 v62, v153, v80
	v_mul_i32_i24_e32 v80, v149, v115
	;; [unrolled: 1-line block ×5, first 2 shown]
	s_delay_alu instid0(VALU_DEP_4) | instskip(SKIP_3) | instid1(VALU_DEP_3)
	v_add3_u32 v80, v105, v62, v80
	v_mul_i32_i24_e32 v62, v153, v106
	v_mul_i32_i24_e32 v105, v145, v150
	v_ashrrev_i32_e32 v106, 24, v50
	v_add3_u32 v81, v167, v62, v81
	v_mul_i32_i24_e32 v62, v110, v217
	s_delay_alu instid0(VALU_DEP_1) | instskip(SKIP_1) | instid1(VALU_DEP_1)
	v_add3_u32 v82, v188, v82, v62
	v_mul_i32_i24_e32 v62, v189, v151
	v_add3_u32 v85, v85, v62, v86
	v_bfe_i32 v62, v54, 8, 8
	s_delay_alu instid0(VALU_DEP_1) | instskip(NEXT) | instid1(VALU_DEP_1)
	v_mul_i32_i24_e32 v86, v62, v229
	v_add3_u32 v86, v99, v88, v86
	v_bfe_u32 v88, v12, 8, 4
	v_mul_i32_i24_e32 v99, v94, v89
	s_delay_alu instid0(VALU_DEP_2) | instskip(NEXT) | instid1(VALU_DEP_1)
	v_mul_i32_i24_e32 v90, v62, v88
	v_add3_u32 v90, v117, v91, v90
	v_mul_i32_i24_e32 v91, v16, v217
	v_mul_i32_i24_e32 v16, v16, v134
	s_delay_alu instid0(VALU_DEP_2) | instskip(SKIP_2) | instid1(VALU_DEP_2)
	v_add3_u32 v91, v118, v92, v91
	v_mul_i32_i24_e32 v92, v146, v151
	v_mul_i32_i24_e32 v118, v106, v227
	v_add3_u32 v92, v119, v92, v93
	v_bfe_i32 v93, v52, 8, 8
	v_mul_i32_i24_e32 v119, v106, v89
	s_delay_alu instid0(VALU_DEP_2) | instskip(NEXT) | instid1(VALU_DEP_1)
	v_mul_i32_i24_e32 v95, v93, v229
	v_add3_u32 v95, v120, v96, v95
	v_mul_i32_i24_e32 v96, v93, v88
	s_delay_alu instid0(VALU_DEP_1) | instskip(SKIP_2) | instid1(VALU_DEP_2)
	v_add3_u32 v96, v121, v99, v96
	v_mul_i32_i24_e32 v99, v239, v217
	v_ashrrev_i32_e32 v121, 24, v46
	v_add3_u32 v99, v122, v104, v99
	v_mul_i32_i24_e32 v104, v126, v151
	s_delay_alu instid0(VALU_DEP_3) | instskip(NEXT) | instid1(VALU_DEP_2)
	v_mul_i32_i24_e32 v122, v121, v227
	v_add3_u32 v104, v123, v104, v105
	v_bfe_i32 v105, v50, 8, 8
	v_ashrrev_i32_e32 v123, 24, v44
	s_delay_alu instid0(VALU_DEP_2) | instskip(NEXT) | instid1(VALU_DEP_1)
	v_mul_i32_i24_e32 v117, v105, v229
	v_add3_u32 v117, v157, v118, v117
	v_mul_i32_i24_e32 v118, v105, v88
	s_delay_alu instid0(VALU_DEP_1) | instskip(SKIP_4) | instid1(VALU_DEP_3)
	v_add3_u32 v2, v2, v119, v118
	v_mul_i32_i24_e32 v118, v98, v217
	v_mul_i32_i24_e32 v119, v100, v216
	;; [unrolled: 1-line block ×4, first 2 shown]
	v_add3_u32 v3, v3, v119, v118
	v_mul_i32_i24_e32 v118, v125, v150
	v_ashrrev_i32_e32 v119, 24, v48
	v_mul_i32_i24_e32 v125, v123, v227
	s_delay_alu instid0(VALU_DEP_3) | instskip(SKIP_1) | instid1(VALU_DEP_4)
	v_add3_u32 v108, v108, v84, v118
	v_bfe_i32 v118, v48, 8, 8
	v_mul_i32_i24_e32 v120, v119, v227
	s_delay_alu instid0(VALU_DEP_3) | instskip(NEXT) | instid1(VALU_DEP_3)
	v_add3_u32 v98, v108, v100, v98
	v_mul_i32_i24_e32 v84, v118, v229
	v_bfe_i32 v100, v48, 0, 8
	v_bfe_i32 v48, v48, 16, 8
	s_delay_alu instid0(VALU_DEP_3) | instskip(SKIP_2) | instid1(VALU_DEP_1)
	v_add3_u32 v109, v109, v120, v84
	v_mul_i32_i24_e32 v84, v118, v88
	v_mul_i32_i24_e32 v120, v119, v89
	v_add3_u32 v66, v66, v120, v84
	v_mul_i32_i24_e32 v84, v101, v217
	v_mul_i32_i24_e32 v120, v103, v216
	;; [unrolled: 1-line block ×4, first 2 shown]
	s_delay_alu instid0(VALU_DEP_3) | instskip(SKIP_2) | instid1(VALU_DEP_1)
	v_add3_u32 v67, v67, v120, v84
	v_mul_i32_i24_e32 v84, v156, v151
	v_mul_i32_i24_e32 v120, v140, v150
	v_add3_u32 v68, v68, v84, v120
	v_bfe_i32 v120, v46, 8, 8
	s_delay_alu instid0(VALU_DEP_2) | instskip(NEXT) | instid1(VALU_DEP_2)
	v_add3_u32 v68, v68, v103, v101
	v_mul_i32_i24_e32 v84, v120, v229
	v_bfe_i32 v101, v46, 0, 8
	v_bfe_i32 v46, v46, 16, 8
	s_delay_alu instid0(VALU_DEP_3) | instskip(SKIP_2) | instid1(VALU_DEP_1)
	v_add3_u32 v69, v69, v122, v84
	v_mul_i32_i24_e32 v84, v120, v88
	v_mul_i32_i24_e32 v122, v121, v89
	v_add3_u32 v70, v70, v122, v84
	v_mul_i32_i24_e32 v84, v233, v217
	v_mul_i32_i24_e32 v122, v107, v216
	s_delay_alu instid0(VALU_DEP_1) | instskip(SKIP_2) | instid1(VALU_DEP_1)
	v_add3_u32 v71, v71, v122, v84
	v_mul_i32_i24_e32 v84, v249, v151
	v_mul_i32_i24_e32 v122, v148, v150
	v_add3_u32 v72, v72, v84, v122
	v_bfe_i32 v122, v44, 8, 8
	s_delay_alu instid0(VALU_DEP_1) | instskip(NEXT) | instid1(VALU_DEP_1)
	v_mul_i32_i24_e32 v84, v122, v229
	v_add3_u32 v73, v73, v125, v84
	v_mul_i32_i24_e32 v84, v122, v88
	v_mul_i32_i24_e32 v125, v123, v89
	s_delay_alu instid0(VALU_DEP_1) | instskip(SKIP_1) | instid1(VALU_DEP_1)
	v_add3_u32 v74, v74, v125, v84
	v_mul_i32_i24_e32 v84, v210, v115
	v_add3_u32 v75, v75, v84, v112
	v_mul_i32_i24_e32 v84, v210, v116
	v_mul_i32_i24_e32 v112, v211, v114
	s_delay_alu instid0(VALU_DEP_1) | instskip(SKIP_2) | instid1(VALU_DEP_1)
	v_add3_u32 v76, v76, v84, v112
	v_mul_i32_i24_e32 v84, v215, v134
	v_mul_i32_i24_e32 v112, v152, v8
	v_add3_u32 v77, v77, v84, v112
	v_mul_i32_i24_e32 v84, v149, v214
	v_mul_i32_i24_e32 v112, v153, v30
	s_delay_alu instid0(VALU_DEP_1) | instskip(SKIP_3) | instid1(VALU_DEP_1)
	v_add3_u32 v78, v78, v112, v84
	v_add3_u32 v84, v155, v154, v79
	v_mul_i32_i24_e32 v79, v9, v229
	v_mul_i32_i24_e32 v112, v133, v227
	v_add3_u32 v79, v80, v112, v79
	v_mul_i32_i24_e32 v80, v9, v88
	v_mul_i32_i24_e32 v112, v133, v89
	;; [unrolled: 1-line block ×5, first 2 shown]
	s_delay_alu instid0(VALU_DEP_4) | instskip(SKIP_3) | instid1(VALU_DEP_2)
	v_add3_u32 v80, v81, v112, v80
	v_mul_i32_i24_e32 v81, v113, v214
	v_mul_i32_i24_e32 v112, v55, v30
	;; [unrolled: 1-line block ×3, first 2 shown]
	v_add3_u32 v81, v82, v112, v81
	v_mul_i32_i24_e32 v82, v110, v134
	v_mul_i32_i24_e32 v110, v111, v132
	v_bfe_u32 v111, v10, 16, 4
	s_delay_alu instid0(VALU_DEP_2) | instskip(SKIP_3) | instid1(VALU_DEP_2)
	v_add3_u32 v82, v85, v110, v82
	v_bfe_i32 v85, v54, 0, 8
	v_bfe_i32 v54, v54, 16, 8
	v_and_b32_e32 v110, 15, v10
	v_mul_i32_i24_e32 v114, v54, v111
	s_delay_alu instid0(VALU_DEP_2) | instskip(SKIP_2) | instid1(VALU_DEP_3)
	v_mul_i32_i24_e32 v112, v85, v110
	v_mul_i32_i24_e32 v108, v100, v110
	;; [unrolled: 1-line block ×3, first 2 shown]
	v_add3_u32 v86, v86, v112, v114
	v_and_b32_e32 v112, 15, v12
	v_bfe_u32 v114, v12, 16, 4
	s_delay_alu instid0(VALU_DEP_2) | instskip(NEXT) | instid1(VALU_DEP_2)
	v_mul_i32_i24_e32 v115, v85, v112
	v_mul_i32_i24_e32 v116, v54, v114
	s_delay_alu instid0(VALU_DEP_1) | instskip(SKIP_4) | instid1(VALU_DEP_3)
	v_add3_u32 v90, v90, v115, v116
	v_mul_i32_i24_e32 v115, v41, v214
	v_mul_i32_i24_e32 v116, v5, v30
	;; [unrolled: 1-line block ×4, first 2 shown]
	v_add3_u32 v91, v91, v116, v115
	v_mul_i32_i24_e32 v115, v237, v132
	s_delay_alu instid0(VALU_DEP_1) | instskip(SKIP_2) | instid1(VALU_DEP_3)
	v_add3_u32 v16, v92, v115, v16
	v_bfe_i32 v92, v52, 0, 8
	v_bfe_i32 v52, v52, 16, 8
	v_add3_u32 v5, v16, v5, v41
	s_delay_alu instid0(VALU_DEP_3) | instskip(NEXT) | instid1(VALU_DEP_3)
	v_mul_i32_i24_e32 v115, v92, v110
	v_mul_i32_i24_e32 v116, v52, v111
	v_bfe_i32 v41, v34, 0, 8
	s_delay_alu instid0(VALU_DEP_2) | instskip(SKIP_2) | instid1(VALU_DEP_1)
	v_add3_u32 v95, v95, v115, v116
	v_mul_i32_i24_e32 v115, v92, v112
	v_mul_i32_i24_e32 v116, v52, v114
	v_add3_u32 v96, v96, v115, v116
	v_mul_i32_i24_e32 v115, v59, v214
	v_mul_i32_i24_e32 v116, v7, v30
	;; [unrolled: 1-line block ×4, first 2 shown]
	s_delay_alu instid0(VALU_DEP_3) | instskip(SKIP_1) | instid1(VALU_DEP_1)
	v_add3_u32 v99, v99, v116, v115
	v_mul_i32_i24_e32 v115, v239, v134
	v_add3_u32 v97, v104, v97, v115
	v_bfe_i32 v104, v50, 0, 8
	v_bfe_i32 v50, v50, 16, 8
	s_delay_alu instid0(VALU_DEP_3) | instskip(NEXT) | instid1(VALU_DEP_3)
	v_add3_u32 v7, v97, v7, v59
	v_mul_i32_i24_e32 v115, v104, v110
	s_delay_alu instid0(VALU_DEP_3) | instskip(SKIP_2) | instid1(VALU_DEP_3)
	v_mul_i32_i24_e32 v116, v50, v111
	v_bfe_i32 v59, v40, 0, 8
	v_ashrrev_i32_e32 v97, 24, v40
	v_add3_u32 v115, v117, v115, v116
	v_mul_i32_i24_e32 v116, v104, v112
	v_mul_i32_i24_e32 v117, v50, v114
	s_delay_alu instid0(VALU_DEP_1) | instskip(SKIP_4) | instid1(VALU_DEP_3)
	v_add3_u32 v2, v2, v116, v117
	v_mul_i32_i24_e32 v116, v63, v214
	v_mul_i32_i24_e32 v117, v39, v30
	;; [unrolled: 1-line block ×4, first 2 shown]
	v_add3_u32 v3, v3, v117, v116
	v_mul_i32_i24_e32 v116, v48, v111
	s_delay_alu instid0(VALU_DEP_3)
	v_add3_u32 v39, v98, v39, v63
	v_bfe_i32 v63, v36, 0, 8
	v_ashrrev_i32_e32 v98, 24, v36
	v_bfe_u32 v117, v13, 24, 4
	v_add3_u32 v108, v109, v108, v116
	v_mul_i32_i24_e32 v109, v100, v112
	v_mul_i32_i24_e32 v116, v48, v114
	s_delay_alu instid0(VALU_DEP_1)
	v_add3_u32 v66, v66, v109, v116
	v_mul_i32_i24_e32 v109, v232, v214
	v_mul_i32_i24_e32 v116, v35, v30
	;; [unrolled: 1-line block ×5, first 2 shown]
	v_bfe_i32 v37, v32, 0, 8
	v_add3_u32 v67, v67, v116, v109
	v_mul_i32_i24_e32 v109, v46, v111
	v_bfe_u32 v116, v13, 8, 4
	s_delay_alu instid0(VALU_DEP_2) | instskip(SKIP_2) | instid1(VALU_DEP_1)
	v_add3_u32 v69, v69, v103, v109
	v_mul_i32_i24_e32 v103, v101, v112
	v_mul_i32_i24_e32 v109, v46, v114
	v_add3_u32 v70, v70, v103, v109
	v_mul_i32_i24_e32 v103, v228, v214
	s_delay_alu instid0(VALU_DEP_1) | instskip(SKIP_2) | instid1(VALU_DEP_1)
	v_add3_u32 v30, v71, v30, v103
	v_mul_i32_i24_e32 v71, v233, v134
	v_mul_i32_i24_e32 v103, v107, v132
	v_add3_u32 v71, v72, v103, v71
	v_bfe_i32 v72, v44, 0, 8
	v_bfe_i32 v44, v44, 16, 8
	s_delay_alu instid0(VALU_DEP_2) | instskip(NEXT) | instid1(VALU_DEP_2)
	v_mul_i32_i24_e32 v103, v72, v110
	v_mul_i32_i24_e32 v107, v44, v111
	s_delay_alu instid0(VALU_DEP_1) | instskip(SKIP_2) | instid1(VALU_DEP_1)
	v_add3_u32 v73, v73, v103, v107
	v_mul_i32_i24_e32 v103, v72, v112
	v_mul_i32_i24_e32 v107, v44, v114
	v_add3_u32 v74, v74, v103, v107
	v_mul_i32_i24_e32 v103, v28, v229
	v_mul_i32_i24_e32 v107, v212, v110
	;; [unrolled: 1-line block ×3, first 2 shown]
	s_delay_alu instid0(VALU_DEP_2) | instskip(SKIP_1) | instid1(VALU_DEP_1)
	v_add3_u32 v75, v75, v103, v107
	v_mul_i32_i24_e32 v103, v212, v112
	v_add3_u32 v76, v76, v88, v103
	v_mul_i32_i24_e32 v88, v211, v132
	v_mul_i32_i24_e32 v103, v210, v131
	s_delay_alu instid0(VALU_DEP_1) | instskip(SKIP_2) | instid1(VALU_DEP_2)
	v_add3_u32 v77, v77, v103, v88
	v_mul_i32_i24_e32 v88, v133, v213
	v_ashrrev_i32_e32 v103, 24, v42
	v_add3_u32 v9, v78, v88, v9
	v_mul_i32_i24_e32 v78, v130, v110
	v_mul_i32_i24_e32 v88, v129, v111
	s_delay_alu instid0(VALU_DEP_1) | instskip(SKIP_2) | instid1(VALU_DEP_1)
	v_add3_u32 v78, v79, v78, v88
	v_mul_i32_i24_e32 v79, v130, v112
	v_mul_i32_i24_e32 v88, v129, v114
	v_add3_u32 v79, v80, v79, v88
	v_mul_i32_i24_e32 v80, v224, v213
	v_mul_i32_i24_e32 v88, v62, v29
	;; [unrolled: 1-line block ×3, first 2 shown]
	s_delay_alu instid0(VALU_DEP_2) | instskip(SKIP_2) | instid1(VALU_DEP_2)
	v_add3_u32 v80, v81, v80, v88
	v_mul_i32_i24_e32 v81, v113, v131
	v_bfe_i32 v88, v42, 0, 8
	v_add3_u32 v55, v82, v55, v81
	v_bfe_u32 v81, v10, 4, 4
	v_lshrrev_b32_e32 v82, 28, v10
	s_delay_alu instid0(VALU_DEP_2) | instskip(NEXT) | instid1(VALU_DEP_2)
	v_mul_i32_i24_e32 v107, v88, v81
	v_mul_i32_i24_e32 v109, v103, v82
	;; [unrolled: 1-line block ×3, first 2 shown]
	s_delay_alu instid0(VALU_DEP_2) | instskip(SKIP_2) | instid1(VALU_DEP_2)
	v_add3_u32 v86, v86, v109, v107
	v_bfe_u32 v107, v12, 4, 4
	v_lshrrev_b32_e32 v109, 28, v12
	v_mul_i32_i24_e32 v110, v88, v107
	s_delay_alu instid0(VALU_DEP_2) | instskip(SKIP_1) | instid1(VALU_DEP_2)
	v_mul_i32_i24_e32 v112, v103, v109
	v_mul_i32_i24_e32 v113, v97, v109
	v_add3_u32 v90, v90, v112, v110
	v_mul_i32_i24_e32 v110, v94, v213
	v_mul_i32_i24_e32 v112, v93, v29
	;; [unrolled: 1-line block ×3, first 2 shown]
	s_delay_alu instid0(VALU_DEP_2) | instskip(SKIP_1) | instid1(VALU_DEP_1)
	v_add3_u32 v91, v91, v110, v112
	v_ashrrev_i32_e32 v110, 24, v34
	v_mul_i32_i24_e32 v112, v110, v82
	s_delay_alu instid0(VALU_DEP_1) | instskip(SKIP_2) | instid1(VALU_DEP_1)
	v_add3_u32 v16, v95, v112, v16
	v_mul_i32_i24_e32 v95, v41, v107
	v_mul_i32_i24_e32 v112, v110, v109
	v_add3_u32 v95, v96, v112, v95
	v_mul_i32_i24_e32 v96, v106, v213
	v_mul_i32_i24_e32 v112, v105, v29
	s_delay_alu instid0(VALU_DEP_1) | instskip(SKIP_2) | instid1(VALU_DEP_1)
	v_add3_u32 v96, v99, v96, v112
	v_mul_i32_i24_e32 v99, v59, v81
	v_mul_i32_i24_e32 v112, v97, v82
	v_add3_u32 v99, v115, v112, v99
	v_mul_i32_i24_e32 v112, v59, v107
	s_delay_alu instid0(VALU_DEP_1) | instskip(SKIP_2) | instid1(VALU_DEP_1)
	v_add3_u32 v2, v2, v113, v112
	v_mul_i32_i24_e32 v112, v119, v213
	v_mul_i32_i24_e32 v113, v118, v29
	v_add3_u32 v3, v3, v112, v113
	v_mul_i32_i24_e32 v112, v63, v81
	v_mul_i32_i24_e32 v113, v98, v82
	s_delay_alu instid0(VALU_DEP_1) | instskip(SKIP_2) | instid1(VALU_DEP_1)
	v_add3_u32 v108, v108, v113, v112
	v_mul_i32_i24_e32 v112, v63, v107
	v_mul_i32_i24_e32 v113, v98, v109
	v_add3_u32 v66, v66, v113, v112
	v_mul_i32_i24_e32 v112, v121, v213
	v_mul_i32_i24_e32 v113, v120, v29
	;; [unrolled: 1-line block ×3, first 2 shown]
	s_delay_alu instid0(VALU_DEP_2) | instskip(SKIP_1) | instid1(VALU_DEP_1)
	v_add3_u32 v67, v67, v112, v113
	v_mul_i32_i24_e32 v112, v232, v131
	v_add3_u32 v35, v68, v35, v112
	v_bfe_i32 v68, v38, 0, 8
	v_ashrrev_i32_e32 v112, 24, v38
	s_delay_alu instid0(VALU_DEP_2) | instskip(NEXT) | instid1(VALU_DEP_2)
	v_mul_i32_i24_e32 v113, v68, v81
	v_mul_i32_i24_e32 v115, v112, v82
	s_delay_alu instid0(VALU_DEP_1) | instskip(SKIP_2) | instid1(VALU_DEP_1)
	v_add3_u32 v69, v69, v115, v113
	v_mul_i32_i24_e32 v113, v68, v107
	v_mul_i32_i24_e32 v115, v112, v109
	v_add3_u32 v70, v70, v115, v113
	v_mul_i32_i24_e32 v113, v123, v213
	s_delay_alu instid0(VALU_DEP_1) | instskip(SKIP_1) | instid1(VALU_DEP_1)
	v_add3_u32 v29, v30, v113, v29
	v_mul_i32_i24_e32 v30, v228, v131
	v_add3_u32 v8, v71, v8, v30
	v_ashrrev_i32_e32 v71, 24, v32
	v_mul_i32_i24_e32 v30, v37, v81
	s_delay_alu instid0(VALU_DEP_2) | instskip(NEXT) | instid1(VALU_DEP_1)
	v_mul_i32_i24_e32 v113, v71, v82
	v_add3_u32 v30, v73, v113, v30
	v_mul_i32_i24_e32 v73, v37, v107
	v_mul_i32_i24_e32 v113, v71, v109
	s_delay_alu instid0(VALU_DEP_1) | instskip(SKIP_2) | instid1(VALU_DEP_1)
	v_add3_u32 v73, v74, v113, v73
	v_mul_i32_i24_e32 v74, v207, v111
	v_mul_i32_i24_e32 v111, v206, v227
	v_add3_u32 v74, v75, v74, v111
	v_mul_i32_i24_e32 v75, v207, v114
	v_bfe_i32 v114, v32, 8, 8
	v_bfe_i32 v32, v32, 16, 8
	s_delay_alu instid0(VALU_DEP_3) | instskip(SKIP_1) | instid1(VALU_DEP_1)
	v_add3_u32 v75, v76, v75, v89
	v_mul_i32_i24_e32 v76, v212, v83
	v_add3_u32 v28, v77, v28, v76
	v_mul_i32_i24_e32 v76, v130, v209
	v_mul_i32_i24_e32 v77, v129, v208
	s_delay_alu instid0(VALU_DEP_1) | instskip(SKIP_3) | instid1(VALU_DEP_2)
	v_add3_u32 v9, v9, v76, v77
	v_mul_i32_i24_e32 v76, v27, v81
	v_mul_i32_i24_e32 v77, v4, v82
	;; [unrolled: 1-line block ×3, first 2 shown]
	v_add3_u32 v76, v78, v77, v76
	v_mul_i32_i24_e32 v77, v27, v107
	v_mul_i32_i24_e32 v78, v4, v109
	;; [unrolled: 1-line block ×3, first 2 shown]
	s_delay_alu instid0(VALU_DEP_2) | instskip(SKIP_2) | instid1(VALU_DEP_1)
	v_add3_u32 v77, v79, v78, v77
	v_mul_i32_i24_e32 v78, v85, v209
	v_mul_i32_i24_e32 v79, v54, v208
	v_add3_u32 v78, v80, v78, v79
	v_mul_i32_i24_e32 v79, v224, v127
	s_delay_alu instid0(VALU_DEP_1) | instskip(SKIP_4) | instid1(VALU_DEP_2)
	v_add3_u32 v55, v55, v79, v62
	v_bfe_i32 v62, v42, 8, 8
	v_bfe_i32 v42, v42, 16, 8
	v_bfe_u32 v79, v10, 12, 4
	v_bfe_u32 v10, v10, 20, 4
	v_mul_i32_i24_e32 v80, v62, v79
	s_delay_alu instid0(VALU_DEP_2) | instskip(NEXT) | instid1(VALU_DEP_1)
	v_mul_i32_i24_e32 v89, v42, v10
	v_add3_u32 v80, v86, v80, v89
	v_bfe_u32 v86, v12, 12, 4
	v_bfe_u32 v12, v12, 20, 4
	s_delay_alu instid0(VALU_DEP_2) | instskip(NEXT) | instid1(VALU_DEP_2)
	v_mul_i32_i24_e32 v89, v62, v86
	v_mul_i32_i24_e32 v111, v42, v12
	s_delay_alu instid0(VALU_DEP_1) | instskip(SKIP_2) | instid1(VALU_DEP_1)
	v_add3_u32 v89, v90, v89, v111
	v_mul_i32_i24_e32 v90, v92, v209
	v_mul_i32_i24_e32 v111, v52, v208
	v_add3_u32 v90, v91, v90, v111
	v_mul_i32_i24_e32 v91, v94, v127
	v_bfe_i32 v111, v38, 8, 8
	v_bfe_i32 v38, v38, 16, 8
	s_delay_alu instid0(VALU_DEP_3) | instskip(SKIP_2) | instid1(VALU_DEP_2)
	v_add3_u32 v91, v5, v91, v93
	v_bfe_i32 v93, v34, 8, 8
	v_bfe_i32 v34, v34, 16, 8
	v_mul_i32_i24_e32 v5, v93, v79
	s_delay_alu instid0(VALU_DEP_2) | instskip(NEXT) | instid1(VALU_DEP_1)
	v_mul_i32_i24_e32 v94, v34, v10
	v_add3_u32 v16, v16, v5, v94
	v_mul_i32_i24_e32 v5, v93, v86
	v_mul_i32_i24_e32 v94, v34, v12
	s_delay_alu instid0(VALU_DEP_1) | instskip(SKIP_2) | instid1(VALU_DEP_1)
	v_add3_u32 v94, v95, v5, v94
	v_mul_i32_i24_e32 v5, v104, v209
	v_mul_i32_i24_e32 v95, v50, v208
	v_add3_u32 v95, v96, v5, v95
	v_mul_i32_i24_e32 v5, v106, v127
	v_mul_i32_i24_e32 v96, v105, v6
	v_bfe_i32 v105, v40, 8, 8
	v_bfe_i32 v40, v40, 16, 8
	;; [unrolled: 1-line block ×4, first 2 shown]
	v_add3_u32 v96, v7, v5, v96
	v_mul_i32_i24_e32 v5, v105, v79
	v_mul_i32_i24_e32 v7, v40, v10
	s_delay_alu instid0(VALU_DEP_1) | instskip(SKIP_2) | instid1(VALU_DEP_1)
	v_add3_u32 v99, v99, v5, v7
	v_mul_i32_i24_e32 v5, v105, v86
	v_mul_i32_i24_e32 v7, v40, v12
	v_add3_u32 v2, v2, v5, v7
	v_mul_i32_i24_e32 v5, v100, v209
	v_mul_i32_i24_e32 v7, v48, v208
	s_delay_alu instid0(VALU_DEP_1) | instskip(SKIP_2) | instid1(VALU_DEP_1)
	v_add3_u32 v3, v3, v5, v7
	v_mul_i32_i24_e32 v5, v119, v127
	v_mul_i32_i24_e32 v7, v118, v6
	;; [unrolled: 7-line block ×8, first 2 shown]
	v_add3_u32 v75, v75, v5, v6
	v_mul_i32_i24_e32 v5, v206, v127
	v_mul_i32_i24_e32 v6, v207, v143
	s_delay_alu instid0(VALU_DEP_1) | instskip(SKIP_1) | instid1(VALU_DEP_1)
	v_add3_u32 v81, v28, v6, v5
	v_mul_i32_i24_e32 v5, v27, v205
	v_add3_u32 v107, v9, v4, v5
	v_mul_i32_i24_e32 v4, v65, v79
	v_mul_i32_i24_e32 v5, v128, v10
	v_bfe_u32 v79, v11, 24, 4
	v_mul_i32_i24_e32 v10, v201, v10
	s_delay_alu instid0(VALU_DEP_3) | instskip(SKIP_2) | instid1(VALU_DEP_4)
	v_add3_u32 v76, v76, v4, v5
	v_mul_i32_i24_e32 v4, v65, v86
	v_mul_i32_i24_e32 v5, v128, v12
	v_add3_u32 v10, v74, v10, v82
	v_mul_i32_i24_e32 v12, v201, v12
	v_mul_i32_i24_e32 v74, v200, v109
	;; [unrolled: 1-line block ×3, first 2 shown]
	v_add3_u32 v77, v77, v4, v5
	v_mul_i32_i24_e32 v4, v88, v205
	v_mul_i32_i24_e32 v5, v103, v204
	v_add3_u32 v12, v75, v12, v74
	v_mul_i32_i24_e32 v74, v203, v135
	v_mul_i32_i24_e32 v75, v245, v56
	s_delay_alu instid0(VALU_DEP_4) | instskip(SKIP_2) | instid1(VALU_DEP_4)
	v_add3_u32 v78, v78, v5, v4
	v_mul_i32_i24_e32 v4, v85, v83
	v_mul_i32_i24_e32 v5, v54, v143
	v_add3_u32 v74, v81, v74, v75
	v_mul_i32_i24_e32 v75, v128, v202
	v_mul_i32_i24_e32 v81, v1, v79
	s_delay_alu instid0(VALU_DEP_4)
	v_add3_u32 v54, v55, v4, v5
	v_add_nc_u32_e32 v4, 0x800, v158
	v_bfe_u32 v55, v11, 8, 4
	v_add3_u32 v65, v107, v65, v75
	ds_load_2addr_b32 v[4:5], v4 offset1:3
	v_mul_i32_i24_e32 v75, v61, v55
	s_delay_alu instid0(VALU_DEP_1) | instskip(SKIP_4) | instid1(VALU_DEP_3)
	v_add3_u32 v75, v76, v81, v75
	v_mul_i32_i24_e32 v76, v61, v116
	v_mul_i32_i24_e32 v81, v1, v117
	;; [unrolled: 1-line block ×4, first 2 shown]
	v_add3_u32 v76, v77, v81, v76
	v_mul_i32_i24_e32 v77, v42, v202
	v_mul_i32_i24_e32 v81, v62, v242
	s_delay_alu instid0(VALU_DEP_4)
	v_add3_u32 v1, v65, v1, v61
	v_mul_i32_i24_e32 v42, v42, v142
	v_mul_i32_i24_e32 v62, v62, v56
	s_wait_dscnt 0x0
	v_bfe_i32 v85, v5, 8, 8
	v_ashrrev_i32_e32 v86, 24, v5
	v_add3_u32 v77, v78, v81, v77
	v_mul_i32_i24_e32 v78, v88, v135
	v_mul_i32_i24_e32 v81, v103, v87
	;; [unrolled: 1-line block ×4, first 2 shown]
	v_bfe_i32 v82, v5, 0, 8
	v_bfe_i32 v5, v5, 16, 8
	v_add3_u32 v54, v54, v81, v78
	v_and_b32_e32 v78, 15, v11
	v_add3_u32 v80, v80, v7, v6
	v_mul_i32_i24_e32 v6, v85, v116
	v_mul_i32_i24_e32 v7, v86, v117
	v_bfe_u32 v81, v11, 16, 4
	v_mul_i32_i24_e32 v88, v82, v78
	v_mul_i32_i24_e32 v61, v0, v78
	v_add3_u32 v42, v54, v62, v42
	v_add3_u32 v89, v89, v7, v6
	v_mul_i32_i24_e32 v6, v41, v205
	v_mul_i32_i24_e32 v7, v110, v204
	;; [unrolled: 1-line block ×5, first 2 shown]
	v_bfe_u32 v54, v11, 4, 4
	v_add3_u32 v90, v90, v7, v6
	v_mul_i32_i24_e32 v6, v92, v83
	v_mul_i32_i24_e32 v7, v52, v143
	v_add3_u32 v80, v80, v88, v103
	v_and_b32_e32 v88, 15, v13
	v_bfe_u32 v103, v13, 16, 4
	v_add3_u32 v61, v75, v61, v65
	v_add3_u32 v52, v91, v6, v7
	v_add_nc_u32_e32 v6, 0xc00, v158
	v_mul_i32_i24_e32 v107, v82, v88
	v_mul_i32_i24_e32 v109, v5, v103
	;; [unrolled: 1-line block ×4, first 2 shown]
	ds_load_2addr_b32 v[6:7], v6 offset1:3
	v_lshrrev_b32_e32 v62, 28, v11
	v_add3_u32 v89, v89, v107, v109
	v_mul_i32_i24_e32 v107, v34, v202
	v_mul_i32_i24_e32 v109, v93, v242
	;; [unrolled: 1-line block ×4, first 2 shown]
	s_delay_alu instid0(VALU_DEP_3) | instskip(SKIP_1) | instid1(VALU_DEP_1)
	v_add3_u32 v90, v90, v109, v107
	v_mul_i32_i24_e32 v107, v110, v87
	v_add3_u32 v41, v52, v107, v41
	s_wait_dscnt 0x0
	v_bfe_i32 v91, v7, 8, 8
	v_ashrrev_i32_e32 v92, 24, v7
	v_bfe_i32 v52, v7, 0, 8
	v_bfe_i32 v7, v7, 16, 8
	s_delay_alu instid0(VALU_DEP_4) | instskip(NEXT) | instid1(VALU_DEP_4)
	v_mul_i32_i24_e32 v8, v91, v55
	v_mul_i32_i24_e32 v9, v92, v79
	s_delay_alu instid0(VALU_DEP_4) | instskip(NEXT) | instid1(VALU_DEP_4)
	v_mul_i32_i24_e32 v107, v52, v78
	v_mul_i32_i24_e32 v109, v7, v81
	;; [unrolled: 1-line block ×3, first 2 shown]
	s_delay_alu instid0(VALU_DEP_4) | instskip(SKIP_2) | instid1(VALU_DEP_3)
	v_add3_u32 v118, v16, v9, v8
	v_mul_i32_i24_e32 v8, v91, v116
	v_mul_i32_i24_e32 v9, v92, v117
	v_add3_u32 v107, v118, v107, v109
	v_mul_i32_i24_e32 v109, v52, v88
	s_delay_alu instid0(VALU_DEP_3)
	v_add3_u32 v94, v94, v9, v8
	v_mul_i32_i24_e32 v8, v59, v205
	v_mul_i32_i24_e32 v9, v97, v204
	;; [unrolled: 1-line block ×4, first 2 shown]
	v_add3_u32 v94, v94, v109, v110
	v_mul_i32_i24_e32 v109, v40, v202
	v_add3_u32 v95, v95, v9, v8
	v_mul_i32_i24_e32 v8, v104, v83
	v_mul_i32_i24_e32 v9, v50, v143
	;; [unrolled: 1-line block ×4, first 2 shown]
	s_delay_alu instid0(VALU_DEP_3)
	v_add3_u32 v50, v96, v8, v9
	ds_load_2addr_b32 v[8:9], v17 offset1:3
	v_add3_u32 v95, v95, v110, v109
	v_add3_u32 v50, v50, v97, v59
	s_wait_dscnt 0x0
	v_bfe_i32 v96, v9, 8, 8
	v_ashrrev_i32_e32 v104, 24, v9
	v_bfe_i32 v59, v9, 0, 8
	v_bfe_i32 v9, v9, 16, 8
	s_delay_alu instid0(VALU_DEP_4) | instskip(NEXT) | instid1(VALU_DEP_4)
	v_mul_i32_i24_e32 v16, v96, v55
	v_mul_i32_i24_e32 v17, v104, v79
	s_delay_alu instid0(VALU_DEP_4) | instskip(NEXT) | instid1(VALU_DEP_4)
	v_mul_i32_i24_e32 v97, v59, v78
	v_mul_i32_i24_e32 v109, v9, v81
	s_delay_alu instid0(VALU_DEP_3) | instskip(SKIP_2) | instid1(VALU_DEP_3)
	v_add3_u32 v99, v99, v17, v16
	v_mul_i32_i24_e32 v16, v96, v116
	v_mul_i32_i24_e32 v17, v104, v117
	v_add3_u32 v97, v99, v97, v109
	v_mul_i32_i24_e32 v99, v59, v88
	s_delay_alu instid0(VALU_DEP_3)
	v_add3_u32 v2, v2, v17, v16
	v_mul_i32_i24_e32 v16, v63, v205
	v_mul_i32_i24_e32 v17, v98, v204
	;; [unrolled: 1-line block ×5, first 2 shown]
	s_delay_alu instid0(VALU_DEP_4)
	v_add3_u32 v3, v3, v17, v16
	v_mul_i32_i24_e32 v16, v100, v83
	v_mul_i32_i24_e32 v17, v48, v143
	v_add3_u32 v2, v2, v99, v109
	v_mul_i32_i24_e32 v99, v36, v202
	v_mul_i32_i24_e32 v109, v106, v242
	;; [unrolled: 1-line block ×3, first 2 shown]
	v_add3_u32 v39, v39, v16, v17
	v_add_nc_u32_e32 v16, 0x1400, v158
	s_delay_alu instid0(VALU_DEP_4) | instskip(NEXT) | instid1(VALU_DEP_3)
	v_add3_u32 v3, v3, v109, v99
	v_add3_u32 v39, v39, v98, v63
	ds_load_2addr_b32 v[16:17], v16 offset1:3
	s_wait_dscnt 0x0
	v_bfe_i32 v48, v17, 8, 8
	v_ashrrev_i32_e32 v100, 24, v17
	v_bfe_i32 v63, v17, 0, 8
	v_bfe_i32 v17, v17, 16, 8
	s_delay_alu instid0(VALU_DEP_4) | instskip(NEXT) | instid1(VALU_DEP_4)
	v_mul_i32_i24_e32 v27, v48, v55
	v_mul_i32_i24_e32 v28, v100, v79
	s_delay_alu instid0(VALU_DEP_4) | instskip(NEXT) | instid1(VALU_DEP_4)
	v_mul_i32_i24_e32 v98, v63, v78
	v_mul_i32_i24_e32 v99, v17, v81
	s_delay_alu instid0(VALU_DEP_3) | instskip(SKIP_2) | instid1(VALU_DEP_3)
	v_add3_u32 v108, v108, v28, v27
	v_mul_i32_i24_e32 v27, v48, v116
	v_mul_i32_i24_e32 v28, v100, v117
	v_add3_u32 v98, v108, v98, v99
	v_mul_i32_i24_e32 v99, v63, v88
	s_delay_alu instid0(VALU_DEP_3) | instskip(SKIP_4) | instid1(VALU_DEP_3)
	v_add3_u32 v66, v66, v28, v27
	v_mul_i32_i24_e32 v27, v68, v205
	v_mul_i32_i24_e32 v28, v112, v204
	;; [unrolled: 1-line block ×4, first 2 shown]
	v_add3_u32 v67, v67, v28, v27
	v_mul_i32_i24_e32 v27, v101, v83
	v_mul_i32_i24_e32 v28, v46, v143
	v_add3_u32 v66, v66, v99, v108
	v_mul_i32_i24_e32 v99, v38, v202
	v_mul_i32_i24_e32 v108, v111, v242
	;; [unrolled: 1-line block ×3, first 2 shown]
	v_add3_u32 v35, v35, v27, v28
	ds_load_2addr_b32 v[27:28], v102 offset1:3
	v_add3_u32 v67, v67, v108, v99
	v_mul_i32_i24_e32 v99, v112, v87
	s_delay_alu instid0(VALU_DEP_1)
	v_add3_u32 v35, v35, v99, v68
	s_wait_dscnt 0x0
	v_bfe_i32 v46, v28, 8, 8
	v_ashrrev_i32_e32 v101, 24, v28
	v_bfe_i32 v68, v28, 0, 8
	v_bfe_i32 v28, v28, 16, 8
	s_delay_alu instid0(VALU_DEP_4) | instskip(NEXT) | instid1(VALU_DEP_4)
	v_mul_i32_i24_e32 v30, v46, v55
	v_mul_i32_i24_e32 v102, v101, v79
	s_delay_alu instid0(VALU_DEP_4) | instskip(NEXT) | instid1(VALU_DEP_4)
	v_mul_i32_i24_e32 v99, v68, v78
	v_mul_i32_i24_e32 v108, v28, v81
	s_delay_alu instid0(VALU_DEP_3) | instskip(SKIP_2) | instid1(VALU_DEP_3)
	v_add3_u32 v69, v69, v102, v30
	v_mul_i32_i24_e32 v30, v46, v116
	v_mul_i32_i24_e32 v102, v101, v117
	v_add3_u32 v69, v69, v99, v108
	v_mul_i32_i24_e32 v99, v68, v88
	s_delay_alu instid0(VALU_DEP_3)
	v_add3_u32 v70, v70, v102, v30
	v_mul_i32_i24_e32 v30, v37, v205
	v_mul_i32_i24_e32 v102, v71, v204
	;; [unrolled: 1-line block ×5, first 2 shown]
	s_delay_alu instid0(VALU_DEP_4)
	v_add3_u32 v102, v29, v102, v30
	v_mul_i32_i24_e32 v29, v72, v83
	v_mul_i32_i24_e32 v30, v44, v143
	v_add3_u32 v70, v70, v99, v108
	v_mul_i32_i24_e32 v99, v32, v202
	v_mul_i32_i24_e32 v108, v114, v242
	;; [unrolled: 1-line block ×3, first 2 shown]
	v_add3_u32 v44, v113, v29, v30
	v_add_nc_u32_e32 v29, 0x1c00, v158
	v_add_nc_u32_e32 v158, 32, v158
	v_add3_u32 v99, v102, v108, v99
	s_delay_alu instid0(VALU_DEP_4)
	v_add3_u32 v37, v44, v71, v37
	ds_load_2addr_b32 v[29:30], v29 offset1:3
	s_wait_dscnt 0x0
	v_bfe_i32 v72, v30, 8, 8
	v_ashrrev_i32_e32 v83, 24, v30
	v_bfe_i32 v44, v30, 0, 8
	v_bfe_i32 v30, v30, 16, 8
	s_delay_alu instid0(VALU_DEP_4) | instskip(NEXT) | instid1(VALU_DEP_4)
	v_mul_i32_i24_e32 v113, v72, v55
	v_mul_i32_i24_e32 v119, v83, v79
	s_delay_alu instid0(VALU_DEP_4) | instskip(NEXT) | instid1(VALU_DEP_4)
	v_mul_i32_i24_e32 v71, v44, v78
	v_mul_i32_i24_e32 v102, v30, v81
	;; [unrolled: 1-line block ×4, first 2 shown]
	v_add3_u32 v113, v115, v119, v113
	v_mul_i32_i24_e32 v115, v72, v116
	v_mul_i32_i24_e32 v119, v83, v117
	;; [unrolled: 1-line block ×4, first 2 shown]
	v_add3_u32 v71, v113, v71, v102
	v_mul_i32_i24_e32 v102, v44, v88
	v_add3_u32 v73, v73, v119, v115
	s_delay_alu instid0(VALU_DEP_1) | instskip(SKIP_1) | instid1(VALU_DEP_1)
	v_add3_u32 v73, v73, v102, v108
	v_mul_i32_i24_e32 v102, v254, v78
	v_add3_u32 v10, v10, v55, v102
	v_mul_i32_i24_e32 v55, v51, v116
	v_mul_i32_i24_e32 v102, v254, v88
	;; [unrolled: 1-line block ×3, first 2 shown]
	s_delay_alu instid0(VALU_DEP_4) | instskip(SKIP_1) | instid1(VALU_DEP_4)
	v_add3_u32 v10, v10, v81, v79
	v_mul_i32_i24_e32 v79, v244, v103
	v_add3_u32 v12, v12, v55, v102
	v_mul_i32_i24_e32 v55, v200, v87
	v_mul_i32_i24_e32 v87, v201, v142
	;; [unrolled: 1-line block ×3, first 2 shown]
	s_delay_alu instid0(VALU_DEP_2) | instskip(SKIP_1) | instid1(VALU_DEP_3)
	v_add3_u32 v55, v74, v87, v55
	v_mul_i32_i24_e32 v74, v141, v103
	v_add3_u32 v12, v12, v79, v81
	v_mul_i32_i24_e32 v79, v254, v240
	s_delay_alu instid0(VALU_DEP_3) | instskip(SKIP_2) | instid1(VALU_DEP_4)
	v_add3_u32 v65, v76, v65, v74
	v_mul_i32_i24_e32 v74, v86, v255
	v_ashrrev_i32_e32 v76, 24, v15
	v_add3_u32 v51, v55, v51, v79
	v_mul_i32_i24_e32 v55, v141, v250
	s_delay_alu instid0(VALU_DEP_4) | instskip(SKIP_2) | instid1(VALU_DEP_4)
	v_add3_u32 v74, v77, v74, v75
	v_bfe_i32 v75, v15, 0, 8
	v_mul_i32_i24_e32 v78, v76, v62
	v_add3_u32 v0, v1, v0, v55
	v_mul_i32_i24_e32 v1, v144, v54
	v_mul_i32_i24_e32 v55, v139, v62
	;; [unrolled: 1-line block ×3, first 2 shown]
	s_delay_alu instid0(VALU_DEP_2) | instskip(NEXT) | instid1(VALU_DEP_2)
	v_add3_u32 v1, v61, v55, v1
	v_add3_u32 v77, v80, v78, v77
	v_bfe_u32 v78, v13, 4, 4
	v_lshrrev_b32_e32 v80, 28, v13
	s_delay_alu instid0(VALU_DEP_2) | instskip(NEXT) | instid1(VALU_DEP_2)
	v_mul_i32_i24_e32 v87, v75, v78
	v_mul_i32_i24_e32 v88, v76, v80
	;; [unrolled: 1-line block ×4, first 2 shown]
	s_delay_alu instid0(VALU_DEP_3) | instskip(SKIP_2) | instid1(VALU_DEP_4)
	v_add3_u32 v87, v89, v88, v87
	v_mul_i32_i24_e32 v88, v92, v255
	v_mul_i32_i24_e32 v89, v91, v53
	v_add3_u32 v55, v65, v61, v55
	v_mul_i32_i24_e32 v61, v82, v251
	v_mul_i32_i24_e32 v65, v5, v250
	;; [unrolled: 1-line block ×3, first 2 shown]
	v_add3_u32 v88, v90, v88, v89
	v_mul_i32_i24_e32 v89, v93, v56
	s_delay_alu instid0(VALU_DEP_4) | instskip(SKIP_2) | instid1(VALU_DEP_4)
	v_add3_u32 v61, v74, v61, v65
	v_mul_i32_i24_e32 v65, v86, v252
	v_mul_i32_i24_e32 v74, v85, v57
	v_add3_u32 v34, v41, v89, v34
	v_bfe_i32 v41, v18, 0, 8
	v_ashrrev_i32_e32 v89, 24, v18
	v_mul_i32_i24_e32 v86, v7, v250
	v_add3_u32 v42, v42, v65, v74
	v_bfe_u32 v65, v11, 20, 4
	v_mul_i32_i24_e32 v90, v41, v54
	v_mul_i32_i24_e32 v93, v89, v62
	;; [unrolled: 1-line block ×3, first 2 shown]
	v_bfe_u32 v11, v11, 12, 4
	v_bfe_i32 v74, v15, 8, 8
	v_bfe_i32 v15, v15, 16, 8
	v_add3_u32 v90, v107, v93, v90
	v_mul_i32_i24_e32 v93, v41, v78
	v_mul_i32_i24_e32 v7, v7, v241
	;; [unrolled: 1-line block ×4, first 2 shown]
	s_delay_alu instid0(VALU_DEP_4) | instskip(SKIP_2) | instid1(VALU_DEP_4)
	v_add3_u32 v93, v94, v102, v93
	v_mul_i32_i24_e32 v94, v104, v255
	v_mul_i32_i24_e32 v102, v96, v53
	v_add3_u32 v77, v77, v79, v81
	v_bfe_u32 v79, v13, 12, 4
	v_bfe_u32 v13, v13, 20, 4
	s_delay_alu instid0(VALU_DEP_4) | instskip(SKIP_1) | instid1(VALU_DEP_4)
	v_add3_u32 v94, v95, v94, v102
	v_mul_i32_i24_e32 v95, v105, v56
	v_mul_i32_i24_e32 v81, v74, v79
	s_delay_alu instid0(VALU_DEP_4) | instskip(NEXT) | instid1(VALU_DEP_3)
	v_mul_i32_i24_e32 v85, v15, v13
	v_add3_u32 v40, v50, v95, v40
	v_bfe_i32 v50, v20, 0, 8
	v_ashrrev_i32_e32 v95, 24, v20
	s_delay_alu instid0(VALU_DEP_4)
	v_add3_u32 v81, v87, v81, v85
	v_mul_i32_i24_e32 v85, v52, v251
	v_mul_i32_i24_e32 v87, v91, v57
	;; [unrolled: 1-line block ×5, first 2 shown]
	v_add3_u32 v85, v88, v85, v86
	v_mul_i32_i24_e32 v86, v92, v252
	v_mul_i32_i24_e32 v92, v96, v57
	v_add3_u32 v97, v97, v105, v102
	v_mul_i32_i24_e32 v102, v50, v78
	v_mul_i32_i24_e32 v105, v95, v80
	v_add3_u32 v34, v34, v86, v87
	v_bfe_i32 v86, v18, 8, 8
	v_bfe_i32 v18, v18, 16, 8
	v_mul_i32_i24_e32 v52, v52, v240
	v_add3_u32 v2, v2, v105, v102
	v_mul_i32_i24_e32 v102, v100, v255
	v_mul_i32_i24_e32 v105, v48, v53
	;; [unrolled: 1-line block ×5, first 2 shown]
	v_add3_u32 v7, v34, v52, v7
	v_add3_u32 v3, v3, v102, v105
	v_mul_i32_i24_e32 v102, v106, v56
	v_add3_u32 v87, v90, v87, v88
	v_mul_i32_i24_e32 v88, v86, v79
	v_mul_i32_i24_e32 v90, v18, v13
	v_bfe_i32 v34, v6, 0, 8
	v_add3_u32 v36, v39, v102, v36
	v_bfe_i32 v39, v22, 0, 8
	v_ashrrev_i32_e32 v102, 24, v22
	v_add3_u32 v88, v93, v88, v90
	v_mul_i32_i24_e32 v90, v59, v251
	v_bfe_i32 v52, v6, 8, 8
	v_mul_i32_i24_e32 v105, v39, v54
	v_mul_i32_i24_e32 v106, v102, v62
	;; [unrolled: 1-line block ×3, first 2 shown]
	v_add3_u32 v90, v94, v90, v91
	v_mul_i32_i24_e32 v91, v104, v252
	v_mul_i32_i24_e32 v9, v9, v241
	v_add3_u32 v98, v98, v106, v105
	v_mul_i32_i24_e32 v105, v39, v78
	v_mul_i32_i24_e32 v106, v102, v80
	v_add3_u32 v40, v40, v91, v92
	v_bfe_i32 v91, v20, 8, 8
	v_bfe_i32 v20, v20, 16, 8
	s_delay_alu instid0(VALU_DEP_4)
	v_add3_u32 v66, v66, v106, v105
	v_mul_i32_i24_e32 v105, v101, v255
	v_mul_i32_i24_e32 v106, v46, v53
	;; [unrolled: 1-line block ×6, first 2 shown]
	v_add3_u32 v67, v67, v105, v106
	v_mul_i32_i24_e32 v105, v111, v56
	v_mul_i32_i24_e32 v56, v114, v56
	v_add3_u32 v92, v97, v92, v93
	v_mul_i32_i24_e32 v93, v91, v79
	v_mul_i32_i24_e32 v46, v46, v57
	v_add3_u32 v35, v35, v105, v38
	v_bfe_i32 v38, v24, 0, 8
	v_ashrrev_i32_e32 v105, 24, v24
	v_add3_u32 v32, v37, v56, v32
	v_bfe_i32 v37, v26, 0, 8
	v_ashrrev_i32_e32 v56, 24, v26
	v_mul_i32_i24_e32 v106, v38, v54
	v_mul_i32_i24_e32 v107, v105, v62
	v_add3_u32 v2, v2, v93, v94
	v_mul_i32_i24_e32 v93, v63, v251
	v_mul_i32_i24_e32 v94, v17, v250
	v_mul_i32_i24_e32 v57, v72, v57
	v_add3_u32 v69, v69, v107, v106
	v_mul_i32_i24_e32 v106, v38, v78
	;; [unrolled: 4-line block ×3, first 2 shown]
	v_add3_u32 v9, v40, v59, v9
	v_add3_u32 v70, v70, v107, v106
	v_mul_i32_i24_e32 v106, v83, v255
	v_add3_u32 v32, v32, v72, v57
	v_bfe_i32 v57, v26, 8, 8
	v_bfe_i32 v26, v26, 16, 8
	v_add3_u32 v36, v36, v93, v48
	v_add3_u32 v53, v99, v106, v53
	v_mul_i32_i24_e32 v99, v37, v54
	v_mul_i32_i24_e32 v106, v56, v62
	v_bfe_i32 v48, v22, 8, 8
	v_bfe_i32 v22, v22, 16, 8
	v_mul_i32_i24_e32 v72, v57, v11
	v_mul_i32_i24_e32 v83, v26, v65
	v_add3_u32 v71, v71, v106, v99
	v_mul_i32_i24_e32 v99, v37, v78
	v_mul_i32_i24_e32 v106, v56, v80
	;; [unrolled: 1-line block ×4, first 2 shown]
	v_add3_u32 v71, v71, v72, v83
	v_mul_i32_i24_e32 v72, v57, v79
	v_add3_u32 v73, v73, v106, v99
	v_mul_i32_i24_e32 v83, v26, v13
	v_add3_u32 v93, v98, v93, v94
	v_mul_i32_i24_e32 v94, v48, v79
	v_mul_i32_i24_e32 v96, v22, v13
	v_mul_i32_i24_e32 v54, v234, v54
	v_add3_u32 v72, v73, v72, v83
	v_mul_i32_i24_e32 v73, v47, v11
	v_mul_i32_i24_e32 v62, v230, v62
	v_add3_u32 v66, v66, v94, v96
	;; [unrolled: 3-line block ×3, first 2 shown]
	v_mul_i32_i24_e32 v54, v234, v78
	v_mul_i32_i24_e32 v73, v47, v79
	;; [unrolled: 1-line block ×3, first 2 shown]
	v_add3_u32 v67, v67, v94, v96
	v_mul_i32_i24_e32 v94, v101, v252
	v_mul_i32_i24_e32 v78, v89, v235
	v_add3_u32 v12, v12, v54, v73
	v_mul_i32_i24_e32 v54, v247, v252
	v_mul_i32_i24_e32 v73, v244, v241
	v_add3_u32 v35, v35, v94, v46
	v_bfe_i32 v46, v24, 8, 8
	v_bfe_i32 v24, v24, 16, 8
	v_bfe_i32 v40, v8, 0, 8
	v_add3_u32 v51, v51, v73, v54
	v_mul_i32_i24_e32 v54, v144, v236
	v_mul_i32_i24_e32 v73, v139, v235
	v_mul_i32_i24_e32 v94, v46, v11
	v_mul_i32_i24_e32 v96, v24, v65
	v_mul_i32_i24_e32 v11, v49, v11
	v_bfe_i32 v59, v8, 8, 8
	v_add3_u32 v0, v0, v73, v54
	v_mul_i32_i24_e32 v54, v253, v65
	v_mul_i32_i24_e32 v65, v58, v65
	v_add3_u32 v69, v69, v94, v96
	v_mul_i32_i24_e32 v96, v24, v13
	v_mul_i32_i24_e32 v94, v46, v79
	v_add3_u32 v1, v1, v11, v54
	v_mul_i32_i24_e32 v54, v253, v13
	v_add3_u32 v10, v10, v65, v62
	v_mul_i32_i24_e32 v13, v58, v13
	v_mul_i32_i24_e32 v62, v230, v80
	;; [unrolled: 1-line block ×6, first 2 shown]
	v_add3_u32 v12, v12, v13, v62
	v_mul_i32_i24_e32 v13, v234, v248
	v_add3_u32 v11, v55, v11, v54
	v_mul_i32_i24_e32 v54, v75, v236
	v_mul_i32_i24_e32 v55, v76, v235
	;; [unrolled: 1-line block ×3, first 2 shown]
	v_add3_u32 v13, v51, v13, v47
	v_mul_i32_i24_e32 v47, v253, v231
	v_mul_i32_i24_e32 v51, v76, v246
	v_add3_u32 v54, v61, v55, v54
	v_mul_i32_i24_e32 v55, v82, v240
	v_mul_i32_i24_e32 v82, v95, v235
	;; [unrolled: 3-line block ×3, first 2 shown]
	v_add3_u32 v5, v42, v55, v5
	v_bfe_i32 v42, v4, 0, 8
	v_bfe_i32 v55, v4, 8, 8
	v_mul_i32_i24_e32 v63, v63, v240
	v_add3_u32 v1, v1, v47, v49
	v_mul_i32_i24_e32 v47, v243, v225
	v_mul_i32_i24_e32 v49, v33, v226
	;; [unrolled: 1-line block ×6, first 2 shown]
	v_add3_u32 v11, v11, v47, v49
	v_mul_i32_i24_e32 v47, v15, v231
	v_mul_i32_i24_e32 v49, v74, v45
	v_add3_u32 v61, v77, v61, v73
	v_mul_i32_i24_e32 v73, v42, v225
	v_mul_i32_i24_e32 v77, v55, v226
	v_add3_u32 v17, v36, v63, v17
	v_add3_u32 v47, v54, v49, v47
	v_mul_i32_i24_e32 v49, v75, v248
	v_mul_i32_i24_e32 v75, v91, v45
	v_add3_u32 v73, v81, v73, v77
	v_mul_i32_i24_e32 v77, v41, v236
	v_mul_i32_i24_e32 v41, v41, v248
	v_add3_u32 v5, v5, v51, v49
	v_bfe_i32 v49, v4, 16, 8
	v_ashrrev_i32_e32 v4, 24, v4
	v_add3_u32 v77, v85, v78, v77
	v_mul_i32_i24_e32 v78, v34, v222
	v_mul_i32_i24_e32 v81, v52, v226
	;; [unrolled: 1-line block ×5, first 2 shown]
	v_add3_u32 v78, v87, v78, v79
	v_mul_i32_i24_e32 v79, v34, v225
	v_bfe_i32 v36, v16, 0, 8
	v_add3_u32 v51, v61, v51, v54
	v_mul_i32_i24_e32 v54, v49, v220
	v_mul_i32_i24_e32 v61, v4, v221
	v_add3_u32 v79, v88, v79, v81
	v_mul_i32_i24_e32 v81, v50, v236
	v_mul_i32_i24_e32 v50, v50, v248
	v_bfe_i32 v63, v16, 8, 8
	v_add3_u32 v54, v73, v54, v61
	v_mul_i32_i24_e32 v61, v18, v231
	v_add3_u32 v81, v90, v82, v81
	v_mul_i32_i24_e32 v82, v40, v222
	v_mul_i32_i24_e32 v87, v63, v226
	;; [unrolled: 1-line block ×3, first 2 shown]
	v_add3_u32 v61, v77, v62, v61
	v_mul_i32_i24_e32 v62, v89, v246
	v_add3_u32 v82, v92, v82, v83
	v_mul_i32_i24_e32 v83, v40, v225
	v_add3_u32 v28, v35, v68, v28
	v_bfe_i32 v35, v27, 0, 8
	v_add3_u32 v7, v7, v62, v41
	v_bfe_i32 v41, v6, 16, 8
	v_ashrrev_i32_e32 v6, 24, v6
	v_add3_u32 v2, v2, v83, v85
	v_mul_i32_i24_e32 v83, v39, v236
	v_mul_i32_i24_e32 v85, v102, v235
	;; [unrolled: 1-line block ×6, first 2 shown]
	v_add3_u32 v3, v3, v85, v83
	v_mul_i32_i24_e32 v83, v36, v222
	v_add3_u32 v62, v78, v62, v65
	v_mul_i32_i24_e32 v65, v41, v220
	v_mul_i32_i24_e32 v85, v63, v223
	v_bfe_i32 v68, v27, 8, 8
	v_add3_u32 v70, v70, v94, v96
	v_mul_i32_i24_e32 v94, v44, v251
	v_add3_u32 v65, v79, v65, v73
	v_mul_i32_i24_e32 v73, v20, v231
	v_add3_u32 v83, v93, v83, v85
	v_mul_i32_i24_e32 v85, v36, v225
	v_mul_i32_i24_e32 v96, v30, v250
	v_mul_i32_i24_e32 v44, v44, v240
	v_add3_u32 v73, v81, v75, v73
	v_mul_i32_i24_e32 v75, v95, v246
	v_add3_u32 v66, v66, v85, v87
	v_mul_i32_i24_e32 v85, v38, v236
	v_mul_i32_i24_e32 v87, v105, v235
	;; [unrolled: 1-line block ×3, first 2 shown]
	v_add3_u32 v9, v9, v75, v50
	v_bfe_i32 v50, v8, 16, 8
	v_ashrrev_i32_e32 v8, 24, v8
	v_add3_u32 v67, v67, v87, v85
	v_mul_i32_i24_e32 v85, v35, v222
	v_mul_i32_i24_e32 v87, v68, v223
	;; [unrolled: 1-line block ×5, first 2 shown]
	v_add3_u32 v53, v53, v94, v96
	v_add3_u32 v69, v69, v85, v87
	v_mul_i32_i24_e32 v85, v35, v225
	v_add3_u32 v75, v82, v75, v76
	v_mul_i32_i24_e32 v76, v50, v220
	v_mul_i32_i24_e32 v87, v68, v226
	;; [unrolled: 1-line block ×5, first 2 shown]
	v_add3_u32 v2, v2, v76, v77
	v_mul_i32_i24_e32 v76, v22, v231
	v_mul_i32_i24_e32 v77, v48, v45
	v_add3_u32 v70, v70, v85, v87
	v_mul_i32_i24_e32 v85, v37, v236
	v_mul_i32_i24_e32 v87, v56, v235
	v_add3_u32 v30, v32, v44, v30
	v_add3_u32 v3, v3, v77, v76
	v_mul_i32_i24_e32 v76, v102, v246
	v_bfe_i32 v32, v29, 0, 8
	v_add3_u32 v53, v53, v87, v85
	v_bfe_i32 v44, v29, 8, 8
	v_mul_i32_i24_e32 v37, v37, v248
	v_add3_u32 v17, v17, v76, v39
	v_bfe_i32 v39, v16, 16, 8
	v_ashrrev_i32_e32 v16, 24, v16
	v_mul_i32_i24_e32 v85, v32, v222
	v_mul_i32_i24_e32 v87, v44, v223
	;; [unrolled: 1-line block ×6, first 2 shown]
	v_add3_u32 v71, v71, v85, v87
	v_mul_i32_i24_e32 v85, v32, v225
	v_mul_i32_i24_e32 v87, v44, v226
	v_add3_u32 v76, v83, v76, v77
	v_mul_i32_i24_e32 v77, v39, v220
	v_mul_i32_i24_e32 v18, v18, v64
	;; [unrolled: 1-line block ×3, first 2 shown]
	v_add3_u32 v72, v72, v85, v87
	v_cvt_f32_i32_e32 v10, v10
	v_add3_u32 v66, v66, v77, v78
	v_mul_i32_i24_e32 v77, v24, v231
	v_mul_i32_i24_e32 v78, v46, v45
	;; [unrolled: 1-line block ×3, first 2 shown]
	v_cvt_f32_i32_e32 v12, v12
	v_cvt_f32_i32_e32 v2, v2
	s_delay_alu instid0(VALU_DEP_4) | instskip(SKIP_1) | instid1(VALU_DEP_1)
	v_add3_u32 v67, v67, v78, v77
	v_mul_i32_i24_e32 v77, v105, v246
	v_add3_u32 v28, v28, v77, v38
	v_bfe_i32 v38, v27, 16, 8
	v_ashrrev_i32_e32 v27, 24, v27
	s_delay_alu instid0(VALU_DEP_2) | instskip(NEXT) | instid1(VALU_DEP_2)
	v_mul_i32_i24_e32 v77, v38, v218
	v_mul_i32_i24_e32 v78, v27, v219
	s_delay_alu instid0(VALU_DEP_1) | instskip(SKIP_2) | instid1(VALU_DEP_1)
	v_add3_u32 v69, v69, v77, v78
	v_mul_i32_i24_e32 v77, v38, v220
	v_mul_i32_i24_e32 v78, v27, v221
	v_add3_u32 v70, v70, v77, v78
	v_mul_i32_i24_e32 v77, v26, v231
	s_delay_alu instid0(VALU_DEP_1) | instskip(SKIP_1) | instid1(VALU_DEP_1)
	v_add3_u32 v45, v53, v45, v77
	v_mul_i32_i24_e32 v53, v56, v246
	v_add3_u32 v30, v30, v53, v37
	v_bfe_i32 v37, v29, 16, 8
	v_ashrrev_i32_e32 v29, 24, v29
	s_delay_alu instid0(VALU_DEP_2) | instskip(NEXT) | instid1(VALU_DEP_2)
	v_mul_i32_i24_e32 v53, v37, v218
	v_mul_i32_i24_e32 v56, v29, v219
	s_delay_alu instid0(VALU_DEP_1) | instskip(SKIP_2) | instid1(VALU_DEP_1)
	v_add3_u32 v53, v71, v53, v56
	v_mul_i32_i24_e32 v56, v37, v220
	v_mul_i32_i24_e32 v71, v29, v221
	v_add3_u32 v56, v72, v56, v71
	v_mul_i32_i24_e32 v71, v230, v246
	s_delay_alu instid0(VALU_DEP_1) | instskip(SKIP_1) | instid1(VALU_DEP_1)
	v_add3_u32 v13, v13, v58, v71
	v_mul_i32_i24_e32 v58, v243, v199
	v_add3_u32 v0, v0, v58, v33
	v_mul_i32_i24_e32 v33, v60, v218
	v_mul_i32_i24_e32 v58, v238, v219
	s_delay_alu instid0(VALU_DEP_1) | instskip(SKIP_2) | instid1(VALU_DEP_3)
	v_add3_u32 v1, v1, v33, v58
	v_mul_i32_i24_e32 v33, v60, v220
	v_mul_i32_i24_e32 v58, v238, v221
	v_cvt_f32_i32_e32 v1, v1
	s_delay_alu instid0(VALU_DEP_2) | instskip(SKIP_2) | instid1(VALU_DEP_3)
	v_add3_u32 v11, v11, v33, v58
	v_mul_i32_i24_e32 v33, v199, v42
	v_mul_i32_i24_e32 v58, v25, v55
	v_cvt_f32_i32_e32 v11, v11
	s_delay_alu instid0(VALU_DEP_2)
	v_add3_u32 v33, v47, v33, v58
	v_mul_i32_i24_e32 v47, v74, v43
	scratch_load_b32 v58, off, off offset:68 th:TH_LOAD_LU ; 4-byte Folded Reload
	v_add3_u32 v5, v5, v47, v15
	v_mul_i32_i24_e32 v15, v199, v34
	v_mul_i32_i24_e32 v47, v25, v52
	s_delay_alu instid0(VALU_DEP_1)
	v_add3_u32 v15, v61, v15, v47
	v_mul_i32_i24_e32 v47, v86, v43
	scratch_load_b32 v61, off, off offset:80 th:TH_LOAD_LU ; 4-byte Folded Reload
	v_add3_u32 v7, v7, v47, v18
	v_mul_i32_i24_e32 v18, v199, v40
	v_mul_i32_i24_e32 v47, v25, v59
	s_delay_alu instid0(VALU_DEP_1) | instskip(SKIP_1) | instid1(VALU_DEP_1)
	v_add3_u32 v18, v73, v18, v47
	v_mul_i32_i24_e32 v47, v91, v43
	v_add3_u32 v9, v9, v47, v20
	v_mul_i32_i24_e32 v20, v199, v36
	v_mul_i32_i24_e32 v47, v25, v63
	s_delay_alu instid0(VALU_DEP_1) | instskip(SKIP_3) | instid1(VALU_DEP_2)
	v_add3_u32 v3, v3, v20, v47
	v_mul_i32_i24_e32 v20, v22, v64
	v_mul_i32_i24_e32 v22, v48, v43
	v_mov_b32_e32 v47, v163
	v_add3_u32 v17, v17, v22, v20
	v_mul_i32_i24_e32 v20, v199, v35
	v_mul_i32_i24_e32 v22, v25, v68
	;; [unrolled: 1-line block ×3, first 2 shown]
	s_delay_alu instid0(VALU_DEP_2) | instskip(SKIP_2) | instid1(VALU_DEP_1)
	v_add3_u32 v20, v67, v20, v22
	v_mul_i32_i24_e32 v22, v24, v64
	v_mul_i32_i24_e32 v24, v46, v43
	v_add3_u32 v22, v28, v24, v22
	v_mul_i32_i24_e32 v24, v199, v32
	v_mul_i32_i24_e32 v28, v238, v198
	s_delay_alu instid0(VALU_DEP_2)
	v_add3_u32 v24, v45, v24, v25
	v_mul_i32_i24_e32 v25, v26, v64
	v_mul_i32_i24_e32 v26, v57, v43
	s_clause 0x4
	scratch_load_b32 v45, off, off offset:44 th:TH_LOAD_LU
	scratch_load_b32 v64, off, off offset:84 th:TH_LOAD_LU
	scratch_load_b32 v46, off, off offset:48 th:TH_LOAD_LU
	scratch_load_b32 v57, off, off offset:64 th:TH_LOAD_LU
	scratch_load_b32 v43, off, off offset:40 th:TH_LOAD_LU
	v_add3_u32 v25, v30, v26, v25
	v_mul_i32_i24_e32 v26, v60, v197
	v_mul_i32_i24_e32 v30, v23, v55
	s_clause 0x1
	scratch_load_b32 v60, off, off offset:76 th:TH_LOAD_LU
	scratch_load_b32 v55, off, off offset:56 th:TH_LOAD_LU
	v_add3_u32 v0, v0, v26, v28
	v_mul_i32_i24_e32 v26, v197, v49
	v_mul_i32_i24_e32 v28, v198, v4
	;; [unrolled: 1-line block ×3, first 2 shown]
	s_delay_alu instid0(VALU_DEP_4) | instskip(NEXT) | instid1(VALU_DEP_3)
	v_cvt_f32_i32_e32 v0, v0
	v_add3_u32 v26, v33, v26, v28
	v_mul_i32_i24_e32 v28, v21, v42
	scratch_load_b32 v42, off, off offset:32 th:TH_LOAD_LU ; 4-byte Folded Reload
	v_add3_u32 v5, v5, v28, v30
	v_mul_i32_i24_e32 v28, v197, v41
	v_mul_i32_i24_e32 v30, v198, v6
	v_mul_i32_i24_e32 v6, v19, v6
	s_delay_alu instid0(VALU_DEP_2) | instskip(SKIP_2) | instid1(VALU_DEP_1)
	v_add3_u32 v15, v15, v28, v30
	v_mul_i32_i24_e32 v28, v21, v34
	v_mul_i32_i24_e32 v30, v23, v52
	v_add3_u32 v7, v7, v28, v30
	v_mul_i32_i24_e32 v28, v197, v50
	v_mul_i32_i24_e32 v30, v198, v8
	s_delay_alu instid0(VALU_DEP_1) | instskip(SKIP_2) | instid1(VALU_DEP_1)
	v_add3_u32 v18, v18, v28, v30
	v_mul_i32_i24_e32 v28, v21, v40
	v_mul_i32_i24_e32 v30, v23, v59
	v_add3_u32 v9, v9, v28, v30
	v_mul_i32_i24_e32 v28, v197, v39
	v_mul_i32_i24_e32 v30, v198, v16
	s_delay_alu instid0(VALU_DEP_1)
	v_add3_u32 v3, v3, v28, v30
	v_mul_i32_i24_e32 v28, v21, v36
	v_mul_i32_i24_e32 v30, v23, v63
	scratch_load_b32 v36, off, off offset:4 th:TH_LOAD_LU ; 4-byte Folded Reload
	v_cvt_f32_i32_e32 v3, v3
	v_add3_u32 v17, v17, v28, v30
	v_mul_i32_i24_e32 v28, v197, v38
	v_mul_i32_i24_e32 v30, v198, v27
	s_delay_alu instid0(VALU_DEP_1)
	v_add3_u32 v20, v20, v28, v30
	v_mul_i32_i24_e32 v28, v21, v35
	v_mul_i32_i24_e32 v30, v23, v68
	;; [unrolled: 1-line block ×4, first 2 shown]
	s_clause 0x1
	scratch_load_b32 v68, off, off offset:88 th:TH_LOAD_LU
	scratch_load_b32 v59, off, off offset:72 th:TH_LOAD_LU
	v_add3_u32 v22, v22, v28, v30
	v_mul_i32_i24_e32 v28, v197, v37
	v_add3_u32 v21, v25, v21, v23
	v_mul_i32_i24_e32 v23, v14, v49
	s_clause 0x1
	scratch_load_b32 v49, off, off offset:36 th:TH_LOAD_LU
	scratch_load_b32 v44, off, off offset:28 th:TH_LOAD_LU
	v_mul_i32_i24_e32 v30, v198, v29
	v_add3_u32 v4, v5, v23, v4
	v_mul_i32_i24_e32 v5, v14, v41
	scratch_load_b32 v41, off, off offset:24 th:TH_LOAD_LU ; 4-byte Folded Reload
	v_add3_u32 v24, v24, v28, v30
	v_add3_u32 v5, v7, v5, v6
	v_mul_i32_i24_e32 v6, v14, v50
	v_mul_i32_i24_e32 v7, v19, v8
	;; [unrolled: 1-line block ×3, first 2 shown]
	s_delay_alu instid0(VALU_DEP_2)
	v_add3_u32 v6, v9, v6, v7
	v_mul_i32_i24_e32 v7, v14, v39
	v_mul_i32_i24_e32 v9, v19, v27
	scratch_load_b32 v39, off, off offset:20 th:TH_LOAD_LU ; 4-byte Folded Reload
	v_add3_u32 v7, v17, v7, v8
	v_mul_i32_i24_e32 v8, v14, v38
	s_clause 0x1
	scratch_load_b32 v38, off, off offset:16 th:TH_LOAD_LU
	scratch_load_b32 v35, off, off th:TH_LOAD_LU
	v_add3_u32 v8, v22, v8, v9
	v_mul_i32_i24_e32 v9, v14, v37
	s_clause 0x3
	scratch_load_b32 v37, off, off offset:12 th:TH_LOAD_LU
	scratch_load_b32 v40, off, off offset:8 th:TH_LOAD_LU
	;; [unrolled: 1-line block ×4, first 2 shown]
	v_mul_i32_i24_e32 v14, v19, v29
	s_delay_alu instid0(VALU_DEP_1) | instskip(SKIP_2) | instid1(VALU_DEP_1)
	v_add3_u32 v9, v21, v9, v14
	v_cvt_f32_i32_e32 v14, v31
	s_wait_loadcnt 0x1
	v_fma_mix_f32 v14, v16, v14, v16 op_sel:[0,0,1] op_sel_hi:[1,0,1]
	v_cvt_f32_i32_e32 v16, v84
	s_delay_alu instid0(VALU_DEP_2) | instskip(SKIP_3) | instid1(VALU_DEP_1)
	v_add_f32_e32 v58, v58, v14
	scratch_load_b32 v14, off, off offset:188 th:TH_LOAD_LU ; 4-byte Folded Reload
	s_wait_loadcnt 0x1
	v_fma_mix_f32 v16, v17, v16, v17 op_sel:[0,0,1] op_sel_hi:[1,0,1]
	v_add_f32_e32 v138, v138, v16
	scratch_load_b32 v16, off, off offset:200 th:TH_LOAD_LU ; 4-byte Folded Reload
	s_wait_loadcnt 0x1
	v_fma_mix_f32 v10, v14, v10, v14 op_sel:[0,0,1] op_sel_hi:[1,0,1]
	scratch_load_b32 v14, off, off offset:184 th:TH_LOAD_LU ; 4-byte Folded Reload
	s_wait_loadcnt 0x0
	v_fma_mix_f32 v12, v14, v12, v14 op_sel:[0,0,1] op_sel_hi:[1,0,1]
	v_cvt_f32_i32_e32 v14, v51
	s_delay_alu instid0(VALU_DEP_2) | instskip(NEXT) | instid1(VALU_DEP_2)
	v_add_f32_e32 v68, v68, v12
	v_fma_mix_f32 v14, v16, v14, v16 op_sel:[0,0,1] op_sel_hi:[1,0,1]
	v_cvt_f32_i32_e32 v16, v54
	s_clause 0x6
	scratch_load_b32 v54, off, off offset:52 th:TH_LOAD_LU
	scratch_load_b32 v17, off, off offset:192 th:TH_LOAD_LU
	;; [unrolled: 1-line block ×7, first 2 shown]
	s_wait_loadcnt 0x5
	v_fma_mix_f32 v16, v17, v16, v17 op_sel:[0,0,1] op_sel_hi:[1,0,1]
	v_cvt_f32_i32_e32 v17, v62
	s_delay_alu instid0(VALU_DEP_2) | instskip(SKIP_1) | instid1(VALU_DEP_2)
	v_add_f32_e32 v55, v55, v16
	s_wait_loadcnt 0x4
	v_fma_mix_f32 v17, v19, v17, v19 op_sel:[0,0,1] op_sel_hi:[1,0,1]
	v_cvt_f32_i32_e32 v19, v65
	s_delay_alu instid0(VALU_DEP_2) | instskip(SKIP_1) | instid1(VALU_DEP_2)
	v_add_f32_e32 v124, v124, v17
	s_wait_loadcnt 0x1
	v_fma_mix_f32 v19, v21, v19, v21 op_sel:[0,0,1] op_sel_hi:[1,0,1]
	v_cvt_f32_i32_e32 v21, v75
	s_delay_alu instid0(VALU_DEP_2) | instskip(NEXT) | instid1(VALU_DEP_2)
	v_add_f32_e32 v137, v137, v19
	v_fma_mix_f32 v21, v22, v21, v22 op_sel:[0,0,1] op_sel_hi:[1,0,1]
	scratch_load_b32 v22, off, off offset:208 th:TH_LOAD_LU ; 4-byte Folded Reload
	v_add_f32_e32 v162, v162, v21
	s_wait_loadcnt 0x0
	v_fma_mix_f32 v2, v22, v2, v22 op_sel:[0,0,1] op_sel_hi:[1,0,1]
	v_cvt_f32_i32_e32 v22, v76
	s_delay_alu instid0(VALU_DEP_2) | instskip(NEXT) | instid1(VALU_DEP_2)
	v_add_f32_e32 v47, v47, v2
	v_fma_mix_f32 v22, v23, v22, v23 op_sel:[0,0,1] op_sel_hi:[1,0,1]
	v_cvt_f32_i32_e32 v23, v66
	s_delay_alu instid0(VALU_DEP_2) | instskip(NEXT) | instid1(VALU_DEP_2)
	v_add_f32_e32 v44, v44, v22
	v_fma_mix_f32 v23, v25, v23, v25 op_sel:[0,0,1] op_sel_hi:[1,0,1]
	v_cvt_f32_i32_e32 v25, v69
	s_clause 0x1
	scratch_load_b32 v69, off, off offset:92 th:TH_LOAD_LU
	scratch_load_b32 v27, off, off offset:236 th:TH_LOAD_LU
	v_add_f32_e32 v43, v43, v23
	s_wait_loadcnt 0x1
	v_add_f32_e32 v69, v69, v10
	s_wait_loadcnt 0x0
	v_fma_mix_f32 v25, v27, v25, v27 op_sel:[0,0,1] op_sel_hi:[1,0,1]
	v_cvt_f32_i32_e32 v27, v70
	s_clause 0x2
	scratch_load_b32 v70, off, off offset:96 th:TH_LOAD_LU
	scratch_load_b32 v28, off, off offset:240 th:TH_LOAD_LU
	;; [unrolled: 1-line block ×3, first 2 shown]
	v_cvt_f32_i32_e32 v10, v13
	v_add_f32_e32 v37, v37, v25
	s_wait_loadcnt 0x1
	v_fma_mix_f32 v27, v28, v27, v28 op_sel:[0,0,1] op_sel_hi:[1,0,1]
	v_cvt_f32_i32_e32 v28, v53
	s_delay_alu instid0(VALU_DEP_2) | instskip(SKIP_1) | instid1(VALU_DEP_2)
	v_add_f32_e32 v39, v39, v27
	s_wait_loadcnt 0x0
	v_fma_mix_f32 v28, v29, v28, v29 op_sel:[0,0,1] op_sel_hi:[1,0,1]
	v_cvt_f32_i32_e32 v29, v56
	s_clause 0x3
	scratch_load_b32 v56, off, off offset:60 th:TH_LOAD_LU
	scratch_load_b32 v30, off, off offset:228 th:TH_LOAD_LU
	;; [unrolled: 1-line block ×4, first 2 shown]
	v_add_f32_e32 v36, v36, v28
	s_wait_loadcnt 0x3
	v_add_f32_e32 v56, v56, v14
	scratch_load_b32 v14, off, off offset:108 th:TH_LOAD_LU ; 4-byte Folded Reload
	s_wait_loadcnt 0x2
	v_fma_mix_f32 v10, v12, v10, v12 op_sel:[0,0,1] op_sel_hi:[1,0,1]
	scratch_load_b32 v12, off, off offset:180 th:TH_LOAD_LU ; 4-byte Folded Reload
	s_wait_loadcnt 0x2
	v_fma_mix_f32 v0, v2, v0, v2 op_sel:[0,0,1] op_sel_hi:[1,0,1]
	scratch_load_b32 v2, off, off offset:152 th:TH_LOAD_LU ; 4-byte Folded Reload
	v_fma_mix_f32 v29, v30, v29, v30 op_sel:[0,0,1] op_sel_hi:[1,0,1]
	v_add_f32_e32 v70, v70, v10
	v_add_f32_e32 v64, v64, v0
	v_cvt_f32_i32_e32 v0, v4
	s_wait_loadcnt 0x2
	v_dual_add_f32 v35, v35, v29 :: v_dual_add_nc_u32 v14, 4, v14
	s_wait_loadcnt 0x1
	v_fma_mix_f32 v1, v12, v1, v12 op_sel:[0,0,1] op_sel_hi:[1,0,1]
	scratch_load_b32 v12, off, off offset:176 th:TH_LOAD_LU ; 4-byte Folded Reload
	v_add_f32_e32 v61, v61, v1
	v_cvt_f32_i32_e32 v1, v26
	s_wait_loadcnt 0x1
	s_delay_alu instid0(VALU_DEP_1)
	v_fma_mix_f32 v1, v2, v1, v2 op_sel:[0,0,1] op_sel_hi:[1,0,1]
	v_cvt_f32_i32_e32 v2, v15
	s_clause 0x2
	scratch_load_b32 v15, off, off offset:112 th:TH_LOAD_LU
	scratch_load_b32 v10, off, off offset:156 th:TH_LOAD_LU
	;; [unrolled: 1-line block ×3, first 2 shown]
	v_add_f32_e32 v59, v59, v1
	scratch_load_b32 v1, off, off offset:124 th:TH_LOAD_LU ; 4-byte Folded Reload
	s_wait_loadcnt 0x4
	v_fma_mix_f32 v11, v12, v11, v12 op_sel:[0,0,1] op_sel_hi:[1,0,1]
	s_clause 0x1
	scratch_load_b32 v12, off, off offset:172 th:TH_LOAD_LU
	scratch_load_b32 v4, off, off offset:132 th:TH_LOAD_LU
	v_add_f32_e32 v60, v60, v11
	scratch_load_b32 v11, off, off offset:160 th:TH_LOAD_LU ; 4-byte Folded Reload
	s_wait_loadcnt 0x6
	v_add_nc_u32_e32 v15, 4, v15
	s_wait_loadcnt 0x5
	v_fma_mix_f32 v2, v10, v2, v10 op_sel:[0,0,1] op_sel_hi:[1,0,1]
	v_cvt_f32_i32_e32 v10, v18
	s_delay_alu instid0(VALU_DEP_2)
	v_add_f32_e32 v54, v54, v2
	scratch_load_b32 v2, off, off offset:128 th:TH_LOAD_LU ; 4-byte Folded Reload
	s_wait_loadcnt 0x1
	v_fma_mix_f32 v10, v11, v10, v11 op_sel:[0,0,1] op_sel_hi:[1,0,1]
	scratch_load_b32 v11, off, off offset:164 th:TH_LOAD_LU ; 4-byte Folded Reload
	v_add_f32_e32 v136, v136, v10
	scratch_load_b32 v10, off, off offset:100 th:TH_LOAD_LU ; 4-byte Folded Reload
	s_wait_loadcnt 0x1
	v_fma_mix_f32 v3, v11, v3, v11 op_sel:[0,0,1] op_sel_hi:[1,0,1]
	v_cvt_f32_i32_e32 v11, v20
	s_delay_alu instid0(VALU_DEP_2) | instskip(NEXT) | instid1(VALU_DEP_2)
	v_add_f32_e32 v46, v46, v3
	v_fma_mix_f32 v11, v12, v11, v12 op_sel:[0,0,1] op_sel_hi:[1,0,1]
	v_cvt_f32_i32_e32 v3, v7
	v_cvt_f32_i32_e32 v12, v24
	s_delay_alu instid0(VALU_DEP_3)
	v_add_f32_e32 v42, v42, v11
	scratch_load_b32 v11, off, off offset:104 th:TH_LOAD_LU ; 4-byte Folded Reload
	v_fma_mix_f32 v0, v1, v0, v1 op_sel:[0,0,1] op_sel_hi:[1,0,1]
	v_cvt_f32_i32_e32 v1, v5
	scratch_load_b32 v5, off, off offset:144 th:TH_LOAD_LU ; 4-byte Folded Reload
	v_fma_mix_f32 v12, v13, v12, v13 op_sel:[0,0,1] op_sel_hi:[1,0,1]
	s_wait_loadcnt 0x2
	v_dual_add_f32 v57, v57, v0 :: v_dual_add_nc_u32 v10, 4, v10
	v_fma_mix_f32 v1, v2, v1, v2 op_sel:[0,0,1] op_sel_hi:[1,0,1]
	v_cvt_f32_i32_e32 v2, v6
	scratch_load_b32 v6, off, off offset:140 th:TH_LOAD_LU ; 4-byte Folded Reload
	v_dual_add_f32 v38, v38, v12 :: v_dual_add_f32 v161, v161, v1
	v_fma_mix_f32 v2, v4, v2, v4 op_sel:[0,0,1] op_sel_hi:[1,0,1]
	scratch_load_b32 v4, off, off offset:136 th:TH_LOAD_LU ; 4-byte Folded Reload
	v_add_f32_e32 v49, v49, v2
	s_wait_loadcnt 0x3
	v_add_nc_u32_e32 v11, 4, v11
	s_wait_loadcnt 0x0
	v_fma_mix_f32 v3, v4, v3, v4 op_sel:[0,0,1] op_sel_hi:[1,0,1]
	v_cvt_f32_i32_e32 v4, v8
	s_delay_alu instid0(VALU_DEP_2) | instskip(NEXT) | instid1(VALU_DEP_2)
	v_add_f32_e32 v45, v45, v3
	v_fma_mix_f32 v4, v5, v4, v5 op_sel:[0,0,1] op_sel_hi:[1,0,1]
	v_cvt_f32_i32_e32 v5, v9
	s_delay_alu instid0(VALU_DEP_2) | instskip(NEXT) | instid1(VALU_DEP_2)
	v_add_f32_e32 v41, v41, v4
	v_fma_mix_f32 v5, v6, v5, v6 op_sel:[0,0,1] op_sel_hi:[1,0,1]
	s_delay_alu instid0(VALU_DEP_1)
	v_add_f32_e32 v40, v40, v5
	s_cbranch_scc1 .LBB159_9
; %bb.10:                               ;   in Loop: Header=BB159_7 Depth=1
	s_and_b32 s12, s5, -4
	s_wait_storecnt 0x0
	s_wait_alu 0xfffe
	s_cmp_eq_u32 s12, 4
	s_barrier_signal -1
	s_barrier_wait -1
	global_inv scope:SCOPE_SE
	s_cbranch_scc1 .LBB159_5
; %bb.11:                               ;   in Loop: Header=BB159_7 Depth=1
	s_clause 0x5
	scratch_load_b32 v0, off, off offset:476
	scratch_load_b64 v[17:18], off, off offset:288
	scratch_load_b32 v12, off, off offset:276
	scratch_load_b32 v1, off, off offset:260
	;; [unrolled: 1-line block ×4, first 2 shown]
	s_mov_b32 s12, 12
	scratch_load_b32 v13, off, off offset:280 ; 4-byte Folded Reload
	s_wait_loadcnt 0x6
	v_add_nc_u32_e32 v10, s10, v0
	scratch_load_b32 v0, off, off offset:256 ; 4-byte Folded Reload
	s_wait_loadcnt 0x4
	v_add_nc_u32_e32 v2, v10, v1
	scratch_load_b32 v1, off, off offset:264 ; 4-byte Folded Reload
	s_wait_loadcnt 0x3
	v_add_nc_u32_e32 v11, v10, v9
	v_add_nc_u32_e32 v8, v10, v7
	v_add_nc_u32_e32 v12, v10, v12
	v_mad_co_i64_i32 v[2:3], null, v2, 36, v[17:18]
	s_wait_loadcnt 0x2
	v_add_nc_u32_e32 v14, v10, v13
	scratch_load_b32 v13, off, off offset:244 th:TH_LOAD_LU ; 4-byte Folded Reload
	v_mad_co_i64_i32 v[8:9], null, v8, 36, v[17:18]
	v_mad_co_i64_i32 v[14:15], null, v14, 36, v[17:18]
	s_wait_loadcnt 0x2
	v_add_nc_u32_e32 v0, v10, v0
	s_wait_loadcnt 0x1
	v_add_nc_u32_e32 v4, v10, v1
	scratch_load_b32 v1, off, off offset:268 ; 4-byte Folded Reload
	v_mad_co_i64_i32 v[4:5], null, v4, 36, v[17:18]
	s_wait_loadcnt 0x1
	v_add_nc_u32_e32 v16, 4, v13
	v_mad_co_i64_i32 v[12:13], null, v12, 36, v[17:18]
	s_wait_loadcnt 0x0
	v_add_nc_u32_e32 v6, v10, v1
	v_mad_co_i64_i32 v[10:11], null, v11, 36, v[17:18]
	v_mad_co_i64_i32 v[0:1], null, v0, 36, v[17:18]
	s_delay_alu instid0(VALU_DEP_3)
	v_mad_co_i64_i32 v[6:7], null, v6, 36, v[17:18]
	v_mad_co_u64_u32 v[16:17], null, v16, 36, s[2:3]
	s_clause 0x8
	global_load_b32 v10, v[10:11], off offset:4
	global_load_b32 v0, v[0:1], off offset:4
	;; [unrolled: 1-line block ×8, first 2 shown]
	global_load_b32 v7, v[16:17], off
	s_clause 0x2
	scratch_load_b32 v157, off, off offset:296
	scratch_load_b32 v158, off, off offset:300
	;; [unrolled: 1-line block ×3, first 2 shown]
	s_wait_loadcnt 0x0
	v_mad_u32_u24 v163, 0x84, v8, 64
	s_clause 0x4
	scratch_load_b32 v9, off, off offset:492
	scratch_load_b32 v11, off, off offset:488
	;; [unrolled: 1-line block ×5, first 2 shown]
	s_wait_loadcnt 0x0
	ds_store_b32 v8, v10
	scratch_load_b32 v8, off, off offset:304 ; 4-byte Folded Reload
	s_wait_loadcnt 0x0
	ds_store_b32 v8, v0
	scratch_load_b32 v0, off, off offset:308 ; 4-byte Folded Reload
	;; [unrolled: 3-line block ×8, first 2 shown]
	s_wait_loadcnt 0x0
	ds_store_b32 v0, v7
	s_wait_dscnt 0x0
	s_barrier_signal -1
	s_barrier_wait -1
	global_inv scope:SCOPE_SE
.LBB159_12:                             ;   Parent Loop BB159_7 Depth=1
                                        ; =>  This Inner Loop Header: Depth=2
	s_clause 0x1d
	scratch_store_b32 off, v15, off offset:116
	scratch_store_b32 off, v14, off offset:112
	;; [unrolled: 1-line block ×29, first 2 shown]
	scratch_store_b32 off, v35, off
	ds_load_2addr_b32 v[4:5], v157 offset1:32
	ds_load_b32 v13, v9
	ds_load_b32 v12, v11
	;; [unrolled: 1-line block ×4, first 2 shown]
	ds_load_2addr_b32 v[8:9], v158 offset0:5 offset1:6
	v_mov_b32_e32 v162, v47
	v_add_nc_u32_e32 v38, 0x400, v158
	v_add_nc_u32_e32 v102, 0x1800, v158
	s_wait_alu 0xfffe
	s_add_co_i32 s12, s12, 4
	s_wait_alu 0xfffe
	s_cmp_lt_u32 s12, 28
	s_wait_dscnt 0x4
	v_pk_mul_f16 v0, v4, v13
	s_wait_dscnt 0x0
	v_bfe_i32 v209, v8, 16, 8
	scratch_store_b32 off, v0, off offset:124 ; 4-byte Folded Spill
	v_pk_mul_f16 v0, v4, v12
	v_ashrrev_i32_e32 v210, 24, v8
	v_bfe_i32 v214, v8, 0, 8
	v_ashrrev_i32_e32 v199, 24, v9
	v_bfe_i32 v200, v9, 16, 8
	scratch_store_b32 off, v0, off offset:120 ; 4-byte Folded Spill
	v_pk_mul_f16 v0, v4, v11
	ds_load_2addr_b32 v[27:28], v163 offset1:1
	ds_load_2addr_b32 v[6:7], v163 offset0:2 offset1:3
	ds_load_2addr_b32 v[15:16], v158 offset1:3
	ds_load_2addr_b32 v[29:30], v158 offset0:1 offset1:2
	v_bfe_i32 v202, v9, 0, 8
	scratch_store_b32 off, v0, off offset:192 ; 4-byte Folded Spill
	v_pk_mul_f16 v0, v4, v10
	scratch_store_b32 off, v0, off offset:188 ; 4-byte Folded Spill
	v_pk_mul_f16 v0, v13, v5
	;; [unrolled: 2-line block ×3, first 2 shown]
	s_wait_dscnt 0x3
	v_bfe_u32 v241, v27, 20, 4
	v_bfe_u32 v196, v27, 16, 4
	;; [unrolled: 1-line block ×3, first 2 shown]
	scratch_store_b32 off, v0, off offset:236 ; 4-byte Folded Spill
	v_pk_mul_f16 v0, v11, v5
	s_wait_dscnt 0x0
	v_bfe_i32 v223, v29, 16, 8
	v_bfe_u32 v213, v28, 20, 4
	v_lshrrev_b32_e32 v244, 28, v27
	v_bfe_u32 v197, v27, 24, 4
	scratch_store_b32 off, v0, off offset:184 ; 4-byte Folded Spill
	v_pk_mul_f16 v0, v10, v5
	ds_load_2addr_b32 v[4:5], v158 offset0:4 offset1:7
	v_mul_i32_i24_e32 v3, v209, v213
	v_bfe_u32 v232, v28, 24, 4
	v_lshrrev_b32_e32 v215, 28, v28
	scratch_store_b32 off, v0, off offset:180 ; 4-byte Folded Spill
	ds_load_2addr_b32 v[0:1], v157 offset0:64 offset1:96
	v_ashrrev_i32_e32 v226, 24, v29
	v_bfe_u32 v248, v27, 4, 4
	v_bfe_i32 v31, v15, 0, 8
	v_and_b32_e32 v198, 15, v27
	v_bfe_i32 v231, v29, 0, 8
	v_and_b32_e32 v228, 15, v28
	v_bfe_u32 v216, v28, 4, 4
	v_bfe_u32 v212, v6, 24, 4
	v_lshrrev_b32_e32 v203, 28, v6
	v_ashrrev_i32_e32 v205, 24, v30
	v_bfe_i32 v206, v30, 16, 8
	v_bfe_u32 v207, v6, 16, 4
	v_bfe_u32 v201, v6, 20, 4
	v_bfe_i32 v211, v30, 0, 8
	s_wait_dscnt 0x1
	v_bfe_i32 v236, v4, 16, 8
	v_ashrrev_i32_e32 v238, 24, v4
	v_bfe_i32 v237, v4, 0, 8
	v_and_b32_e32 v208, 15, v6
	v_bfe_u32 v204, v6, 4, 4
	s_wait_dscnt 0x0
	v_pk_mul_f16 v2, v13, v0
	v_lshrrev_b16 v4, 8, v4
	v_bfe_i32 v255, v29, 8, 8
	v_bfe_i32 v243, v16, 16, 8
	v_bfe_u32 v249, v7, 16, 4
	scratch_store_b32 off, v2, off offset:156 ; 4-byte Folded Spill
	v_pk_mul_f16 v2, v12, v0
	v_bfe_i32 v121, v4, 0, 8
	v_and_b32_e32 v4, 0xf0f0f0f, v28
	v_bfe_u32 v230, v7, 20, 4
	v_bfe_u32 v254, v7, 24, 4
	scratch_store_b32 off, v2, off offset:128 ; 4-byte Folded Spill
	v_pk_mul_f16 v2, v11, v0
	v_pk_mul_f16 v0, v10, v0
	v_lshrrev_b16 v4, 8, v4
	v_lshrrev_b32_e32 v234, 28, v7
	v_ashrrev_i32_e32 v246, 24, v16
	v_ashrrev_i32_e32 v229, 24, v5
	scratch_store_b32 off, v0, off offset:196 ; 4-byte Folded Spill
	v_pk_mul_f16 v0, v13, v1
	v_and_b32_e32 v122, 0xffff, v4
	v_bfe_i32 v253, v16, 0, 8
	v_and_b32_e32 v250, 15, v7
	v_bfe_i32 v233, v5, 0, 8
	scratch_store_b32 off, v0, off offset:160 ; 4-byte Folded Spill
	v_pk_mul_f16 v0, v12, v1
	scratch_store_b32 off, v2, off offset:204 ; 4-byte Folded Spill
	v_bfe_u32 v235, v7, 4, 4
	scratch_store_b32 off, v0, off offset:132 ; 4-byte Folded Spill
	v_pk_mul_f16 v0, v11, v1
	scratch_store_b32 off, v0, off offset:208 ; 4-byte Folded Spill
	v_pk_mul_f16 v0, v10, v1
	scratch_store_b32 off, v0, off offset:200 ; 4-byte Folded Spill
	ds_load_2addr_b32 v[0:1], v157 offset0:128 offset1:160
	s_wait_dscnt 0x0
	v_pk_mul_f16 v2, v13, v0
	scratch_store_b32 off, v2, off offset:164 ; 4-byte Folded Spill
	v_pk_mul_f16 v2, v12, v0
	scratch_store_b32 off, v2, off offset:136 ; 4-byte Folded Spill
	v_pk_mul_f16 v2, v11, v0
	v_pk_mul_f16 v0, v10, v0
	scratch_store_b32 off, v0, off offset:212 ; 4-byte Folded Spill
	v_pk_mul_f16 v0, v13, v1
	scratch_store_b32 off, v0, off offset:168 ; 4-byte Folded Spill
	v_pk_mul_f16 v0, v12, v1
	s_clause 0x1
	scratch_store_b32 off, v2, off offset:220
	scratch_store_b32 off, v0, off offset:140
	v_pk_mul_f16 v0, v11, v1
	scratch_store_b32 off, v0, off offset:224 ; 4-byte Folded Spill
	v_pk_mul_f16 v0, v10, v1
	scratch_store_b32 off, v0, off offset:216 ; 4-byte Folded Spill
	ds_load_2addr_b32 v[0:1], v157 offset0:192 offset1:224
	v_add_nc_u32_e32 v157, 4, v157
	s_wait_dscnt 0x0
	v_pk_mul_f16 v2, v13, v0
	scratch_store_b32 off, v2, off offset:176 ; 4-byte Folded Spill
	v_pk_mul_f16 v2, v13, v1
	scratch_store_b32 off, v2, off offset:172 ; 4-byte Folded Spill
	v_pk_mul_f16 v2, v12, v0
	scratch_store_b32 off, v2, off offset:148 ; 4-byte Folded Spill
	v_pk_mul_f16 v2, v12, v1
	v_mul_i32_i24_e32 v12, v214, v216
	scratch_store_b32 off, v2, off offset:144 ; 4-byte Folded Spill
	v_pk_mul_f16 v2, v11, v0
	v_pk_mul_f16 v0, v10, v0
	s_clause 0x1
	scratch_store_b32 off, v2, off offset:240
	scratch_store_b32 off, v0, off offset:244
	v_pk_mul_f16 v2, v11, v1
	v_pk_mul_f16 v0, v10, v1
	v_mul_i32_i24_e32 v1, v241, v236
	v_mul_i32_i24_e32 v10, v226, v232
	;; [unrolled: 1-line block ×3, first 2 shown]
	s_clause 0x1
	scratch_store_b32 off, v2, off offset:228
	scratch_store_b32 off, v0, off offset:232
	v_bfe_i32 v0, v15, 16, 8
	v_mul_i32_i24_e32 v2, v223, v227
	s_delay_alu instid0(VALU_DEP_2) | instskip(NEXT) | instid1(VALU_DEP_1)
	v_mad_i32_i24 v1, v196, v0, v1
	v_add3_u32 v2, v1, v2, v3
	v_ashrrev_i32_e32 v1, 24, v15
	v_mul_i32_i24_e32 v3, v244, v238
	s_delay_alu instid0(VALU_DEP_1) | instskip(NEXT) | instid1(VALU_DEP_1)
	v_mad_i32_i24 v3, v197, v1, v3
	v_add3_u32 v3, v3, v10, v11
	v_mul_i32_i24_e32 v10, v248, v237
	v_mul_i32_i24_e32 v11, v231, v228
	s_delay_alu instid0(VALU_DEP_2) | instskip(NEXT) | instid1(VALU_DEP_1)
	v_mad_i32_i24 v10, v198, v31, v10
	v_add3_u32 v10, v10, v11, v12
	v_mul_i32_i24_e32 v11, v205, v212
	v_mul_i32_i24_e32 v12, v199, v203
	s_delay_alu instid0(VALU_DEP_1) | instskip(SKIP_3) | instid1(VALU_DEP_2)
	v_add3_u32 v33, v3, v11, v12
	v_mul_i32_i24_e32 v3, v206, v207
	v_mul_i32_i24_e32 v11, v200, v201
	v_add_nc_u32_e32 v12, 0x1088, v163
	v_add3_u32 v35, v2, v3, v11
	v_mul_i32_i24_e32 v2, v211, v208
	v_mul_i32_i24_e32 v3, v202, v204
	s_delay_alu instid0(VALU_DEP_1) | instskip(SKIP_2) | instid1(VALU_DEP_2)
	v_add3_u32 v34, v10, v2, v3
	v_lshrrev_b16 v2, 8, v15
	v_add_nc_u32_e32 v10, 0x2100, v163
	v_bfe_i32 v32, v2, 0, 8
	v_add_nc_u32_e32 v2, 0x2108, v163
	ds_load_2addr_b32 v[54:55], v10 offset1:1
	ds_load_2addr_b32 v[10:11], v2 offset1:1
	;; [unrolled: 1-line block ×3, first 2 shown]
	s_wait_dscnt 0x2
	v_and_b32_e32 v221, 15, v54
	v_bfe_u32 v222, v54, 8, 4
	v_bfe_u32 v217, v54, 16, 4
	;; [unrolled: 1-line block ×3, first 2 shown]
	s_wait_dscnt 0x0
	v_bfe_u32 v143, v56, 16, 4
	v_mul_i32_i24_e32 v2, v31, v221
	v_and_b32_e32 v83, 15, v56
	v_mul_i32_i24_e32 v3, v0, v217
	v_mul_i32_i24_e32 v12, v1, v218
	v_bfe_u32 v127, v56, 24, 4
	v_mad_i32_i24 v2, v32, v222, v2
	v_bfe_u32 v42, v54, 12, 4
	v_bfe_u32 v43, v54, 4, 4
	;; [unrolled: 1-line block ×3, first 2 shown]
	v_lshrrev_b32_e32 v86, 28, v54
	v_add3_u32 v36, v2, v3, v12
	v_add_nc_u32_e32 v2, 0x3180, v163
	v_add_nc_u32_e32 v3, 0x414, v158
	;; [unrolled: 1-line block ×3, first 2 shown]
	ds_load_2addr_b32 v[58:59], v2 offset1:1
	ds_load_2addr_b32 v[64:65], v3 offset1:1
	;; [unrolled: 1-line block ×3, first 2 shown]
	v_bfe_u32 v251, v57, 24, 4
	v_bfe_u32 v135, v56, 4, 4
	v_and_b32_e32 v239, 15, v57
	v_bfe_u32 v142, v56, 20, 4
	v_bfe_u32 v240, v57, 16, 4
	;; [unrolled: 1-line block ×5, first 2 shown]
	v_lshrrev_b32_e32 v245, 28, v57
	v_and_b32_e32 v186, 15, v55
	v_bfe_u32 v187, v55, 16, 4
	s_wait_dscnt 0x2
	v_and_b32_e32 v224, 15, v58
	v_bfe_u32 v225, v58, 8, 4
	v_bfe_u32 v219, v58, 16, 4
	;; [unrolled: 1-line block ×3, first 2 shown]
	s_wait_dscnt 0x1
	v_bfe_i32 v149, v64, 16, 8
	v_mul_i32_i24_e32 v2, v31, v224
	v_bfe_i32 v78, v64, 0, 8
	v_mul_i32_i24_e32 v3, v0, v219
	v_mul_i32_i24_e32 v14, v1, v220
	v_ashrrev_i32_e32 v79, 24, v64
	v_mad_i32_i24 v2, v32, v225, v2
	v_bfe_u32 v45, v58, 12, 4
	v_bfe_u32 v46, v58, 4, 4
	v_bfe_u32 v90, v58, 20, 4
	v_lshrrev_b32_e32 v91, 28, v58
	v_add3_u32 v37, v2, v3, v14
	v_add_nc_u32_e32 v2, 0x1080, v163
	v_add_nc_u32_e32 v3, 0x404, v158
	ds_load_2addr_b32 v[68:69], v2 offset1:1
	ds_load_2addr_b32 v[70:71], v3 offset1:1
	ds_load_2addr_b32 v[60:61], v38 offset0:4 offset1:7
	ds_load_2addr_b32 v[23:24], v102 offset0:4 offset1:7
	v_bfe_i32 v58, v5, 16, 8
	ds_load_2addr_b32 v[62:63], v38 offset1:3
	v_bfe_i32 v128, v65, 16, 8
	v_bfe_u32 v168, v59, 8, 4
	v_bfe_u32 v169, v59, 24, 4
	v_and_b32_e32 v191, 15, v59
	v_bfe_u32 v192, v59, 16, 4
	v_add_nc_u32_e32 v163, 16, v163
	s_wait_dscnt 0x4
	v_bfe_u32 v150, v69, 16, 4
	s_wait_dscnt 0x3
	v_bfe_i32 v2, v70, 16, 8
	v_bfe_u32 v66, v68, 20, 4
	s_wait_dscnt 0x2
	v_bfe_i32 v72, v60, 16, 8
	v_bfe_u32 v131, v69, 20, 4
	v_bfe_i32 v129, v71, 16, 8
	v_mul_i32_i24_e32 v3, v2, v150
	v_and_b32_e32 v151, 15, v69
	v_bfe_u32 v73, v68, 4, 4
	v_mul_i32_i24_e32 v14, v149, v131
	v_mul_i32_i24_e32 v15, v129, v143
	v_mad_i32_i24 v3, v72, v66, v3
	v_bfe_i32 v74, v60, 0, 8
	v_bfe_u32 v134, v69, 4, 4
	v_bfe_i32 v130, v71, 0, 8
	v_bfe_u32 v77, v69, 24, 4
	v_add3_u32 v39, v3, v14, v15
	v_bfe_i32 v3, v70, 0, 8
	v_mul_i32_i24_e32 v15, v78, v134
	v_mul_i32_i24_e32 v17, v130, v83
	v_ashrrev_i32_e32 v80, 24, v70
	v_lshrrev_b32_e32 v67, 28, v68
	v_mul_i32_i24_e32 v14, v3, v151
	v_ashrrev_i32_e32 v81, 24, v60
	v_lshrrev_b32_e32 v132, 28, v69
	v_ashrrev_i32_e32 v133, 24, v71
	s_wait_dscnt 0x1
	v_bfe_i32 v109, v23, 8, 8
	v_mad_i32_i24 v14, v74, v73, v14
	v_bfe_i32 v110, v23, 0, 8
	v_bfe_i32 v113, v23, 16, 8
	v_ashrrev_i32_e32 v115, 24, v23
	s_wait_dscnt 0x0
	v_ashrrev_i32_e32 v87, 24, v63
	v_add3_u32 v40, v14, v15, v17
	v_mul_i32_i24_e32 v14, v80, v77
	v_mul_i32_i24_e32 v15, v79, v132
	;; [unrolled: 1-line block ×3, first 2 shown]
	v_bfe_i32 v141, v63, 16, 8
	v_bfe_i32 v252, v61, 16, 8
	v_mad_i32_i24 v14, v81, v67, v14
	v_bfe_i32 v242, v62, 0, 8
	s_delay_alu instid0(VALU_DEP_2)
	v_add3_u32 v41, v14, v15, v17
	v_add_nc_u32_e32 v14, 0x800, v158
	ds_load_2addr_b32 v[14:15], v14 offset0:4 offset1:7
	s_wait_dscnt 0x0
	v_bfe_i32 v82, v14, 8, 8
	v_bfe_i32 v85, v14, 0, 8
	v_bfe_i32 v88, v14, 16, 8
	v_ashrrev_i32_e32 v89, 24, v14
	s_delay_alu instid0(VALU_DEP_4) | instskip(NEXT) | instid1(VALU_DEP_3)
	v_mul_i32_i24_e32 v17, v82, v42
	v_mul_i32_i24_e32 v14, v88, v84
	s_delay_alu instid0(VALU_DEP_3) | instskip(NEXT) | instid1(VALU_DEP_3)
	v_mul_i32_i24_e32 v18, v89, v86
	v_mad_i32_i24 v17, v85, v43, v17
	s_delay_alu instid0(VALU_DEP_1) | instskip(SKIP_3) | instid1(VALU_DEP_3)
	v_add3_u32 v44, v17, v14, v18
	v_mul_i32_i24_e32 v14, v82, v45
	v_mul_i32_i24_e32 v17, v88, v90
	v_mul_i32_i24_e32 v18, v89, v91
	v_mad_i32_i24 v14, v85, v46, v14
	s_delay_alu instid0(VALU_DEP_1)
	v_add3_u32 v47, v14, v17, v18
	v_add_nc_u32_e32 v14, 0xc00, v158
	ds_load_2addr_b32 v[17:18], v14 offset0:4 offset1:7
	s_wait_dscnt 0x0
	v_bfe_i32 v92, v17, 8, 8
	v_bfe_i32 v93, v17, 0, 8
	v_bfe_i32 v94, v17, 16, 8
	v_ashrrev_i32_e32 v95, 24, v17
	s_delay_alu instid0(VALU_DEP_4) | instskip(NEXT) | instid1(VALU_DEP_3)
	v_mul_i32_i24_e32 v14, v92, v42
	v_mul_i32_i24_e32 v17, v94, v84
	s_delay_alu instid0(VALU_DEP_3) | instskip(NEXT) | instid1(VALU_DEP_3)
	v_mul_i32_i24_e32 v19, v95, v86
	v_mad_i32_i24 v14, v93, v43, v14
	s_delay_alu instid0(VALU_DEP_1) | instskip(SKIP_3) | instid1(VALU_DEP_3)
	v_add3_u32 v48, v14, v17, v19
	v_mul_i32_i24_e32 v14, v92, v45
	v_mul_i32_i24_e32 v17, v94, v90
	v_mul_i32_i24_e32 v19, v95, v91
	v_mad_i32_i24 v14, v93, v46, v14
	s_delay_alu instid0(VALU_DEP_1)
	;; [unrolled: 21-line block ×3, first 2 shown]
	v_add3_u32 v101, v14, v19, v21
	v_add_nc_u32_e32 v14, 0x1400, v158
	ds_load_2addr_b32 v[21:22], v14 offset0:4 offset1:7
	s_wait_dscnt 0x0
	v_bfe_i32 v103, v21, 8, 8
	v_bfe_i32 v104, v21, 0, 8
	;; [unrolled: 1-line block ×3, first 2 shown]
	v_ashrrev_i32_e32 v106, 24, v21
	s_delay_alu instid0(VALU_DEP_4) | instskip(NEXT) | instid1(VALU_DEP_3)
	v_mul_i32_i24_e32 v14, v103, v42
	v_mul_i32_i24_e32 v19, v105, v84
	s_delay_alu instid0(VALU_DEP_3) | instskip(NEXT) | instid1(VALU_DEP_3)
	v_mul_i32_i24_e32 v21, v106, v86
	v_mad_i32_i24 v14, v104, v43, v14
	s_delay_alu instid0(VALU_DEP_1) | instskip(SKIP_3) | instid1(VALU_DEP_3)
	v_add3_u32 v107, v14, v19, v21
	v_mul_i32_i24_e32 v14, v103, v45
	v_mul_i32_i24_e32 v19, v105, v90
	v_mul_i32_i24_e32 v21, v106, v91
	v_mad_i32_i24 v14, v104, v46, v14
	s_delay_alu instid0(VALU_DEP_1) | instskip(SKIP_3) | instid1(VALU_DEP_3)
	v_add3_u32 v108, v14, v19, v21
	v_mul_i32_i24_e32 v14, v109, v42
	v_mul_i32_i24_e32 v19, v113, v84
	v_mul_i32_i24_e32 v21, v115, v86
	v_mad_i32_i24 v14, v110, v43, v14
	s_delay_alu instid0(VALU_DEP_1) | instskip(SKIP_3) | instid1(VALU_DEP_3)
	v_add3_u32 v111, v14, v19, v21
	v_mul_i32_i24_e32 v14, v109, v45
	v_mul_i32_i24_e32 v19, v113, v90
	v_mul_i32_i24_e32 v21, v115, v91
	v_mad_i32_i24 v14, v110, v46, v14
	s_delay_alu instid0(VALU_DEP_1)
	v_add3_u32 v112, v14, v19, v21
	v_add_nc_u32_e32 v14, 0x1c00, v158
	ds_load_2addr_b32 v[25:26], v14 offset0:4 offset1:7
	s_wait_dscnt 0x0
	v_bfe_i32 v114, v25, 8, 8
	v_bfe_i32 v116, v25, 0, 8
	;; [unrolled: 1-line block ×3, first 2 shown]
	v_ashrrev_i32_e32 v118, 24, v25
	s_delay_alu instid0(VALU_DEP_4) | instskip(NEXT) | instid1(VALU_DEP_3)
	v_mul_i32_i24_e32 v14, v114, v42
	v_mul_i32_i24_e32 v19, v117, v84
	s_delay_alu instid0(VALU_DEP_3) | instskip(NEXT) | instid1(VALU_DEP_3)
	v_mul_i32_i24_e32 v21, v118, v86
	v_mad_i32_i24 v14, v116, v43, v14
	s_delay_alu instid0(VALU_DEP_1) | instskip(SKIP_3) | instid1(VALU_DEP_3)
	v_add3_u32 v119, v14, v19, v21
	v_mul_i32_i24_e32 v14, v114, v45
	v_mul_i32_i24_e32 v19, v117, v90
	;; [unrolled: 1-line block ×3, first 2 shown]
	v_mad_i32_i24 v14, v116, v46, v14
	s_delay_alu instid0(VALU_DEP_1) | instskip(SKIP_4) | instid1(VALU_DEP_4)
	v_add3_u32 v120, v14, v19, v21
	v_lshrrev_b32_e32 v19, 4, v27
	v_and_b32_e32 v14, 0xf0f0f0f, v27
	v_and_b32_e32 v21, 15, v68
	v_mul_i32_i24_e32 v27, v87, v251
	v_lshrrev_b16 v19, 8, v19
	s_delay_alu instid0(VALU_DEP_4) | instskip(NEXT) | instid1(VALU_DEP_2)
	v_lshrrev_b16 v14, 8, v14
	v_and_b32_e32 v19, 15, v19
	s_delay_alu instid0(VALU_DEP_2) | instskip(SKIP_1) | instid1(VALU_DEP_3)
	v_and_b32_e32 v25, 0xffff, v14
	v_mul_i32_i24_e32 v14, v255, v122
	v_and_b32_e32 v123, 0xffff, v19
	s_delay_alu instid0(VALU_DEP_3) | instskip(NEXT) | instid1(VALU_DEP_2)
	v_mul_i32_i24_e32 v4, v25, v32
	v_mul_i32_i24_e32 v19, v123, v121
	s_delay_alu instid0(VALU_DEP_1) | instskip(SKIP_3) | instid1(VALU_DEP_2)
	v_add3_u32 v125, v4, v19, v14
	v_mul_i32_i24_e32 v4, v243, v249
	v_mul_i32_i24_e32 v14, v58, v230
	v_bfe_u32 v19, v68, 24, 4
	v_add3_u32 v75, v35, v4, v14
	v_mul_i32_i24_e32 v4, v246, v254
	v_mul_i32_i24_e32 v14, v229, v234
	s_delay_alu instid0(VALU_DEP_4) | instskip(NEXT) | instid1(VALU_DEP_2)
	v_mul_i32_i24_e32 v1, v19, v1
	v_add3_u32 v159, v33, v4, v14
	v_mul_i32_i24_e32 v4, v253, v250
	v_mul_i32_i24_e32 v14, v233, v235
	s_delay_alu instid0(VALU_DEP_1) | instskip(SKIP_2) | instid1(VALU_DEP_1)
	v_add3_u32 v76, v34, v4, v14
	v_mul_i32_i24_e32 v4, v237, v43
	v_mul_i32_i24_e32 v14, v121, v42
	v_add3_u32 v126, v36, v14, v4
	v_mul_i32_i24_e32 v4, v237, v46
	v_mul_i32_i24_e32 v14, v121, v45
	s_delay_alu instid0(VALU_DEP_1) | instskip(SKIP_3) | instid1(VALU_DEP_3)
	v_add3_u32 v139, v37, v14, v4
	v_and_b32_e32 v4, 0xf0f0f0f, v68
	v_mul_i32_i24_e32 v14, v21, v31
	v_add_nc_u32_e32 v37, 0x1814, v158
	v_lshrrev_b16 v4, 8, v4
	s_delay_alu instid0(VALU_DEP_1) | instskip(NEXT) | instid1(VALU_DEP_1)
	v_and_b32_e32 v23, 0xffff, v4
	v_mad_i32_i24 v4, v23, v32, v14
	v_bfe_u32 v14, v68, 16, 4
	v_mul_i32_i24_e32 v32, v81, v86
	s_delay_alu instid0(VALU_DEP_2) | instskip(NEXT) | instid1(VALU_DEP_1)
	v_mul_i32_i24_e32 v0, v14, v0
	v_add3_u32 v140, v4, v0, v1
	v_lshrrev_b32_e32 v1, 28, v56
	v_ashrrev_i32_e32 v4, 24, v65
	s_delay_alu instid0(VALU_DEP_1) | instskip(NEXT) | instid1(VALU_DEP_1)
	v_mul_i32_i24_e32 v0, v4, v1
	v_add3_u32 v145, v41, v0, v27
	v_bfe_i32 v27, v65, 0, 8
	v_bfe_i32 v0, v63, 0, 8
	;; [unrolled: 1-line block ×3, first 2 shown]
	s_delay_alu instid0(VALU_DEP_3) | instskip(NEXT) | instid1(VALU_DEP_3)
	v_mul_i32_i24_e32 v29, v27, v135
	v_mul_i32_i24_e32 v31, v0, v239
	s_delay_alu instid0(VALU_DEP_1) | instskip(SKIP_2) | instid1(VALU_DEP_1)
	v_add3_u32 v146, v40, v29, v31
	v_mul_i32_i24_e32 v29, v128, v142
	v_mul_i32_i24_e32 v31, v141, v240
	v_add3_u32 v144, v39, v29, v31
	v_lshrrev_b16 v29, 8, v60
	v_mul_i32_i24_e32 v31, v72, v84
	s_delay_alu instid0(VALU_DEP_2) | instskip(NEXT) | instid1(VALU_DEP_1)
	v_bfe_i32 v60, v29, 0, 8
	v_mul_i32_i24_e32 v29, v60, v42
	s_delay_alu instid0(VALU_DEP_1) | instskip(NEXT) | instid1(VALU_DEP_1)
	v_mad_i32_i24 v29, v74, v43, v29
	v_add3_u32 v147, v29, v31, v32
	v_mul_i32_i24_e32 v29, v60, v45
	v_mul_i32_i24_e32 v31, v72, v90
	;; [unrolled: 1-line block ×4, first 2 shown]
	s_delay_alu instid0(VALU_DEP_4) | instskip(NEXT) | instid1(VALU_DEP_1)
	v_mad_i32_i24 v29, v74, v46, v29
	v_add3_u32 v148, v29, v31, v32
	v_add_nc_u32_e32 v29, 0x804, v158
	v_add_nc_u32_e32 v32, 0xc14, v158
	v_add_nc_u32_e32 v31, 0x814, v158
	ds_load_2addr_b32 v[53:54], v29 offset1:1
	ds_load_2addr_b32 v[33:34], v32 offset1:1
	;; [unrolled: 1-line block ×3, first 2 shown]
	v_add_nc_u32_e32 v32, 0x1414, v158
	s_wait_dscnt 0x2
	v_bfe_i32 v166, v53, 8, 8
	v_ashrrev_i32_e32 v167, 24, v53
	v_bfe_i32 v188, v53, 0, 8
	v_bfe_i32 v189, v53, 16, 8
	s_delay_alu instid0(VALU_DEP_4) | instskip(NEXT) | instid1(VALU_DEP_4)
	v_mul_i32_i24_e32 v29, v166, v164
	v_mul_i32_i24_e32 v31, v167, v165
	s_delay_alu instid0(VALU_DEP_4) | instskip(NEXT) | instid1(VALU_DEP_2)
	v_mul_i32_i24_e32 v53, v188, v186
	v_add3_u32 v156, v44, v31, v29
	v_mul_i32_i24_e32 v29, v166, v168
	v_mul_i32_i24_e32 v31, v167, v169
	s_delay_alu instid0(VALU_DEP_1)
	v_add3_u32 v170, v47, v31, v29
	v_add_nc_u32_e32 v29, 0xc04, v158
	ds_load_2addr_b32 v[51:52], v29 offset1:1
	s_wait_dscnt 0x0
	v_bfe_i32 v171, v51, 8, 8
	v_ashrrev_i32_e32 v172, 24, v51
	s_delay_alu instid0(VALU_DEP_2) | instskip(NEXT) | instid1(VALU_DEP_2)
	v_mul_i32_i24_e32 v29, v171, v164
	v_mul_i32_i24_e32 v31, v172, v165
	s_delay_alu instid0(VALU_DEP_1) | instskip(SKIP_2) | instid1(VALU_DEP_1)
	v_add3_u32 v173, v48, v31, v29
	v_mul_i32_i24_e32 v29, v171, v168
	v_mul_i32_i24_e32 v31, v172, v169
	v_add3_u32 v174, v49, v31, v29
	v_add_nc_u32_e32 v29, 0x1004, v158
	v_add_nc_u32_e32 v31, 0x1014, v158
	ds_load_2addr_b32 v[49:50], v29 offset1:1
	ds_load_2addr_b32 v[35:36], v32 offset1:1
	;; [unrolled: 1-line block ×3, first 2 shown]
	s_wait_dscnt 0x2
	v_bfe_i32 v175, v49, 8, 8
	v_ashrrev_i32_e32 v176, 24, v49
	s_delay_alu instid0(VALU_DEP_2) | instskip(NEXT) | instid1(VALU_DEP_2)
	v_mul_i32_i24_e32 v29, v175, v164
	v_mul_i32_i24_e32 v31, v176, v165
	s_delay_alu instid0(VALU_DEP_1) | instskip(SKIP_2) | instid1(VALU_DEP_1)
	v_add3_u32 v100, v100, v31, v29
	v_mul_i32_i24_e32 v29, v175, v168
	v_mul_i32_i24_e32 v31, v176, v169
	v_add3_u32 v101, v101, v31, v29
	v_add_nc_u32_e32 v29, 0x1404, v158
	ds_load_2addr_b32 v[47:48], v29 offset1:1
	s_wait_dscnt 0x0
	v_bfe_i32 v177, v47, 8, 8
	v_ashrrev_i32_e32 v178, 24, v47
	s_delay_alu instid0(VALU_DEP_2) | instskip(NEXT) | instid1(VALU_DEP_2)
	v_mul_i32_i24_e32 v29, v177, v164
	v_mul_i32_i24_e32 v31, v178, v165
	s_delay_alu instid0(VALU_DEP_1) | instskip(SKIP_2) | instid1(VALU_DEP_1)
	v_add3_u32 v107, v107, v31, v29
	v_mul_i32_i24_e32 v29, v177, v168
	v_mul_i32_i24_e32 v31, v178, v169
	v_add3_u32 v108, v108, v31, v29
	v_add_nc_u32_e32 v29, 0x1804, v158
	v_add_nc_u32_e32 v31, 0x1c14, v158
	ds_load_2addr_b32 v[45:46], v29 offset1:1
	ds_load_2addr_b32 v[31:32], v31 offset1:1
	;; [unrolled: 1-line block ×3, first 2 shown]
	s_wait_dscnt 0x2
	v_bfe_i32 v179, v45, 8, 8
	v_ashrrev_i32_e32 v180, 24, v45
	s_delay_alu instid0(VALU_DEP_2) | instskip(NEXT) | instid1(VALU_DEP_2)
	v_mul_i32_i24_e32 v29, v179, v164
	v_mul_i32_i24_e32 v43, v180, v165
	s_delay_alu instid0(VALU_DEP_1) | instskip(SKIP_2) | instid1(VALU_DEP_1)
	v_add3_u32 v111, v111, v43, v29
	v_mul_i32_i24_e32 v29, v179, v168
	v_mul_i32_i24_e32 v43, v180, v169
	v_add3_u32 v112, v112, v43, v29
	v_add_nc_u32_e32 v29, 0x1c04, v158
	ds_load_2addr_b32 v[43:44], v29 offset1:1
	s_wait_dscnt 0x0
	v_bfe_i32 v181, v43, 8, 8
	v_ashrrev_i32_e32 v182, 24, v43
	s_delay_alu instid0(VALU_DEP_2) | instskip(NEXT) | instid1(VALU_DEP_2)
	v_mul_i32_i24_e32 v29, v181, v164
	v_mul_i32_i24_e32 v152, v182, v165
	s_delay_alu instid0(VALU_DEP_1) | instskip(SKIP_2) | instid1(VALU_DEP_1)
	v_add3_u32 v119, v119, v152, v29
	v_mul_i32_i24_e32 v29, v181, v168
	v_mul_i32_i24_e32 v152, v182, v169
	v_add3_u32 v120, v120, v152, v29
	v_lshrrev_b32_e32 v29, 4, v28
	v_bfe_i32 v28, v30, 8, 8
	v_and_b32_e32 v30, 0xf0f0f0f, v6
	v_lshrrev_b32_e32 v6, 4, v6
	s_delay_alu instid0(VALU_DEP_4) | instskip(NEXT) | instid1(VALU_DEP_3)
	v_lshrrev_b16 v29, 8, v29
	v_lshrrev_b16 v30, 8, v30
	s_delay_alu instid0(VALU_DEP_3) | instskip(NEXT) | instid1(VALU_DEP_3)
	v_lshrrev_b16 v6, 8, v6
	v_and_b32_e32 v152, 15, v29
	s_delay_alu instid0(VALU_DEP_3) | instskip(NEXT) | instid1(VALU_DEP_3)
	v_and_b32_e32 v29, 0xffff, v30
	v_and_b32_e32 v6, 15, v6
	s_delay_alu instid0(VALU_DEP_3) | instskip(SKIP_1) | instid1(VALU_DEP_4)
	v_and_b32_e32 v30, 0xffff, v152
	v_bfe_i32 v152, v8, 8, 8
	v_mul_i32_i24_e32 v8, v28, v29
	s_delay_alu instid0(VALU_DEP_2) | instskip(NEXT) | instid1(VALU_DEP_1)
	v_mul_i32_i24_e32 v153, v152, v30
	v_add3_u32 v183, v125, v153, v8
	v_mul_i32_i24_e32 v8, v236, v84
	v_mul_i32_i24_e32 v84, v238, v86
	v_bfe_i32 v153, v64, 8, 8
	v_mul_i32_i24_e32 v125, v241, v88
	s_delay_alu instid0(VALU_DEP_3) | instskip(SKIP_3) | instid1(VALU_DEP_2)
	v_add3_u32 v86, v126, v8, v84
	v_mul_i32_i24_e32 v8, v236, v90
	v_mul_i32_i24_e32 v84, v238, v91
	;; [unrolled: 1-line block ×3, first 2 shown]
	v_add3_u32 v90, v139, v8, v84
	v_lshrrev_b32_e32 v8, 4, v68
	v_mul_i32_i24_e32 v68, v73, v237
	v_ashrrev_i32_e32 v237, 24, v62
	v_ashrrev_i32_e32 v139, 24, v61
	s_delay_alu instid0(VALU_DEP_4) | instskip(NEXT) | instid1(VALU_DEP_1)
	v_lshrrev_b16 v8, 8, v8
	v_and_b32_e32 v8, 15, v8
	s_delay_alu instid0(VALU_DEP_1) | instskip(NEXT) | instid1(VALU_DEP_1)
	v_and_b32_e32 v91, 0xffff, v8
	v_mul_i32_i24_e32 v8, v91, v121
	v_mul_i32_i24_e32 v121, v80, v169
	s_delay_alu instid0(VALU_DEP_2) | instskip(SKIP_3) | instid1(VALU_DEP_3)
	v_add3_u32 v68, v140, v8, v68
	v_mul_i32_i24_e32 v8, v60, v123
	v_mul_i32_i24_e32 v60, v60, v91
	v_bfe_i32 v140, v45, 0, 8
	v_mad_i32_i24 v8, v74, v248, v8
	v_mul_i32_i24_e32 v74, v81, v244
	s_delay_alu instid0(VALU_DEP_1) | instskip(SKIP_2) | instid1(VALU_DEP_2)
	v_add3_u32 v72, v8, v72, v74
	v_lshrrev_b32_e32 v8, 4, v69
	v_and_b32_e32 v69, 0xf0f0f0f, v69
	v_lshrrev_b16 v8, 8, v8
	s_delay_alu instid0(VALU_DEP_2) | instskip(NEXT) | instid1(VALU_DEP_2)
	v_lshrrev_b16 v69, 8, v69
	v_and_b32_e32 v8, 15, v8
	s_delay_alu instid0(VALU_DEP_2) | instskip(SKIP_1) | instid1(VALU_DEP_3)
	v_and_b32_e32 v81, 0xffff, v69
	v_bfe_i32 v69, v70, 8, 8
	v_and_b32_e32 v8, 0xffff, v8
	s_delay_alu instid0(VALU_DEP_2) | instskip(NEXT) | instid1(VALU_DEP_2)
	v_mul_i32_i24_e32 v64, v69, v81
	v_mul_i32_i24_e32 v70, v153, v8
	s_delay_alu instid0(VALU_DEP_1) | instskip(SKIP_2) | instid1(VALU_DEP_2)
	v_add3_u32 v70, v60, v64, v70
	v_bfe_i32 v60, v62, 16, 8
	v_bfe_u32 v64, v57, 20, 4
	v_mul_i32_i24_e32 v74, v60, v14
	s_delay_alu instid0(VALU_DEP_2) | instskip(NEXT) | instid1(VALU_DEP_1)
	v_mul_i32_i24_e32 v84, v252, v64
	v_add3_u32 v154, v144, v84, v74
	v_bfe_i32 v144, v61, 0, 8
	v_mul_i32_i24_e32 v74, v242, v21
	s_delay_alu instid0(VALU_DEP_2) | instskip(NEXT) | instid1(VALU_DEP_1)
	v_mul_i32_i24_e32 v84, v144, v247
	v_add3_u32 v155, v146, v84, v74
	v_mul_i32_i24_e32 v74, v237, v19
	v_mul_i32_i24_e32 v84, v139, v245
	v_bfe_i32 v146, v51, 0, 8
	s_delay_alu instid0(VALU_DEP_2) | instskip(SKIP_3) | instid1(VALU_DEP_2)
	v_add3_u32 v184, v145, v84, v74
	v_mul_i32_i24_e32 v74, v69, v164
	v_mul_i32_i24_e32 v84, v80, v165
	v_bfe_i32 v145, v49, 16, 8
	v_add3_u32 v74, v147, v84, v74
	v_mul_i32_i24_e32 v84, v69, v168
	v_bfe_i32 v147, v51, 16, 8
	v_mul_i32_i24_e32 v51, v146, v186
	s_delay_alu instid0(VALU_DEP_3) | instskip(SKIP_2) | instid1(VALU_DEP_2)
	v_add3_u32 v121, v148, v121, v84
	v_mul_i32_i24_e32 v84, v123, v82
	v_bfe_i32 v148, v43, 0, 8
	v_mad_i32_i24 v84, v248, v85, v84
	s_delay_alu instid0(VALU_DEP_1) | instskip(SKIP_3) | instid1(VALU_DEP_3)
	v_add3_u32 v185, v84, v125, v126
	v_mul_i32_i24_e32 v84, v189, v187
	v_mul_i32_i24_e32 v125, v244, v95
	v_bfe_i32 v126, v49, 0, 8
	v_add3_u32 v190, v156, v53, v84
	v_mul_i32_i24_e32 v53, v188, v191
	v_mul_i32_i24_e32 v84, v189, v192
	s_delay_alu instid0(VALU_DEP_4) | instskip(SKIP_2) | instid1(VALU_DEP_4)
	v_mul_i32_i24_e32 v49, v126, v186
	v_bfe_i32 v156, v45, 16, 8
	v_mul_i32_i24_e32 v45, v140, v186
	v_add3_u32 v170, v170, v53, v84
	v_mul_i32_i24_e32 v53, v123, v92
	v_mul_i32_i24_e32 v84, v241, v94
	s_delay_alu instid0(VALU_DEP_2) | instskip(NEXT) | instid1(VALU_DEP_1)
	v_mad_i32_i24 v53, v248, v93, v53
	v_add3_u32 v193, v53, v84, v125
	v_mul_i32_i24_e32 v53, v147, v187
	v_mul_i32_i24_e32 v84, v244, v99
	v_bfe_i32 v125, v47, 16, 8
	v_mul_i32_i24_e32 v99, v67, v99
	s_delay_alu instid0(VALU_DEP_4) | instskip(SKIP_2) | instid1(VALU_DEP_1)
	v_add3_u32 v173, v173, v51, v53
	v_mul_i32_i24_e32 v51, v146, v191
	v_mul_i32_i24_e32 v53, v147, v192
	v_add3_u32 v174, v174, v51, v53
	v_mul_i32_i24_e32 v51, v123, v96
	v_mul_i32_i24_e32 v53, v241, v98
	;; [unrolled: 1-line block ×3, first 2 shown]
	s_delay_alu instid0(VALU_DEP_3) | instskip(NEXT) | instid1(VALU_DEP_1)
	v_mad_i32_i24 v51, v248, v97, v51
	v_add3_u32 v194, v51, v53, v84
	v_mul_i32_i24_e32 v51, v145, v187
	v_mul_i32_i24_e32 v53, v145, v192
	;; [unrolled: 1-line block ×3, first 2 shown]
	s_delay_alu instid0(VALU_DEP_3) | instskip(SKIP_2) | instid1(VALU_DEP_2)
	v_add3_u32 v49, v100, v49, v51
	v_mul_i32_i24_e32 v51, v126, v191
	v_mul_i32_i24_e32 v100, v244, v115
	v_add3_u32 v101, v101, v51, v53
	v_mul_i32_i24_e32 v51, v123, v103
	v_mul_i32_i24_e32 v53, v241, v105
	s_delay_alu instid0(VALU_DEP_2) | instskip(NEXT) | instid1(VALU_DEP_1)
	v_mad_i32_i24 v51, v248, v104, v51
	v_add3_u32 v195, v51, v53, v84
	v_bfe_i32 v84, v47, 0, 8
	v_mul_i32_i24_e32 v51, v125, v187
	v_mul_i32_i24_e32 v53, v125, v192
	s_delay_alu instid0(VALU_DEP_3) | instskip(NEXT) | instid1(VALU_DEP_1)
	v_mul_i32_i24_e32 v47, v84, v186
	v_add3_u32 v47, v107, v47, v51
	v_mul_i32_i24_e32 v51, v84, v191
	s_delay_alu instid0(VALU_DEP_1) | instskip(SKIP_2) | instid1(VALU_DEP_2)
	v_add3_u32 v107, v108, v51, v53
	v_mul_i32_i24_e32 v51, v123, v109
	v_mul_i32_i24_e32 v53, v241, v113
	v_mad_i32_i24 v51, v248, v110, v51
	s_delay_alu instid0(VALU_DEP_1)
	v_add3_u32 v108, v51, v53, v100
	v_mul_i32_i24_e32 v51, v156, v187
	v_mul_i32_i24_e32 v53, v156, v192
	;; [unrolled: 1-line block ×3, first 2 shown]
	v_bfe_i32 v244, v9, 8, 8
	v_and_b32_e32 v9, 0xf0f0f0f, v7
	v_add3_u32 v45, v111, v45, v51
	v_mul_i32_i24_e32 v51, v140, v191
	v_ashrrev_i32_e32 v111, 24, v41
	v_lshrrev_b32_e32 v7, 4, v7
	v_lshrrev_b16 v9, 8, v9
	s_delay_alu instid0(VALU_DEP_4) | instskip(SKIP_4) | instid1(VALU_DEP_4)
	v_add3_u32 v160, v112, v51, v53
	v_mul_i32_i24_e32 v51, v123, v114
	v_mul_i32_i24_e32 v53, v241, v117
	v_and_b32_e32 v241, 0xffff, v6
	v_lshrrev_b32_e32 v112, 28, v55
	v_mad_i32_i24 v51, v248, v116, v51
	v_bfe_i32 v248, v43, 16, 8
	v_mul_i32_i24_e32 v43, v148, v186
	s_delay_alu instid0(VALU_DEP_3)
	v_add3_u32 v123, v51, v53, v100
	v_mul_i32_i24_e32 v51, v91, v82
	v_mul_i32_i24_e32 v53, v91, v92
	v_mul_i32_i24_e32 v82, v91, v96
	v_mul_i32_i24_e32 v92, v91, v103
	v_mul_i32_i24_e32 v96, v91, v109
	v_mad_i32_i24 v85, v73, v85, v51
	v_mul_i32_i24_e32 v51, v248, v187
	v_mul_i32_i24_e32 v91, v91, v114
	v_mad_i32_i24 v93, v73, v93, v53
	v_mul_i32_i24_e32 v53, v248, v192
	v_mad_i32_i24 v82, v73, v97, v82
	v_add3_u32 v43, v119, v43, v51
	v_mul_i32_i24_e32 v51, v148, v191
	v_mad_i32_i24 v92, v73, v104, v92
	v_mad_i32_i24 v96, v73, v110, v96
	;; [unrolled: 1-line block ×3, first 2 shown]
	v_bfe_i32 v110, v41, 0, 8
	v_add3_u32 v91, v120, v51, v53
	v_bfe_i32 v51, v16, 8, 8
	v_and_b32_e32 v53, 0xffff, v9
	v_mul_i32_i24_e32 v9, v244, v241
	v_and_b32_e32 v16, 0xf0f0f0f, v56
	v_lshrrev_b32_e32 v114, 28, v59
	v_mul_i32_i24_e32 v103, v175, v122
	v_mul_i32_i24_e32 v6, v51, v53
	v_add3_u32 v82, v82, v98, v99
	v_lshrrev_b16 v16, 8, v16
	v_mul_i32_i24_e32 v97, v111, v114
	v_bfe_i32 v98, v39, 0, 8
	v_add3_u32 v104, v183, v9, v6
	v_mul_i32_i24_e32 v6, v255, v164
	v_mul_i32_i24_e32 v9, v231, v186
	v_bfe_u32 v116, v59, 20, 4
	s_delay_alu instid0(VALU_DEP_2) | instskip(SKIP_2) | instid1(VALU_DEP_1)
	v_add3_u32 v86, v86, v6, v9
	v_mul_i32_i24_e32 v6, v255, v168
	v_mul_i32_i24_e32 v9, v231, v191
	v_add3_u32 v90, v90, v6, v9
	v_mul_i32_i24_e32 v6, v66, v236
	v_mul_i32_i24_e32 v9, v67, v238
	v_ashrrev_i32_e32 v236, 24, v37
	v_ashrrev_i32_e32 v238, 24, v31
	s_delay_alu instid0(VALU_DEP_3) | instskip(SKIP_4) | instid1(VALU_DEP_3)
	v_add3_u32 v68, v68, v6, v9
	v_mul_i32_i24_e32 v6, v80, v232
	v_mul_i32_i24_e32 v9, v69, v122
	;; [unrolled: 1-line block ×3, first 2 shown]
	v_bfe_u32 v89, v59, 4, 4
	v_add3_u32 v69, v72, v6, v9
	v_lshrrev_b32_e32 v6, 4, v56
	v_bfe_i32 v9, v71, 8, 8
	v_mul_i32_i24_e32 v72, v2, v192
	s_delay_alu instid0(VALU_DEP_3) | instskip(NEXT) | instid1(VALU_DEP_1)
	v_lshrrev_b16 v6, 8, v6
	v_and_b32_e32 v56, 15, v6
	v_and_b32_e32 v6, 0xffff, v16
	s_delay_alu instid0(VALU_DEP_2) | instskip(NEXT) | instid1(VALU_DEP_2)
	v_and_b32_e32 v56, 0xffff, v56
	v_mul_i32_i24_e32 v16, v9, v6
	s_delay_alu instid0(VALU_DEP_2) | instskip(NEXT) | instid1(VALU_DEP_1)
	v_mul_i32_i24_e32 v71, v65, v56
	v_add3_u32 v70, v70, v16, v71
	v_mul_i32_i24_e32 v16, v3, v186
	v_mul_i32_i24_e32 v71, v2, v187
	;; [unrolled: 1-line block ×3, first 2 shown]
	s_delay_alu instid0(VALU_DEP_2) | instskip(SKIP_3) | instid1(VALU_DEP_3)
	v_add3_u32 v71, v74, v16, v71
	v_mul_i32_i24_e32 v16, v3, v191
	v_mul_i32_i24_e32 v74, v166, v122
	;; [unrolled: 1-line block ×3, first 2 shown]
	v_add3_u32 v72, v121, v16, v72
	v_mul_i32_i24_e32 v16, v167, v232
	s_delay_alu instid0(VALU_DEP_1) | instskip(SKIP_2) | instid1(VALU_DEP_2)
	v_add3_u32 v74, v185, v16, v74
	v_mul_i32_i24_e32 v16, v66, v88
	v_mul_i32_i24_e32 v88, v111, v112
	v_add3_u32 v80, v85, v16, v80
	v_bfe_u32 v85, v55, 4, 4
	s_delay_alu instid0(VALU_DEP_1) | instskip(SKIP_1) | instid1(VALU_DEP_2)
	v_mul_i32_i24_e32 v16, v110, v85
	v_mul_i32_i24_e32 v99, v98, v85
	v_add3_u32 v88, v190, v88, v16
	v_mul_i32_i24_e32 v16, v110, v89
	s_delay_alu instid0(VALU_DEP_1) | instskip(SKIP_2) | instid1(VALU_DEP_1)
	v_add3_u32 v109, v170, v97, v16
	v_mul_i32_i24_e32 v16, v172, v232
	v_mul_i32_i24_e32 v97, v171, v122
	v_add3_u32 v119, v193, v16, v97
	v_mul_i32_i24_e32 v16, v66, v94
	v_mul_i32_i24_e32 v94, v67, v95
	v_ashrrev_i32_e32 v97, 24, v33
	s_delay_alu instid0(VALU_DEP_2) | instskip(SKIP_1) | instid1(VALU_DEP_3)
	v_add3_u32 v93, v93, v16, v94
	v_bfe_i32 v16, v33, 0, 8
	v_mul_i32_i24_e32 v95, v97, v112
	v_mul_i32_i24_e32 v100, v97, v114
	s_delay_alu instid0(VALU_DEP_3) | instskip(NEXT) | instid1(VALU_DEP_1)
	v_mul_i32_i24_e32 v94, v16, v85
	v_add3_u32 v94, v173, v95, v94
	v_mul_i32_i24_e32 v95, v16, v89
	s_delay_alu instid0(VALU_DEP_1) | instskip(SKIP_1) | instid1(VALU_DEP_1)
	v_add3_u32 v95, v174, v100, v95
	v_mul_i32_i24_e32 v100, v176, v232
	v_add3_u32 v120, v194, v100, v103
	v_ashrrev_i32_e32 v100, 24, v39
	s_delay_alu instid0(VALU_DEP_1) | instskip(NEXT) | instid1(VALU_DEP_1)
	v_mul_i32_i24_e32 v103, v100, v112
	v_add3_u32 v99, v49, v103, v99
	v_mul_i32_i24_e32 v49, v98, v89
	v_mul_i32_i24_e32 v103, v100, v114
	s_delay_alu instid0(VALU_DEP_1) | instskip(SKIP_3) | instid1(VALU_DEP_2)
	v_add3_u32 v121, v101, v103, v49
	v_mul_i32_i24_e32 v49, v178, v232
	v_mul_i32_i24_e32 v101, v177, v122
	v_ashrrev_i32_e32 v103, 24, v35
	v_add3_u32 v164, v195, v49, v101
	v_mul_i32_i24_e32 v49, v66, v105
	v_mul_i32_i24_e32 v101, v67, v106
	s_delay_alu instid0(VALU_DEP_4) | instskip(NEXT) | instid1(VALU_DEP_2)
	v_mul_i32_i24_e32 v105, v103, v112
	v_add3_u32 v92, v92, v49, v101
	v_bfe_i32 v101, v35, 0, 8
	s_delay_alu instid0(VALU_DEP_1) | instskip(NEXT) | instid1(VALU_DEP_1)
	v_mul_i32_i24_e32 v49, v101, v85
	v_add3_u32 v105, v47, v105, v49
	v_mul_i32_i24_e32 v47, v101, v89
	v_mul_i32_i24_e32 v49, v103, v114
	s_delay_alu instid0(VALU_DEP_1) | instskip(SKIP_3) | instid1(VALU_DEP_2)
	v_add3_u32 v106, v107, v49, v47
	v_mul_i32_i24_e32 v47, v180, v232
	v_mul_i32_i24_e32 v49, v179, v122
	v_bfe_i32 v107, v37, 0, 8
	v_add3_u32 v168, v108, v47, v49
	v_mul_i32_i24_e32 v47, v66, v113
	v_mul_i32_i24_e32 v49, v67, v115
	v_bfe_u32 v115, v55, 20, 4
	v_bfe_i32 v113, v41, 16, 8
	s_delay_alu instid0(VALU_DEP_3) | instskip(SKIP_2) | instid1(VALU_DEP_1)
	v_add3_u32 v96, v96, v47, v49
	v_mul_i32_i24_e32 v47, v107, v85
	v_mul_i32_i24_e32 v49, v236, v112
	v_add3_u32 v170, v45, v49, v47
	v_mul_i32_i24_e32 v45, v107, v89
	v_mul_i32_i24_e32 v47, v236, v114
	v_bfe_i32 v49, v61, 8, 8
	v_bfe_i32 v61, v63, 8, 8
	;; [unrolled: 1-line block ×3, first 2 shown]
	s_delay_alu instid0(VALU_DEP_4) | instskip(SKIP_3) | instid1(VALU_DEP_2)
	v_add3_u32 v160, v160, v47, v45
	v_mul_i32_i24_e32 v45, v182, v232
	v_mul_i32_i24_e32 v47, v181, v122
	v_bfe_i32 v232, v31, 0, 8
	v_add3_u32 v122, v123, v45, v47
	v_mul_i32_i24_e32 v45, v66, v117
	v_mul_i32_i24_e32 v47, v67, v118
	s_delay_alu instid0(VALU_DEP_1) | instskip(SKIP_2) | instid1(VALU_DEP_1)
	v_add3_u32 v123, v73, v45, v47
	v_mul_i32_i24_e32 v45, v232, v85
	v_mul_i32_i24_e32 v47, v238, v112
	v_add3_u32 v173, v43, v47, v45
	v_bfe_i32 v47, v5, 8, 8
	v_lshrrev_b16 v5, 8, v7
	v_mul_i32_i24_e32 v7, v226, v165
	v_add3_u32 v165, v69, v3, v2
	v_lshrrev_b32_e32 v2, 4, v57
	v_mul_i32_i24_e32 v43, v232, v89
	v_mul_i32_i24_e32 v45, v238, v114
	v_and_b32_e32 v5, 15, v5
	v_and_b32_e32 v3, 0xf0f0f0f, v57
	v_lshrrev_b16 v2, 8, v2
	s_delay_alu instid0(VALU_DEP_4) | instskip(NEXT) | instid1(VALU_DEP_4)
	v_add3_u32 v91, v91, v45, v43
	v_and_b32_e32 v45, 0xffff, v5
	s_delay_alu instid0(VALU_DEP_4) | instskip(NEXT) | instid1(VALU_DEP_4)
	v_lshrrev_b16 v3, 8, v3
	v_and_b32_e32 v2, 15, v2
	s_delay_alu instid0(VALU_DEP_3) | instskip(NEXT) | instid1(VALU_DEP_3)
	v_mul_i32_i24_e32 v5, v47, v45
	v_and_b32_e32 v57, 0xffff, v3
	s_delay_alu instid0(VALU_DEP_3) | instskip(NEXT) | instid1(VALU_DEP_3)
	v_and_b32_e32 v43, 0xffff, v2
	v_add3_u32 v104, v104, v5, v159
	v_mul_i32_i24_e32 v5, v223, v187
	s_delay_alu instid0(VALU_DEP_4) | instskip(NEXT) | instid1(VALU_DEP_4)
	v_mul_i32_i24_e32 v2, v61, v57
	v_mul_i32_i24_e32 v3, v49, v43
	s_delay_alu instid0(VALU_DEP_3) | instskip(SKIP_1) | instid1(VALU_DEP_3)
	v_add3_u32 v86, v86, v5, v7
	v_mul_i32_i24_e32 v7, v226, v169
	v_add3_u32 v169, v70, v2, v3
	v_mul_i32_i24_e32 v2, v78, v85
	v_mul_i32_i24_e32 v3, v79, v112
	;; [unrolled: 1-line block ×4, first 2 shown]
	s_delay_alu instid0(VALU_DEP_3)
	v_add3_u32 v174, v71, v3, v2
	v_mul_i32_i24_e32 v2, v78, v89
	v_mul_i32_i24_e32 v3, v79, v114
	v_add3_u32 v90, v90, v5, v7
	v_mul_i32_i24_e32 v5, v231, v151
	v_mul_i32_i24_e32 v7, v255, v81
	v_bfe_i32 v231, v37, 16, 8
	v_add3_u32 v183, v72, v3, v2
	v_mul_i32_i24_e32 v2, v188, v228
	v_mul_i32_i24_e32 v3, v189, v227
	v_add3_u32 v159, v68, v7, v5
	v_mul_i32_i24_e32 v5, v147, v227
	v_mul_i32_i24_e32 v7, v171, v81
	s_delay_alu instid0(VALU_DEP_4) | instskip(SKIP_4) | instid1(VALU_DEP_3)
	v_add3_u32 v185, v74, v2, v3
	v_mul_i32_i24_e32 v2, v167, v77
	v_mul_i32_i24_e32 v3, v166, v81
	v_bfe_u32 v167, v59, 12, 4
	v_bfe_i32 v59, v39, 16, 8
	v_add3_u32 v166, v80, v2, v3
	v_bfe_u32 v80, v55, 12, 4
	v_bfe_i32 v55, v41, 8, 8
	v_mul_i32_i24_e32 v3, v113, v115
	v_bfe_i32 v41, v33, 16, 8
	s_delay_alu instid0(VALU_DEP_3) | instskip(NEXT) | instid1(VALU_DEP_1)
	v_mul_i32_i24_e32 v2, v55, v80
	v_add3_u32 v88, v88, v2, v3
	v_mul_i32_i24_e32 v2, v55, v167
	v_mul_i32_i24_e32 v3, v113, v116
	s_delay_alu instid0(VALU_DEP_1) | instskip(SKIP_1) | instid1(VALU_DEP_1)
	v_add3_u32 v2, v109, v2, v3
	v_mul_i32_i24_e32 v3, v146, v228
	v_add3_u32 v3, v119, v3, v5
	v_mul_i32_i24_e32 v5, v172, v77
	s_delay_alu instid0(VALU_DEP_1) | instskip(SKIP_2) | instid1(VALU_DEP_2)
	v_add3_u32 v66, v93, v5, v7
	v_bfe_i32 v5, v33, 8, 8
	v_mul_i32_i24_e32 v33, v41, v115
	v_mul_i32_i24_e32 v7, v5, v80
	s_delay_alu instid0(VALU_DEP_1) | instskip(SKIP_2) | instid1(VALU_DEP_1)
	v_add3_u32 v67, v94, v7, v33
	v_mul_i32_i24_e32 v7, v5, v167
	v_mul_i32_i24_e32 v33, v41, v116
	v_add3_u32 v68, v95, v7, v33
	v_mul_i32_i24_e32 v7, v126, v228
	v_mul_i32_i24_e32 v33, v145, v227
	s_delay_alu instid0(VALU_DEP_1) | instskip(SKIP_2) | instid1(VALU_DEP_1)
	v_add3_u32 v69, v120, v7, v33
	v_mul_i32_i24_e32 v7, v176, v77
	v_mul_i32_i24_e32 v33, v175, v81
	v_add3_u32 v70, v82, v7, v33
	v_bfe_i32 v7, v39, 8, 8
	v_mul_i32_i24_e32 v39, v59, v115
	v_mul_i32_i24_e32 v82, v111, v215
	s_delay_alu instid0(VALU_DEP_3) | instskip(NEXT) | instid1(VALU_DEP_1)
	v_mul_i32_i24_e32 v33, v7, v80
	v_add3_u32 v71, v99, v33, v39
	v_mul_i32_i24_e32 v33, v7, v167
	v_mul_i32_i24_e32 v39, v59, v116
	s_delay_alu instid0(VALU_DEP_1) | instskip(SKIP_3) | instid1(VALU_DEP_2)
	v_add3_u32 v72, v121, v33, v39
	v_mul_i32_i24_e32 v33, v84, v228
	v_mul_i32_i24_e32 v39, v125, v227
	;; [unrolled: 1-line block ×3, first 2 shown]
	v_add3_u32 v73, v164, v33, v39
	v_mul_i32_i24_e32 v33, v178, v77
	v_mul_i32_i24_e32 v39, v177, v81
	s_delay_alu instid0(VALU_DEP_1) | instskip(SKIP_2) | instid1(VALU_DEP_2)
	v_add3_u32 v74, v92, v33, v39
	v_bfe_i32 v39, v35, 8, 8
	v_mul_i32_i24_e32 v35, v63, v115
	v_mul_i32_i24_e32 v33, v39, v80
	s_delay_alu instid0(VALU_DEP_1) | instskip(SKIP_3) | instid1(VALU_DEP_2)
	v_add3_u32 v108, v105, v33, v35
	v_mul_i32_i24_e32 v33, v39, v167
	v_mul_i32_i24_e32 v35, v63, v116
	v_mul_i32_i24_e32 v105, v156, v150
	v_add3_u32 v109, v106, v33, v35
	v_mul_i32_i24_e32 v33, v140, v228
	v_mul_i32_i24_e32 v35, v156, v227
	v_bfe_i32 v106, v46, 8, 8
	s_delay_alu instid0(VALU_DEP_2) | instskip(SKIP_2) | instid1(VALU_DEP_1)
	v_add3_u32 v117, v168, v33, v35
	v_mul_i32_i24_e32 v33, v180, v77
	v_mul_i32_i24_e32 v35, v179, v81
	v_add3_u32 v118, v96, v33, v35
	v_bfe_i32 v35, v37, 8, 8
	v_mul_i32_i24_e32 v37, v231, v115
	s_delay_alu instid0(VALU_DEP_2) | instskip(NEXT) | instid1(VALU_DEP_1)
	v_mul_i32_i24_e32 v33, v35, v80
	v_add3_u32 v119, v170, v33, v37
	v_mul_i32_i24_e32 v33, v35, v167
	v_mul_i32_i24_e32 v37, v231, v116
	s_delay_alu instid0(VALU_DEP_1) | instskip(SKIP_4) | instid1(VALU_DEP_3)
	v_add3_u32 v120, v160, v33, v37
	v_mul_i32_i24_e32 v33, v148, v228
	v_mul_i32_i24_e32 v37, v248, v227
	v_bfe_i32 v227, v31, 16, 8
	v_bfe_u32 v228, v10, 8, 4
	v_add3_u32 v121, v122, v33, v37
	v_mul_i32_i24_e32 v33, v181, v81
	v_mul_i32_i24_e32 v37, v182, v77
	;; [unrolled: 1-line block ×3, first 2 shown]
	s_delay_alu instid0(VALU_DEP_2) | instskip(SKIP_2) | instid1(VALU_DEP_2)
	v_add3_u32 v122, v123, v37, v33
	v_bfe_i32 v37, v31, 8, 8
	v_mul_i32_i24_e32 v33, v227, v115
	v_mul_i32_i24_e32 v31, v37, v80
	s_delay_alu instid0(VALU_DEP_1) | instskip(SKIP_2) | instid1(VALU_DEP_1)
	v_add3_u32 v123, v173, v31, v33
	v_mul_i32_i24_e32 v31, v37, v167
	v_mul_i32_i24_e32 v33, v227, v116
	v_add3_u32 v255, v91, v31, v33
	v_add3_u32 v31, v76, v75, v104
	v_mul_i32_i24_e32 v33, v214, v85
	v_mul_i32_i24_e32 v75, v152, v80
	;; [unrolled: 1-line block ×5, first 2 shown]
	s_delay_alu instid0(VALU_DEP_4) | instskip(SKIP_1) | instid1(VALU_DEP_1)
	v_add3_u32 v75, v86, v33, v75
	v_mul_i32_i24_e32 v33, v214, v89
	v_add3_u32 v76, v90, v33, v76
	v_mul_i32_i24_e32 v33, v226, v77
	v_mul_i32_i24_e32 v77, v223, v150
	v_bfe_u32 v226, v10, 24, 4
	v_ashrrev_i32_e32 v223, 24, v54
	s_delay_alu instid0(VALU_DEP_3) | instskip(SKIP_2) | instid1(VALU_DEP_4)
	v_add3_u32 v77, v159, v77, v33
	v_mul_i32_i24_e32 v33, v78, v216
	v_mul_i32_i24_e32 v78, v79, v215
	;; [unrolled: 1-line block ×3, first 2 shown]
	s_delay_alu instid0(VALU_DEP_2) | instskip(SKIP_1) | instid1(VALU_DEP_1)
	v_add3_u32 v78, v165, v78, v33
	v_lshrrev_b16 v33, 8, v62
	v_bfe_i32 v33, v33, 0, 8
	s_delay_alu instid0(VALU_DEP_1) | instskip(NEXT) | instid1(VALU_DEP_1)
	v_mul_i32_i24_e32 v62, v33, v23
	v_add3_u32 v79, v169, v62, v184
	v_mul_i32_i24_e32 v62, v153, v80
	v_mul_i32_i24_e32 v80, v149, v115
	s_delay_alu instid0(VALU_DEP_1) | instskip(SKIP_1) | instid1(VALU_DEP_1)
	v_add3_u32 v80, v174, v62, v80
	v_mul_i32_i24_e32 v62, v153, v167
	v_add3_u32 v81, v183, v62, v81
	v_mul_i32_i24_e32 v62, v110, v216
	s_delay_alu instid0(VALU_DEP_1) | instskip(SKIP_1) | instid1(VALU_DEP_1)
	v_add3_u32 v82, v185, v82, v62
	v_mul_i32_i24_e32 v62, v188, v151
	v_add3_u32 v85, v166, v62, v85
	v_bfe_i32 v62, v54, 8, 8
	s_delay_alu instid0(VALU_DEP_1) | instskip(NEXT) | instid1(VALU_DEP_1)
	v_mul_i32_i24_e32 v86, v62, v228
	v_add3_u32 v86, v88, v89, v86
	v_bfe_u32 v88, v12, 8, 4
	v_bfe_u32 v89, v12, 24, 4
	s_delay_alu instid0(VALU_DEP_2) | instskip(NEXT) | instid1(VALU_DEP_2)
	v_mul_i32_i24_e32 v90, v62, v88
	v_mul_i32_i24_e32 v91, v223, v89
	s_delay_alu instid0(VALU_DEP_1) | instskip(SKIP_4) | instid1(VALU_DEP_3)
	v_add3_u32 v2, v2, v91, v90
	v_mul_i32_i24_e32 v90, v16, v216
	v_mul_i32_i24_e32 v91, v97, v215
	;; [unrolled: 1-line block ×4, first 2 shown]
	v_add3_u32 v3, v3, v91, v90
	v_mul_i32_i24_e32 v90, v146, v151
	v_mul_i32_i24_e32 v91, v147, v150
	s_delay_alu instid0(VALU_DEP_1) | instskip(SKIP_2) | instid1(VALU_DEP_3)
	v_add3_u32 v66, v66, v90, v91
	v_bfe_i32 v90, v52, 8, 8
	v_ashrrev_i32_e32 v91, 24, v52
	v_add3_u32 v16, v66, v97, v16
	s_delay_alu instid0(VALU_DEP_3) | instskip(NEXT) | instid1(VALU_DEP_3)
	v_mul_i32_i24_e32 v92, v90, v228
	v_mul_i32_i24_e32 v93, v91, v226
	v_bfe_i32 v66, v52, 0, 8
	v_bfe_i32 v52, v52, 16, 8
	s_delay_alu instid0(VALU_DEP_3) | instskip(SKIP_2) | instid1(VALU_DEP_1)
	v_add3_u32 v67, v67, v93, v92
	v_mul_i32_i24_e32 v92, v90, v88
	v_mul_i32_i24_e32 v93, v91, v89
	v_add3_u32 v68, v68, v93, v92
	v_mul_i32_i24_e32 v92, v98, v216
	v_mul_i32_i24_e32 v93, v100, v215
	s_delay_alu instid0(VALU_DEP_1) | instskip(SKIP_2) | instid1(VALU_DEP_1)
	v_add3_u32 v69, v69, v93, v92
	v_mul_i32_i24_e32 v92, v126, v151
	v_mul_i32_i24_e32 v93, v145, v150
	v_add3_u32 v70, v70, v92, v93
	v_bfe_i32 v92, v50, 8, 8
	v_ashrrev_i32_e32 v93, 24, v50
	s_delay_alu instid0(VALU_DEP_2) | instskip(NEXT) | instid1(VALU_DEP_2)
	v_mul_i32_i24_e32 v94, v92, v228
	v_mul_i32_i24_e32 v95, v93, v226
	s_delay_alu instid0(VALU_DEP_1) | instskip(SKIP_2) | instid1(VALU_DEP_1)
	v_add3_u32 v71, v71, v95, v94
	v_mul_i32_i24_e32 v94, v92, v88
	v_mul_i32_i24_e32 v95, v93, v89
	v_add3_u32 v72, v72, v95, v94
	v_mul_i32_i24_e32 v94, v101, v216
	v_mul_i32_i24_e32 v95, v103, v215
	s_delay_alu instid0(VALU_DEP_1) | instskip(SKIP_2) | instid1(VALU_DEP_2)
	v_add3_u32 v73, v73, v95, v94
	v_mul_i32_i24_e32 v94, v125, v150
	v_ashrrev_i32_e32 v95, 24, v48
	v_add3_u32 v74, v74, v84, v94
	v_bfe_i32 v94, v48, 8, 8
	s_delay_alu instid0(VALU_DEP_3) | instskip(SKIP_1) | instid1(VALU_DEP_3)
	v_mul_i32_i24_e32 v96, v95, v226
	v_mul_i32_i24_e32 v99, v95, v89
	;; [unrolled: 1-line block ×3, first 2 shown]
	s_delay_alu instid0(VALU_DEP_1) | instskip(SKIP_2) | instid1(VALU_DEP_2)
	v_add3_u32 v96, v108, v96, v84
	v_mul_i32_i24_e32 v84, v94, v88
	v_ashrrev_i32_e32 v108, 24, v46
	v_add3_u32 v99, v109, v99, v84
	v_mul_i32_i24_e32 v84, v107, v216
	s_delay_alu instid0(VALU_DEP_3) | instskip(NEXT) | instid1(VALU_DEP_2)
	v_mul_i32_i24_e32 v109, v108, v226
	v_add3_u32 v104, v117, v104, v84
	v_mul_i32_i24_e32 v84, v140, v151
	v_mul_i32_i24_e32 v117, v108, v89
	s_delay_alu instid0(VALU_DEP_2) | instskip(SKIP_2) | instid1(VALU_DEP_2)
	v_add3_u32 v105, v118, v84, v105
	v_mul_i32_i24_e32 v84, v106, v228
	v_mul_i32_i24_e32 v118, v238, v215
	v_add3_u32 v109, v119, v109, v84
	v_mul_i32_i24_e32 v84, v106, v88
	v_mul_i32_i24_e32 v119, v248, v150
	s_delay_alu instid0(VALU_DEP_2) | instskip(SKIP_2) | instid1(VALU_DEP_2)
	v_add3_u32 v117, v120, v117, v84
	v_mul_i32_i24_e32 v84, v232, v216
	v_bfe_i32 v120, v44, 8, 8
	v_add3_u32 v118, v121, v118, v84
	v_mul_i32_i24_e32 v84, v148, v151
	v_ashrrev_i32_e32 v121, 24, v44
	s_delay_alu instid0(VALU_DEP_2) | instskip(SKIP_1) | instid1(VALU_DEP_3)
	v_add3_u32 v119, v122, v84, v119
	v_mul_i32_i24_e32 v84, v120, v228
	v_mul_i32_i24_e32 v122, v121, v226
	s_delay_alu instid0(VALU_DEP_1) | instskip(SKIP_2) | instid1(VALU_DEP_1)
	v_add3_u32 v122, v123, v122, v84
	v_mul_i32_i24_e32 v84, v120, v88
	v_mul_i32_i24_e32 v123, v121, v89
	v_add3_u32 v123, v255, v123, v84
	v_mul_i32_i24_e32 v84, v209, v115
	s_delay_alu instid0(VALU_DEP_1) | instskip(SKIP_2) | instid1(VALU_DEP_1)
	v_add3_u32 v75, v75, v84, v112
	v_mul_i32_i24_e32 v84, v209, v116
	v_mul_i32_i24_e32 v112, v210, v114
	v_add3_u32 v76, v76, v84, v112
	v_mul_i32_i24_e32 v84, v214, v134
	v_mul_i32_i24_e32 v112, v152, v8
	s_delay_alu instid0(VALU_DEP_1) | instskip(SKIP_2) | instid1(VALU_DEP_1)
	v_add3_u32 v77, v77, v84, v112
	v_mul_i32_i24_e32 v84, v149, v213
	v_mul_i32_i24_e32 v112, v153, v30
	v_add3_u32 v78, v78, v112, v84
	v_add3_u32 v84, v155, v154, v79
	v_mul_i32_i24_e32 v79, v9, v228
	v_mul_i32_i24_e32 v112, v133, v226
	s_delay_alu instid0(VALU_DEP_1)
	v_add3_u32 v79, v80, v112, v79
	v_mul_i32_i24_e32 v80, v9, v88
	v_mul_i32_i24_e32 v112, v133, v89
	;; [unrolled: 1-line block ×5, first 2 shown]
	s_delay_alu instid0(VALU_DEP_4) | instskip(SKIP_3) | instid1(VALU_DEP_2)
	v_add3_u32 v80, v81, v112, v80
	v_mul_i32_i24_e32 v81, v113, v213
	v_mul_i32_i24_e32 v112, v55, v30
	;; [unrolled: 1-line block ×3, first 2 shown]
	v_add3_u32 v81, v82, v112, v81
	v_mul_i32_i24_e32 v82, v110, v134
	v_mul_i32_i24_e32 v110, v111, v132
	v_bfe_u32 v111, v10, 16, 4
	s_delay_alu instid0(VALU_DEP_2) | instskip(SKIP_3) | instid1(VALU_DEP_2)
	v_add3_u32 v82, v85, v110, v82
	v_bfe_i32 v85, v54, 0, 8
	v_bfe_i32 v54, v54, 16, 8
	v_and_b32_e32 v110, 15, v10
	v_mul_i32_i24_e32 v114, v54, v111
	s_delay_alu instid0(VALU_DEP_2) | instskip(SKIP_1) | instid1(VALU_DEP_2)
	v_mul_i32_i24_e32 v112, v85, v110
	v_mul_i32_i24_e32 v97, v66, v110
	v_add3_u32 v86, v86, v112, v114
	v_and_b32_e32 v112, 15, v12
	v_bfe_u32 v114, v12, 16, 4
	s_delay_alu instid0(VALU_DEP_2) | instskip(NEXT) | instid1(VALU_DEP_2)
	v_mul_i32_i24_e32 v115, v85, v112
	v_mul_i32_i24_e32 v116, v54, v114
	s_delay_alu instid0(VALU_DEP_1) | instskip(SKIP_4) | instid1(VALU_DEP_3)
	v_add3_u32 v2, v2, v115, v116
	v_mul_i32_i24_e32 v115, v41, v213
	v_mul_i32_i24_e32 v116, v5, v30
	;; [unrolled: 1-line block ×4, first 2 shown]
	v_add3_u32 v3, v3, v116, v115
	v_mul_i32_i24_e32 v115, v52, v111
	s_delay_alu instid0(VALU_DEP_3) | instskip(SKIP_1) | instid1(VALU_DEP_3)
	v_add3_u32 v5, v16, v5, v41
	v_bfe_i32 v41, v34, 0, 8
	v_add3_u32 v67, v67, v97, v115
	v_mul_i32_i24_e32 v97, v66, v112
	v_mul_i32_i24_e32 v115, v52, v114
	s_delay_alu instid0(VALU_DEP_1) | instskip(SKIP_4) | instid1(VALU_DEP_3)
	v_add3_u32 v68, v68, v97, v115
	v_mul_i32_i24_e32 v97, v59, v213
	v_mul_i32_i24_e32 v115, v7, v30
	;; [unrolled: 1-line block ×4, first 2 shown]
	v_add3_u32 v69, v69, v115, v97
	v_mul_i32_i24_e32 v97, v98, v134
	v_mul_i32_i24_e32 v98, v100, v132
	s_delay_alu instid0(VALU_DEP_1) | instskip(SKIP_2) | instid1(VALU_DEP_3)
	v_add3_u32 v70, v70, v98, v97
	v_bfe_i32 v97, v50, 0, 8
	v_bfe_i32 v50, v50, 16, 8
	v_add3_u32 v7, v70, v7, v59
	s_delay_alu instid0(VALU_DEP_3) | instskip(NEXT) | instid1(VALU_DEP_3)
	v_mul_i32_i24_e32 v98, v97, v110
	v_mul_i32_i24_e32 v100, v50, v111
	v_bfe_i32 v59, v40, 0, 8
	s_delay_alu instid0(VALU_DEP_2) | instskip(SKIP_2) | instid1(VALU_DEP_1)
	v_add3_u32 v71, v71, v98, v100
	v_mul_i32_i24_e32 v98, v97, v112
	v_mul_i32_i24_e32 v100, v50, v114
	v_add3_u32 v72, v72, v98, v100
	v_mul_i32_i24_e32 v98, v63, v213
	v_mul_i32_i24_e32 v100, v39, v30
	;; [unrolled: 1-line block ×4, first 2 shown]
	s_delay_alu instid0(VALU_DEP_3) | instskip(SKIP_3) | instid1(VALU_DEP_2)
	v_add3_u32 v73, v73, v100, v98
	v_mul_i32_i24_e32 v98, v101, v134
	v_mul_i32_i24_e32 v100, v103, v132
	;; [unrolled: 1-line block ×3, first 2 shown]
	v_add3_u32 v74, v74, v100, v98
	v_bfe_i32 v98, v48, 0, 8
	v_bfe_i32 v48, v48, 16, 8
	s_delay_alu instid0(VALU_DEP_3) | instskip(NEXT) | instid1(VALU_DEP_3)
	v_add3_u32 v39, v74, v39, v63
	v_mul_i32_i24_e32 v100, v98, v110
	s_delay_alu instid0(VALU_DEP_3) | instskip(SKIP_1) | instid1(VALU_DEP_2)
	v_mul_i32_i24_e32 v101, v48, v111
	v_bfe_i32 v63, v36, 0, 8
	v_add3_u32 v96, v96, v100, v101
	v_mul_i32_i24_e32 v100, v98, v112
	v_mul_i32_i24_e32 v101, v48, v114
	s_delay_alu instid0(VALU_DEP_1)
	v_add3_u32 v99, v99, v100, v101
	v_mul_i32_i24_e32 v100, v231, v213
	v_mul_i32_i24_e32 v101, v35, v30
	;; [unrolled: 1-line block ×5, first 2 shown]
	v_bfe_i32 v37, v32, 0, 8
	v_add3_u32 v100, v104, v101, v100
	v_mul_i32_i24_e32 v101, v107, v134
	s_delay_alu instid0(VALU_DEP_1) | instskip(SKIP_2) | instid1(VALU_DEP_2)
	v_add3_u32 v101, v105, v103, v101
	v_bfe_i32 v103, v46, 0, 8
	v_bfe_i32 v46, v46, 16, 8
	v_mul_i32_i24_e32 v104, v103, v110
	s_delay_alu instid0(VALU_DEP_2) | instskip(SKIP_1) | instid1(VALU_DEP_2)
	v_mul_i32_i24_e32 v105, v46, v111
	v_mul_i32_i24_e32 v107, v46, v114
	v_add3_u32 v104, v109, v104, v105
	v_mul_i32_i24_e32 v105, v103, v112
	v_mul_i32_i24_e32 v109, v238, v132
	s_delay_alu instid0(VALU_DEP_2) | instskip(SKIP_1) | instid1(VALU_DEP_1)
	v_add3_u32 v105, v117, v105, v107
	v_mul_i32_i24_e32 v107, v227, v213
	v_add3_u32 v30, v118, v30, v107
	v_mul_i32_i24_e32 v107, v232, v134
	v_mul_i32_i24_e32 v118, v211, v110
	s_delay_alu instid0(VALU_DEP_2) | instskip(SKIP_2) | instid1(VALU_DEP_2)
	v_add3_u32 v107, v119, v109, v107
	v_bfe_i32 v109, v44, 0, 8
	v_bfe_i32 v44, v44, 16, 8
	v_mul_i32_i24_e32 v115, v109, v110
	s_delay_alu instid0(VALU_DEP_2) | instskip(SKIP_1) | instid1(VALU_DEP_2)
	v_mul_i32_i24_e32 v116, v44, v111
	v_mul_i32_i24_e32 v117, v44, v114
	v_add3_u32 v115, v122, v115, v116
	v_mul_i32_i24_e32 v116, v109, v112
	s_delay_alu instid0(VALU_DEP_1) | instskip(SKIP_2) | instid1(VALU_DEP_2)
	v_add3_u32 v116, v123, v116, v117
	v_mul_i32_i24_e32 v117, v28, v228
	v_mul_i32_i24_e32 v28, v28, v6
	v_add3_u32 v75, v75, v117, v118
	v_mul_i32_i24_e32 v117, v211, v112
	s_delay_alu instid0(VALU_DEP_1) | instskip(SKIP_2) | instid1(VALU_DEP_1)
	v_add3_u32 v76, v76, v88, v117
	v_mul_i32_i24_e32 v88, v210, v132
	v_mul_i32_i24_e32 v117, v209, v131
	v_add3_u32 v77, v77, v117, v88
	v_mul_i32_i24_e32 v88, v133, v212
	s_delay_alu instid0(VALU_DEP_1) | instskip(SKIP_4) | instid1(VALU_DEP_3)
	v_add3_u32 v9, v78, v88, v9
	v_mul_i32_i24_e32 v78, v130, v110
	v_mul_i32_i24_e32 v88, v129, v111
	v_ashrrev_i32_e32 v110, 24, v42
	v_mul_i32_i24_e32 v111, v206, v111
	v_add3_u32 v78, v79, v78, v88
	v_mul_i32_i24_e32 v79, v130, v112
	v_mul_i32_i24_e32 v88, v129, v114
	s_delay_alu instid0(VALU_DEP_1) | instskip(SKIP_3) | instid1(VALU_DEP_2)
	v_add3_u32 v79, v80, v79, v88
	v_mul_i32_i24_e32 v80, v223, v212
	v_mul_i32_i24_e32 v88, v62, v29
	;; [unrolled: 1-line block ×3, first 2 shown]
	v_add3_u32 v80, v81, v80, v88
	v_mul_i32_i24_e32 v81, v113, v131
	v_bfe_i32 v88, v42, 0, 8
	s_delay_alu instid0(VALU_DEP_2) | instskip(SKIP_2) | instid1(VALU_DEP_2)
	v_add3_u32 v55, v82, v55, v81
	v_bfe_u32 v81, v10, 4, 4
	v_lshrrev_b32_e32 v82, 28, v10
	v_mul_i32_i24_e32 v112, v88, v81
	s_delay_alu instid0(VALU_DEP_2) | instskip(SKIP_3) | instid1(VALU_DEP_4)
	v_mul_i32_i24_e32 v113, v110, v82
	v_mul_i32_i24_e32 v16, v41, v81
	;; [unrolled: 1-line block ×4, first 2 shown]
	v_add3_u32 v86, v86, v113, v112
	v_bfe_u32 v112, v12, 4, 4
	v_lshrrev_b32_e32 v113, 28, v12
	s_delay_alu instid0(VALU_DEP_2) | instskip(NEXT) | instid1(VALU_DEP_2)
	v_mul_i32_i24_e32 v117, v88, v112
	v_mul_i32_i24_e32 v118, v110, v113
	s_delay_alu instid0(VALU_DEP_1) | instskip(SKIP_4) | instid1(VALU_DEP_3)
	v_add3_u32 v2, v2, v118, v117
	v_mul_i32_i24_e32 v117, v91, v212
	v_mul_i32_i24_e32 v118, v90, v29
	;; [unrolled: 1-line block ×4, first 2 shown]
	v_add3_u32 v3, v3, v117, v118
	v_ashrrev_i32_e32 v117, 24, v34
	s_delay_alu instid0(VALU_DEP_3) | instskip(SKIP_2) | instid1(VALU_DEP_4)
	v_add3_u32 v90, v5, v91, v90
	v_bfe_i32 v91, v34, 8, 8
	v_bfe_i32 v34, v34, 16, 8
	v_mul_i32_i24_e32 v118, v117, v82
	s_delay_alu instid0(VALU_DEP_1) | instskip(SKIP_2) | instid1(VALU_DEP_1)
	v_add3_u32 v16, v67, v118, v16
	v_mul_i32_i24_e32 v67, v41, v112
	v_mul_i32_i24_e32 v118, v117, v113
	v_add3_u32 v67, v68, v118, v67
	v_mul_i32_i24_e32 v68, v93, v212
	v_mul_i32_i24_e32 v118, v92, v29
	;; [unrolled: 1-line block ×3, first 2 shown]
	s_delay_alu instid0(VALU_DEP_2) | instskip(SKIP_1) | instid1(VALU_DEP_1)
	v_add3_u32 v68, v69, v68, v118
	v_ashrrev_i32_e32 v69, 24, v40
	v_mul_i32_i24_e32 v118, v69, v82
	s_delay_alu instid0(VALU_DEP_1) | instskip(SKIP_2) | instid1(VALU_DEP_1)
	v_add3_u32 v70, v71, v118, v70
	v_mul_i32_i24_e32 v71, v59, v112
	v_mul_i32_i24_e32 v118, v69, v113
	v_add3_u32 v71, v72, v118, v71
	v_mul_i32_i24_e32 v72, v95, v212
	v_mul_i32_i24_e32 v118, v94, v29
	s_delay_alu instid0(VALU_DEP_1) | instskip(SKIP_1) | instid1(VALU_DEP_1)
	v_add3_u32 v72, v73, v72, v118
	v_ashrrev_i32_e32 v73, 24, v36
	v_mul_i32_i24_e32 v118, v73, v82
	s_delay_alu instid0(VALU_DEP_1) | instskip(SKIP_2) | instid1(VALU_DEP_1)
	v_add3_u32 v74, v96, v118, v74
	v_mul_i32_i24_e32 v96, v63, v112
	v_mul_i32_i24_e32 v118, v73, v113
	v_add3_u32 v96, v99, v118, v96
	v_mul_i32_i24_e32 v99, v108, v212
	v_mul_i32_i24_e32 v118, v106, v29
	;; [unrolled: 1-line block ×3, first 2 shown]
	s_delay_alu instid0(VALU_DEP_2) | instskip(SKIP_1) | instid1(VALU_DEP_1)
	v_add3_u32 v99, v100, v99, v118
	v_mul_i32_i24_e32 v100, v231, v131
	v_add3_u32 v35, v101, v35, v100
	v_bfe_i32 v100, v38, 0, 8
	v_ashrrev_i32_e32 v101, 24, v38
	s_delay_alu instid0(VALU_DEP_2) | instskip(NEXT) | instid1(VALU_DEP_2)
	v_mul_i32_i24_e32 v118, v100, v81
	v_mul_i32_i24_e32 v119, v101, v82
	s_delay_alu instid0(VALU_DEP_1) | instskip(SKIP_2) | instid1(VALU_DEP_1)
	v_add3_u32 v104, v104, v119, v118
	v_mul_i32_i24_e32 v118, v100, v112
	v_mul_i32_i24_e32 v119, v101, v113
	v_add3_u32 v105, v105, v119, v118
	v_mul_i32_i24_e32 v118, v121, v212
	s_delay_alu instid0(VALU_DEP_1) | instskip(SKIP_1) | instid1(VALU_DEP_1)
	v_add3_u32 v29, v30, v118, v29
	v_mul_i32_i24_e32 v30, v227, v131
	v_add3_u32 v8, v107, v8, v30
	v_ashrrev_i32_e32 v107, 24, v32
	v_mul_i32_i24_e32 v30, v37, v81
	s_delay_alu instid0(VALU_DEP_2) | instskip(NEXT) | instid1(VALU_DEP_1)
	v_mul_i32_i24_e32 v118, v107, v82
	v_add3_u32 v30, v115, v118, v30
	v_mul_i32_i24_e32 v115, v37, v112
	v_mul_i32_i24_e32 v118, v107, v113
	s_delay_alu instid0(VALU_DEP_1) | instskip(SKIP_1) | instid1(VALU_DEP_1)
	v_add3_u32 v115, v116, v118, v115
	v_mul_i32_i24_e32 v116, v205, v226
	v_add3_u32 v75, v75, v111, v116
	v_mul_i32_i24_e32 v111, v206, v114
	v_bfe_u32 v116, v13, 24, 4
	s_delay_alu instid0(VALU_DEP_2) | instskip(SKIP_1) | instid1(VALU_DEP_1)
	v_add3_u32 v76, v76, v111, v89
	v_mul_i32_i24_e32 v89, v211, v83
	v_add3_u32 v28, v77, v28, v89
	v_mul_i32_i24_e32 v77, v130, v208
	v_mul_i32_i24_e32 v89, v129, v207
	s_delay_alu instid0(VALU_DEP_1) | instskip(SKIP_3) | instid1(VALU_DEP_2)
	v_add3_u32 v9, v9, v77, v89
	v_mul_i32_i24_e32 v77, v27, v81
	v_mul_i32_i24_e32 v89, v4, v82
	;; [unrolled: 1-line block ×3, first 2 shown]
	v_add3_u32 v77, v78, v89, v77
	v_mul_i32_i24_e32 v78, v27, v112
	v_mul_i32_i24_e32 v89, v4, v113
	v_mul_i32_i24_e32 v4, v4, v203
	s_delay_alu instid0(VALU_DEP_2) | instskip(SKIP_2) | instid1(VALU_DEP_1)
	v_add3_u32 v78, v79, v89, v78
	v_mul_i32_i24_e32 v79, v85, v208
	v_mul_i32_i24_e32 v89, v54, v207
	v_add3_u32 v79, v80, v79, v89
	v_mul_i32_i24_e32 v80, v223, v127
	s_delay_alu instid0(VALU_DEP_1) | instskip(SKIP_4) | instid1(VALU_DEP_2)
	v_add3_u32 v55, v55, v80, v62
	v_bfe_i32 v62, v42, 8, 8
	v_bfe_i32 v42, v42, 16, 8
	v_bfe_u32 v80, v10, 12, 4
	v_bfe_u32 v10, v10, 20, 4
	v_mul_i32_i24_e32 v89, v62, v80
	s_delay_alu instid0(VALU_DEP_2) | instskip(SKIP_1) | instid1(VALU_DEP_2)
	v_mul_i32_i24_e32 v111, v42, v10
	v_mul_i32_i24_e32 v5, v91, v80
	v_add3_u32 v86, v86, v89, v111
	v_bfe_u32 v89, v12, 12, 4
	v_bfe_u32 v12, v12, 20, 4
	s_delay_alu instid0(VALU_DEP_2) | instskip(NEXT) | instid1(VALU_DEP_2)
	v_mul_i32_i24_e32 v111, v62, v89
	v_mul_i32_i24_e32 v114, v42, v12
	s_delay_alu instid0(VALU_DEP_1) | instskip(SKIP_2) | instid1(VALU_DEP_1)
	v_add3_u32 v2, v2, v111, v114
	v_mul_i32_i24_e32 v111, v66, v208
	v_mul_i32_i24_e32 v114, v52, v207
	v_add3_u32 v3, v3, v111, v114
	v_mul_i32_i24_e32 v111, v34, v10
	s_delay_alu instid0(VALU_DEP_1) | instskip(SKIP_2) | instid1(VALU_DEP_1)
	v_add3_u32 v16, v16, v5, v111
	v_mul_i32_i24_e32 v5, v91, v89
	v_mul_i32_i24_e32 v111, v34, v12
	v_add3_u32 v67, v67, v5, v111
	v_mul_i32_i24_e32 v5, v97, v208
	v_mul_i32_i24_e32 v111, v50, v207
	s_delay_alu instid0(VALU_DEP_1) | instskip(SKIP_3) | instid1(VALU_DEP_3)
	v_add3_u32 v68, v68, v5, v111
	v_mul_i32_i24_e32 v5, v93, v127
	v_bfe_i32 v93, v40, 8, 8
	v_bfe_i32 v40, v40, 16, 8
	v_add3_u32 v92, v7, v5, v92
	s_delay_alu instid0(VALU_DEP_3) | instskip(NEXT) | instid1(VALU_DEP_3)
	v_mul_i32_i24_e32 v5, v93, v80
	v_mul_i32_i24_e32 v7, v40, v10
	s_delay_alu instid0(VALU_DEP_1) | instskip(SKIP_2) | instid1(VALU_DEP_1)
	v_add3_u32 v70, v70, v5, v7
	v_mul_i32_i24_e32 v5, v93, v89
	v_mul_i32_i24_e32 v7, v40, v12
	v_add3_u32 v71, v71, v5, v7
	v_mul_i32_i24_e32 v5, v98, v208
	v_mul_i32_i24_e32 v7, v48, v207
	s_delay_alu instid0(VALU_DEP_1) | instskip(SKIP_4) | instid1(VALU_DEP_3)
	v_add3_u32 v72, v72, v5, v7
	v_mul_i32_i24_e32 v5, v95, v127
	v_mul_i32_i24_e32 v7, v94, v6
	v_bfe_i32 v94, v36, 8, 8
	v_bfe_i32 v36, v36, 16, 8
	v_add3_u32 v39, v39, v5, v7
	s_delay_alu instid0(VALU_DEP_3) | instskip(NEXT) | instid1(VALU_DEP_3)
	v_mul_i32_i24_e32 v5, v94, v80
	v_mul_i32_i24_e32 v7, v36, v10
	s_delay_alu instid0(VALU_DEP_1) | instskip(SKIP_2) | instid1(VALU_DEP_1)
	v_add3_u32 v74, v74, v5, v7
	v_mul_i32_i24_e32 v5, v94, v89
	v_mul_i32_i24_e32 v7, v36, v12
	v_add3_u32 v95, v96, v5, v7
	v_mul_i32_i24_e32 v5, v103, v208
	v_mul_i32_i24_e32 v7, v46, v207
	s_delay_alu instid0(VALU_DEP_1)
	v_add3_u32 v96, v99, v5, v7
	v_mul_i32_i24_e32 v5, v108, v127
	v_mul_i32_i24_e32 v7, v106, v6
	v_bfe_i32 v99, v38, 8, 8
	v_bfe_i32 v38, v38, 16, 8
	;; [unrolled: 1-line block ×4, first 2 shown]
	v_add3_u32 v35, v35, v5, v7
	v_mul_i32_i24_e32 v5, v99, v80
	v_mul_i32_i24_e32 v7, v38, v10
	s_delay_alu instid0(VALU_DEP_1) | instskip(SKIP_2) | instid1(VALU_DEP_1)
	v_add3_u32 v104, v104, v5, v7
	v_mul_i32_i24_e32 v5, v99, v89
	v_mul_i32_i24_e32 v7, v38, v12
	v_add3_u32 v105, v105, v5, v7
	v_mul_i32_i24_e32 v5, v109, v208
	v_mul_i32_i24_e32 v7, v44, v207
	s_delay_alu instid0(VALU_DEP_1) | instskip(SKIP_2) | instid1(VALU_DEP_1)
	v_add3_u32 v29, v29, v5, v7
	v_mul_i32_i24_e32 v5, v120, v6
	v_mul_i32_i24_e32 v6, v121, v127
	;; [unrolled: 7-line block ×3, first 2 shown]
	v_add3_u32 v114, v115, v5, v6
	v_mul_i32_i24_e32 v5, v202, v81
	v_mul_i32_i24_e32 v6, v244, v80
	v_bfe_u32 v115, v13, 8, 4
	s_delay_alu instid0(VALU_DEP_2) | instskip(SKIP_2) | instid1(VALU_DEP_1)
	v_add3_u32 v75, v75, v5, v6
	v_mul_i32_i24_e32 v5, v202, v112
	v_mul_i32_i24_e32 v6, v244, v89
	v_add3_u32 v76, v76, v5, v6
	v_mul_i32_i24_e32 v5, v205, v127
	v_mul_i32_i24_e32 v6, v206, v143
	s_delay_alu instid0(VALU_DEP_1) | instskip(SKIP_1) | instid1(VALU_DEP_1)
	v_add3_u32 v81, v28, v6, v5
	v_mul_i32_i24_e32 v5, v27, v204
	v_add3_u32 v112, v9, v4, v5
	v_mul_i32_i24_e32 v4, v65, v80
	v_mul_i32_i24_e32 v5, v128, v10
	v_bfe_u32 v80, v11, 24, 4
	v_mul_i32_i24_e32 v10, v200, v10
	s_delay_alu instid0(VALU_DEP_3) | instskip(SKIP_2) | instid1(VALU_DEP_4)
	v_add3_u32 v77, v77, v4, v5
	v_mul_i32_i24_e32 v4, v65, v89
	v_mul_i32_i24_e32 v5, v128, v12
	v_add3_u32 v10, v75, v10, v82
	v_mul_i32_i24_e32 v12, v200, v12
	v_mul_i32_i24_e32 v75, v199, v113
	;; [unrolled: 1-line block ×3, first 2 shown]
	v_add3_u32 v78, v78, v4, v5
	v_mul_i32_i24_e32 v4, v88, v204
	v_mul_i32_i24_e32 v5, v110, v203
	v_add3_u32 v12, v76, v12, v75
	v_mul_i32_i24_e32 v75, v202, v135
	v_mul_i32_i24_e32 v76, v244, v56
	s_delay_alu instid0(VALU_DEP_4) | instskip(SKIP_2) | instid1(VALU_DEP_4)
	v_add3_u32 v79, v79, v5, v4
	v_mul_i32_i24_e32 v4, v85, v83
	v_mul_i32_i24_e32 v5, v54, v143
	v_add3_u32 v75, v81, v75, v76
	v_mul_i32_i24_e32 v76, v128, v201
	v_mul_i32_i24_e32 v81, v87, v80
	s_delay_alu instid0(VALU_DEP_4)
	v_add3_u32 v54, v55, v4, v5
	v_add_nc_u32_e32 v4, 0x800, v158
	v_bfe_u32 v55, v11, 8, 4
	v_add3_u32 v65, v112, v65, v76
	ds_load_2addr_b32 v[4:5], v4 offset1:3
	v_mul_i32_i24_e32 v76, v61, v55
	s_delay_alu instid0(VALU_DEP_1) | instskip(SKIP_3) | instid1(VALU_DEP_2)
	v_add3_u32 v76, v77, v81, v76
	v_mul_i32_i24_e32 v77, v61, v115
	v_mul_i32_i24_e32 v81, v87, v116
	;; [unrolled: 1-line block ×3, first 2 shown]
	v_add3_u32 v77, v78, v81, v77
	v_mul_i32_i24_e32 v78, v42, v201
	v_mul_i32_i24_e32 v81, v62, v241
	;; [unrolled: 1-line block ×4, first 2 shown]
	s_wait_dscnt 0x0
	v_bfe_i32 v85, v5, 8, 8
	v_ashrrev_i32_e32 v89, 24, v5
	v_add3_u32 v78, v79, v81, v78
	v_mul_i32_i24_e32 v79, v88, v135
	v_mul_i32_i24_e32 v81, v110, v1
	v_mul_i32_i24_e32 v6, v85, v55
	v_mul_i32_i24_e32 v7, v89, v80
	v_bfe_i32 v82, v5, 0, 8
	v_bfe_i32 v5, v5, 16, 8
	v_add3_u32 v54, v54, v81, v79
	v_and_b32_e32 v79, 15, v11
	v_add3_u32 v86, v86, v7, v6
	v_mul_i32_i24_e32 v6, v85, v115
	v_mul_i32_i24_e32 v7, v89, v116
	v_bfe_u32 v81, v11, 16, 4
	v_mul_i32_i24_e32 v88, v82, v79
	v_add3_u32 v42, v54, v62, v42
	v_bfe_u32 v54, v11, 4, 4
	v_add3_u32 v2, v2, v7, v6
	v_mul_i32_i24_e32 v6, v41, v204
	v_mul_i32_i24_e32 v7, v117, v203
	;; [unrolled: 1-line block ×4, first 2 shown]
	v_lshrrev_b32_e32 v62, 28, v11
	s_delay_alu instid0(VALU_DEP_4)
	v_add3_u32 v3, v3, v7, v6
	v_mul_i32_i24_e32 v6, v66, v83
	v_mul_i32_i24_e32 v7, v52, v143
	v_add3_u32 v86, v86, v88, v110
	v_and_b32_e32 v88, 15, v13
	v_bfe_u32 v110, v13, 16, 4
	s_delay_alu instid0(VALU_DEP_4) | instskip(SKIP_1) | instid1(VALU_DEP_4)
	v_add3_u32 v52, v90, v6, v7
	v_add_nc_u32_e32 v6, 0xc00, v158
	v_mul_i32_i24_e32 v112, v82, v88
	s_delay_alu instid0(VALU_DEP_4)
	v_mul_i32_i24_e32 v113, v5, v110
	ds_load_2addr_b32 v[6:7], v6 offset1:3
	v_add3_u32 v2, v2, v112, v113
	v_mul_i32_i24_e32 v112, v34, v201
	v_mul_i32_i24_e32 v113, v91, v241
	;; [unrolled: 1-line block ×3, first 2 shown]
	s_delay_alu instid0(VALU_DEP_2) | instskip(SKIP_1) | instid1(VALU_DEP_1)
	v_add3_u32 v3, v3, v113, v112
	v_mul_i32_i24_e32 v112, v117, v1
	v_add3_u32 v41, v52, v112, v41
	s_wait_dscnt 0x0
	v_bfe_i32 v66, v7, 8, 8
	v_ashrrev_i32_e32 v90, 24, v7
	v_bfe_i32 v52, v7, 0, 8
	v_bfe_i32 v7, v7, 16, 8
	s_delay_alu instid0(VALU_DEP_4) | instskip(NEXT) | instid1(VALU_DEP_4)
	v_mul_i32_i24_e32 v8, v66, v55
	v_mul_i32_i24_e32 v9, v90, v80
	s_delay_alu instid0(VALU_DEP_4) | instskip(NEXT) | instid1(VALU_DEP_4)
	v_mul_i32_i24_e32 v112, v52, v79
	v_mul_i32_i24_e32 v113, v7, v81
	s_delay_alu instid0(VALU_DEP_3) | instskip(SKIP_2) | instid1(VALU_DEP_3)
	v_add3_u32 v118, v16, v9, v8
	v_mul_i32_i24_e32 v8, v66, v115
	v_mul_i32_i24_e32 v9, v90, v116
	v_add3_u32 v112, v118, v112, v113
	v_mul_i32_i24_e32 v113, v52, v88
	s_delay_alu instid0(VALU_DEP_3) | instskip(SKIP_4) | instid1(VALU_DEP_3)
	v_add3_u32 v67, v67, v9, v8
	v_mul_i32_i24_e32 v8, v59, v204
	v_mul_i32_i24_e32 v9, v69, v203
	;; [unrolled: 1-line block ×4, first 2 shown]
	v_add3_u32 v68, v68, v9, v8
	v_mul_i32_i24_e32 v8, v97, v83
	v_mul_i32_i24_e32 v9, v50, v143
	s_delay_alu instid0(VALU_DEP_1)
	v_add3_u32 v50, v92, v8, v9
	ds_load_2addr_b32 v[8:9], v17 offset1:3
	v_add3_u32 v50, v50, v69, v59
	s_wait_dscnt 0x0
	v_bfe_i32 v92, v9, 8, 8
	v_ashrrev_i32_e32 v97, 24, v9
	v_bfe_i32 v59, v9, 0, 8
	v_bfe_i32 v9, v9, 16, 8
	s_delay_alu instid0(VALU_DEP_4) | instskip(NEXT) | instid1(VALU_DEP_4)
	v_mul_i32_i24_e32 v16, v92, v55
	v_mul_i32_i24_e32 v17, v97, v80
	s_delay_alu instid0(VALU_DEP_4) | instskip(NEXT) | instid1(VALU_DEP_2)
	v_mul_i32_i24_e32 v69, v59, v79
	v_add3_u32 v70, v70, v17, v16
	v_mul_i32_i24_e32 v16, v92, v115
	v_mul_i32_i24_e32 v17, v97, v116
	s_delay_alu instid0(VALU_DEP_1) | instskip(SKIP_3) | instid1(VALU_DEP_2)
	v_add3_u32 v71, v71, v17, v16
	v_mul_i32_i24_e32 v16, v63, v204
	v_mul_i32_i24_e32 v17, v73, v203
	;; [unrolled: 1-line block ×3, first 2 shown]
	v_add3_u32 v72, v72, v17, v16
	v_mul_i32_i24_e32 v16, v98, v83
	v_mul_i32_i24_e32 v17, v48, v143
	s_delay_alu instid0(VALU_DEP_1)
	v_add3_u32 v39, v39, v16, v17
	v_add_nc_u32_e32 v16, 0x1400, v158
	ds_load_2addr_b32 v[16:17], v16 offset1:3
	s_wait_dscnt 0x0
	v_bfe_i32 v48, v17, 8, 8
	v_ashrrev_i32_e32 v98, 24, v17
	s_delay_alu instid0(VALU_DEP_2) | instskip(NEXT) | instid1(VALU_DEP_2)
	v_mul_i32_i24_e32 v27, v48, v55
	v_mul_i32_i24_e32 v28, v98, v80
	s_delay_alu instid0(VALU_DEP_1) | instskip(SKIP_2) | instid1(VALU_DEP_1)
	v_add3_u32 v74, v74, v28, v27
	v_mul_i32_i24_e32 v27, v48, v115
	v_mul_i32_i24_e32 v28, v98, v116
	v_add3_u32 v95, v95, v28, v27
	v_mul_i32_i24_e32 v27, v100, v204
	v_mul_i32_i24_e32 v28, v101, v203
	s_delay_alu instid0(VALU_DEP_1) | instskip(SKIP_2) | instid1(VALU_DEP_1)
	v_add3_u32 v96, v96, v28, v27
	v_mul_i32_i24_e32 v27, v103, v83
	v_mul_i32_i24_e32 v28, v46, v143
	v_add3_u32 v35, v35, v27, v28
	ds_load_2addr_b32 v[27:28], v102 offset1:3
	s_wait_dscnt 0x0
	v_bfe_i32 v46, v28, 8, 8
	v_ashrrev_i32_e32 v102, 24, v28
	s_delay_alu instid0(VALU_DEP_2) | instskip(NEXT) | instid1(VALU_DEP_2)
	v_mul_i32_i24_e32 v30, v46, v55
	v_mul_i32_i24_e32 v103, v102, v80
	s_delay_alu instid0(VALU_DEP_1) | instskip(SKIP_2) | instid1(VALU_DEP_1)
	v_add3_u32 v103, v104, v103, v30
	v_mul_i32_i24_e32 v30, v46, v115
	v_mul_i32_i24_e32 v104, v102, v116
	v_add3_u32 v104, v105, v104, v30
	v_mul_i32_i24_e32 v30, v37, v204
	v_mul_i32_i24_e32 v105, v107, v203
	;; [unrolled: 1-line block ×3, first 2 shown]
	s_delay_alu instid0(VALU_DEP_2) | instskip(SKIP_2) | instid1(VALU_DEP_1)
	v_add3_u32 v105, v29, v105, v30
	v_mul_i32_i24_e32 v29, v109, v83
	v_mul_i32_i24_e32 v30, v44, v143
	v_add3_u32 v44, v106, v29, v30
	v_add_nc_u32_e32 v29, 0x1c00, v158
	v_add_nc_u32_e32 v158, 32, v158
	ds_load_2addr_b32 v[29:30], v29 offset1:3
	s_wait_dscnt 0x0
	v_bfe_i32 v83, v30, 8, 8
	v_ashrrev_i32_e32 v106, 24, v30
	s_delay_alu instid0(VALU_DEP_2) | instskip(NEXT) | instid1(VALU_DEP_2)
	v_mul_i32_i24_e32 v109, v83, v55
	v_mul_i32_i24_e32 v119, v106, v80
	v_mul_i32_i24_e32 v55, v51, v55
	v_mul_i32_i24_e32 v80, v246, v80
	s_delay_alu instid0(VALU_DEP_3) | instskip(SKIP_2) | instid1(VALU_DEP_1)
	v_add3_u32 v109, v111, v119, v109
	v_mul_i32_i24_e32 v111, v83, v115
	v_mul_i32_i24_e32 v119, v106, v116
	v_add3_u32 v111, v114, v119, v111
	v_mul_i32_i24_e32 v114, v7, v110
	s_delay_alu instid0(VALU_DEP_1) | instskip(SKIP_3) | instid1(VALU_DEP_2)
	v_add3_u32 v67, v67, v113, v114
	v_mul_i32_i24_e32 v113, v40, v201
	v_mul_i32_i24_e32 v114, v93, v241
	v_mul_i32_i24_e32 v40, v40, v142
	v_add3_u32 v68, v68, v114, v113
	v_mul_i32_i24_e32 v113, v9, v81
	s_delay_alu instid0(VALU_DEP_1) | instskip(SKIP_2) | instid1(VALU_DEP_1)
	v_add3_u32 v69, v70, v69, v113
	v_mul_i32_i24_e32 v70, v59, v88
	v_mul_i32_i24_e32 v113, v9, v110
	v_add3_u32 v70, v71, v70, v113
	v_mul_i32_i24_e32 v71, v36, v201
	v_mul_i32_i24_e32 v113, v94, v241
	;; [unrolled: 1-line block ×3, first 2 shown]
	s_delay_alu instid0(VALU_DEP_2) | instskip(SKIP_1) | instid1(VALU_DEP_1)
	v_add3_u32 v71, v72, v113, v71
	v_mul_i32_i24_e32 v72, v73, v1
	v_add3_u32 v39, v39, v72, v63
	v_bfe_i32 v63, v17, 0, 8
	v_bfe_i32 v17, v17, 16, 8
	s_delay_alu instid0(VALU_DEP_2) | instskip(NEXT) | instid1(VALU_DEP_2)
	v_mul_i32_i24_e32 v72, v63, v79
	v_mul_i32_i24_e32 v73, v17, v81
	s_delay_alu instid0(VALU_DEP_1) | instskip(SKIP_2) | instid1(VALU_DEP_1)
	v_add3_u32 v72, v74, v72, v73
	v_mul_i32_i24_e32 v73, v63, v88
	v_mul_i32_i24_e32 v74, v17, v110
	v_add3_u32 v73, v95, v73, v74
	v_mul_i32_i24_e32 v74, v38, v201
	v_mul_i32_i24_e32 v95, v99, v241
	;; [unrolled: 1-line block ×3, first 2 shown]
	s_delay_alu instid0(VALU_DEP_2) | instskip(SKIP_2) | instid1(VALU_DEP_1)
	v_add3_u32 v74, v96, v95, v74
	v_mul_i32_i24_e32 v95, v100, v135
	v_mul_i32_i24_e32 v96, v101, v1
	v_add3_u32 v35, v35, v96, v95
	v_bfe_i32 v95, v28, 0, 8
	v_bfe_i32 v28, v28, 16, 8
	s_delay_alu instid0(VALU_DEP_2) | instskip(NEXT) | instid1(VALU_DEP_2)
	v_mul_i32_i24_e32 v96, v95, v79
	v_mul_i32_i24_e32 v100, v28, v81
	v_mul_i32_i24_e32 v101, v28, v110
	s_delay_alu instid0(VALU_DEP_2) | instskip(SKIP_2) | instid1(VALU_DEP_2)
	v_add3_u32 v96, v103, v96, v100
	v_mul_i32_i24_e32 v100, v95, v88
	v_mul_i32_i24_e32 v103, v108, v241
	v_add3_u32 v100, v104, v100, v101
	v_mul_i32_i24_e32 v101, v32, v201
	v_mul_i32_i24_e32 v32, v32, v142
	s_delay_alu instid0(VALU_DEP_2) | instskip(SKIP_2) | instid1(VALU_DEP_2)
	v_add3_u32 v101, v105, v103, v101
	v_mul_i32_i24_e32 v103, v107, v1
	v_mul_i32_i24_e32 v1, v199, v1
	v_add3_u32 v37, v44, v103, v37
	v_bfe_i32 v44, v30, 0, 8
	v_bfe_i32 v30, v30, 16, 8
	s_delay_alu instid0(VALU_DEP_2) | instskip(NEXT) | instid1(VALU_DEP_2)
	v_mul_i32_i24_e32 v103, v44, v79
	v_mul_i32_i24_e32 v104, v30, v81
	;; [unrolled: 1-line block ×3, first 2 shown]
	s_delay_alu instid0(VALU_DEP_2) | instskip(SKIP_1) | instid1(VALU_DEP_1)
	v_add3_u32 v103, v109, v103, v104
	v_mul_i32_i24_e32 v104, v44, v88
	v_add3_u32 v104, v111, v104, v105
	v_mul_i32_i24_e32 v105, v253, v79
	s_delay_alu instid0(VALU_DEP_1) | instskip(SKIP_3) | instid1(VALU_DEP_2)
	v_add3_u32 v10, v10, v55, v105
	v_mul_i32_i24_e32 v55, v51, v115
	v_mul_i32_i24_e32 v105, v253, v88
	v_mul_i32_i24_e32 v51, v51, v57
	v_add3_u32 v12, v12, v55, v105
	v_mul_i32_i24_e32 v55, v200, v142
	s_delay_alu instid0(VALU_DEP_1) | instskip(SKIP_2) | instid1(VALU_DEP_2)
	v_add3_u32 v1, v75, v55, v1
	v_mul_i32_i24_e32 v55, v87, v254
	v_mul_i32_i24_e32 v75, v141, v110
	v_add3_u32 v55, v65, v55, v61
	v_mul_i32_i24_e32 v61, v0, v79
	v_mul_i32_i24_e32 v65, v141, v81
	;; [unrolled: 1-line block ×3, first 2 shown]
	s_delay_alu instid0(VALU_DEP_2) | instskip(SKIP_2) | instid1(VALU_DEP_4)
	v_add3_u32 v61, v76, v61, v65
	v_mul_i32_i24_e32 v65, v0, v88
	v_mul_i32_i24_e32 v76, v85, v53
	v_add3_u32 v10, v10, v81, v80
	v_mul_i32_i24_e32 v80, v243, v110
	v_mul_i32_i24_e32 v81, v246, v116
	v_add3_u32 v65, v77, v65, v75
	v_mul_i32_i24_e32 v75, v89, v254
	v_ashrrev_i32_e32 v77, 24, v15
	v_mul_i32_i24_e32 v0, v0, v250
	v_add3_u32 v12, v12, v80, v81
	v_mul_i32_i24_e32 v80, v253, v239
	v_add3_u32 v75, v78, v75, v76
	v_bfe_i32 v76, v15, 0, 8
	v_mul_i32_i24_e32 v79, v77, v62
	s_delay_alu instid0(VALU_DEP_4) | instskip(SKIP_1) | instid1(VALU_DEP_4)
	v_add3_u32 v1, v1, v51, v80
	v_mul_i32_i24_e32 v51, v141, v249
	v_mul_i32_i24_e32 v78, v76, v54
	s_delay_alu instid0(VALU_DEP_2) | instskip(NEXT) | instid1(VALU_DEP_2)
	v_add3_u32 v0, v55, v0, v51
	v_add3_u32 v78, v86, v79, v78
	v_bfe_u32 v79, v13, 4, 4
	v_lshrrev_b32_e32 v86, 28, v13
	v_mul_i32_i24_e32 v51, v144, v54
	v_mul_i32_i24_e32 v55, v139, v62
	s_delay_alu instid0(VALU_DEP_4) | instskip(NEXT) | instid1(VALU_DEP_4)
	v_mul_i32_i24_e32 v87, v76, v79
	v_mul_i32_i24_e32 v88, v77, v86
	s_delay_alu instid0(VALU_DEP_3) | instskip(SKIP_2) | instid1(VALU_DEP_4)
	v_add3_u32 v51, v61, v55, v51
	v_mul_i32_i24_e32 v55, v144, v79
	v_mul_i32_i24_e32 v61, v139, v86
	v_add3_u32 v2, v2, v88, v87
	v_mul_i32_i24_e32 v87, v90, v254
	v_mul_i32_i24_e32 v88, v66, v53
	;; [unrolled: 1-line block ×3, first 2 shown]
	v_add3_u32 v55, v65, v61, v55
	v_mul_i32_i24_e32 v61, v82, v250
	v_mul_i32_i24_e32 v65, v5, v249
	v_add3_u32 v3, v3, v87, v88
	v_mul_i32_i24_e32 v87, v91, v56
	v_mul_i32_i24_e32 v5, v5, v240
	s_delay_alu instid0(VALU_DEP_4)
	v_add3_u32 v61, v75, v61, v65
	v_mul_i32_i24_e32 v65, v89, v251
	v_mul_i32_i24_e32 v75, v85, v57
	v_add3_u32 v34, v41, v87, v34
	v_bfe_i32 v41, v18, 0, 8
	v_ashrrev_i32_e32 v87, 24, v18
	s_delay_alu instid0(VALU_DEP_4)
	v_add3_u32 v42, v42, v65, v75
	v_bfe_u32 v65, v11, 20, 4
	v_bfe_u32 v11, v11, 12, 4
	v_bfe_i32 v75, v15, 8, 8
	v_bfe_i32 v15, v15, 16, 8
	v_mul_i32_i24_e32 v88, v41, v54
	v_mul_i32_i24_e32 v91, v87, v62
	;; [unrolled: 1-line block ×5, first 2 shown]
	s_delay_alu instid0(VALU_DEP_4) | instskip(SKIP_1) | instid1(VALU_DEP_3)
	v_add3_u32 v88, v112, v91, v88
	v_mul_i32_i24_e32 v91, v41, v79
	v_add3_u32 v78, v78, v80, v81
	v_bfe_u32 v80, v13, 12, 4
	v_bfe_u32 v13, v13, 20, 4
	s_delay_alu instid0(VALU_DEP_4) | instskip(SKIP_4) | instid1(VALU_DEP_3)
	v_add3_u32 v67, v67, v105, v91
	v_mul_i32_i24_e32 v91, v97, v254
	v_mul_i32_i24_e32 v105, v92, v53
	;; [unrolled: 1-line block ×4, first 2 shown]
	v_add3_u32 v68, v68, v91, v105
	v_mul_i32_i24_e32 v91, v93, v56
	s_delay_alu instid0(VALU_DEP_3)
	v_add3_u32 v2, v2, v81, v85
	v_mul_i32_i24_e32 v81, v52, v250
	v_mul_i32_i24_e32 v85, v7, v249
	;; [unrolled: 1-line block ×3, first 2 shown]
	v_add3_u32 v40, v50, v91, v40
	v_bfe_i32 v50, v20, 0, 8
	v_ashrrev_i32_e32 v91, 24, v20
	v_add3_u32 v3, v3, v81, v85
	v_mul_i32_i24_e32 v81, v90, v251
	v_mul_i32_i24_e32 v7, v7, v240
	;; [unrolled: 1-line block ×4, first 2 shown]
	s_delay_alu instid0(VALU_DEP_4) | instskip(SKIP_2) | instid1(VALU_DEP_4)
	v_add3_u32 v34, v34, v81, v66
	v_bfe_i32 v66, v18, 8, 8
	v_bfe_i32 v18, v18, 16, 8
	v_add3_u32 v69, v69, v105, v93
	v_mul_i32_i24_e32 v93, v50, v79
	v_mul_i32_i24_e32 v105, v91, v86
	;; [unrolled: 1-line block ×4, first 2 shown]
	v_add3_u32 v7, v34, v52, v7
	v_bfe_i32 v34, v6, 0, 8
	v_add3_u32 v70, v70, v105, v93
	v_mul_i32_i24_e32 v93, v98, v254
	v_add3_u32 v81, v88, v81, v85
	v_mul_i32_i24_e32 v85, v66, v80
	v_mul_i32_i24_e32 v88, v18, v13
	;; [unrolled: 1-line block ×4, first 2 shown]
	v_bfe_i32 v52, v6, 8, 8
	s_delay_alu instid0(VALU_DEP_4)
	v_add3_u32 v67, v67, v85, v88
	v_mul_i32_i24_e32 v85, v59, v250
	v_mul_i32_i24_e32 v88, v9, v249
	v_add3_u32 v71, v71, v93, v105
	v_mul_i32_i24_e32 v93, v94, v56
	v_mul_i32_i24_e32 v59, v59, v239
	;; [unrolled: 1-line block ×3, first 2 shown]
	v_add3_u32 v68, v68, v85, v88
	v_mul_i32_i24_e32 v85, v97, v251
	v_mul_i32_i24_e32 v88, v92, v57
	v_add3_u32 v36, v39, v93, v36
	v_bfe_i32 v39, v22, 0, 8
	v_ashrrev_i32_e32 v93, 24, v22
	v_mul_i32_i24_e32 v92, v30, v249
	v_add3_u32 v40, v40, v85, v88
	v_bfe_i32 v85, v20, 8, 8
	v_bfe_i32 v20, v20, 16, 8
	v_mul_i32_i24_e32 v94, v39, v54
	v_mul_i32_i24_e32 v105, v93, v62
	v_add3_u32 v9, v40, v59, v9
	v_mul_i32_i24_e32 v88, v85, v11
	v_mul_i32_i24_e32 v89, v20, v65
	v_bfe_i32 v40, v8, 0, 8
	v_add3_u32 v72, v72, v105, v94
	v_mul_i32_i24_e32 v94, v39, v79
	v_mul_i32_i24_e32 v105, v93, v86
	v_add3_u32 v69, v69, v88, v89
	v_mul_i32_i24_e32 v88, v85, v80
	v_mul_i32_i24_e32 v89, v20, v13
	v_bfe_i32 v59, v8, 8, 8
	v_add3_u32 v73, v73, v105, v94
	v_mul_i32_i24_e32 v94, v102, v254
	v_mul_i32_i24_e32 v105, v46, v53
	v_add3_u32 v70, v70, v88, v89
	v_mul_i32_i24_e32 v88, v63, v250
	v_mul_i32_i24_e32 v89, v17, v249
	v_mul_i32_i24_e32 v46, v46, v57
	v_add3_u32 v74, v74, v94, v105
	v_mul_i32_i24_e32 v94, v99, v56
	v_mul_i32_i24_e32 v56, v108, v56
	v_add3_u32 v71, v71, v88, v89
	v_mul_i32_i24_e32 v88, v98, v251
	v_mul_i32_i24_e32 v53, v83, v53
	v_add3_u32 v35, v35, v94, v38
	v_bfe_i32 v38, v24, 0, 8
	v_ashrrev_i32_e32 v94, 24, v24
	v_add3_u32 v36, v36, v88, v48
	v_bfe_i32 v48, v22, 8, 8
	v_bfe_i32 v22, v22, 16, 8
	v_mul_i32_i24_e32 v99, v38, v54
	v_mul_i32_i24_e32 v105, v94, v62
	v_add3_u32 v32, v37, v56, v32
	v_mul_i32_i24_e32 v88, v48, v11
	v_mul_i32_i24_e32 v89, v22, v65
	v_bfe_i32 v37, v26, 0, 8
	v_add3_u32 v96, v96, v105, v99
	v_mul_i32_i24_e32 v99, v38, v79
	v_mul_i32_i24_e32 v105, v94, v86
	v_add3_u32 v72, v72, v88, v89
	v_mul_i32_i24_e32 v88, v48, v80
	v_mul_i32_i24_e32 v89, v22, v13
	v_ashrrev_i32_e32 v56, 24, v26
	v_add3_u32 v99, v100, v105, v99
	v_mul_i32_i24_e32 v100, v106, v254
	v_mul_i32_i24_e32 v57, v83, v57
	v_add3_u32 v73, v73, v88, v89
	v_mul_i32_i24_e32 v88, v95, v250
	v_mul_i32_i24_e32 v89, v28, v249
	;; [unrolled: 1-line block ×3, first 2 shown]
	v_add3_u32 v53, v101, v100, v53
	v_mul_i32_i24_e32 v100, v37, v54
	v_mul_i32_i24_e32 v101, v56, v62
	v_add3_u32 v74, v74, v88, v89
	v_mul_i32_i24_e32 v88, v102, v251
	v_add3_u32 v32, v32, v83, v57
	v_bfe_i32 v57, v26, 8, 8
	v_bfe_i32 v26, v26, 16, 8
	v_add3_u32 v100, v103, v101, v100
	v_add3_u32 v35, v35, v88, v46
	v_bfe_i32 v46, v24, 8, 8
	v_bfe_i32 v24, v24, 16, 8
	v_mul_i32_i24_e32 v101, v37, v79
	v_mul_i32_i24_e32 v103, v56, v86
	v_mul_i32_i24_e32 v83, v57, v11
	v_mul_i32_i24_e32 v88, v46, v11
	v_mul_i32_i24_e32 v89, v24, v65
	v_mul_i32_i24_e32 v90, v24, v13
	v_add3_u32 v101, v104, v103, v101
	v_mul_i32_i24_e32 v54, v233, v54
	v_mul_i32_i24_e32 v62, v229, v62
	v_add3_u32 v88, v96, v88, v89
	v_mul_i32_i24_e32 v89, v46, v80
	v_mul_i32_i24_e32 v63, v63, v239
	;; [unrolled: 1-line block ×5, first 2 shown]
	v_add3_u32 v89, v99, v89, v90
	v_mul_i32_i24_e32 v90, v44, v250
	v_add3_u32 v17, v36, v63, v17
	v_bfe_i32 v36, v16, 0, 8
	v_bfe_i32 v63, v16, 8, 8
	v_mul_i32_i24_e32 v44, v44, v239
	v_add3_u32 v53, v53, v90, v92
	v_mul_i32_i24_e32 v90, v26, v65
	v_mul_i32_i24_e32 v92, v26, v13
	s_delay_alu instid0(VALU_DEP_4) | instskip(SKIP_1) | instid1(VALU_DEP_4)
	v_add3_u32 v30, v32, v44, v30
	v_bfe_i32 v32, v29, 0, 8
	v_add3_u32 v83, v100, v83, v90
	v_mul_i32_i24_e32 v90, v57, v80
	v_bfe_i32 v44, v29, 8, 8
	s_delay_alu instid0(VALU_DEP_2) | instskip(SKIP_2) | instid1(VALU_DEP_2)
	v_add3_u32 v90, v101, v90, v92
	v_mul_i32_i24_e32 v92, v47, v11
	v_mul_i32_i24_e32 v11, v49, v11
	v_add3_u32 v10, v10, v54, v92
	v_mul_i32_i24_e32 v54, v233, v79
	v_mul_i32_i24_e32 v79, v47, v80
	;; [unrolled: 1-line block ×3, first 2 shown]
	s_delay_alu instid0(VALU_DEP_2) | instskip(SKIP_2) | instid1(VALU_DEP_1)
	v_add3_u32 v12, v12, v54, v79
	v_mul_i32_i24_e32 v54, v246, v251
	v_mul_i32_i24_e32 v79, v243, v240
	v_add3_u32 v1, v1, v79, v54
	v_mul_i32_i24_e32 v54, v144, v235
	v_mul_i32_i24_e32 v79, v139, v234
	s_delay_alu instid0(VALU_DEP_1) | instskip(SKIP_2) | instid1(VALU_DEP_2)
	v_add3_u32 v0, v0, v79, v54
	v_mul_i32_i24_e32 v54, v252, v65
	v_mul_i32_i24_e32 v65, v58, v65
	v_add3_u32 v11, v51, v11, v54
	v_mul_i32_i24_e32 v54, v252, v13
	s_delay_alu instid0(VALU_DEP_3)
	v_add3_u32 v10, v10, v65, v62
	v_mul_i32_i24_e32 v13, v58, v13
	v_mul_i32_i24_e32 v62, v229, v86
	;; [unrolled: 1-line block ×6, first 2 shown]
	v_add3_u32 v12, v12, v13, v62
	v_mul_i32_i24_e32 v13, v233, v247
	v_add3_u32 v51, v55, v51, v54
	v_mul_i32_i24_e32 v54, v76, v235
	v_mul_i32_i24_e32 v55, v77, v234
	v_cvt_f32_i32_e32 v10, v10
	v_add3_u32 v1, v1, v13, v47
	v_mul_i32_i24_e32 v13, v252, v230
	v_mul_i32_i24_e32 v47, v49, v45
	v_add3_u32 v54, v61, v55, v54
	v_mul_i32_i24_e32 v55, v82, v239
	v_mul_i32_i24_e32 v49, v75, v45
	v_cvt_f32_i32_e32 v12, v12
	v_add3_u32 v0, v0, v47, v13
	v_mul_i32_i24_e32 v13, v242, v221
	v_mul_i32_i24_e32 v47, v33, v222
	v_add3_u32 v5, v42, v55, v5
	v_bfe_i32 v42, v4, 0, 8
	v_bfe_i32 v55, v4, 8, 8
	s_delay_alu instid0(VALU_DEP_4)
	v_add3_u32 v11, v11, v13, v47
	v_mul_i32_i24_e32 v13, v242, v224
	v_mul_i32_i24_e32 v47, v33, v225
	;; [unrolled: 1-line block ×5, first 2 shown]
	s_delay_alu instid0(VALU_DEP_4)
	v_add3_u32 v13, v51, v13, v47
	v_mul_i32_i24_e32 v47, v15, v230
	v_mul_i32_i24_e32 v51, v77, v245
	v_add3_u32 v61, v78, v61, v79
	v_mul_i32_i24_e32 v78, v42, v224
	v_mul_i32_i24_e32 v79, v55, v225
	;; [unrolled: 3-line block ×3, first 2 shown]
	s_delay_alu instid0(VALU_DEP_4) | instskip(SKIP_1) | instid1(VALU_DEP_4)
	v_add3_u32 v2, v2, v78, v79
	v_mul_i32_i24_e32 v78, v41, v235
	v_add3_u32 v5, v5, v51, v49
	v_bfe_i32 v49, v4, 16, 8
	v_ashrrev_i32_e32 v4, 24, v4
	v_mul_i32_i24_e32 v79, v87, v234
	v_mul_i32_i24_e32 v41, v41, v247
	s_delay_alu instid0(VALU_DEP_4) | instskip(NEXT) | instid1(VALU_DEP_4)
	v_mul_i32_i24_e32 v51, v49, v217
	v_mul_i32_i24_e32 v54, v4, v218
	s_delay_alu instid0(VALU_DEP_4) | instskip(SKIP_2) | instid1(VALU_DEP_4)
	v_add3_u32 v3, v3, v79, v78
	v_mul_i32_i24_e32 v78, v34, v221
	v_mul_i32_i24_e32 v79, v52, v222
	v_add3_u32 v51, v61, v51, v54
	v_mul_i32_i24_e32 v54, v49, v219
	v_mul_i32_i24_e32 v61, v4, v220
	s_delay_alu instid0(VALU_DEP_4) | instskip(SKIP_1) | instid1(VALU_DEP_3)
	v_add3_u32 v78, v81, v78, v79
	v_mul_i32_i24_e32 v79, v34, v224
	v_add3_u32 v2, v2, v54, v61
	v_mul_i32_i24_e32 v54, v18, v230
	v_mul_i32_i24_e32 v61, v66, v45
	s_delay_alu instid0(VALU_DEP_4)
	v_add3_u32 v67, v67, v79, v80
	v_mul_i32_i24_e32 v79, v50, v235
	v_mul_i32_i24_e32 v80, v91, v234
	;; [unrolled: 1-line block ×3, first 2 shown]
	v_add3_u32 v3, v3, v61, v54
	v_mul_i32_i24_e32 v54, v87, v245
	v_cvt_f32_i32_e32 v2, v2
	v_add3_u32 v68, v68, v80, v79
	v_mul_i32_i24_e32 v79, v40, v221
	v_mul_i32_i24_e32 v80, v59, v222
	v_add3_u32 v7, v7, v54, v41
	v_bfe_i32 v41, v6, 16, 8
	v_ashrrev_i32_e32 v6, 24, v6
	s_delay_alu instid0(VALU_DEP_4) | instskip(SKIP_1) | instid1(VALU_DEP_4)
	v_add3_u32 v69, v69, v79, v80
	v_mul_i32_i24_e32 v79, v40, v224
	v_mul_i32_i24_e32 v54, v41, v217
	s_delay_alu instid0(VALU_DEP_4) | instskip(SKIP_2) | instid1(VALU_DEP_3)
	v_mul_i32_i24_e32 v61, v6, v218
	v_mul_i32_i24_e32 v62, v6, v220
	;; [unrolled: 1-line block ×3, first 2 shown]
	v_add3_u32 v54, v78, v54, v61
	v_mul_i32_i24_e32 v61, v41, v219
	s_delay_alu instid0(VALU_DEP_3)
	v_add3_u32 v70, v70, v79, v80
	v_mul_i32_i24_e32 v79, v39, v235
	v_mul_i32_i24_e32 v80, v93, v234
	v_mul_i32_i24_e32 v39, v39, v247
	v_add3_u32 v61, v67, v61, v62
	v_mul_i32_i24_e32 v62, v20, v230
	s_delay_alu instid0(VALU_DEP_4) | instskip(SKIP_2) | instid1(VALU_DEP_4)
	v_add3_u32 v71, v71, v80, v79
	v_mul_i32_i24_e32 v79, v36, v221
	v_mul_i32_i24_e32 v80, v63, v222
	v_add3_u32 v62, v68, v65, v62
	v_mul_i32_i24_e32 v65, v91, v245
	s_delay_alu instid0(VALU_DEP_3) | instskip(SKIP_1) | instid1(VALU_DEP_3)
	v_add3_u32 v72, v72, v79, v80
	v_mul_i32_i24_e32 v79, v36, v224
	v_add3_u32 v9, v9, v65, v50
	v_bfe_i32 v50, v8, 16, 8
	v_ashrrev_i32_e32 v8, 24, v8
	v_mul_i32_i24_e32 v80, v63, v225
	s_delay_alu instid0(VALU_DEP_3) | instskip(NEXT) | instid1(VALU_DEP_3)
	v_mul_i32_i24_e32 v65, v50, v217
	v_mul_i32_i24_e32 v67, v8, v218
	;; [unrolled: 1-line block ×3, first 2 shown]
	s_delay_alu instid0(VALU_DEP_4)
	v_add3_u32 v73, v73, v79, v80
	v_mul_i32_i24_e32 v79, v38, v235
	v_mul_i32_i24_e32 v80, v94, v234
	v_add3_u32 v65, v69, v65, v67
	v_mul_i32_i24_e32 v67, v50, v219
	v_mul_i32_i24_e32 v69, v48, v45
	;; [unrolled: 1-line block ×3, first 2 shown]
	v_add3_u32 v74, v74, v80, v79
	v_mul_i32_i24_e32 v79, v95, v239
	v_add3_u32 v67, v70, v67, v68
	v_mul_i32_i24_e32 v68, v22, v230
	s_delay_alu instid0(VALU_DEP_3) | instskip(SKIP_1) | instid1(VALU_DEP_3)
	v_add3_u32 v28, v35, v79, v28
	v_bfe_i32 v35, v27, 0, 8
	v_add3_u32 v68, v71, v69, v68
	v_mul_i32_i24_e32 v69, v93, v245
	v_bfe_i32 v79, v27, 8, 8
	s_delay_alu instid0(VALU_DEP_4) | instskip(NEXT) | instid1(VALU_DEP_3)
	v_mul_i32_i24_e32 v80, v35, v221
	v_add3_u32 v17, v17, v69, v39
	v_bfe_i32 v39, v16, 16, 8
	v_ashrrev_i32_e32 v16, 24, v16
	v_mul_i32_i24_e32 v81, v79, v222
	v_mul_i32_i24_e32 v82, v79, v225
	s_delay_alu instid0(VALU_DEP_4) | instskip(NEXT) | instid1(VALU_DEP_4)
	v_mul_i32_i24_e32 v69, v39, v217
	v_mul_i32_i24_e32 v70, v16, v218
	;; [unrolled: 1-line block ×3, first 2 shown]
	v_add3_u32 v80, v88, v80, v81
	v_mul_i32_i24_e32 v81, v35, v224
	v_mul_i32_i24_e32 v88, v56, v234
	v_add3_u32 v69, v72, v69, v70
	v_mul_i32_i24_e32 v70, v39, v219
	v_mul_i32_i24_e32 v72, v46, v45
	;; [unrolled: 3-line block ×5, first 2 shown]
	v_add3_u32 v71, v74, v72, v71
	v_mul_i32_i24_e32 v72, v94, v245
	s_delay_alu instid0(VALU_DEP_3) | instskip(SKIP_1) | instid1(VALU_DEP_3)
	v_add3_u32 v82, v83, v82, v88
	v_mul_i32_i24_e32 v83, v32, v224
	v_add3_u32 v28, v28, v72, v38
	v_bfe_i32 v38, v27, 16, 8
	v_ashrrev_i32_e32 v27, 24, v27
	v_mul_i32_i24_e32 v88, v44, v225
	s_delay_alu instid0(VALU_DEP_3) | instskip(NEXT) | instid1(VALU_DEP_3)
	v_mul_i32_i24_e32 v72, v38, v217
	v_mul_i32_i24_e32 v73, v27, v218
	;; [unrolled: 1-line block ×3, first 2 shown]
	s_delay_alu instid0(VALU_DEP_4) | instskip(NEXT) | instid1(VALU_DEP_3)
	v_add3_u32 v83, v90, v83, v88
	v_add3_u32 v72, v80, v72, v73
	v_mul_i32_i24_e32 v73, v38, v219
	s_delay_alu instid0(VALU_DEP_1) | instskip(SKIP_1) | instid1(VALU_DEP_1)
	v_add3_u32 v73, v81, v73, v74
	v_mul_i32_i24_e32 v74, v26, v230
	v_add3_u32 v45, v53, v45, v74
	v_mul_i32_i24_e32 v53, v56, v245
	s_delay_alu instid0(VALU_DEP_1) | instskip(SKIP_2) | instid1(VALU_DEP_2)
	v_add3_u32 v30, v30, v53, v37
	v_bfe_i32 v37, v29, 16, 8
	v_ashrrev_i32_e32 v29, 24, v29
	v_mul_i32_i24_e32 v53, v37, v217
	s_delay_alu instid0(VALU_DEP_2) | instskip(SKIP_1) | instid1(VALU_DEP_2)
	v_mul_i32_i24_e32 v56, v29, v218
	v_mul_i32_i24_e32 v74, v29, v220
	v_add3_u32 v53, v82, v53, v56
	v_mul_i32_i24_e32 v56, v37, v219
	s_delay_alu instid0(VALU_DEP_1) | instskip(SKIP_1) | instid1(VALU_DEP_1)
	v_add3_u32 v56, v83, v56, v74
	v_mul_i32_i24_e32 v74, v229, v245
	v_add3_u32 v1, v1, v58, v74
	v_mul_i32_i24_e32 v58, v242, v198
	s_delay_alu instid0(VALU_DEP_2) | instskip(NEXT) | instid1(VALU_DEP_2)
	v_cvt_f32_i32_e32 v1, v1
	v_add3_u32 v0, v0, v58, v33
	v_mul_i32_i24_e32 v33, v60, v217
	v_mul_i32_i24_e32 v58, v237, v218
	s_delay_alu instid0(VALU_DEP_1) | instskip(SKIP_2) | instid1(VALU_DEP_1)
	v_add3_u32 v11, v11, v33, v58
	v_mul_i32_i24_e32 v33, v60, v219
	v_mul_i32_i24_e32 v58, v237, v220
	v_add3_u32 v13, v13, v33, v58
	v_mul_i32_i24_e32 v33, v198, v42
	v_mul_i32_i24_e32 v58, v25, v55
	s_delay_alu instid0(VALU_DEP_1)
	v_add3_u32 v33, v47, v33, v58
	v_mul_i32_i24_e32 v47, v75, v43
	scratch_load_b32 v58, off, off offset:68 th:TH_LOAD_LU ; 4-byte Folded Reload
	v_add3_u32 v5, v5, v47, v15
	v_mul_i32_i24_e32 v15, v198, v34
	v_mul_i32_i24_e32 v47, v25, v52
	s_delay_alu instid0(VALU_DEP_1)
	v_add3_u32 v3, v3, v15, v47
	v_mul_i32_i24_e32 v15, v18, v64
	v_mul_i32_i24_e32 v18, v66, v43
	v_mov_b32_e32 v47, v162
	scratch_load_b32 v162, off, off offset:100 th:TH_LOAD_LU ; 4-byte Folded Reload
	v_add3_u32 v7, v7, v18, v15
	v_mul_i32_i24_e32 v15, v198, v40
	v_mul_i32_i24_e32 v18, v25, v59
	s_delay_alu instid0(VALU_DEP_1) | instskip(SKIP_2) | instid1(VALU_DEP_1)
	v_add3_u32 v15, v62, v15, v18
	v_mul_i32_i24_e32 v18, v20, v64
	v_mul_i32_i24_e32 v20, v85, v43
	v_add3_u32 v9, v9, v20, v18
	v_mul_i32_i24_e32 v18, v198, v36
	v_mul_i32_i24_e32 v20, v25, v63
	s_delay_alu instid0(VALU_DEP_1)
	v_add3_u32 v18, v68, v18, v20
	v_mul_i32_i24_e32 v20, v22, v64
	v_mul_i32_i24_e32 v22, v48, v43
	scratch_load_b32 v68, off, off offset:88 th:TH_LOAD_LU ; 4-byte Folded Reload
	v_add3_u32 v17, v17, v22, v20
	v_mul_i32_i24_e32 v20, v198, v35
	v_mul_i32_i24_e32 v22, v25, v79
	;; [unrolled: 1-line block ×3, first 2 shown]
	s_delay_alu instid0(VALU_DEP_2) | instskip(SKIP_2) | instid1(VALU_DEP_1)
	v_add3_u32 v20, v71, v20, v22
	v_mul_i32_i24_e32 v22, v24, v64
	v_mul_i32_i24_e32 v24, v46, v43
	v_add3_u32 v22, v28, v24, v22
	v_mul_i32_i24_e32 v24, v198, v32
	v_mul_i32_i24_e32 v28, v237, v197
	s_delay_alu instid0(VALU_DEP_2)
	v_add3_u32 v24, v45, v24, v25
	v_mul_i32_i24_e32 v25, v26, v64
	v_mul_i32_i24_e32 v26, v57, v43
	s_clause 0x4
	scratch_load_b32 v45, off, off offset:44 th:TH_LOAD_LU
	scratch_load_b32 v64, off, off offset:84 th:TH_LOAD_LU
	scratch_load_b32 v46, off, off offset:48 th:TH_LOAD_LU
	scratch_load_b32 v57, off, off offset:64 th:TH_LOAD_LU
	scratch_load_b32 v43, off, off offset:40 th:TH_LOAD_LU
	v_add3_u32 v25, v30, v26, v25
	v_mul_i32_i24_e32 v26, v60, v196
	v_mul_i32_i24_e32 v30, v23, v55
	s_clause 0x1
	scratch_load_b32 v60, off, off offset:76 th:TH_LOAD_LU
	scratch_load_b32 v55, off, off offset:56 th:TH_LOAD_LU
	v_add3_u32 v0, v0, v26, v28
	v_mul_i32_i24_e32 v26, v196, v49
	v_mul_i32_i24_e32 v28, v197, v4
	;; [unrolled: 1-line block ×3, first 2 shown]
	s_delay_alu instid0(VALU_DEP_4) | instskip(NEXT) | instid1(VALU_DEP_3)
	v_cvt_f32_i32_e32 v0, v0
	v_add3_u32 v26, v33, v26, v28
	v_mul_i32_i24_e32 v28, v21, v42
	scratch_load_b32 v42, off, off offset:32 th:TH_LOAD_LU ; 4-byte Folded Reload
	v_add3_u32 v5, v5, v28, v30
	v_mul_i32_i24_e32 v28, v196, v41
	v_mul_i32_i24_e32 v30, v197, v6
	;; [unrolled: 1-line block ×3, first 2 shown]
	s_delay_alu instid0(VALU_DEP_2) | instskip(SKIP_2) | instid1(VALU_DEP_1)
	v_add3_u32 v3, v3, v28, v30
	v_mul_i32_i24_e32 v28, v21, v34
	v_mul_i32_i24_e32 v30, v23, v52
	v_add3_u32 v7, v7, v28, v30
	v_mul_i32_i24_e32 v28, v196, v50
	v_mul_i32_i24_e32 v30, v197, v8
	s_delay_alu instid0(VALU_DEP_1)
	v_add3_u32 v15, v15, v28, v30
	v_mul_i32_i24_e32 v28, v21, v40
	v_mul_i32_i24_e32 v30, v23, v59
	scratch_load_b32 v59, off, off offset:72 th:TH_LOAD_LU ; 4-byte Folded Reload
	v_add3_u32 v9, v9, v28, v30
	v_mul_i32_i24_e32 v28, v196, v39
	v_mul_i32_i24_e32 v30, v197, v16
	s_delay_alu instid0(VALU_DEP_1)
	v_add3_u32 v18, v18, v28, v30
	v_mul_i32_i24_e32 v28, v21, v36
	v_mul_i32_i24_e32 v30, v23, v63
	scratch_load_b32 v36, off, off offset:4 th:TH_LOAD_LU ; 4-byte Folded Reload
	v_add3_u32 v17, v17, v28, v30
	v_mul_i32_i24_e32 v28, v196, v38
	v_mul_i32_i24_e32 v30, v197, v27
	s_delay_alu instid0(VALU_DEP_1) | instskip(SKIP_4) | instid1(VALU_DEP_3)
	v_add3_u32 v20, v20, v28, v30
	v_mul_i32_i24_e32 v28, v21, v35
	v_mul_i32_i24_e32 v30, v23, v79
	;; [unrolled: 1-line block ×4, first 2 shown]
	v_add3_u32 v22, v22, v28, v30
	v_mul_i32_i24_e32 v28, v196, v37
	s_delay_alu instid0(VALU_DEP_3)
	v_add3_u32 v21, v25, v21, v23
	v_mul_i32_i24_e32 v23, v14, v49
	s_clause 0x1
	scratch_load_b32 v49, off, off offset:36 th:TH_LOAD_LU
	scratch_load_b32 v44, off, off offset:28 th:TH_LOAD_LU
	v_mul_i32_i24_e32 v30, v197, v29
	v_add3_u32 v4, v5, v23, v4
	v_mul_i32_i24_e32 v5, v14, v41
	scratch_load_b32 v41, off, off offset:24 th:TH_LOAD_LU ; 4-byte Folded Reload
	v_add3_u32 v24, v24, v28, v30
	v_add3_u32 v5, v7, v5, v6
	v_mul_i32_i24_e32 v6, v14, v50
	v_mul_i32_i24_e32 v7, v19, v8
	v_mul_i32_i24_e32 v8, v19, v16
	s_delay_alu instid0(VALU_DEP_2)
	v_add3_u32 v6, v9, v6, v7
	v_mul_i32_i24_e32 v7, v14, v39
	v_mul_i32_i24_e32 v9, v19, v27
	scratch_load_b32 v39, off, off offset:20 th:TH_LOAD_LU ; 4-byte Folded Reload
	v_add3_u32 v7, v17, v7, v8
	v_mul_i32_i24_e32 v8, v14, v38
	s_clause 0x1
	scratch_load_b32 v38, off, off offset:16 th:TH_LOAD_LU
	scratch_load_b32 v35, off, off th:TH_LOAD_LU
	v_add3_u32 v8, v22, v8, v9
	v_mul_i32_i24_e32 v9, v14, v37
	s_clause 0x3
	scratch_load_b32 v37, off, off offset:12 th:TH_LOAD_LU
	scratch_load_b32 v40, off, off offset:8 th:TH_LOAD_LU
	scratch_load_b32 v16, off, off offset:124 th:TH_LOAD_LU
	scratch_load_b32 v17, off, off offset:236 th:TH_LOAD_LU
	v_mul_i32_i24_e32 v14, v19, v29
	s_delay_alu instid0(VALU_DEP_1) | instskip(SKIP_2) | instid1(VALU_DEP_1)
	v_add3_u32 v9, v21, v9, v14
	v_cvt_f32_i32_e32 v14, v31
	s_wait_loadcnt 0x1
	v_fma_mix_f32 v14, v16, v14, v16 op_sel:[0,0,1] op_sel_hi:[1,0,1]
	v_cvt_f32_i32_e32 v16, v84
	s_delay_alu instid0(VALU_DEP_2) | instskip(SKIP_3) | instid1(VALU_DEP_1)
	v_add_f32_e32 v58, v58, v14
	scratch_load_b32 v14, off, off offset:192 th:TH_LOAD_LU ; 4-byte Folded Reload
	s_wait_loadcnt 0x1
	v_fma_mix_f32 v16, v17, v16, v17 op_sel:[0,0,1] op_sel_hi:[1,0,1]
	v_add_f32_e32 v138, v138, v16
	scratch_load_b32 v16, off, off offset:204 th:TH_LOAD_LU ; 4-byte Folded Reload
	s_wait_loadcnt 0x1
	v_fma_mix_f32 v10, v14, v10, v14 op_sel:[0,0,1] op_sel_hi:[1,0,1]
	scratch_load_b32 v14, off, off offset:188 th:TH_LOAD_LU ; 4-byte Folded Reload
	s_wait_loadcnt 0x0
	v_fma_mix_f32 v12, v14, v12, v14 op_sel:[0,0,1] op_sel_hi:[1,0,1]
	v_cvt_f32_i32_e32 v14, v51
	s_delay_alu instid0(VALU_DEP_2) | instskip(NEXT) | instid1(VALU_DEP_2)
	v_add_f32_e32 v68, v68, v12
	v_fma_mix_f32 v14, v16, v14, v16 op_sel:[0,0,1] op_sel_hi:[1,0,1]
	scratch_load_b32 v16, off, off offset:196 th:TH_LOAD_LU ; 4-byte Folded Reload
	s_wait_loadcnt 0x0
	v_fma_mix_f32 v2, v16, v2, v16 op_sel:[0,0,1] op_sel_hi:[1,0,1]
	v_cvt_f32_i32_e32 v16, v54
	s_clause 0x1
	scratch_load_b32 v54, off, off offset:52 th:TH_LOAD_LU
	scratch_load_b32 v17, off, off offset:208 th:TH_LOAD_LU
	v_add_f32_e32 v55, v55, v2
	s_wait_loadcnt 0x0
	v_fma_mix_f32 v16, v17, v16, v17 op_sel:[0,0,1] op_sel_hi:[1,0,1]
	v_cvt_f32_i32_e32 v17, v61
	s_clause 0x3
	scratch_load_b32 v61, off, off offset:80 th:TH_LOAD_LU
	scratch_load_b32 v19, off, off offset:200 th:TH_LOAD_LU
	;; [unrolled: 1-line block ×4, first 2 shown]
	v_add_f32_e32 v124, v124, v16
	s_wait_loadcnt 0x2
	v_fma_mix_f32 v17, v19, v17, v19 op_sel:[0,0,1] op_sel_hi:[1,0,1]
	v_cvt_f32_i32_e32 v19, v65
	s_delay_alu instid0(VALU_DEP_2) | instskip(SKIP_1) | instid1(VALU_DEP_2)
	v_add_f32_e32 v137, v137, v17
	s_wait_loadcnt 0x1
	v_fma_mix_f32 v19, v21, v19, v21 op_sel:[0,0,1] op_sel_hi:[1,0,1]
	v_cvt_f32_i32_e32 v21, v67
	s_delay_alu instid0(VALU_DEP_2) | instskip(SKIP_1) | instid1(VALU_DEP_2)
	v_add_f32_e32 v162, v162, v19
	s_wait_loadcnt 0x0
	v_fma_mix_f32 v21, v22, v21, v22 op_sel:[0,0,1] op_sel_hi:[1,0,1]
	v_cvt_f32_i32_e32 v22, v69
	s_clause 0x1
	scratch_load_b32 v69, off, off offset:92 th:TH_LOAD_LU
	scratch_load_b32 v23, off, off offset:224 th:TH_LOAD_LU
	v_add_f32_e32 v47, v47, v21
	s_wait_loadcnt 0x1
	v_add_f32_e32 v69, v69, v10
	s_wait_loadcnt 0x0
	v_fma_mix_f32 v22, v23, v22, v23 op_sel:[0,0,1] op_sel_hi:[1,0,1]
	v_cvt_f32_i32_e32 v23, v70
	s_clause 0x4
	scratch_load_b32 v70, off, off offset:96 th:TH_LOAD_LU
	scratch_load_b32 v25, off, off offset:216 th:TH_LOAD_LU
	;; [unrolled: 1-line block ×5, first 2 shown]
	v_add_f32_e32 v44, v44, v22
	s_wait_loadcnt 0x3
	v_fma_mix_f32 v23, v25, v23, v25 op_sel:[0,0,1] op_sel_hi:[1,0,1]
	v_cvt_f32_i32_e32 v25, v72
	s_delay_alu instid0(VALU_DEP_2) | instskip(SKIP_1) | instid1(VALU_DEP_2)
	v_add_f32_e32 v43, v43, v23
	s_wait_loadcnt 0x2
	v_fma_mix_f32 v25, v27, v25, v27 op_sel:[0,0,1] op_sel_hi:[1,0,1]
	v_cvt_f32_i32_e32 v27, v73
	s_delay_alu instid0(VALU_DEP_2) | instskip(SKIP_1) | instid1(VALU_DEP_2)
	;; [unrolled: 5-line block ×3, first 2 shown]
	v_add_f32_e32 v39, v39, v27
	s_wait_loadcnt 0x0
	v_fma_mix_f32 v28, v29, v28, v29 op_sel:[0,0,1] op_sel_hi:[1,0,1]
	v_cvt_f32_i32_e32 v29, v56
	s_clause 0x4
	scratch_load_b32 v56, off, off offset:60 th:TH_LOAD_LU
	scratch_load_b32 v30, off, off offset:232 th:TH_LOAD_LU
	;; [unrolled: 1-line block ×5, first 2 shown]
	v_add_f32_e32 v36, v36, v28
	s_wait_loadcnt 0x4
	v_add_f32_e32 v56, v56, v14
	scratch_load_b32 v14, off, off offset:112 th:TH_LOAD_LU ; 4-byte Folded Reload
	s_wait_loadcnt 0x3
	v_fma_mix_f32 v1, v10, v1, v10 op_sel:[0,0,1] op_sel_hi:[1,0,1]
	v_cvt_f32_i32_e32 v10, v11
	scratch_load_b32 v11, off, off offset:184 th:TH_LOAD_LU ; 4-byte Folded Reload
	v_fma_mix_f32 v29, v30, v29, v30 op_sel:[0,0,1] op_sel_hi:[1,0,1]
	v_add_f32_e32 v70, v70, v1
	scratch_load_b32 v1, off, off offset:152 th:TH_LOAD_LU ; 4-byte Folded Reload
	s_wait_loadcnt 0x2
	v_dual_add_f32 v35, v35, v29 :: v_dual_add_nc_u32 v14, 4, v14
	s_wait_loadcnt 0x0
	v_fma_mix_f32 v0, v1, v0, v1 op_sel:[0,0,1] op_sel_hi:[1,0,1]
	v_cvt_f32_i32_e32 v1, v26
	s_delay_alu instid0(VALU_DEP_2) | instskip(NEXT) | instid1(VALU_DEP_2)
	v_add_f32_e32 v64, v64, v0
	v_fma_mix_f32 v1, v2, v1, v2 op_sel:[0,0,1] op_sel_hi:[1,0,1]
	v_cvt_f32_i32_e32 v2, v3
	scratch_load_b32 v3, off, off offset:160 th:TH_LOAD_LU ; 4-byte Folded Reload
	v_fma_mix_f32 v10, v11, v10, v11 op_sel:[0,0,1] op_sel_hi:[1,0,1]
	v_cvt_f32_i32_e32 v11, v13
	v_add_f32_e32 v59, v59, v1
	v_cvt_f32_i32_e32 v0, v4
	s_delay_alu instid0(VALU_DEP_4) | instskip(NEXT) | instid1(VALU_DEP_4)
	v_add_f32_e32 v61, v61, v10
	v_fma_mix_f32 v11, v12, v11, v12 op_sel:[0,0,1] op_sel_hi:[1,0,1]
	s_delay_alu instid0(VALU_DEP_1)
	v_add_f32_e32 v60, v60, v11
	s_wait_loadcnt 0x0
	v_fma_mix_f32 v2, v3, v2, v3 op_sel:[0,0,1] op_sel_hi:[1,0,1]
	v_cvt_f32_i32_e32 v3, v15
	s_clause 0x5
	scratch_load_b32 v15, off, off offset:116 th:TH_LOAD_LU
	scratch_load_b32 v10, off, off offset:164 th:TH_LOAD_LU
	;; [unrolled: 1-line block ×6, first 2 shown]
	v_add_f32_e32 v54, v54, v2
	scratch_load_b32 v2, off, off offset:136 th:TH_LOAD_LU ; 4-byte Folded Reload
	s_wait_loadcnt 0x6
	v_add_nc_u32_e32 v15, 4, v15
	s_wait_loadcnt 0x5
	v_fma_mix_f32 v3, v10, v3, v10 op_sel:[0,0,1] op_sel_hi:[1,0,1]
	v_cvt_f32_i32_e32 v10, v18
	s_delay_alu instid0(VALU_DEP_2) | instskip(SKIP_1) | instid1(VALU_DEP_2)
	v_add_f32_e32 v136, v136, v3
	s_wait_loadcnt 0x4
	v_fma_mix_f32 v10, v11, v10, v11 op_sel:[0,0,1] op_sel_hi:[1,0,1]
	v_cvt_f32_i32_e32 v11, v20
	scratch_load_b32 v3, off, off offset:140 th:TH_LOAD_LU ; 4-byte Folded Reload
	v_add_f32_e32 v46, v46, v10
	s_wait_loadcnt 0x4
	v_fma_mix_f32 v11, v12, v11, v12 op_sel:[0,0,1] op_sel_hi:[1,0,1]
	v_cvt_f32_i32_e32 v12, v24
	s_delay_alu instid0(VALU_DEP_2) | instskip(SKIP_1) | instid1(VALU_DEP_2)
	v_add_f32_e32 v42, v42, v11
	s_wait_loadcnt 0x3
	v_fma_mix_f32 v12, v13, v12, v13 op_sel:[0,0,1] op_sel_hi:[1,0,1]
	scratch_load_b32 v11, off, off offset:108 th:TH_LOAD_LU ; 4-byte Folded Reload
	s_wait_loadcnt 0x3
	v_fma_mix_f32 v13, v1, v0, v1 op_sel:[0,0,1] op_sel_hi:[1,0,1]
	scratch_load_b32 v1, off, off offset:132 th:TH_LOAD_LU ; 4-byte Folded Reload
	v_cvt_f32_i32_e32 v0, v5
	v_dual_add_f32 v38, v38, v12 :: v_dual_add_f32 v57, v57, v13
	s_wait_loadcnt 0x1
	v_add_nc_u32_e32 v11, 4, v11
	s_wait_loadcnt 0x0
	v_fma_mix_f32 v0, v1, v0, v1 op_sel:[0,0,1] op_sel_hi:[1,0,1]
	v_cvt_f32_i32_e32 v1, v6
	s_delay_alu instid0(VALU_DEP_2) | instskip(NEXT) | instid1(VALU_DEP_2)
	v_add_f32_e32 v161, v161, v0
	v_fma_mix_f32 v1, v2, v1, v2 op_sel:[0,0,1] op_sel_hi:[1,0,1]
	v_cvt_f32_i32_e32 v2, v7
	s_delay_alu instid0(VALU_DEP_2) | instskip(NEXT) | instid1(VALU_DEP_2)
	v_add_f32_e32 v49, v49, v1
	v_fma_mix_f32 v4, v3, v2, v3 op_sel:[0,0,1] op_sel_hi:[1,0,1]
	scratch_load_b32 v3, off, off offset:148 th:TH_LOAD_LU ; 4-byte Folded Reload
	v_cvt_f32_i32_e32 v2, v8
	v_add_f32_e32 v45, v45, v4
	s_wait_loadcnt 0x0
	s_delay_alu instid0(VALU_DEP_2)
	v_fma_mix_f32 v5, v3, v2, v3 op_sel:[0,0,1] op_sel_hi:[1,0,1]
	v_cvt_f32_i32_e32 v2, v9
	s_clause 0x1
	scratch_load_b32 v9, off, off offset:104 th:TH_LOAD_LU
	scratch_load_b32 v3, off, off offset:144 th:TH_LOAD_LU
	v_add_f32_e32 v41, v41, v5
	s_wait_loadcnt 0x1
	v_add_nc_u32_e32 v9, 4, v9
	s_wait_loadcnt 0x0
	v_fma_mix_f32 v6, v3, v2, v3 op_sel:[0,0,1] op_sel_hi:[1,0,1]
	s_delay_alu instid0(VALU_DEP_1)
	v_add_f32_e32 v40, v40, v6
	s_cbranch_scc1 .LBB159_12
; %bb.13:                               ;   in Loop: Header=BB159_7 Depth=1
	s_wait_storecnt 0x0
	s_barrier_signal -1
	s_barrier_wait -1
	global_inv scope:SCOPE_SE
	s_branch .LBB159_5
.LBB159_14:
	s_clause 0x1
	scratch_load_b32 v1, off, off offset:500 th:TH_LOAD_LU
	scratch_load_b32 v2, off, off offset:248 th:TH_LOAD_LU
.LBB159_15:
	scratch_load_b32 v0, off, off offset:496 ; 4-byte Folded Reload
	s_mov_b32 s0, exec_lo
	s_wait_loadcnt 0x0
	v_cmpx_gt_u32_e64 s4, v0
	s_cbranch_execz .LBB159_66
; %bb.16:
	v_dual_mov_b32 v3, v0 :: v_dual_add_nc_u32 v0, s14, v2
	s_delay_alu instid0(VALU_DEP_1) | instskip(NEXT) | instid1(VALU_DEP_2)
	v_mul_lo_u32 v5, v3, s6
	v_cmp_gt_u32_e32 vcc_lo, s6, v0
	s_and_saveexec_b32 s1, vcc_lo
	s_cbranch_execz .LBB159_18
; %bb.17:
	v_bfe_u32 v3, v58, 16, 1
	s_delay_alu instid0(VALU_DEP_3) | instskip(SKIP_1) | instid1(VALU_DEP_3)
	v_add_nc_u32_e32 v2, v0, v5
	v_cmp_o_f32_e64 s0, v58, v58
	v_add3_u32 v4, v58, v3, 0x7fff
	v_mov_b32_e32 v3, 0
	s_delay_alu instid0(VALU_DEP_2) | instskip(NEXT) | instid1(VALU_DEP_2)
	v_lshrrev_b32_e32 v4, 16, v4
	v_lshlrev_b64_e32 v[2:3], 1, v[2:3]
	s_delay_alu instid0(VALU_DEP_2) | instskip(SKIP_1) | instid1(VALU_DEP_2)
	v_cndmask_b32_e64 v4, 0x7fc0, v4, s0
	s_wait_kmcnt 0x0
	v_add_co_u32 v2, s0, s8, v2
	s_wait_alu 0xf1ff
	s_delay_alu instid0(VALU_DEP_3)
	v_add_co_ci_u32_e64 v3, null, s9, v3, s0
	global_store_b16 v[2:3], v4, off
.LBB159_18:
	s_or_b32 exec_lo, exec_lo, s1
	v_add_nc_u32_e32 v2, 32, v0
	s_delay_alu instid0(VALU_DEP_1)
	v_cmp_gt_u32_e64 s0, s6, v2
	s_and_saveexec_b32 s2, s0
	s_cbranch_execz .LBB159_20
; %bb.19:
	v_bfe_u32 v4, v70, 16, 1
	v_add_nc_u32_e32 v3, v2, v5
	v_cmp_o_f32_e64 s1, v70, v70
	s_delay_alu instid0(VALU_DEP_3) | instskip(SKIP_1) | instid1(VALU_DEP_2)
	v_add3_u32 v6, v70, v4, 0x7fff
	v_mov_b32_e32 v4, 0
	v_lshrrev_b32_e32 v6, 16, v6
	s_delay_alu instid0(VALU_DEP_2) | instskip(SKIP_1) | instid1(VALU_DEP_2)
	v_lshlrev_b64_e32 v[3:4], 1, v[3:4]
	s_wait_alu 0xf1ff
	v_cndmask_b32_e64 v6, 0x7fc0, v6, s1
	s_wait_kmcnt 0x0
	s_delay_alu instid0(VALU_DEP_2)
	v_add_co_u32 v3, s1, s8, v3
	s_wait_alu 0xf1ff
	v_add_co_ci_u32_e64 v4, null, s9, v4, s1
	global_store_b16 v[3:4], v6, off
.LBB159_20:
	s_wait_alu 0xfffe
	s_or_b32 exec_lo, exec_lo, s2
	v_add_nc_u32_e32 v3, 64, v0
	s_delay_alu instid0(VALU_DEP_1)
	v_cmp_gt_u32_e64 s1, s6, v3
	s_and_saveexec_b32 s3, s1
	s_cbranch_execz .LBB159_22
; %bb.21:
	v_bfe_u32 v4, v69, 16, 1
	v_dual_mov_b32 v7, 0 :: v_dual_add_nc_u32 v6, v3, v5
	v_cmp_o_f32_e64 s2, v69, v69
	s_delay_alu instid0(VALU_DEP_3) | instskip(NEXT) | instid1(VALU_DEP_3)
	v_add3_u32 v4, v69, v4, 0x7fff
	v_lshlrev_b64_e32 v[6:7], 1, v[6:7]
	s_delay_alu instid0(VALU_DEP_2) | instskip(SKIP_1) | instid1(VALU_DEP_1)
	v_lshrrev_b32_e32 v4, 16, v4
	s_wait_alu 0xf1ff
	v_cndmask_b32_e64 v4, 0x7fc0, v4, s2
	s_wait_kmcnt 0x0
	s_delay_alu instid0(VALU_DEP_3)
	v_add_co_u32 v6, s2, s8, v6
	s_wait_alu 0xf1ff
	v_add_co_ci_u32_e64 v7, null, s9, v7, s2
	global_store_b16 v[6:7], v4, off
.LBB159_22:
	s_wait_alu 0xfffe
	s_or_b32 exec_lo, exec_lo, s3
	v_add_nc_u32_e32 v4, 0x60, v0
	s_delay_alu instid0(VALU_DEP_1)
	v_cmp_gt_u32_e64 s2, s6, v4
	s_and_saveexec_b32 s5, s2
	s_cbranch_execz .LBB159_24
; %bb.23:
	v_bfe_u32 v6, v68, 16, 1
	v_add_nc_u32_e32 v5, v4, v5
	v_cmp_o_f32_e64 s3, v68, v68
	s_delay_alu instid0(VALU_DEP_3) | instskip(SKIP_1) | instid1(VALU_DEP_2)
	v_add3_u32 v7, v68, v6, 0x7fff
	v_mov_b32_e32 v6, 0
	v_lshrrev_b32_e32 v7, 16, v7
	s_delay_alu instid0(VALU_DEP_2) | instskip(SKIP_1) | instid1(VALU_DEP_2)
	v_lshlrev_b64_e32 v[5:6], 1, v[5:6]
	s_wait_alu 0xf1ff
	v_cndmask_b32_e64 v7, 0x7fc0, v7, s3
	s_wait_kmcnt 0x0
	s_delay_alu instid0(VALU_DEP_2)
	v_add_co_u32 v5, s3, s8, v5
	s_wait_alu 0xf1ff
	v_add_co_ci_u32_e64 v6, null, s9, v6, s3
	global_store_b16 v[5:6], v7, off
.LBB159_24:
	s_wait_alu 0xfffe
	s_or_b32 exec_lo, exec_lo, s5
	v_add3_u32 v5, v1, s7, 8
	s_delay_alu instid0(VALU_DEP_1)
	v_cmp_gt_u32_e64 s3, s4, v5
	s_and_b32 exec_lo, exec_lo, s3
	s_cbranch_execz .LBB159_66
; %bb.25:
	v_mul_lo_u32 v5, v5, s6
	s_and_saveexec_b32 s5, vcc_lo
	s_cbranch_execnz .LBB159_67
; %bb.26:
	s_wait_alu 0xfffe
	s_or_b32 exec_lo, exec_lo, s5
	s_and_saveexec_b32 s5, s0
	s_cbranch_execnz .LBB159_68
.LBB159_27:
	s_wait_alu 0xfffe
	s_or_b32 exec_lo, exec_lo, s5
	s_and_saveexec_b32 s5, s1
	s_cbranch_execnz .LBB159_69
.LBB159_28:
	s_wait_alu 0xfffe
	s_or_b32 exec_lo, exec_lo, s5
	s_and_saveexec_b32 s5, s2
	s_cbranch_execz .LBB159_30
.LBB159_29:
	v_bfe_u32 v6, v60, 16, 1
	v_add_nc_u32_e32 v5, v5, v4
	v_cmp_o_f32_e64 s3, v60, v60
	s_delay_alu instid0(VALU_DEP_3) | instskip(SKIP_1) | instid1(VALU_DEP_2)
	v_add3_u32 v7, v60, v6, 0x7fff
	v_mov_b32_e32 v6, 0
	v_lshrrev_b32_e32 v7, 16, v7
	s_delay_alu instid0(VALU_DEP_2) | instskip(SKIP_1) | instid1(VALU_DEP_2)
	v_lshlrev_b64_e32 v[5:6], 1, v[5:6]
	s_wait_alu 0xf1ff
	v_cndmask_b32_e64 v7, 0x7fc0, v7, s3
	s_wait_kmcnt 0x0
	s_delay_alu instid0(VALU_DEP_2)
	v_add_co_u32 v5, s3, s8, v5
	s_wait_alu 0xf1ff
	v_add_co_ci_u32_e64 v6, null, s9, v6, s3
	global_store_b16 v[5:6], v7, off
.LBB159_30:
	s_wait_alu 0xfffe
	s_or_b32 exec_lo, exec_lo, s5
	v_add3_u32 v5, v1, s7, 16
	s_delay_alu instid0(VALU_DEP_1)
	v_cmp_gt_u32_e64 s3, s4, v5
	s_and_b32 exec_lo, exec_lo, s3
	s_cbranch_execz .LBB159_66
; %bb.31:
	v_mul_lo_u32 v5, v5, s6
	s_and_saveexec_b32 s5, vcc_lo
	s_cbranch_execnz .LBB159_70
; %bb.32:
	s_wait_alu 0xfffe
	s_or_b32 exec_lo, exec_lo, s5
	s_and_saveexec_b32 s5, s0
	s_cbranch_execnz .LBB159_71
.LBB159_33:
	s_wait_alu 0xfffe
	s_or_b32 exec_lo, exec_lo, s5
	s_and_saveexec_b32 s5, s1
	s_cbranch_execnz .LBB159_72
.LBB159_34:
	s_wait_alu 0xfffe
	s_or_b32 exec_lo, exec_lo, s5
	s_and_saveexec_b32 s5, s2
	s_cbranch_execz .LBB159_36
.LBB159_35:
	v_bfe_u32 v6, v55, 16, 1
	v_add_nc_u32_e32 v5, v5, v4
	v_cmp_o_f32_e64 s3, v55, v55
	s_delay_alu instid0(VALU_DEP_3) | instskip(SKIP_1) | instid1(VALU_DEP_2)
	v_add3_u32 v7, v55, v6, 0x7fff
	v_mov_b32_e32 v6, 0
	v_lshrrev_b32_e32 v7, 16, v7
	s_delay_alu instid0(VALU_DEP_2) | instskip(SKIP_1) | instid1(VALU_DEP_2)
	v_lshlrev_b64_e32 v[5:6], 1, v[5:6]
	s_wait_alu 0xf1ff
	v_cndmask_b32_e64 v7, 0x7fc0, v7, s3
	s_wait_kmcnt 0x0
	s_delay_alu instid0(VALU_DEP_2)
	v_add_co_u32 v5, s3, s8, v5
	s_wait_alu 0xf1ff
	v_add_co_ci_u32_e64 v6, null, s9, v6, s3
	global_store_b16 v[5:6], v7, off
.LBB159_36:
	s_wait_alu 0xfffe
	s_or_b32 exec_lo, exec_lo, s5
	v_add3_u32 v5, v1, s7, 24
	s_delay_alu instid0(VALU_DEP_1)
	v_cmp_gt_u32_e64 s3, s4, v5
	s_and_b32 exec_lo, exec_lo, s3
	s_cbranch_execz .LBB159_66
; %bb.37:
	v_mul_lo_u32 v5, v5, s6
	s_and_saveexec_b32 s5, vcc_lo
	s_cbranch_execnz .LBB159_73
; %bb.38:
	s_wait_alu 0xfffe
	s_or_b32 exec_lo, exec_lo, s5
	s_and_saveexec_b32 s5, s0
	s_cbranch_execnz .LBB159_74
.LBB159_39:
	s_wait_alu 0xfffe
	s_or_b32 exec_lo, exec_lo, s5
	s_and_saveexec_b32 s5, s1
	s_cbranch_execnz .LBB159_75
.LBB159_40:
	s_wait_alu 0xfffe
	s_or_b32 exec_lo, exec_lo, s5
	s_and_saveexec_b32 s5, s2
	s_cbranch_execz .LBB159_42
.LBB159_41:
	v_bfe_u32 v6, v137, 16, 1
	v_add_nc_u32_e32 v5, v5, v4
	v_cmp_o_f32_e64 s3, v137, v137
	s_delay_alu instid0(VALU_DEP_3) | instskip(SKIP_1) | instid1(VALU_DEP_2)
	v_add3_u32 v7, v137, v6, 0x7fff
	v_mov_b32_e32 v6, 0
	v_lshrrev_b32_e32 v7, 16, v7
	s_delay_alu instid0(VALU_DEP_2) | instskip(SKIP_1) | instid1(VALU_DEP_2)
	v_lshlrev_b64_e32 v[5:6], 1, v[5:6]
	s_wait_alu 0xf1ff
	v_cndmask_b32_e64 v7, 0x7fc0, v7, s3
	s_wait_kmcnt 0x0
	s_delay_alu instid0(VALU_DEP_2)
	v_add_co_u32 v5, s3, s8, v5
	s_wait_alu 0xf1ff
	v_add_co_ci_u32_e64 v6, null, s9, v6, s3
	global_store_b16 v[5:6], v7, off
.LBB159_42:
	s_wait_alu 0xfffe
	s_or_b32 exec_lo, exec_lo, s5
	v_add3_u32 v5, v1, s7, 32
	s_delay_alu instid0(VALU_DEP_1)
	v_cmp_gt_u32_e64 s3, s4, v5
	s_and_b32 exec_lo, exec_lo, s3
	s_cbranch_execz .LBB159_66
; %bb.43:
	v_mul_lo_u32 v5, v5, s6
	s_and_saveexec_b32 s5, vcc_lo
	s_cbranch_execnz .LBB159_76
; %bb.44:
	s_wait_alu 0xfffe
	s_or_b32 exec_lo, exec_lo, s5
	s_and_saveexec_b32 s5, s0
	s_cbranch_execnz .LBB159_77
.LBB159_45:
	s_wait_alu 0xfffe
	s_or_b32 exec_lo, exec_lo, s5
	s_and_saveexec_b32 s5, s1
	s_cbranch_execnz .LBB159_78
.LBB159_46:
	s_wait_alu 0xfffe
	s_or_b32 exec_lo, exec_lo, s5
	s_and_saveexec_b32 s5, s2
	s_cbranch_execz .LBB159_48
.LBB159_47:
	v_bfe_u32 v6, v47, 16, 1
	v_add_nc_u32_e32 v5, v5, v4
	v_cmp_o_f32_e64 s3, v47, v47
	s_delay_alu instid0(VALU_DEP_3) | instskip(SKIP_1) | instid1(VALU_DEP_2)
	v_add3_u32 v7, v47, v6, 0x7fff
	v_mov_b32_e32 v6, 0
	v_lshrrev_b32_e32 v7, 16, v7
	s_delay_alu instid0(VALU_DEP_2) | instskip(SKIP_1) | instid1(VALU_DEP_2)
	v_lshlrev_b64_e32 v[5:6], 1, v[5:6]
	s_wait_alu 0xf1ff
	v_cndmask_b32_e64 v7, 0x7fc0, v7, s3
	s_wait_kmcnt 0x0
	s_delay_alu instid0(VALU_DEP_2)
	v_add_co_u32 v5, s3, s8, v5
	s_wait_alu 0xf1ff
	v_add_co_ci_u32_e64 v6, null, s9, v6, s3
	global_store_b16 v[5:6], v7, off
.LBB159_48:
	s_wait_alu 0xfffe
	s_or_b32 exec_lo, exec_lo, s5
	v_add3_u32 v5, v1, s7, 40
	s_delay_alu instid0(VALU_DEP_1)
	v_cmp_gt_u32_e64 s3, s4, v5
	s_and_b32 exec_lo, exec_lo, s3
	s_cbranch_execz .LBB159_66
; %bb.49:
	v_mul_lo_u32 v5, v5, s6
	s_and_saveexec_b32 s5, vcc_lo
	s_cbranch_execnz .LBB159_79
; %bb.50:
	s_wait_alu 0xfffe
	s_or_b32 exec_lo, exec_lo, s5
	s_and_saveexec_b32 s5, s0
	s_cbranch_execnz .LBB159_80
.LBB159_51:
	s_wait_alu 0xfffe
	s_or_b32 exec_lo, exec_lo, s5
	s_and_saveexec_b32 s5, s1
	s_cbranch_execnz .LBB159_81
.LBB159_52:
	s_wait_alu 0xfffe
	s_or_b32 exec_lo, exec_lo, s5
	s_and_saveexec_b32 s5, s2
	s_cbranch_execz .LBB159_54
.LBB159_53:
	v_bfe_u32 v6, v43, 16, 1
	v_add_nc_u32_e32 v5, v5, v4
	v_cmp_o_f32_e64 s3, v43, v43
	s_delay_alu instid0(VALU_DEP_3) | instskip(SKIP_1) | instid1(VALU_DEP_2)
	v_add3_u32 v7, v43, v6, 0x7fff
	v_mov_b32_e32 v6, 0
	v_lshrrev_b32_e32 v7, 16, v7
	s_delay_alu instid0(VALU_DEP_2) | instskip(SKIP_1) | instid1(VALU_DEP_2)
	v_lshlrev_b64_e32 v[5:6], 1, v[5:6]
	s_wait_alu 0xf1ff
	v_cndmask_b32_e64 v7, 0x7fc0, v7, s3
	s_wait_kmcnt 0x0
	s_delay_alu instid0(VALU_DEP_2)
	v_add_co_u32 v5, s3, s8, v5
	s_wait_alu 0xf1ff
	v_add_co_ci_u32_e64 v6, null, s9, v6, s3
	global_store_b16 v[5:6], v7, off
.LBB159_54:
	s_wait_alu 0xfffe
	s_or_b32 exec_lo, exec_lo, s5
	v_add3_u32 v5, v1, s7, 48
	s_delay_alu instid0(VALU_DEP_1)
	v_cmp_gt_u32_e64 s3, s4, v5
	s_and_b32 exec_lo, exec_lo, s3
	s_cbranch_execz .LBB159_66
; %bb.55:
	v_mul_lo_u32 v5, v5, s6
	s_and_saveexec_b32 s5, vcc_lo
	s_cbranch_execnz .LBB159_82
; %bb.56:
	s_wait_alu 0xfffe
	s_or_b32 exec_lo, exec_lo, s5
	s_and_saveexec_b32 s5, s0
	s_cbranch_execnz .LBB159_83
.LBB159_57:
	s_wait_alu 0xfffe
	s_or_b32 exec_lo, exec_lo, s5
	s_and_saveexec_b32 s5, s1
	s_cbranch_execnz .LBB159_84
.LBB159_58:
	s_wait_alu 0xfffe
	s_or_b32 exec_lo, exec_lo, s5
	s_and_saveexec_b32 s5, s2
	s_cbranch_execz .LBB159_60
.LBB159_59:
	v_bfe_u32 v6, v39, 16, 1
	v_add_nc_u32_e32 v5, v5, v4
	v_cmp_o_f32_e64 s3, v39, v39
	s_delay_alu instid0(VALU_DEP_3) | instskip(SKIP_1) | instid1(VALU_DEP_2)
	v_add3_u32 v7, v39, v6, 0x7fff
	v_mov_b32_e32 v6, 0
	v_lshrrev_b32_e32 v7, 16, v7
	s_delay_alu instid0(VALU_DEP_2) | instskip(SKIP_1) | instid1(VALU_DEP_2)
	v_lshlrev_b64_e32 v[5:6], 1, v[5:6]
	s_wait_alu 0xf1ff
	v_cndmask_b32_e64 v7, 0x7fc0, v7, s3
	s_wait_kmcnt 0x0
	s_delay_alu instid0(VALU_DEP_2)
	v_add_co_u32 v5, s3, s8, v5
	s_wait_alu 0xf1ff
	v_add_co_ci_u32_e64 v6, null, s9, v6, s3
	global_store_b16 v[5:6], v7, off
.LBB159_60:
	s_wait_alu 0xfffe
	s_or_b32 exec_lo, exec_lo, s5
	v_add3_u32 v1, v1, s7, 56
	s_delay_alu instid0(VALU_DEP_1)
	v_cmp_gt_u32_e64 s3, s4, v1
	s_and_b32 exec_lo, exec_lo, s3
	s_cbranch_execz .LBB159_66
; %bb.61:
	v_mul_lo_u32 v1, v1, s6
	s_and_saveexec_b32 s3, vcc_lo
	s_cbranch_execnz .LBB159_85
; %bb.62:
	s_wait_alu 0xfffe
	s_or_b32 exec_lo, exec_lo, s3
	s_and_saveexec_b32 s3, s0
	s_cbranch_execnz .LBB159_86
.LBB159_63:
	s_wait_alu 0xfffe
	s_or_b32 exec_lo, exec_lo, s3
	s_and_saveexec_b32 s0, s1
	s_cbranch_execnz .LBB159_87
.LBB159_64:
	s_wait_alu 0xfffe
	s_or_b32 exec_lo, exec_lo, s0
	s_delay_alu instid0(SALU_CYCLE_1)
	s_and_b32 exec_lo, exec_lo, s2
	s_cbranch_execz .LBB159_66
.LBB159_65:
	v_bfe_u32 v2, v35, 16, 1
	v_dual_mov_b32 v1, 0 :: v_dual_add_nc_u32 v0, v1, v4
	v_cmp_o_f32_e32 vcc_lo, v35, v35
	s_delay_alu instid0(VALU_DEP_3) | instskip(NEXT) | instid1(VALU_DEP_3)
	v_add3_u32 v2, v35, v2, 0x7fff
	v_lshlrev_b64_e32 v[0:1], 1, v[0:1]
	s_delay_alu instid0(VALU_DEP_2) | instskip(SKIP_1) | instid1(VALU_DEP_1)
	v_lshrrev_b32_e32 v2, 16, v2
	s_wait_alu 0xfffd
	v_cndmask_b32_e32 v2, 0x7fc0, v2, vcc_lo
	s_wait_kmcnt 0x0
	s_delay_alu instid0(VALU_DEP_3)
	v_add_co_u32 v0, vcc_lo, s8, v0
	s_wait_alu 0xfffd
	v_add_co_ci_u32_e64 v1, null, s9, v1, vcc_lo
	global_store_b16 v[0:1], v2, off
.LBB159_66:
	s_nop 0
	s_sendmsg sendmsg(MSG_DEALLOC_VGPRS)
	s_endpgm
.LBB159_67:
	v_bfe_u32 v7, v64, 16, 1
	s_delay_alu instid0(VALU_DEP_2) | instskip(SKIP_1) | instid1(VALU_DEP_3)
	v_add_nc_u32_e32 v6, v5, v0
	v_cmp_o_f32_e64 s3, v64, v64
	v_add3_u32 v8, v64, v7, 0x7fff
	v_mov_b32_e32 v7, 0
	s_delay_alu instid0(VALU_DEP_2) | instskip(NEXT) | instid1(VALU_DEP_2)
	v_lshrrev_b32_e32 v8, 16, v8
	v_lshlrev_b64_e32 v[6:7], 1, v[6:7]
	s_wait_alu 0xf1ff
	s_delay_alu instid0(VALU_DEP_2) | instskip(SKIP_1) | instid1(VALU_DEP_2)
	v_cndmask_b32_e64 v8, 0x7fc0, v8, s3
	s_wait_kmcnt 0x0
	v_add_co_u32 v6, s3, s8, v6
	s_wait_alu 0xf1ff
	v_add_co_ci_u32_e64 v7, null, s9, v7, s3
	global_store_b16 v[6:7], v8, off
	s_wait_alu 0xfffe
	s_or_b32 exec_lo, exec_lo, s5
	s_and_saveexec_b32 s5, s0
	s_cbranch_execz .LBB159_27
.LBB159_68:
	v_bfe_u32 v7, v138, 16, 1
	v_add_nc_u32_e32 v6, v5, v2
	v_cmp_o_f32_e64 s3, v138, v138
	s_delay_alu instid0(VALU_DEP_3) | instskip(SKIP_1) | instid1(VALU_DEP_2)
	v_add3_u32 v8, v138, v7, 0x7fff
	v_mov_b32_e32 v7, 0
	v_lshrrev_b32_e32 v8, 16, v8
	s_delay_alu instid0(VALU_DEP_2) | instskip(SKIP_1) | instid1(VALU_DEP_2)
	v_lshlrev_b64_e32 v[6:7], 1, v[6:7]
	s_wait_alu 0xf1ff
	v_cndmask_b32_e64 v8, 0x7fc0, v8, s3
	s_wait_kmcnt 0x0
	s_delay_alu instid0(VALU_DEP_2)
	v_add_co_u32 v6, s3, s8, v6
	s_wait_alu 0xf1ff
	v_add_co_ci_u32_e64 v7, null, s9, v7, s3
	global_store_b16 v[6:7], v8, off
	s_wait_alu 0xfffe
	s_or_b32 exec_lo, exec_lo, s5
	s_and_saveexec_b32 s5, s1
	s_cbranch_execz .LBB159_28
.LBB159_69:
	v_bfe_u32 v7, v61, 16, 1
	v_add_nc_u32_e32 v6, v5, v3
	v_cmp_o_f32_e64 s3, v61, v61
	s_delay_alu instid0(VALU_DEP_3) | instskip(SKIP_1) | instid1(VALU_DEP_2)
	v_add3_u32 v8, v61, v7, 0x7fff
	v_mov_b32_e32 v7, 0
	v_lshrrev_b32_e32 v8, 16, v8
	s_delay_alu instid0(VALU_DEP_2) | instskip(SKIP_1) | instid1(VALU_DEP_2)
	v_lshlrev_b64_e32 v[6:7], 1, v[6:7]
	s_wait_alu 0xf1ff
	v_cndmask_b32_e64 v8, 0x7fc0, v8, s3
	s_wait_kmcnt 0x0
	s_delay_alu instid0(VALU_DEP_2)
	v_add_co_u32 v6, s3, s8, v6
	s_wait_alu 0xf1ff
	v_add_co_ci_u32_e64 v7, null, s9, v7, s3
	global_store_b16 v[6:7], v8, off
	s_wait_alu 0xfffe
	s_or_b32 exec_lo, exec_lo, s5
	s_and_saveexec_b32 s5, s2
	s_cbranch_execnz .LBB159_29
	s_branch .LBB159_30
.LBB159_70:
	v_bfe_u32 v7, v59, 16, 1
	s_delay_alu instid0(VALU_DEP_2) | instskip(SKIP_1) | instid1(VALU_DEP_3)
	v_add_nc_u32_e32 v6, v5, v0
	v_cmp_o_f32_e64 s3, v59, v59
	v_add3_u32 v8, v59, v7, 0x7fff
	v_mov_b32_e32 v7, 0
	s_delay_alu instid0(VALU_DEP_2) | instskip(NEXT) | instid1(VALU_DEP_2)
	v_lshrrev_b32_e32 v8, 16, v8
	v_lshlrev_b64_e32 v[6:7], 1, v[6:7]
	s_wait_alu 0xf1ff
	s_delay_alu instid0(VALU_DEP_2) | instskip(SKIP_1) | instid1(VALU_DEP_2)
	v_cndmask_b32_e64 v8, 0x7fc0, v8, s3
	s_wait_kmcnt 0x0
	v_add_co_u32 v6, s3, s8, v6
	s_wait_alu 0xf1ff
	v_add_co_ci_u32_e64 v7, null, s9, v7, s3
	global_store_b16 v[6:7], v8, off
	s_wait_alu 0xfffe
	s_or_b32 exec_lo, exec_lo, s5
	s_and_saveexec_b32 s5, s0
	s_cbranch_execz .LBB159_33
.LBB159_71:
	v_bfe_u32 v7, v57, 16, 1
	v_add_nc_u32_e32 v6, v5, v2
	v_cmp_o_f32_e64 s3, v57, v57
	s_delay_alu instid0(VALU_DEP_3) | instskip(SKIP_1) | instid1(VALU_DEP_2)
	v_add3_u32 v8, v57, v7, 0x7fff
	v_mov_b32_e32 v7, 0
	v_lshrrev_b32_e32 v8, 16, v8
	s_delay_alu instid0(VALU_DEP_2) | instskip(SKIP_1) | instid1(VALU_DEP_2)
	v_lshlrev_b64_e32 v[6:7], 1, v[6:7]
	s_wait_alu 0xf1ff
	v_cndmask_b32_e64 v8, 0x7fc0, v8, s3
	s_wait_kmcnt 0x0
	s_delay_alu instid0(VALU_DEP_2)
	v_add_co_u32 v6, s3, s8, v6
	s_wait_alu 0xf1ff
	v_add_co_ci_u32_e64 v7, null, s9, v7, s3
	global_store_b16 v[6:7], v8, off
	s_wait_alu 0xfffe
	s_or_b32 exec_lo, exec_lo, s5
	s_and_saveexec_b32 s5, s1
	s_cbranch_execz .LBB159_34
.LBB159_72:
	v_bfe_u32 v7, v56, 16, 1
	v_add_nc_u32_e32 v6, v5, v3
	v_cmp_o_f32_e64 s3, v56, v56
	s_delay_alu instid0(VALU_DEP_3) | instskip(SKIP_1) | instid1(VALU_DEP_2)
	v_add3_u32 v8, v56, v7, 0x7fff
	v_mov_b32_e32 v7, 0
	v_lshrrev_b32_e32 v8, 16, v8
	s_delay_alu instid0(VALU_DEP_2) | instskip(SKIP_1) | instid1(VALU_DEP_2)
	v_lshlrev_b64_e32 v[6:7], 1, v[6:7]
	s_wait_alu 0xf1ff
	v_cndmask_b32_e64 v8, 0x7fc0, v8, s3
	s_wait_kmcnt 0x0
	s_delay_alu instid0(VALU_DEP_2)
	v_add_co_u32 v6, s3, s8, v6
	s_wait_alu 0xf1ff
	v_add_co_ci_u32_e64 v7, null, s9, v7, s3
	global_store_b16 v[6:7], v8, off
	s_wait_alu 0xfffe
	s_or_b32 exec_lo, exec_lo, s5
	s_and_saveexec_b32 s5, s2
	s_cbranch_execnz .LBB159_35
	s_branch .LBB159_36
.LBB159_73:
	v_bfe_u32 v7, v54, 16, 1
	s_delay_alu instid0(VALU_DEP_2) | instskip(SKIP_1) | instid1(VALU_DEP_3)
	v_add_nc_u32_e32 v6, v5, v0
	v_cmp_o_f32_e64 s3, v54, v54
	v_add3_u32 v8, v54, v7, 0x7fff
	v_mov_b32_e32 v7, 0
	s_delay_alu instid0(VALU_DEP_2) | instskip(NEXT) | instid1(VALU_DEP_2)
	v_lshrrev_b32_e32 v8, 16, v8
	v_lshlrev_b64_e32 v[6:7], 1, v[6:7]
	s_wait_alu 0xf1ff
	s_delay_alu instid0(VALU_DEP_2) | instskip(SKIP_1) | instid1(VALU_DEP_2)
	v_cndmask_b32_e64 v8, 0x7fc0, v8, s3
	s_wait_kmcnt 0x0
	v_add_co_u32 v6, s3, s8, v6
	s_wait_alu 0xf1ff
	v_add_co_ci_u32_e64 v7, null, s9, v7, s3
	global_store_b16 v[6:7], v8, off
	s_wait_alu 0xfffe
	s_or_b32 exec_lo, exec_lo, s5
	s_and_saveexec_b32 s5, s0
	s_cbranch_execz .LBB159_39
.LBB159_74:
	v_bfe_u32 v7, v161, 16, 1
	v_add_nc_u32_e32 v6, v5, v2
	v_cmp_o_f32_e64 s3, v161, v161
	s_delay_alu instid0(VALU_DEP_3) | instskip(SKIP_1) | instid1(VALU_DEP_2)
	v_add3_u32 v8, v161, v7, 0x7fff
	v_mov_b32_e32 v7, 0
	v_lshrrev_b32_e32 v8, 16, v8
	s_delay_alu instid0(VALU_DEP_2) | instskip(SKIP_1) | instid1(VALU_DEP_2)
	v_lshlrev_b64_e32 v[6:7], 1, v[6:7]
	s_wait_alu 0xf1ff
	v_cndmask_b32_e64 v8, 0x7fc0, v8, s3
	s_wait_kmcnt 0x0
	s_delay_alu instid0(VALU_DEP_2)
	v_add_co_u32 v6, s3, s8, v6
	s_wait_alu 0xf1ff
	v_add_co_ci_u32_e64 v7, null, s9, v7, s3
	global_store_b16 v[6:7], v8, off
	s_wait_alu 0xfffe
	s_or_b32 exec_lo, exec_lo, s5
	s_and_saveexec_b32 s5, s1
	s_cbranch_execz .LBB159_40
.LBB159_75:
	v_bfe_u32 v7, v124, 16, 1
	v_add_nc_u32_e32 v6, v5, v3
	v_cmp_o_f32_e64 s3, v124, v124
	s_delay_alu instid0(VALU_DEP_3) | instskip(SKIP_1) | instid1(VALU_DEP_2)
	v_add3_u32 v8, v124, v7, 0x7fff
	v_mov_b32_e32 v7, 0
	v_lshrrev_b32_e32 v8, 16, v8
	s_delay_alu instid0(VALU_DEP_2) | instskip(SKIP_1) | instid1(VALU_DEP_2)
	v_lshlrev_b64_e32 v[6:7], 1, v[6:7]
	s_wait_alu 0xf1ff
	v_cndmask_b32_e64 v8, 0x7fc0, v8, s3
	s_wait_kmcnt 0x0
	s_delay_alu instid0(VALU_DEP_2)
	v_add_co_u32 v6, s3, s8, v6
	s_wait_alu 0xf1ff
	v_add_co_ci_u32_e64 v7, null, s9, v7, s3
	global_store_b16 v[6:7], v8, off
	s_wait_alu 0xfffe
	s_or_b32 exec_lo, exec_lo, s5
	s_and_saveexec_b32 s5, s2
	s_cbranch_execnz .LBB159_41
	s_branch .LBB159_42
.LBB159_76:
	v_bfe_u32 v7, v136, 16, 1
	s_delay_alu instid0(VALU_DEP_2) | instskip(SKIP_1) | instid1(VALU_DEP_3)
	v_add_nc_u32_e32 v6, v5, v0
	v_cmp_o_f32_e64 s3, v136, v136
	v_add3_u32 v8, v136, v7, 0x7fff
	v_mov_b32_e32 v7, 0
	s_delay_alu instid0(VALU_DEP_2) | instskip(NEXT) | instid1(VALU_DEP_2)
	v_lshrrev_b32_e32 v8, 16, v8
	v_lshlrev_b64_e32 v[6:7], 1, v[6:7]
	s_wait_alu 0xf1ff
	s_delay_alu instid0(VALU_DEP_2) | instskip(SKIP_1) | instid1(VALU_DEP_2)
	v_cndmask_b32_e64 v8, 0x7fc0, v8, s3
	s_wait_kmcnt 0x0
	v_add_co_u32 v6, s3, s8, v6
	s_wait_alu 0xf1ff
	v_add_co_ci_u32_e64 v7, null, s9, v7, s3
	global_store_b16 v[6:7], v8, off
	s_wait_alu 0xfffe
	s_or_b32 exec_lo, exec_lo, s5
	s_and_saveexec_b32 s5, s0
	s_cbranch_execz .LBB159_45
.LBB159_77:
	v_bfe_u32 v7, v49, 16, 1
	v_add_nc_u32_e32 v6, v5, v2
	v_cmp_o_f32_e64 s3, v49, v49
	s_delay_alu instid0(VALU_DEP_3) | instskip(SKIP_1) | instid1(VALU_DEP_2)
	v_add3_u32 v8, v49, v7, 0x7fff
	v_mov_b32_e32 v7, 0
	v_lshrrev_b32_e32 v8, 16, v8
	s_delay_alu instid0(VALU_DEP_2) | instskip(SKIP_1) | instid1(VALU_DEP_2)
	v_lshlrev_b64_e32 v[6:7], 1, v[6:7]
	s_wait_alu 0xf1ff
	v_cndmask_b32_e64 v8, 0x7fc0, v8, s3
	s_wait_kmcnt 0x0
	s_delay_alu instid0(VALU_DEP_2)
	v_add_co_u32 v6, s3, s8, v6
	s_wait_alu 0xf1ff
	v_add_co_ci_u32_e64 v7, null, s9, v7, s3
	global_store_b16 v[6:7], v8, off
	s_wait_alu 0xfffe
	s_or_b32 exec_lo, exec_lo, s5
	s_and_saveexec_b32 s5, s1
	s_cbranch_execz .LBB159_46
.LBB159_78:
	v_bfe_u32 v7, v162, 16, 1
	v_add_nc_u32_e32 v6, v5, v3
	v_cmp_o_f32_e64 s3, v162, v162
	s_delay_alu instid0(VALU_DEP_3) | instskip(SKIP_1) | instid1(VALU_DEP_2)
	v_add3_u32 v8, v162, v7, 0x7fff
	v_mov_b32_e32 v7, 0
	v_lshrrev_b32_e32 v8, 16, v8
	s_delay_alu instid0(VALU_DEP_2) | instskip(SKIP_1) | instid1(VALU_DEP_2)
	v_lshlrev_b64_e32 v[6:7], 1, v[6:7]
	s_wait_alu 0xf1ff
	v_cndmask_b32_e64 v8, 0x7fc0, v8, s3
	s_wait_kmcnt 0x0
	s_delay_alu instid0(VALU_DEP_2)
	v_add_co_u32 v6, s3, s8, v6
	s_wait_alu 0xf1ff
	v_add_co_ci_u32_e64 v7, null, s9, v7, s3
	global_store_b16 v[6:7], v8, off
	s_wait_alu 0xfffe
	s_or_b32 exec_lo, exec_lo, s5
	s_and_saveexec_b32 s5, s2
	s_cbranch_execnz .LBB159_47
	s_branch .LBB159_48
.LBB159_79:
	v_bfe_u32 v7, v46, 16, 1
	s_delay_alu instid0(VALU_DEP_2) | instskip(SKIP_1) | instid1(VALU_DEP_3)
	v_add_nc_u32_e32 v6, v5, v0
	v_cmp_o_f32_e64 s3, v46, v46
	v_add3_u32 v8, v46, v7, 0x7fff
	v_mov_b32_e32 v7, 0
	s_delay_alu instid0(VALU_DEP_2) | instskip(NEXT) | instid1(VALU_DEP_2)
	v_lshrrev_b32_e32 v8, 16, v8
	v_lshlrev_b64_e32 v[6:7], 1, v[6:7]
	s_wait_alu 0xf1ff
	s_delay_alu instid0(VALU_DEP_2) | instskip(SKIP_1) | instid1(VALU_DEP_2)
	v_cndmask_b32_e64 v8, 0x7fc0, v8, s3
	s_wait_kmcnt 0x0
	v_add_co_u32 v6, s3, s8, v6
	s_wait_alu 0xf1ff
	v_add_co_ci_u32_e64 v7, null, s9, v7, s3
	global_store_b16 v[6:7], v8, off
	s_wait_alu 0xfffe
	s_or_b32 exec_lo, exec_lo, s5
	s_and_saveexec_b32 s5, s0
	s_cbranch_execz .LBB159_51
.LBB159_80:
	v_bfe_u32 v7, v45, 16, 1
	v_add_nc_u32_e32 v6, v5, v2
	v_cmp_o_f32_e64 s3, v45, v45
	s_delay_alu instid0(VALU_DEP_3) | instskip(SKIP_1) | instid1(VALU_DEP_2)
	v_add3_u32 v8, v45, v7, 0x7fff
	v_mov_b32_e32 v7, 0
	v_lshrrev_b32_e32 v8, 16, v8
	s_delay_alu instid0(VALU_DEP_2) | instskip(SKIP_1) | instid1(VALU_DEP_2)
	v_lshlrev_b64_e32 v[6:7], 1, v[6:7]
	s_wait_alu 0xf1ff
	v_cndmask_b32_e64 v8, 0x7fc0, v8, s3
	s_wait_kmcnt 0x0
	s_delay_alu instid0(VALU_DEP_2)
	v_add_co_u32 v6, s3, s8, v6
	s_wait_alu 0xf1ff
	v_add_co_ci_u32_e64 v7, null, s9, v7, s3
	global_store_b16 v[6:7], v8, off
	s_wait_alu 0xfffe
	s_or_b32 exec_lo, exec_lo, s5
	s_and_saveexec_b32 s5, s1
	s_cbranch_execz .LBB159_52
.LBB159_81:
	v_bfe_u32 v7, v44, 16, 1
	v_add_nc_u32_e32 v6, v5, v3
	v_cmp_o_f32_e64 s3, v44, v44
	s_delay_alu instid0(VALU_DEP_3) | instskip(SKIP_1) | instid1(VALU_DEP_2)
	v_add3_u32 v8, v44, v7, 0x7fff
	v_mov_b32_e32 v7, 0
	v_lshrrev_b32_e32 v8, 16, v8
	s_delay_alu instid0(VALU_DEP_2) | instskip(SKIP_1) | instid1(VALU_DEP_2)
	v_lshlrev_b64_e32 v[6:7], 1, v[6:7]
	s_wait_alu 0xf1ff
	v_cndmask_b32_e64 v8, 0x7fc0, v8, s3
	s_wait_kmcnt 0x0
	s_delay_alu instid0(VALU_DEP_2)
	v_add_co_u32 v6, s3, s8, v6
	s_wait_alu 0xf1ff
	v_add_co_ci_u32_e64 v7, null, s9, v7, s3
	global_store_b16 v[6:7], v8, off
	s_wait_alu 0xfffe
	s_or_b32 exec_lo, exec_lo, s5
	s_and_saveexec_b32 s5, s2
	s_cbranch_execnz .LBB159_53
	s_branch .LBB159_54
.LBB159_82:
	v_bfe_u32 v7, v42, 16, 1
	s_delay_alu instid0(VALU_DEP_2) | instskip(SKIP_1) | instid1(VALU_DEP_3)
	v_add_nc_u32_e32 v6, v5, v0
	v_cmp_o_f32_e64 s3, v42, v42
	v_add3_u32 v8, v42, v7, 0x7fff
	v_mov_b32_e32 v7, 0
	s_delay_alu instid0(VALU_DEP_2) | instskip(NEXT) | instid1(VALU_DEP_2)
	v_lshrrev_b32_e32 v8, 16, v8
	v_lshlrev_b64_e32 v[6:7], 1, v[6:7]
	s_wait_alu 0xf1ff
	s_delay_alu instid0(VALU_DEP_2) | instskip(SKIP_1) | instid1(VALU_DEP_2)
	v_cndmask_b32_e64 v8, 0x7fc0, v8, s3
	s_wait_kmcnt 0x0
	v_add_co_u32 v6, s3, s8, v6
	s_wait_alu 0xf1ff
	v_add_co_ci_u32_e64 v7, null, s9, v7, s3
	global_store_b16 v[6:7], v8, off
	s_wait_alu 0xfffe
	s_or_b32 exec_lo, exec_lo, s5
	s_and_saveexec_b32 s5, s0
	s_cbranch_execz .LBB159_57
.LBB159_83:
	v_bfe_u32 v7, v41, 16, 1
	v_add_nc_u32_e32 v6, v5, v2
	v_cmp_o_f32_e64 s3, v41, v41
	s_delay_alu instid0(VALU_DEP_3) | instskip(SKIP_1) | instid1(VALU_DEP_2)
	v_add3_u32 v8, v41, v7, 0x7fff
	v_mov_b32_e32 v7, 0
	v_lshrrev_b32_e32 v8, 16, v8
	s_delay_alu instid0(VALU_DEP_2) | instskip(SKIP_1) | instid1(VALU_DEP_2)
	v_lshlrev_b64_e32 v[6:7], 1, v[6:7]
	s_wait_alu 0xf1ff
	v_cndmask_b32_e64 v8, 0x7fc0, v8, s3
	s_wait_kmcnt 0x0
	s_delay_alu instid0(VALU_DEP_2)
	v_add_co_u32 v6, s3, s8, v6
	s_wait_alu 0xf1ff
	v_add_co_ci_u32_e64 v7, null, s9, v7, s3
	global_store_b16 v[6:7], v8, off
	s_wait_alu 0xfffe
	s_or_b32 exec_lo, exec_lo, s5
	s_and_saveexec_b32 s5, s1
	s_cbranch_execz .LBB159_58
.LBB159_84:
	v_bfe_u32 v7, v37, 16, 1
	v_add_nc_u32_e32 v6, v5, v3
	v_cmp_o_f32_e64 s3, v37, v37
	s_delay_alu instid0(VALU_DEP_3) | instskip(SKIP_1) | instid1(VALU_DEP_2)
	v_add3_u32 v8, v37, v7, 0x7fff
	v_mov_b32_e32 v7, 0
	v_lshrrev_b32_e32 v8, 16, v8
	s_delay_alu instid0(VALU_DEP_2) | instskip(SKIP_1) | instid1(VALU_DEP_2)
	v_lshlrev_b64_e32 v[6:7], 1, v[6:7]
	s_wait_alu 0xf1ff
	v_cndmask_b32_e64 v8, 0x7fc0, v8, s3
	s_wait_kmcnt 0x0
	s_delay_alu instid0(VALU_DEP_2)
	v_add_co_u32 v6, s3, s8, v6
	s_wait_alu 0xf1ff
	v_add_co_ci_u32_e64 v7, null, s9, v7, s3
	global_store_b16 v[6:7], v8, off
	s_wait_alu 0xfffe
	s_or_b32 exec_lo, exec_lo, s5
	s_and_saveexec_b32 s5, s2
	s_cbranch_execnz .LBB159_59
	s_branch .LBB159_60
.LBB159_85:
	v_bfe_u32 v6, v38, 16, 1
	s_delay_alu instid0(VALU_DEP_2) | instskip(SKIP_1) | instid1(VALU_DEP_3)
	v_add_nc_u32_e32 v5, v1, v0
	v_cmp_o_f32_e32 vcc_lo, v38, v38
	v_add3_u32 v0, v38, v6, 0x7fff
	v_mov_b32_e32 v6, 0
	s_delay_alu instid0(VALU_DEP_2) | instskip(NEXT) | instid1(VALU_DEP_2)
	v_lshrrev_b32_e32 v0, 16, v0
	v_lshlrev_b64_e32 v[5:6], 1, v[5:6]
	s_wait_alu 0xfffd
	s_delay_alu instid0(VALU_DEP_2) | instskip(SKIP_1) | instid1(VALU_DEP_2)
	v_cndmask_b32_e32 v0, 0x7fc0, v0, vcc_lo
	s_wait_kmcnt 0x0
	v_add_co_u32 v5, vcc_lo, s8, v5
	s_wait_alu 0xfffd
	v_add_co_ci_u32_e64 v6, null, s9, v6, vcc_lo
	global_store_b16 v[5:6], v0, off
	s_wait_alu 0xfffe
	s_or_b32 exec_lo, exec_lo, s3
	s_and_saveexec_b32 s3, s0
	s_cbranch_execz .LBB159_63
.LBB159_86:
	v_bfe_u32 v0, v40, 16, 1
	v_dual_mov_b32 v6, 0 :: v_dual_add_nc_u32 v5, v1, v2
	v_cmp_o_f32_e32 vcc_lo, v40, v40
	s_delay_alu instid0(VALU_DEP_3) | instskip(NEXT) | instid1(VALU_DEP_3)
	v_add3_u32 v0, v40, v0, 0x7fff
	v_lshlrev_b64_e32 v[5:6], 1, v[5:6]
	s_delay_alu instid0(VALU_DEP_2) | instskip(SKIP_1) | instid1(VALU_DEP_1)
	v_lshrrev_b32_e32 v0, 16, v0
	s_wait_alu 0xfffd
	v_cndmask_b32_e32 v0, 0x7fc0, v0, vcc_lo
	s_wait_kmcnt 0x0
	s_delay_alu instid0(VALU_DEP_3)
	v_add_co_u32 v5, vcc_lo, s8, v5
	s_wait_alu 0xfffd
	v_add_co_ci_u32_e64 v6, null, s9, v6, vcc_lo
	global_store_b16 v[5:6], v0, off
	s_wait_alu 0xfffe
	s_or_b32 exec_lo, exec_lo, s3
	s_and_saveexec_b32 s0, s1
	s_cbranch_execz .LBB159_64
.LBB159_87:
	v_bfe_u32 v0, v36, 16, 1
	v_dual_mov_b32 v3, 0 :: v_dual_add_nc_u32 v2, v1, v3
	v_cmp_o_f32_e32 vcc_lo, v36, v36
	s_delay_alu instid0(VALU_DEP_3) | instskip(NEXT) | instid1(VALU_DEP_3)
	v_add3_u32 v0, v36, v0, 0x7fff
	v_lshlrev_b64_e32 v[2:3], 1, v[2:3]
	s_delay_alu instid0(VALU_DEP_2) | instskip(SKIP_1) | instid1(VALU_DEP_1)
	v_lshrrev_b32_e32 v0, 16, v0
	s_wait_alu 0xfffd
	v_cndmask_b32_e32 v0, 0x7fc0, v0, vcc_lo
	s_wait_kmcnt 0x0
	s_delay_alu instid0(VALU_DEP_3)
	v_add_co_u32 v2, vcc_lo, s8, v2
	s_wait_alu 0xfffd
	v_add_co_ci_u32_e64 v3, null, s9, v3, vcc_lo
	global_store_b16 v[2:3], v0, off
	s_wait_alu 0xfffe
	s_or_b32 exec_lo, exec_lo, s0
	s_delay_alu instid0(SALU_CYCLE_1)
	s_and_b32 exec_lo, exec_lo, s2
	s_cbranch_execnz .LBB159_65
	s_branch .LBB159_66
	.section	.rodata,"a",@progbits
	.p2align	6, 0x0
	.amdhsa_kernel _ZL12mul_mat_q4_1IN3c108BFloat16ELb0EEvPKvS3_PT_iiiii
		.amdhsa_group_segment_fixed_size 30336
		.amdhsa_private_segment_fixed_size 508
		.amdhsa_kernarg_size 44
		.amdhsa_user_sgpr_count 2
		.amdhsa_user_sgpr_dispatch_ptr 0
		.amdhsa_user_sgpr_queue_ptr 0
		.amdhsa_user_sgpr_kernarg_segment_ptr 1
		.amdhsa_user_sgpr_dispatch_id 0
		.amdhsa_user_sgpr_private_segment_size 0
		.amdhsa_wavefront_size32 1
		.amdhsa_uses_dynamic_stack 0
		.amdhsa_enable_private_segment 1
		.amdhsa_system_sgpr_workgroup_id_x 1
		.amdhsa_system_sgpr_workgroup_id_y 1
		.amdhsa_system_sgpr_workgroup_id_z 0
		.amdhsa_system_sgpr_workgroup_info 0
		.amdhsa_system_vgpr_workitem_id 1
		.amdhsa_next_free_vgpr 256
		.amdhsa_next_free_sgpr 17
		.amdhsa_reserve_vcc 1
		.amdhsa_float_round_mode_32 0
		.amdhsa_float_round_mode_16_64 0
		.amdhsa_float_denorm_mode_32 3
		.amdhsa_float_denorm_mode_16_64 3
		.amdhsa_fp16_overflow 0
		.amdhsa_workgroup_processor_mode 1
		.amdhsa_memory_ordered 1
		.amdhsa_forward_progress 1
		.amdhsa_inst_pref_size 255
		.amdhsa_round_robin_scheduling 0
		.amdhsa_exception_fp_ieee_invalid_op 0
		.amdhsa_exception_fp_denorm_src 0
		.amdhsa_exception_fp_ieee_div_zero 0
		.amdhsa_exception_fp_ieee_overflow 0
		.amdhsa_exception_fp_ieee_underflow 0
		.amdhsa_exception_fp_ieee_inexact 0
		.amdhsa_exception_int_div_zero 0
	.end_amdhsa_kernel
	.section	.text._ZL12mul_mat_q4_1IN3c108BFloat16ELb0EEvPKvS3_PT_iiiii,"axG",@progbits,_ZL12mul_mat_q4_1IN3c108BFloat16ELb0EEvPKvS3_PT_iiiii,comdat
.Lfunc_end159:
	.size	_ZL12mul_mat_q4_1IN3c108BFloat16ELb0EEvPKvS3_PT_iiiii, .Lfunc_end159-_ZL12mul_mat_q4_1IN3c108BFloat16ELb0EEvPKvS3_PT_iiiii
                                        ; -- End function
	.set _ZL12mul_mat_q4_1IN3c108BFloat16ELb0EEvPKvS3_PT_iiiii.num_vgpr, 256
	.set _ZL12mul_mat_q4_1IN3c108BFloat16ELb0EEvPKvS3_PT_iiiii.num_agpr, 0
	.set _ZL12mul_mat_q4_1IN3c108BFloat16ELb0EEvPKvS3_PT_iiiii.numbered_sgpr, 17
	.set _ZL12mul_mat_q4_1IN3c108BFloat16ELb0EEvPKvS3_PT_iiiii.num_named_barrier, 0
	.set _ZL12mul_mat_q4_1IN3c108BFloat16ELb0EEvPKvS3_PT_iiiii.private_seg_size, 508
	.set _ZL12mul_mat_q4_1IN3c108BFloat16ELb0EEvPKvS3_PT_iiiii.uses_vcc, 1
	.set _ZL12mul_mat_q4_1IN3c108BFloat16ELb0EEvPKvS3_PT_iiiii.uses_flat_scratch, 1
	.set _ZL12mul_mat_q4_1IN3c108BFloat16ELb0EEvPKvS3_PT_iiiii.has_dyn_sized_stack, 0
	.set _ZL12mul_mat_q4_1IN3c108BFloat16ELb0EEvPKvS3_PT_iiiii.has_recursion, 0
	.set _ZL12mul_mat_q4_1IN3c108BFloat16ELb0EEvPKvS3_PT_iiiii.has_indirect_call, 0
	.section	.AMDGPU.csdata,"",@progbits
; Kernel info:
; codeLenInByte = 40936
; TotalNumSgprs: 19
; NumVgprs: 256
; ScratchSize: 508
; MemoryBound: 0
; FloatMode: 240
; IeeeMode: 1
; LDSByteSize: 30336 bytes/workgroup (compile time only)
; SGPRBlocks: 0
; VGPRBlocks: 31
; NumSGPRsForWavesPerEU: 19
; NumVGPRsForWavesPerEU: 256
; Occupancy: 5
; WaveLimiterHint : 0
; COMPUTE_PGM_RSRC2:SCRATCH_EN: 1
; COMPUTE_PGM_RSRC2:USER_SGPR: 2
; COMPUTE_PGM_RSRC2:TRAP_HANDLER: 0
; COMPUTE_PGM_RSRC2:TGID_X_EN: 1
; COMPUTE_PGM_RSRC2:TGID_Y_EN: 1
; COMPUTE_PGM_RSRC2:TGID_Z_EN: 0
; COMPUTE_PGM_RSRC2:TIDIG_COMP_CNT: 1
	.section	.text._ZL12mul_mat_q4_1IN3c108BFloat16ELb1EEvPKvS3_PT_iiiii,"axG",@progbits,_ZL12mul_mat_q4_1IN3c108BFloat16ELb1EEvPKvS3_PT_iiiii,comdat
	.globl	_ZL12mul_mat_q4_1IN3c108BFloat16ELb1EEvPKvS3_PT_iiiii ; -- Begin function _ZL12mul_mat_q4_1IN3c108BFloat16ELb1EEvPKvS3_PT_iiiii
	.p2align	8
	.type	_ZL12mul_mat_q4_1IN3c108BFloat16ELb1EEvPKvS3_PT_iiiii,@function
_ZL12mul_mat_q4_1IN3c108BFloat16ELb1EEvPKvS3_PT_iiiii: ; @_ZL12mul_mat_q4_1IN3c108BFloat16ELb1EEvPKvS3_PT_iiiii
; %bb.0:
	s_clause 0x1
	s_load_b128 s[4:7], s[0:1], 0x18
	s_load_b32 s12, s[0:1], 0x28
	v_bfe_u32 v1, v0, 10, 10
	s_lshl_b32 s13, ttmp7, 6
	scratch_store_b32 off, v1, off offset:584 ; 4-byte Folded Spill
	v_and_b32_e32 v1, 0x3ff, v0
	scratch_store_b32 off, v1, off offset:208 ; 4-byte Folded Spill
	s_wait_kmcnt 0x0
	s_cmp_gt_i32 s4, 31
	s_cbranch_scc1 .LBB160_2
; %bb.1:
	v_bfe_u32 v1, v0, 10, 10
	v_and_b32_e32 v2, 0x3ff, v0
	s_mov_b32 s2, 0
	s_delay_alu instid0(VALU_DEP_2)
	v_add_nc_u32_e32 v3, s13, v1
	s_branch .LBB160_3
.LBB160_2:
	s_mov_b32 s2, -1
                                        ; implicit-def: $vgpr1
                                        ; implicit-def: $vgpr2
                                        ; implicit-def: $vgpr3
.LBB160_3:
	s_load_b64 s[8:9], s[0:1], 0x10
	v_dual_mov_b32 v32, 0 :: v_dual_mov_b32 v101, 0
	v_dual_mov_b32 v110, 0 :: v_dual_mov_b32 v35, 0
	v_dual_mov_b32 v39, 0 :: v_dual_mov_b32 v44, 0
	v_dual_mov_b32 v67, 0 :: v_dual_mov_b32 v198, 0
	v_dual_mov_b32 v33, 0 :: v_dual_mov_b32 v112, 0
	v_dual_mov_b32 v107, 0 :: v_dual_mov_b32 v36, 0
	v_dual_mov_b32 v40, 0 :: v_dual_mov_b32 v45, 0
	v_dual_mov_b32 v68, 0 :: v_dual_mov_b32 v73, 0
	v_dual_mov_b32 v34, 0 :: v_dual_mov_b32 v113, 0
	v_dual_mov_b32 v108, 0 :: v_dual_mov_b32 v37, 0
	v_dual_mov_b32 v42, 0 :: v_dual_mov_b32 v47, 0
	v_dual_mov_b32 v69, 0 :: v_dual_mov_b32 v120, 0
	v_dual_mov_b32 v83, 0 :: v_dual_mov_b32 v38, 0
	v_dual_mov_b32 v95, 0 :: v_dual_mov_b32 v54, 0
	v_mov_b32_e32 v109, 0
	v_mov_b32_e32 v43, 0
	;; [unrolled: 1-line block ×4, first 2 shown]
	s_and_not1_b32 vcc_lo, exec_lo, s2
	s_lshl_b32 s14, ttmp9, 7
	s_cbranch_vccnz .LBB160_15
; %bb.4:
	v_dual_mov_b32 v41, 0 :: v_dual_and_b32 v34, 0x3ff, v0
	v_bfe_u32 v33, v0, 10, 10
	s_not_b32 s16, s14
	s_ashr_i32 s10, s4, 31
	s_add_co_i32 s5, s5, s16
	s_lshr_b32 s10, s10, 27
	v_dual_mov_b32 v54, 0 :: v_dual_lshlrev_b32 v1, 2, v34
	v_add_nc_u32_e32 v20, 8, v33
	v_min_i32_e32 v2, s5, v33
	v_dual_mov_b32 v38, 0 :: v_dual_add_nc_u32 v21, 16, v33
	s_add_co_i32 s4, s4, s10
	s_delay_alu instid0(VALU_DEP_3)
	v_min_i32_e32 v3, s5, v20
	s_wait_alu 0xfffe
	s_ashr_i32 s15, s4, 5
	v_mad_co_u64_u32 v[50:51], null, 0x84, v2, v[1:2]
	v_mul_lo_u32 v49, v2, s15
	v_min_i32_e32 v2, s5, v21
	v_dual_mov_b32 v109, 0 :: v_dual_add_nc_u32 v22, 24, v33
	v_dual_mov_b32 v120, 0 :: v_dual_add_nc_u32 v23, 32, v33
	s_delay_alu instid0(VALU_DEP_3)
	v_mad_co_u64_u32 v[52:53], null, 0x84, v3, v[1:2]
	v_mul_lo_u32 v51, v3, s15
	v_mul_lo_u32 v53, v2, s15
	v_min_i32_e32 v3, s5, v22
	v_mad_co_u64_u32 v[55:56], null, 0x84, v2, v[1:2]
	v_min_i32_e32 v2, s5, v23
	v_dual_mov_b32 v95, 0 :: v_dual_add_nc_u32 v24, 40, v33
	v_dual_mov_b32 v42, 0 :: v_dual_add_nc_u32 v25, 48, v33
	s_delay_alu instid0(VALU_DEP_3) | instskip(SKIP_1) | instid1(VALU_DEP_4)
	v_mad_co_u64_u32 v[57:58], null, 0x84, v3, v[1:2]
	v_mul_lo_u32 v56, v3, s15
	v_min_i32_e32 v3, s5, v24
	v_mul_lo_u32 v58, v2, s15
	v_mad_co_u64_u32 v[59:60], null, 0x84, v2, v[1:2]
	v_min_i32_e32 v2, s5, v25
	s_delay_alu instid0(VALU_DEP_4) | instskip(SKIP_2) | instid1(VALU_DEP_3)
	v_mul_lo_u32 v60, v3, s15
	v_dual_mov_b32 v83, 0 :: v_dual_add_nc_u32 v26, 56, v33
	s_ashr_i32 s11, s7, 31
	v_mad_co_u64_u32 v[61:62], null, 0x84, v3, v[1:2]
	v_dual_mov_b32 v108, 0 :: v_dual_add_nc_u32 v3, 64, v33
	s_delay_alu instid0(VALU_DEP_3) | instskip(SKIP_2) | instid1(VALU_DEP_4)
	v_min_i32_e32 v4, s5, v26
	v_mul_lo_u32 v62, v2, s15
	v_mad_co_u64_u32 v[63:64], null, 0x84, v2, v[1:2]
	v_min_i32_e32 v2, s5, v3
	s_lshr_b32 s4, s11, 27
	v_add_nc_u32_e32 v15, s13, v33
	s_wait_alu 0xfffe
	s_add_co_i32 s4, s7, s4
	s_add_co_i32 s7, s6, -1
	v_mad_co_u64_u32 v[65:66], null, 0x84, v4, v[1:2]
	v_mul_lo_u32 v66, v2, s15
	v_mad_co_u64_u32 v[70:71], null, 0x84, v2, v[1:2]
	v_cvt_f64_i32_e32 v[2:3], s7
	v_dual_mov_b32 v69, 0 :: v_dual_add_nc_u32 v6, 8, v15
	v_dual_mov_b32 v47, 0 :: v_dual_add_nc_u32 v16, 0x48, v33
	;; [unrolled: 1-line block ×8, first 2 shown]
	v_mul_lo_u32 v64, v4, s15
	v_cvt_f64_u32_e32 v[4:5], v15
	v_cvt_f64_u32_e32 v[6:7], v6
	;; [unrolled: 1-line block ×5, first 2 shown]
	v_min_i32_e32 v28, s5, v16
	v_cvt_f64_u32_e32 v[16:17], v17
	v_cvt_f64_u32_e32 v[18:19], v18
	v_bfe_u32 v30, v0, 3, 7
	scratch_store_b32 off, v15, off offset:588 ; 4-byte Folded Spill
	v_cvt_f64_u32_e32 v[14:15], v14
	v_dual_mov_b32 v68, 0 :: v_dual_add_nc_u32 v27, 0x50, v33
	v_dual_mov_b32 v36, 0 :: v_dual_add_nc_u32 v29, 0x58, v33
	v_mul_lo_u32 v74, v28, s15
	s_delay_alu instid0(VALU_DEP_3)
	v_min_i32_e32 v27, s5, v27
	v_mov_b32_e32 v112, 0
	v_mov_b32_e32 v198, 0
	scratch_store_b32 off, v30, off offset:444 ; 4-byte Folded Spill
	v_mad_co_u64_u32 v[75:76], null, 0x84, v28, v[1:2]
	v_min_i32_e32 v28, s5, v29
	v_mul_lo_u32 v76, v27, s15
	v_add_nc_u32_e32 v29, 0x60, v33
	v_mad_co_u64_u32 v[77:78], null, 0x84, v27, v[1:2]
	v_add_nc_u32_e32 v27, 0x68, v33
	v_mad_co_u64_u32 v[79:80], null, 0x84, v28, v[1:2]
	s_delay_alu instid0(VALU_DEP_4) | instskip(SKIP_1) | instid1(VALU_DEP_4)
	v_min_i32_e32 v29, s5, v29
	v_mul_lo_u32 v78, v28, s15
	v_min_i32_e32 v27, s5, v27
	v_lshl_add_u32 v28, v33, 2, v30
	v_dual_mov_b32 v110, 0 :: v_dual_add_nc_u32 v31, 0x78, v33
	v_mad_co_u64_u32 v[81:82], null, 0x84, v29, v[1:2]
	v_min_num_f64_e32 v[4:5], v[4:5], v[2:3]
	v_min_num_f64_e32 v[6:7], v[6:7], v[2:3]
	v_mad_co_u64_u32 v[84:85], null, 0x84, v27, v[1:2]
	v_min_num_f64_e32 v[8:9], v[8:9], v[2:3]
	v_min_num_f64_e32 v[10:11], v[10:11], v[2:3]
	;; [unrolled: 1-line block ×4, first 2 shown]
	v_min_i32_e32 v30, s5, v28
	v_mul_lo_u32 v82, v27, s15
	v_min_num_f64_e32 v[14:15], v[14:15], v[2:3]
	v_min_num_f64_e32 v[2:3], v[18:19], v[2:3]
	v_mul_lo_u32 v80, v29, s15
	v_ashrrev_i32_e32 v27, 31, v30
	v_dual_mov_b32 v44, 0 :: v_dual_add_nc_u32 v29, 0x70, v33
	v_add_nc_u32_e32 v32, 32, v28
	v_dual_mov_b32 v67, 0 :: v_dual_and_b32 v86, 7, v0
	s_delay_alu instid0(VALU_DEP_4) | instskip(NEXT) | instid1(VALU_DEP_4)
	v_lshrrev_b32_e32 v27, 30, v27
	v_min_i32_e32 v29, s5, v29
	v_min_i32_e32 v18, s5, v31
	v_mov_b32_e32 v39, 0
	v_bfe_u32 v46, v0, 2, 8
	v_add_nc_u32_e32 v19, v30, v27
	v_mul_lo_u32 v85, v29, s15
	v_min_i32_e32 v27, s5, v32
	v_add_nc_u32_e32 v32, 64, v28
	v_dual_mov_b32 v101, 0 :: v_dual_add_nc_u32 v28, 0x60, v28
	v_and_b32_e32 v19, -4, v19
	s_delay_alu instid0(VALU_DEP_4)
	v_ashrrev_i32_e32 v31, 31, v27
	v_mul_lo_u32 v91, v27, s15
	s_wait_alu 0xfffe
	s_ashr_i32 s4, s4, 5
	s_load_b128 s[0:3], s[0:1], 0x0
	v_mov_b32_e32 v71, 0
	v_lshrrev_b32_e32 v31, 30, v31
	v_dual_mov_b32 v43, 0 :: v_dual_and_b32 v48, 12, v1
	v_cvt_i32_f64_e32 v4, v[4:5]
	v_cvt_i32_f64_e32 v6, v[6:7]
	v_min_i32_e32 v5, s5, v28
	v_cvt_i32_f64_e32 v8, v[8:9]
	v_cvt_i32_f64_e32 v10, v[10:11]
	;; [unrolled: 1-line block ×3, first 2 shown]
	v_add_nc_u32_e32 v31, v27, v31
	v_ashrrev_i32_e32 v11, 31, v5
	v_and_b32_e32 v28, 31, v0
	v_cvt_i32_f64_e32 v13, v[14:15]
	v_mad_co_u64_u32 v[87:88], null, 0x84, v29, v[1:2]
	v_lshlrev_b32_e32 v29, 2, v86
	v_mul_lo_u32 v88, v18, s15
	v_mad_co_u64_u32 v[89:90], null, 0x84, v18, v[1:2]
	v_cvt_i32_f64_e32 v3, v[2:3]
	s_delay_alu instid0(VALU_DEP_4)
	v_add3_u32 v18, v19, v29, 0x6200
	v_min_i32_e32 v19, s5, v32
	v_cvt_i32_f64_e32 v14, v[16:17]
	v_lshrrev_b32_e32 v11, 30, v11
	v_lshlrev_b32_e32 v15, 5, v27
	v_and_b32_e32 v9, -4, v31
	v_ashrrev_i32_e32 v32, 31, v19
	v_mul_lo_u32 v92, v19, s15
	v_add_nc_u32_e32 v11, v5, v11
	v_lshlrev_b32_e32 v17, 5, v19
	v_add3_u32 v9, v9, v29, 0x6200
	v_lshrrev_b32_e32 v7, 30, v32
	v_and_b32_e32 v1, 28, v1
	v_and_b32_e32 v11, -4, v11
	v_mul_lo_u32 v90, v30, s15
	v_dual_mov_b32 v35, 0 :: v_dual_lshlrev_b32 v30, 5, v30
	v_add_nc_u32_e32 v7, v19, v7
	s_delay_alu instid0(VALU_DEP_4)
	v_add3_u32 v11, v11, v29, 0x6200
	v_mul_lo_u32 v93, v5, s15
	v_lshlrev_b32_e32 v5, 5, v5
	s_mul_i32 s10, s15, s14
	v_and_b32_e32 v2, -4, v7
	v_lshl_add_u32 v7, v33, 3, v46
	s_ashr_i32 s11, s10, 31
	v_add_nc_u32_e32 v94, v18, v30
	v_add_nc_u32_e32 v96, v9, v15
	v_add3_u32 v16, v2, v29, 0x6200
	v_and_b32_e32 v7, 63, v7
	v_and_b32_e32 v2, 3, v0
	;; [unrolled: 1-line block ×3, first 2 shown]
	v_add_nc_u32_e32 v98, v11, v5
	v_add_nc_u32_e32 v97, v16, v17
	v_or_b32_e32 v19, s13, v7
	v_dual_mov_b32 v32, 0 :: v_dual_lshlrev_b32 v27, 2, v2
	s_mul_u64 s[10:11], s[10:11], 20
	s_mov_b32 s5, 0
	s_delay_alu instid0(VALU_DEP_2) | instskip(NEXT) | instid1(VALU_DEP_2)
	v_min_i32_e32 v19, s7, v19
	v_lshl_or_b32 v7, v7, 4, v27
	v_lshl_or_b32 v27, v28, 2, 0x4200
	s_wait_kmcnt 0x0
	s_add_nc_u64 s[0:1], s[0:1], s[10:11]
	s_add_co_i32 s7, s15, 3
	v_mad_co_u64_u32 v[28:29], null, v19, s4, v[2:3]
	v_add_nc_u32_e32 v2, 0x7280, v7
	v_mul_lo_u32 v7, s4, v10
	v_mul_lo_u32 v10, s4, v13
	;; [unrolled: 1-line block ×3, first 2 shown]
	v_add_nc_u32_e32 v13, 64, v34
	scratch_store_b32 off, v2, off offset:212 ; 4-byte Folded Spill
	v_mul_lo_u32 v2, s4, v4
	v_mul_lo_u32 v4, s4, v6
	;; [unrolled: 1-line block ×5, first 2 shown]
	v_add_nc_u32_e32 v14, 32, v34
	s_clause 0x6
	scratch_store_b32 off, v7, off offset:228
	scratch_store_b32 off, v10, off offset:236
	;; [unrolled: 1-line block ×7, first 2 shown]
	v_lshlrev_b32_e32 v6, 7, v21
	v_add_nc_u32_e32 v3, 0x60, v34
	v_and_b32_e32 v21, 0x1fc, v14
	v_lshrrev_b32_e32 v14, 3, v14
	scratch_store_b64 off, v[28:29], off offset:524 ; 8-byte Folded Spill
	v_lshlrev_b32_e32 v4, 7, v20
	v_lshlrev_b32_e32 v20, 5, v34
	v_and_b32_e32 v3, 0x1fc, v3
	v_and_b32_e32 v13, 0x1fc, v13
	scratch_store_b32 off, v14, off offset:564 ; 4-byte Folded Spill
	v_lshlrev_b32_e32 v2, 7, v33
	v_add_nc_u32_e32 v14, v20, v21
	v_add_nc_u32_e32 v3, v20, v3
	;; [unrolled: 1-line block ×4, first 2 shown]
	v_add_co_u32 v20, s4, s2, v1
	s_delay_alu instid0(VALU_DEP_4)
	v_add_nc_u32_e32 v1, 0x6e00, v3
	s_wait_alu 0xf1ff
	v_add_co_ci_u32_e64 v21, null, s3, 0, s4
	scratch_store_b32 off, v12, off offset:240 ; 4-byte Folded Spill
	v_lshlrev_b32_e32 v7, 7, v22
	scratch_store_b32 off, v1, off offset:532 ; 4-byte Folded Spill
	v_add_nc_u32_e32 v1, 0x6a00, v13
	v_lshlrev_b32_e32 v8, 7, v23
	v_lshlrev_b32_e32 v10, 7, v24
	;; [unrolled: 1-line block ×4, first 2 shown]
	scratch_store_b32 off, v1, off offset:536 ; 4-byte Folded Spill
	v_dual_mov_b32 v34, 0 :: v_dual_add_nc_u32 v1, 0x6600, v14
	s_wait_alu 0xfffe
	s_mov_b32 s4, s5
	scratch_store_b32 off, v1, off offset:540 ; 4-byte Folded Spill
	v_add_nc_u32_e32 v1, 0x6200, v0
	v_add_nc_u32_e32 v0, 0x6210, v0
	s_clause 0x1
	scratch_store_b32 off, v1, off offset:544
	scratch_store_b32 off, v0, off offset:580
	v_lshl_add_u32 v1, v33, 4, 0x7280
	scratch_store_b64 off, v[20:21], off offset:248 ; 8-byte Folded Spill
	v_dual_mov_b32 v33, 0 :: v_dual_add_nc_u32 v0, v27, v2
	scratch_store_b32 off, v1, off offset:256 ; 4-byte Folded Spill
	v_add_nc_u32_e32 v1, 0x4200, v2
	scratch_store_b32 off, v0, off offset:264 ; 4-byte Folded Spill
	v_add_nc_u32_e32 v0, v27, v4
	;; [unrolled: 2-line block ×8, first 2 shown]
	s_clause 0x1
	scratch_store_b32 off, v1, off offset:576
	scratch_store_b32 off, v0, off offset:280
	v_add_nc_u32_e32 v0, v27, v10
	scratch_store_b32 off, v0, off offset:284 ; 4-byte Folded Spill
	v_add_nc_u32_e32 v0, v27, v12
	scratch_store_b32 off, v0, off offset:288 ; 4-byte Folded Spill
	v_add_nc_u32_e32 v0, v27, v19
	s_clause 0x1f
	scratch_store_b32 off, v0, off offset:292
	scratch_store_b32 off, v46, off offset:300
	;; [unrolled: 1-line block ×4, first 2 shown]
	scratch_store_b64 off, v[50:51], off offset:312
	scratch_store_b32 off, v51, off offset:320
	scratch_store_b64 off, v[52:53], off offset:324
	scratch_store_b32 off, v53, off offset:332
	;; [unrolled: 2-line block ×14, first 2 shown]
	s_clause 0xb
	scratch_store_b32 off, v86, off offset:484
	scratch_store_b64 off, v[87:88], off offset:488
	scratch_store_b32 off, v88, off offset:496
	scratch_store_b64 off, v[89:90], off offset:500
	scratch_store_b32 off, v90, off offset:508
	scratch_store_b32 off, v91, off offset:512
	;; [unrolled: 1-line block ×8, first 2 shown]
	s_branch .LBB160_7
.LBB160_5:                              ;   in Loop: Header=BB160_7 Depth=1
	s_clause 0x1b
	scratch_load_b32 v46, off, off offset:300
	scratch_load_b32 v48, off, off offset:304
	;; [unrolled: 1-line block ×3, first 2 shown]
	scratch_load_b64 v[50:51], off, off offset:312
	scratch_load_b64 v[52:53], off, off offset:324
	;; [unrolled: 1-line block ×9, first 2 shown]
	scratch_load_b32 v74, off, off offset:416
	scratch_load_b64 v[75:76], off, off offset:420
	scratch_load_b64 v[77:78], off, off offset:432
	scratch_load_b64 v[79:80], off, off offset:448
	scratch_load_b64 v[81:82], off, off offset:460
	scratch_load_b64 v[84:85], off, off offset:472
	scratch_load_b32 v86, off, off offset:484
	scratch_load_b64 v[87:88], off, off offset:488
	scratch_load_b64 v[89:90], off, off offset:500
	scratch_load_b32 v91, off, off offset:512
	scratch_load_b32 v92, off, off offset:516
	;; [unrolled: 1-line block ×7, first 2 shown]
	s_wait_loadcnt 0x18
	scratch_load_b32 v51, off, off offset:320 ; 4-byte Folded Reload
	s_wait_loadcnt 0x18
	scratch_load_b32 v53, off, off offset:332 ; 4-byte Folded Reload
	;; [unrolled: 2-line block ×15, first 2 shown]
	v_mov_b32_e32 v70, v0
.LBB160_6:                              ;   in Loop: Header=BB160_7 Depth=1
	s_add_co_i32 s4, s4, 8
	s_add_co_i32 s7, s7, -8
	s_wait_alu 0xfffe
	s_cmp_ge_i32 s4, s15
	s_cbranch_scc1 .LBB160_14
.LBB160_7:                              ; =>This Loop Header: Depth=1
                                        ;     Child Loop BB160_9 Depth 2
                                        ;     Child Loop BB160_12 Depth 2
	s_wait_alu 0xfffe
	s_mul_u64 s[10:11], s[4:5], 20
	s_cmp_gt_u32 s7, 3
	s_wait_alu 0xfffe
	s_add_nc_u64 s[10:11], s[0:1], s[10:11]
	s_wait_alu 0xfffe
	v_mad_co_u64_u32 v[0:1], null, v46, 20, s[10:11]
	s_delay_alu instid0(VALU_DEP_1)
	v_mad_co_i64_i32 v[2:3], null, v49, 20, v[0:1]
	s_wait_loadcnt 0xe
	v_mad_co_i64_i32 v[4:5], null, v51, 20, v[0:1]
	s_wait_loadcnt 0xd
	;; [unrolled: 2-line block ×3, first 2 shown]
	v_mad_co_i64_i32 v[8:9], null, v56, 20, v[0:1]
	s_delay_alu instid0(VALU_DEP_4)
	v_add_co_u32 v2, vcc_lo, v2, v48
	s_wait_loadcnt 0xb
	v_mad_co_i64_i32 v[10:11], null, v58, 20, v[0:1]
	s_wait_alu 0xfffd
	v_add_co_ci_u32_e64 v3, null, 0, v3, vcc_lo
	v_add_co_u32 v4, vcc_lo, v4, v48
	s_wait_loadcnt 0xa
	v_mad_co_i64_i32 v[12:13], null, v60, 20, v[0:1]
	s_wait_alu 0xfffd
	v_add_co_ci_u32_e64 v5, null, 0, v5, vcc_lo
	;; [unrolled: 5-line block ×4, first 2 shown]
	v_add_co_u32 v10, vcc_lo, v10, v48
	s_wait_alu 0xfffd
	v_add_co_ci_u32_e64 v11, null, 0, v11, vcc_lo
	v_add_co_u32 v12, vcc_lo, v12, v48
	s_wait_alu 0xfffd
	v_add_co_ci_u32_e64 v13, null, 0, v13, vcc_lo
	;; [unrolled: 3-line block ×3, first 2 shown]
	v_add_co_u32 v16, vcc_lo, v16, v48
	s_wait_loadcnt 0x7
	v_mad_co_i64_i32 v[18:19], null, v66, 20, v[0:1]
	s_wait_alu 0xfffd
	v_add_co_ci_u32_e64 v17, null, 0, v17, vcc_lo
	s_clause 0x7
	global_load_b32 v24, v[2:3], off offset:4
	global_load_b32 v25, v[4:5], off offset:4
	;; [unrolled: 1-line block ×8, first 2 shown]
	v_mad_co_i64_i32 v[2:3], null, v74, 20, v[0:1]
	s_wait_loadcnt 0xe
	v_mad_co_i64_i32 v[6:7], null, v76, 20, v[0:1]
	s_wait_loadcnt 0xd
	v_mad_co_i64_i32 v[8:9], null, v78, 20, v[0:1]
	v_add_co_u32 v4, vcc_lo, v18, v48
	s_wait_loadcnt 0xc
	v_mad_co_i64_i32 v[10:11], null, v80, 20, v[0:1]
	s_wait_alu 0xfffd
	v_add_co_ci_u32_e64 v5, null, 0, v19, vcc_lo
	v_add_co_u32 v2, vcc_lo, v2, v48
	s_wait_loadcnt 0xb
	v_mad_co_i64_i32 v[12:13], null, v82, 20, v[0:1]
	s_wait_alu 0xfffd
	v_add_co_ci_u32_e64 v3, null, 0, v3, vcc_lo
	;; [unrolled: 5-line block ×4, first 2 shown]
	v_add_co_u32 v10, vcc_lo, v10, v48
	v_mad_co_u64_u32 v[16:17], null, v86, 20, s[10:11]
	s_wait_alu 0xfffd
	v_add_co_ci_u32_e64 v11, null, 0, v11, vcc_lo
	v_add_co_u32 v12, vcc_lo, v12, v48
	s_wait_alu 0xfffd
	v_add_co_ci_u32_e64 v13, null, 0, v13, vcc_lo
	v_add_co_u32 v14, vcc_lo, v14, v48
	;; [unrolled: 3-line block ×3, first 2 shown]
	s_wait_alu 0xfffd
	v_add_co_ci_u32_e64 v1, null, 0, v1, vcc_lo
	s_wait_loadcnt 0x8
	v_mad_co_i64_i32 v[18:19], null, v90, 20, v[16:17]
	v_mad_co_i64_i32 v[20:21], null, v91, 20, v[16:17]
	;; [unrolled: 1-line block ×4, first 2 shown]
	s_clause 0xb
	global_load_b32 v4, v[4:5], off offset:4
	global_load_b32 v2, v[2:3], off offset:4
	global_load_b32 v3, v[6:7], off offset:4
	global_load_b32 v5, v[8:9], off offset:4
	global_load_b32 v6, v[10:11], off offset:4
	global_load_b32 v7, v[12:13], off offset:4
	global_load_b32 v8, v[14:15], off offset:4
	global_load_b32 v0, v[0:1], off offset:4
	global_load_b32 v1, v[18:19], off
	global_load_b32 v9, v[20:21], off
	global_load_b32 v10, v[22:23], off
	global_load_b32 v11, v[16:17], off
	s_wait_loadcnt 0x13
	ds_store_b32 v50, v24
	s_wait_loadcnt 0x12
	ds_store_b32 v52, v25
	;; [unrolled: 2-line block ×20, first 2 shown]
	s_cbranch_scc0 .LBB160_6
; %bb.8:                                ;   in Loop: Header=BB160_7 Depth=1
	s_clause 0x4
	scratch_load_b32 v0, off, off offset:444
	scratch_load_b32 v9, off, off offset:244
	;; [unrolled: 1-line block ×3, first 2 shown]
	scratch_load_b64 v[15:16], off, off offset:248
	scratch_load_b32 v11, off, off offset:236
	s_mov_b32 s10, -4
	s_wait_loadcnt 0x4
	v_add_nc_u32_e32 v8, s4, v0
	scratch_load_b64 v[0:1], off, off offset:524 ; 8-byte Folded Reload
	s_wait_loadcnt 0x0
	scratch_load_b32 v1, off, off offset:220 ; 4-byte Folded Reload
	v_add_nc_u32_e32 v9, v8, v9
	v_add_nc_u32_e32 v10, v8, v10
	;; [unrolled: 1-line block ×3, first 2 shown]
	scratch_load_b32 v11, off, off offset:240 ; 4-byte Folded Reload
	v_mad_co_i64_i32 v[12:13], null, v12, 36, v[15:16]
	v_add_nc_u32_e32 v17, s4, v0
	scratch_load_b32 v0, off, off offset:216 ; 4-byte Folded Reload
	s_wait_loadcnt 0x2
	v_add_nc_u32_e32 v2, v8, v1
	scratch_load_b32 v1, off, off offset:224 ; 4-byte Folded Reload
	scratch_store_b32 off, v17, off offset:296 ; 4-byte Folded Spill
	v_mad_co_i64_i32 v[2:3], null, v2, 36, v[15:16]
	s_wait_loadcnt 0x2
	v_add_nc_u32_e32 v14, v8, v11
	v_mad_co_i64_i32 v[10:11], null, v10, 36, v[15:16]
	s_wait_loadcnt 0x1
	v_add_nc_u32_e32 v0, v8, v0
	s_wait_loadcnt 0x0
	v_add_nc_u32_e32 v4, v8, v1
	scratch_load_b32 v1, off, off offset:228 ; 4-byte Folded Reload
	v_mad_co_i64_i32 v[4:5], null, v4, 36, v[15:16]
	s_wait_loadcnt 0x0
	v_add_nc_u32_e32 v6, v8, v1
	v_mad_co_i64_i32 v[8:9], null, v9, 36, v[15:16]
	v_mad_co_i64_i32 v[0:1], null, v0, 36, v[15:16]
	s_delay_alu instid0(VALU_DEP_3)
	v_mad_co_i64_i32 v[6:7], null, v6, 36, v[15:16]
	v_mad_co_i64_i32 v[14:15], null, v14, 36, v[15:16]
	v_mad_co_u64_u32 v[16:17], null, v17, 36, s[2:3]
	s_clause 0x8
	global_load_b32 v8, v[8:9], off offset:4
	global_load_b32 v0, v[0:1], off offset:4
	;; [unrolled: 1-line block ×8, first 2 shown]
	global_load_b32 v7, v[16:17], off
	s_clause 0x2
	scratch_load_b32 v160, off, off offset:260
	scratch_load_b32 v161, off, off offset:256
	;; [unrolled: 1-line block ×3, first 2 shown]
	s_wait_loadcnt 0x0
	v_mul_u32_u24_e32 v166, 0x84, v9
	s_clause 0x4
	scratch_load_b32 v162, off, off offset:544
	scratch_load_b32 v163, off, off offset:540
	;; [unrolled: 1-line block ×5, first 2 shown]
	s_wait_loadcnt 0x0
	ds_store_b32 v9, v8
	scratch_load_b32 v8, off, off offset:264 ; 4-byte Folded Reload
	s_wait_loadcnt 0x0
	ds_store_b32 v8, v0
	scratch_load_b32 v0, off, off offset:268 ; 4-byte Folded Reload
	;; [unrolled: 3-line block ×8, first 2 shown]
	s_wait_loadcnt 0x0
	ds_store_b32 v0, v7
	s_wait_storecnt_dscnt 0x0
	s_barrier_signal -1
	s_barrier_wait -1
	global_inv scope:SCOPE_SE
.LBB160_9:                              ;   Parent Loop BB160_7 Depth=1
                                        ; =>  This Inner Loop Header: Depth=2
	s_clause 0x13
	scratch_store_b32 off, v73, off offset:64
	scratch_store_b32 off, v68, off offset:76
	;; [unrolled: 1-line block ×19, first 2 shown]
	scratch_store_b32 off, v35, off
	ds_load_b32 v3, v162
	ds_load_b32 v2, v163
	;; [unrolled: 1-line block ×4, first 2 shown]
	ds_load_2addr_b32 v[4:5], v161 offset1:32
	ds_load_2addr_b32 v[20:21], v160 offset0:4 offset1:7
	ds_load_2addr_b32 v[36:37], v166 offset1:1
	ds_load_2addr_b32 v[38:39], v160 offset0:1 offset1:2
	ds_load_2addr_b32 v[57:58], v166 offset0:2 offset1:3
	;; [unrolled: 1-line block ×3, first 2 shown]
	ds_load_2addr_b32 v[22:23], v160 offset1:3
	v_add_nc_u32_e32 v165, 4, v165
	v_add_nc_u32_e32 v164, 4, v164
	;; [unrolled: 1-line block ×4, first 2 shown]
	s_wait_alu 0xfffe
	s_add_co_i32 s10, s10, 4
	v_dual_mov_b32 v120, v112 :: v_dual_mov_b32 v113, v110
	v_mov_b32_e32 v112, v109
	v_mov_b32_e32 v110, v108
	;; [unrolled: 1-line block ×3, first 2 shown]
	s_wait_alu 0xfffe
	s_cmp_lt_u32 s10, 12
	v_mov_b32_e32 v109, v107
	v_mov_b32_e32 v107, v95
	s_wait_dscnt 0x6
	v_pk_mul_f16 v6, v4, v3
	s_wait_dscnt 0x5
	v_bfe_i32 v56, v20, 16, 8
	s_wait_dscnt 0x4
	v_bfe_u32 v213, v36, 20, 4
	v_bfe_u32 v199, v36, 16, 4
	s_wait_dscnt 0x3
	v_bfe_i32 v206, v38, 16, 8
	scratch_store_b32 off, v6, off offset:152 ; 4-byte Folded Spill
	v_pk_mul_f16 v6, v4, v2
	s_wait_dscnt 0x0
	v_bfe_i32 v40, v22, 16, 8
	v_bfe_u32 v207, v37, 16, 4
	v_bfe_i32 v236, v52, 16, 8
	v_bfe_u32 v239, v37, 20, 4
	scratch_store_b32 off, v6, off offset:132 ; 4-byte Folded Spill
	v_pk_mul_f16 v6, v4, v1
	v_pk_mul_f16 v4, v4, v0
	v_ashrrev_i32_e32 v7, 24, v20
	v_bfe_u32 v200, v36, 24, 4
	v_bfe_u32 v12, v37, 24, 4
	v_lshrrev_b32_e32 v253, 28, v37
	scratch_store_b32 off, v4, off offset:144 ; 4-byte Folded Spill
	v_pk_mul_f16 v4, v3, v5
	scratch_store_b32 off, v6, off offset:148 ; 4-byte Folded Spill
	v_ashrrev_i32_e32 v175, 24, v38
	v_ashrrev_i32_e32 v238, 24, v52
	v_bfe_u32 v8, v36, 4, 4
	scratch_store_b32 off, v4, off offset:104 ; 4-byte Folded Spill
	v_pk_mul_f16 v4, v2, v5
	v_and_b32_e32 v201, 15, v36
	v_bfe_i32 v14, v38, 0, 8
	v_and_b32_e32 v170, 15, v37
	v_bfe_i32 v252, v52, 0, 8
	scratch_store_b32 off, v4, off offset:196 ; 4-byte Folded Spill
	v_pk_mul_f16 v4, v1, v5
	v_bfe_u32 v144, v57, 24, 4
	v_mul_i32_i24_e32 v10, v14, v170
	v_lshrrev_b32_e32 v233, 28, v57
	v_ashrrev_i32_e32 v241, 24, v39
	scratch_store_b32 off, v4, off offset:140 ; 4-byte Folded Spill
	v_pk_mul_f16 v4, v0, v5
	v_ashrrev_i32_e32 v216, 24, v53
	v_bfe_i32 v243, v39, 16, 8
	v_bfe_u32 v245, v57, 16, 4
	v_bfe_i32 v218, v53, 16, 8
	scratch_store_b32 off, v4, off offset:136 ; 4-byte Folded Spill
	ds_load_2addr_b32 v[4:5], v161 offset0:64 offset1:96
	v_bfe_u32 v221, v57, 20, 4
	v_bfe_i32 v143, v39, 0, 8
	v_and_b32_e32 v247, 15, v57
	v_bfe_i32 v232, v53, 0, 8
	v_bfe_u32 v234, v57, 4, 4
	v_bfe_i32 v180, v38, 8, 8
	v_bfe_i32 v226, v23, 16, 8
	v_bfe_u32 v229, v58, 16, 4
	v_bfe_u32 v212, v58, 20, 4
	;; [unrolled: 1-line block ×3, first 2 shown]
	v_lshrrev_b32_e32 v215, 28, v58
	v_ashrrev_i32_e32 v228, 24, v23
	v_bfe_i32 v237, v23, 0, 8
	v_and_b32_e32 v230, 15, v58
	v_bfe_i32 v214, v21, 0, 8
	v_bfe_u32 v217, v58, 4, 4
	v_mov_b32_e32 v101, v34
	v_dual_mov_b32 v95, v67 :: v_dual_add_nc_u32 v18, 0x1088, v166
	s_wait_dscnt 0x0
	v_pk_mul_f16 v6, v3, v4
	v_dual_mov_b32 v93, v71 :: v_dual_mov_b32 v92, v83
	v_add_nc_u32_e32 v44, 0x400, v160
	scratch_store_b32 off, v6, off offset:108 ; 4-byte Folded Spill
	v_pk_mul_f16 v6, v2, v4
	scratch_store_b32 off, v6, off offset:80 ; 4-byte Folded Spill
	v_pk_mul_f16 v6, v1, v4
	v_pk_mul_f16 v4, v0, v4
	scratch_store_b32 off, v4, off offset:156 ; 4-byte Folded Spill
	v_pk_mul_f16 v4, v3, v5
	scratch_store_b32 off, v4, off offset:112 ; 4-byte Folded Spill
	v_pk_mul_f16 v4, v2, v5
	s_clause 0x1
	scratch_store_b32 off, v6, off offset:164
	scratch_store_b32 off, v4, off offset:84
	v_pk_mul_f16 v4, v1, v5
	scratch_store_b32 off, v4, off offset:168 ; 4-byte Folded Spill
	v_pk_mul_f16 v4, v0, v5
	scratch_store_b32 off, v4, off offset:160 ; 4-byte Folded Spill
	ds_load_2addr_b32 v[4:5], v161 offset0:128 offset1:160
	s_wait_dscnt 0x0
	v_pk_mul_f16 v6, v3, v4
	scratch_store_b32 off, v6, off offset:116 ; 4-byte Folded Spill
	v_pk_mul_f16 v6, v2, v4
	scratch_store_b32 off, v6, off offset:88 ; 4-byte Folded Spill
	v_pk_mul_f16 v6, v1, v4
	v_pk_mul_f16 v4, v0, v4
	scratch_store_b32 off, v4, off offset:172 ; 4-byte Folded Spill
	v_pk_mul_f16 v4, v3, v5
	scratch_store_b32 off, v4, off offset:120 ; 4-byte Folded Spill
	v_pk_mul_f16 v4, v2, v5
	s_clause 0x1
	scratch_store_b32 off, v6, off offset:180
	scratch_store_b32 off, v4, off offset:92
	v_pk_mul_f16 v4, v1, v5
	scratch_store_b32 off, v4, off offset:184 ; 4-byte Folded Spill
	v_pk_mul_f16 v4, v0, v5
	scratch_store_b32 off, v4, off offset:176 ; 4-byte Folded Spill
	ds_load_2addr_b32 v[4:5], v161 offset0:192 offset1:224
	v_add_nc_u32_e32 v161, 4, v161
	s_wait_dscnt 0x0
	v_pk_mul_f16 v6, v3, v4
	v_pk_mul_f16 v3, v3, v5
	scratch_store_b32 off, v3, off offset:124 ; 4-byte Folded Spill
	v_pk_mul_f16 v3, v2, v4
	v_pk_mul_f16 v2, v2, v5
	scratch_store_b32 off, v6, off offset:128 ; 4-byte Folded Spill
	v_lshrrev_b32_e32 v6, 28, v36
	s_clause 0x1
	scratch_store_b32 off, v3, off offset:100
	scratch_store_b32 off, v2, off offset:96
	v_pk_mul_f16 v2, v1, v4
	v_pk_mul_f16 v1, v1, v5
	v_mul_i32_i24_e32 v3, v238, v253
	s_clause 0x1
	scratch_store_b32 off, v2, off offset:200
	scratch_store_b32 off, v1, off offset:188
	v_pk_mul_f16 v1, v0, v4
	v_pk_mul_f16 v0, v0, v5
	v_mul_i32_i24_e32 v2, v236, v239
	s_clause 0x1
	scratch_store_b32 off, v1, off offset:204
	scratch_store_b32 off, v0, off offset:192
	v_mul_i32_i24_e32 v0, v213, v56
	v_mul_i32_i24_e32 v1, v206, v207
	s_delay_alu instid0(VALU_DEP_2) | instskip(NEXT) | instid1(VALU_DEP_1)
	v_mad_i32_i24 v0, v199, v40, v0
	v_add3_u32 v4, v0, v1, v2
	v_ashrrev_i32_e32 v2, 24, v22
	v_mul_i32_i24_e32 v0, v6, v7
	v_mul_i32_i24_e32 v1, v175, v12
	s_delay_alu instid0(VALU_DEP_2) | instskip(NEXT) | instid1(VALU_DEP_1)
	v_mad_i32_i24 v0, v200, v2, v0
	v_add3_u32 v5, v0, v1, v3
	v_bfe_i32 v1, v20, 0, 8
	v_bfe_i32 v3, v22, 0, 8
	v_lshrrev_b16 v20, 8, v20
	s_delay_alu instid0(VALU_DEP_3) | instskip(NEXT) | instid1(VALU_DEP_1)
	v_mul_i32_i24_e32 v0, v8, v1
	v_mad_i32_i24 v9, v201, v3, v0
	v_bfe_u32 v0, v37, 4, 4
	s_delay_alu instid0(VALU_DEP_1) | instskip(NEXT) | instid1(VALU_DEP_1)
	v_mul_i32_i24_e32 v11, v252, v0
	v_add3_u32 v9, v9, v10, v11
	v_mul_i32_i24_e32 v10, v241, v144
	v_mul_i32_i24_e32 v11, v216, v233
	s_delay_alu instid0(VALU_DEP_1) | instskip(SKIP_2) | instid1(VALU_DEP_1)
	v_add3_u32 v11, v5, v10, v11
	v_mul_i32_i24_e32 v5, v243, v245
	v_mul_i32_i24_e32 v10, v218, v221
	v_add3_u32 v13, v4, v5, v10
	v_mul_i32_i24_e32 v4, v143, v247
	v_mul_i32_i24_e32 v5, v232, v234
	s_delay_alu instid0(VALU_DEP_1) | instskip(SKIP_1) | instid1(VALU_DEP_1)
	v_add3_u32 v41, v9, v4, v5
	v_lshrrev_b16 v4, 8, v22
	v_bfe_i32 v22, v4, 0, 8
	v_add_nc_u32_e32 v4, 0x2100, v166
	ds_load_2addr_b32 v[59:60], v4 offset1:1
	s_wait_dscnt 0x0
	v_and_b32_e32 v208, 15, v59
	v_bfe_u32 v209, v59, 8, 4
	v_bfe_u32 v202, v59, 16, 4
	;; [unrolled: 1-line block ×4, first 2 shown]
	v_mul_i32_i24_e32 v4, v3, v208
	v_bfe_u32 v49, v59, 4, 4
	v_mul_i32_i24_e32 v5, v40, v202
	v_mul_i32_i24_e32 v9, v2, v203
	v_bfe_u32 v99, v59, 20, 4
	v_mad_i32_i24 v4, v22, v209, v4
	v_lshrrev_b32_e32 v100, 28, v59
	v_bfe_u32 v185, v60, 8, 4
	v_bfe_u32 v186, v60, 24, 4
	;; [unrolled: 1-line block ×3, first 2 shown]
	v_add3_u32 v42, v4, v5, v9
	v_add_nc_u32_e32 v4, 0x3180, v166
	ds_load_2addr_b32 v[61:62], v4 offset1:1
	s_wait_dscnt 0x0
	v_and_b32_e32 v210, 15, v61
	v_bfe_u32 v211, v61, 8, 4
	v_bfe_u32 v204, v61, 16, 4
	;; [unrolled: 1-line block ×4, first 2 shown]
	v_mul_i32_i24_e32 v4, v3, v210
	v_bfe_u32 v51, v61, 4, 4
	v_mul_i32_i24_e32 v5, v40, v204
	v_mul_i32_i24_e32 v9, v2, v205
	v_bfe_u32 v102, v61, 20, 4
	v_mad_i32_i24 v4, v22, v211, v4
	v_lshrrev_b32_e32 v103, 28, v61
	v_ashrrev_i32_e32 v61, 24, v21
	v_bfe_u32 v190, v62, 8, 4
	v_bfe_u32 v191, v62, 24, 4
	v_add3_u32 v43, v4, v5, v9
	v_add_nc_u32_e32 v4, 0x1080, v166
	v_add_nc_u32_e32 v9, 0x404, v160
	ds_load_2addr_b32 v[4:5], v4 offset1:1
	ds_load_2addr_b32 v[54:55], v9 offset1:1
	ds_load_2addr_b32 v[63:64], v44 offset0:4 offset1:7
	v_bfe_u32 v80, v62, 16, 4
	v_bfe_u32 v83, v62, 4, 4
	s_wait_dscnt 0x2
	v_bfe_u32 v136, v5, 16, 4
	s_wait_dscnt 0x1
	v_bfe_i32 v15, v54, 16, 8
	v_bfe_u32 v16, v4, 20, 4
	s_wait_dscnt 0x0
	v_bfe_i32 v69, v63, 16, 8
	v_bfe_u32 v128, v5, 20, 4
	v_bfe_i32 v117, v55, 16, 8
	v_mul_i32_i24_e32 v9, v15, v136
	v_and_b32_e32 v154, 15, v5
	v_bfe_u32 v94, v4, 4, 4
	v_bfe_i32 v97, v63, 0, 8
	v_bfe_u32 v135, v5, 4, 4
	v_mad_i32_i24 v17, v69, v16, v9
	v_add_nc_u32_e32 v9, 0x414, v160
	ds_load_2addr_b32 v[9:10], v9 offset1:1
	ds_load_2addr_b32 v[65:66], v18 offset1:1
	v_bfe_i32 v87, v55, 0, 8
	v_bfe_u32 v177, v5, 24, 4
	v_ashrrev_i32_e32 v105, 24, v54
	v_ashrrev_i32_e32 v98, 24, v63
	v_lshrrev_b32_e32 v133, 28, v5
	v_ashrrev_i32_e32 v134, 24, v55
	ds_load_2addr_b32 v[67:68], v44 offset1:3
	v_bfe_i32 v235, v64, 16, 8
	v_bfe_i32 v249, v64, 0, 8
	v_ashrrev_i32_e32 v250, 24, v64
	v_bfe_i32 v64, v64, 8, 8
	s_wait_dscnt 0x2
	v_bfe_i32 v152, v9, 16, 8
	s_wait_dscnt 0x1
	v_bfe_u32 v248, v65, 16, 4
	v_bfe_i32 v176, v9, 0, 8
	v_and_b32_e32 v251, 15, v65
	v_bfe_u32 v139, v65, 24, 4
	v_mul_i32_i24_e32 v18, v152, v128
	v_mul_i32_i24_e32 v19, v117, v248
	v_ashrrev_i32_e32 v178, 24, v9
	v_mul_i32_i24_e32 v24, v87, v251
	v_mul_i32_i24_e32 v25, v134, v139
	v_lshrrev_b32_e32 v254, 28, v65
	v_add3_u32 v45, v17, v18, v19
	v_bfe_i32 v18, v54, 0, 8
	v_mul_i32_i24_e32 v19, v176, v135
	v_bfe_u32 v231, v66, 24, 4
	v_ashrrev_i32_e32 v131, 24, v10
	s_wait_dscnt 0x0
	v_ashrrev_i32_e32 v255, 24, v68
	v_mul_i32_i24_e32 v17, v18, v154
	v_bfe_u32 v145, v65, 4, 4
	v_bfe_i32 v132, v10, 0, 8
	v_and_b32_e32 v222, 15, v66
	v_bfe_i32 v242, v68, 0, 8
	v_mad_i32_i24 v17, v97, v94, v17
	v_bfe_u32 v246, v65, 20, 4
	v_bfe_i32 v140, v10, 16, 8
	v_bfe_u32 v223, v66, 16, 4
	v_bfe_i32 v244, v68, 16, 8
	v_add3_u32 v46, v17, v19, v24
	v_lshrrev_b32_e32 v19, 28, v4
	v_mul_i32_i24_e32 v17, v105, v177
	v_mul_i32_i24_e32 v24, v178, v133
	v_bfe_u32 v219, v66, 20, 4
	v_bfe_i32 v224, v67, 0, 8
	v_bfe_u32 v227, v66, 4, 4
	v_mad_i32_i24 v17, v98, v19, v17
	v_lshrrev_b32_e32 v225, 28, v66
	v_ashrrev_i32_e32 v220, 24, v67
	v_bfe_i32 v68, v68, 8, 8
	s_delay_alu instid0(VALU_DEP_4)
	v_add3_u32 v47, v17, v24, v25
	v_add_nc_u32_e32 v17, 0x800, v160
	ds_load_2addr_b32 v[24:25], v17 offset0:4 offset1:7
	s_wait_dscnt 0x0
	v_bfe_i32 v104, v24, 8, 8
	v_bfe_i32 v106, v24, 0, 8
	v_bfe_i32 v111, v24, 16, 8
	v_ashrrev_i32_e32 v114, 24, v24
	s_delay_alu instid0(VALU_DEP_4) | instskip(NEXT) | instid1(VALU_DEP_3)
	v_mul_i32_i24_e32 v17, v104, v48
	v_mul_i32_i24_e32 v24, v111, v99
	s_delay_alu instid0(VALU_DEP_3) | instskip(NEXT) | instid1(VALU_DEP_3)
	v_mul_i32_i24_e32 v26, v114, v100
	v_mad_i32_i24 v17, v106, v49, v17
	s_delay_alu instid0(VALU_DEP_1) | instskip(SKIP_3) | instid1(VALU_DEP_3)
	v_add3_u32 v88, v17, v24, v26
	v_mul_i32_i24_e32 v17, v104, v50
	v_mul_i32_i24_e32 v24, v111, v102
	v_mul_i32_i24_e32 v26, v114, v103
	v_mad_i32_i24 v17, v106, v51, v17
	s_delay_alu instid0(VALU_DEP_1)
	v_add3_u32 v115, v17, v24, v26
	v_add_nc_u32_e32 v17, 0xc00, v160
	ds_load_2addr_b32 v[26:27], v17 offset0:4 offset1:7
	s_wait_dscnt 0x0
	v_bfe_i32 v116, v26, 8, 8
	v_bfe_i32 v118, v26, 0, 8
	v_bfe_i32 v119, v26, 16, 8
	v_ashrrev_i32_e32 v121, 24, v26
	s_delay_alu instid0(VALU_DEP_4) | instskip(NEXT) | instid1(VALU_DEP_3)
	v_mul_i32_i24_e32 v17, v116, v48
	v_mul_i32_i24_e32 v24, v119, v99
	s_delay_alu instid0(VALU_DEP_3) | instskip(NEXT) | instid1(VALU_DEP_3)
	v_mul_i32_i24_e32 v26, v121, v100
	v_mad_i32_i24 v17, v118, v49, v17
	s_delay_alu instid0(VALU_DEP_1) | instskip(SKIP_3) | instid1(VALU_DEP_3)
	v_add3_u32 v122, v17, v24, v26
	v_mul_i32_i24_e32 v17, v116, v50
	v_mul_i32_i24_e32 v24, v119, v102
	v_mul_i32_i24_e32 v26, v121, v103
	v_mad_i32_i24 v17, v118, v51, v17
	s_delay_alu instid0(VALU_DEP_1)
	;; [unrolled: 21-line block ×3, first 2 shown]
	v_add3_u32 v130, v17, v24, v26
	v_add_nc_u32_e32 v17, 0x1400, v160
	ds_load_2addr_b32 v[30:31], v17 offset0:4 offset1:7
	v_add_nc_u32_e32 v17, 0x1800, v160
	ds_load_2addr_b32 v[32:33], v17 offset0:4 offset1:7
	;; [unrolled: 2-line block ×3, first 2 shown]
	s_wait_dscnt 0x2
	v_bfe_i32 v147, v30, 8, 8
	v_bfe_i32 v148, v30, 0, 8
	;; [unrolled: 1-line block ×3, first 2 shown]
	v_ashrrev_i32_e32 v150, 24, v30
	s_delay_alu instid0(VALU_DEP_4)
	v_mul_i32_i24_e32 v24, v147, v48
	s_wait_dscnt 0x1
	v_bfe_i32 v153, v32, 8, 8
	v_mul_i32_i24_e32 v26, v149, v99
	v_mul_i32_i24_e32 v28, v150, v100
	v_bfe_i32 v155, v32, 0, 8
	v_mad_i32_i24 v24, v148, v49, v24
	v_bfe_i32 v159, v32, 16, 8
	v_ashrrev_i32_e32 v167, 24, v32
	s_wait_dscnt 0x0
	v_bfe_i32 v168, v34, 8, 8
	v_bfe_i32 v169, v34, 0, 8
	v_add3_u32 v142, v24, v26, v28
	v_mul_i32_i24_e32 v24, v147, v50
	v_mul_i32_i24_e32 v26, v149, v102
	;; [unrolled: 1-line block ×3, first 2 shown]
	v_bfe_i32 v171, v34, 16, 8
	v_ashrrev_i32_e32 v172, 24, v34
	v_mad_i32_i24 v24, v148, v51, v24
	v_bfe_i32 v34, v21, 16, 8
	s_delay_alu instid0(VALU_DEP_2) | instskip(SKIP_3) | instid1(VALU_DEP_3)
	v_add3_u32 v151, v24, v26, v28
	v_mul_i32_i24_e32 v24, v153, v48
	v_mul_i32_i24_e32 v26, v159, v99
	v_mul_i32_i24_e32 v28, v167, v100
	v_mad_i32_i24 v24, v155, v49, v24
	s_delay_alu instid0(VALU_DEP_1) | instskip(SKIP_3) | instid1(VALU_DEP_3)
	v_add3_u32 v156, v24, v26, v28
	v_mul_i32_i24_e32 v24, v153, v50
	v_mul_i32_i24_e32 v26, v159, v102
	v_mul_i32_i24_e32 v28, v167, v103
	v_mad_i32_i24 v24, v155, v51, v24
	s_delay_alu instid0(VALU_DEP_1) | instskip(SKIP_3) | instid1(VALU_DEP_3)
	;; [unrolled: 6-line block ×3, first 2 shown]
	v_add3_u32 v158, v24, v26, v28
	v_mul_i32_i24_e32 v24, v168, v50
	v_mul_i32_i24_e32 v26, v171, v102
	;; [unrolled: 1-line block ×3, first 2 shown]
	v_mad_i32_i24 v24, v169, v51, v24
	s_delay_alu instid0(VALU_DEP_1)
	v_add3_u32 v173, v24, v26, v28
	v_lshrrev_b32_e32 v26, 4, v36
	v_and_b32_e32 v24, 0xf0f0f0f, v36
	v_bfe_i32 v36, v20, 0, 8
	v_and_b32_e32 v20, 0xf0f0f0f, v37
	v_and_b32_e32 v28, 15, v4
	v_lshrrev_b16 v26, 8, v26
	v_lshrrev_b16 v24, 8, v24
	v_lshrrev_b32_e32 v37, 4, v37
	v_lshrrev_b16 v20, 8, v20
	v_mul_i32_i24_e32 v3, v28, v3
	v_and_b32_e32 v26, 15, v26
	v_and_b32_e32 v32, 0xffff, v24
	v_lshrrev_b16 v37, 8, v37
	v_and_b32_e32 v174, 0xffff, v20
	s_delay_alu instid0(VALU_DEP_4) | instskip(NEXT) | instid1(VALU_DEP_4)
	v_and_b32_e32 v179, 0xffff, v26
	v_mul_i32_i24_e32 v20, v32, v22
	s_delay_alu instid0(VALU_DEP_4) | instskip(NEXT) | instid1(VALU_DEP_4)
	v_and_b32_e32 v37, 15, v37
	v_mul_i32_i24_e32 v24, v180, v174
	s_delay_alu instid0(VALU_DEP_4) | instskip(NEXT) | instid1(VALU_DEP_1)
	v_mul_i32_i24_e32 v26, v179, v36
	v_add3_u32 v38, v20, v26, v24
	v_mul_i32_i24_e32 v20, v226, v229
	v_mul_i32_i24_e32 v24, v34, v212
	v_bfe_u32 v26, v4, 24, 4
	s_delay_alu instid0(VALU_DEP_2) | instskip(SKIP_2) | instid1(VALU_DEP_4)
	v_add3_u32 v20, v13, v20, v24
	v_mul_i32_i24_e32 v13, v228, v240
	v_mul_i32_i24_e32 v24, v61, v215
	;; [unrolled: 1-line block ×3, first 2 shown]
	s_delay_alu instid0(VALU_DEP_2) | instskip(SKIP_3) | instid1(VALU_DEP_2)
	v_add3_u32 v181, v11, v13, v24
	v_mul_i32_i24_e32 v11, v237, v230
	v_mul_i32_i24_e32 v13, v214, v217
	;; [unrolled: 1-line block ×3, first 2 shown]
	v_add3_u32 v59, v41, v11, v13
	v_mul_i32_i24_e32 v11, v1, v49
	v_mul_i32_i24_e32 v13, v36, v48
	;; [unrolled: 1-line block ×3, first 2 shown]
	s_delay_alu instid0(VALU_DEP_2) | instskip(SKIP_3) | instid1(VALU_DEP_3)
	v_add3_u32 v11, v42, v13, v11
	v_mul_i32_i24_e32 v13, v1, v51
	v_mul_i32_i24_e32 v42, v98, v100
	;; [unrolled: 1-line block ×3, first 2 shown]
	v_add3_u32 v13, v43, v24, v13
	v_and_b32_e32 v24, 0xf0f0f0f, v4
	s_delay_alu instid0(VALU_DEP_1) | instskip(NEXT) | instid1(VALU_DEP_1)
	v_lshrrev_b16 v24, 8, v24
	v_and_b32_e32 v30, 0xffff, v24
	v_bfe_u32 v24, v4, 16, 4
	v_lshrrev_b32_e32 v4, 4, v4
	s_delay_alu instid0(VALU_DEP_3) | instskip(NEXT) | instid1(VALU_DEP_3)
	v_mad_i32_i24 v3, v30, v22, v3
	v_mul_i32_i24_e32 v22, v24, v40
	v_mul_i32_i24_e32 v40, v242, v222
	s_delay_alu instid0(VALU_DEP_4) | instskip(NEXT) | instid1(VALU_DEP_3)
	v_lshrrev_b16 v4, 8, v4
	v_add3_u32 v2, v3, v22, v2
	v_mul_i32_i24_e32 v3, v131, v254
	v_mul_i32_i24_e32 v22, v255, v231
	s_delay_alu instid0(VALU_DEP_4) | instskip(NEXT) | instid1(VALU_DEP_2)
	v_and_b32_e32 v4, 15, v4
	v_add3_u32 v3, v47, v3, v22
	v_mul_i32_i24_e32 v22, v132, v145
	s_delay_alu instid0(VALU_DEP_1) | instskip(SKIP_1) | instid1(VALU_DEP_1)
	v_add3_u32 v22, v46, v22, v40
	v_mul_i32_i24_e32 v40, v140, v246
	v_add3_u32 v182, v45, v40, v41
	v_lshrrev_b16 v40, 8, v63
	v_mul_i32_i24_e32 v41, v69, v99
	s_delay_alu instid0(VALU_DEP_2) | instskip(NEXT) | instid1(VALU_DEP_1)
	v_bfe_i32 v63, v40, 0, 8
	v_mul_i32_i24_e32 v40, v63, v48
	s_delay_alu instid0(VALU_DEP_1) | instskip(NEXT) | instid1(VALU_DEP_1)
	v_mad_i32_i24 v40, v97, v49, v40
	v_add3_u32 v183, v40, v41, v42
	v_mul_i32_i24_e32 v40, v63, v50
	v_mul_i32_i24_e32 v41, v69, v102
	;; [unrolled: 1-line block ×3, first 2 shown]
	s_delay_alu instid0(VALU_DEP_3) | instskip(NEXT) | instid1(VALU_DEP_1)
	v_mad_i32_i24 v40, v97, v51, v40
	v_add3_u32 v184, v40, v41, v42
	v_add_nc_u32_e32 v40, 0x804, v160
	ds_load_2addr_b32 v[50:51], v40 offset1:1
	s_wait_dscnt 0x0
	v_bfe_i32 v187, v50, 8, 8
	v_ashrrev_i32_e32 v188, 24, v50
	v_bfe_i32 v79, v50, 16, 8
	s_delay_alu instid0(VALU_DEP_3) | instskip(NEXT) | instid1(VALU_DEP_3)
	v_mul_i32_i24_e32 v40, v187, v185
	v_mul_i32_i24_e32 v41, v188, v186
	s_delay_alu instid0(VALU_DEP_1) | instskip(SKIP_2) | instid1(VALU_DEP_1)
	v_add3_u32 v189, v88, v41, v40
	v_mul_i32_i24_e32 v40, v187, v190
	v_mul_i32_i24_e32 v41, v188, v191
	v_add3_u32 v115, v115, v41, v40
	v_add_nc_u32_e32 v40, 0xc04, v160
	ds_load_2addr_b32 v[48:49], v40 offset1:1
	s_wait_dscnt 0x0
	v_bfe_i32 v192, v48, 8, 8
	v_ashrrev_i32_e32 v193, 24, v48
	s_delay_alu instid0(VALU_DEP_2) | instskip(NEXT) | instid1(VALU_DEP_2)
	v_mul_i32_i24_e32 v40, v192, v185
	v_mul_i32_i24_e32 v41, v193, v186
	s_delay_alu instid0(VALU_DEP_1) | instskip(SKIP_2) | instid1(VALU_DEP_1)
	v_add3_u32 v122, v122, v41, v40
	v_mul_i32_i24_e32 v40, v192, v190
	v_mul_i32_i24_e32 v41, v193, v191
	v_add3_u32 v123, v123, v41, v40
	v_add_nc_u32_e32 v40, 0x1004, v160
	ds_load_2addr_b32 v[46:47], v40 offset1:1
	s_wait_dscnt 0x0
	v_bfe_i32 v194, v46, 8, 8
	v_ashrrev_i32_e32 v195, 24, v46
	s_delay_alu instid0(VALU_DEP_2) | instskip(NEXT) | instid1(VALU_DEP_2)
	;; [unrolled: 13-line block ×4, first 2 shown]
	v_mul_i32_i24_e32 v40, v71, v185
	v_mul_i32_i24_e32 v41, v72, v186
	s_delay_alu instid0(VALU_DEP_1) | instskip(SKIP_4) | instid1(VALU_DEP_3)
	v_add3_u32 v73, v156, v41, v40
	v_mul_i32_i24_e32 v40, v71, v190
	v_mul_i32_i24_e32 v41, v72, v191
	v_bfe_i32 v156, v39, 8, 8
	v_and_b32_e32 v39, 0xf0f0f0f, v57
	v_add3_u32 v74, v157, v41, v40
	v_add_nc_u32_e32 v40, 0x1c04, v160
	s_delay_alu instid0(VALU_DEP_3)
	v_lshrrev_b16 v39, 8, v39
	ds_load_2addr_b32 v[40:41], v40 offset1:1
	v_and_b32_e32 v157, 0xffff, v39
	s_wait_dscnt 0x0
	v_bfe_i32 v75, v40, 8, 8
	v_ashrrev_i32_e32 v76, 24, v40
	s_delay_alu instid0(VALU_DEP_2) | instskip(NEXT) | instid1(VALU_DEP_2)
	v_mul_i32_i24_e32 v88, v75, v185
	v_mul_i32_i24_e32 v142, v76, v186
	s_delay_alu instid0(VALU_DEP_1) | instskip(SKIP_2) | instid1(VALU_DEP_1)
	v_add3_u32 v77, v158, v142, v88
	v_mul_i32_i24_e32 v88, v75, v190
	v_mul_i32_i24_e32 v142, v76, v191
	v_add3_u32 v173, v173, v142, v88
	v_and_b32_e32 v142, 0xffff, v37
	v_bfe_i32 v88, v52, 8, 8
	v_mul_i32_i24_e32 v37, v156, v157
	v_bfe_i32 v52, v54, 8, 8
	s_delay_alu instid0(VALU_DEP_3) | instskip(NEXT) | instid1(VALU_DEP_1)
	v_mul_i32_i24_e32 v39, v88, v142
	v_add3_u32 v37, v38, v39, v37
	v_mul_i32_i24_e32 v38, v56, v99
	v_mul_i32_i24_e32 v39, v7, v100
	;; [unrolled: 1-line block ×3, first 2 shown]
	s_delay_alu instid0(VALU_DEP_2)
	v_add3_u32 v11, v11, v38, v39
	v_mul_i32_i24_e32 v38, v56, v102
	v_mul_i32_i24_e32 v39, v7, v103
	v_bfe_i32 v103, v48, 0, 8
	v_bfe_i32 v102, v46, 0, 8
	v_mul_i32_i24_e32 v7, v19, v7
	s_delay_alu instid0(VALU_DEP_4) | instskip(SKIP_1) | instid1(VALU_DEP_1)
	v_add3_u32 v13, v13, v38, v39
	v_and_b32_e32 v38, 0xffff, v4
	v_mul_i32_i24_e32 v4, v38, v36
	s_delay_alu instid0(VALU_DEP_1) | instskip(SKIP_4) | instid1(VALU_DEP_4)
	v_add3_u32 v36, v2, v4, v1
	v_mul_i32_i24_e32 v1, v63, v179
	v_mul_i32_i24_e32 v2, v69, v213
	;; [unrolled: 1-line block ×3, first 2 shown]
	v_bfe_i32 v98, v9, 8, 8
	v_mad_i32_i24 v1, v97, v8, v1
	v_and_b32_e32 v97, 15, v60
	s_delay_alu instid0(VALU_DEP_2) | instskip(SKIP_3) | instid1(VALU_DEP_3)
	v_add3_u32 v39, v1, v2, v4
	v_lshrrev_b32_e32 v1, 4, v5
	v_and_b32_e32 v2, 0xf0f0f0f, v5
	v_bfe_i32 v5, v48, 16, 8
	v_lshrrev_b16 v1, 8, v1
	s_delay_alu instid0(VALU_DEP_3) | instskip(NEXT) | instid1(VALU_DEP_2)
	v_lshrrev_b16 v2, 8, v2
	v_and_b32_e32 v1, 15, v1
	s_delay_alu instid0(VALU_DEP_2) | instskip(NEXT) | instid1(VALU_DEP_2)
	v_and_b32_e32 v78, 0xffff, v2
	v_and_b32_e32 v158, 0xffff, v1
	v_mul_i32_i24_e32 v1, v63, v38
	s_delay_alu instid0(VALU_DEP_3) | instskip(SKIP_1) | instid1(VALU_DEP_4)
	v_mul_i32_i24_e32 v2, v52, v78
	v_bfe_i32 v63, v67, 16, 8
	v_mul_i32_i24_e32 v4, v98, v158
	s_delay_alu instid0(VALU_DEP_1) | instskip(NEXT) | instid1(VALU_DEP_3)
	v_add3_u32 v9, v1, v2, v4
	v_mul_i32_i24_e32 v1, v63, v24
	v_mul_i32_i24_e32 v2, v235, v219
	;; [unrolled: 1-line block ×3, first 2 shown]
	s_delay_alu instid0(VALU_DEP_2) | instskip(SKIP_1) | instid1(VALU_DEP_1)
	v_add3_u32 v1, v182, v2, v1
	v_mul_i32_i24_e32 v2, v224, v28
	v_add3_u32 v99, v22, v4, v2
	v_mul_i32_i24_e32 v2, v220, v26
	v_mul_i32_i24_e32 v4, v250, v225
	s_delay_alu instid0(VALU_DEP_1) | instskip(SKIP_3) | instid1(VALU_DEP_2)
	v_add3_u32 v182, v3, v4, v2
	v_mul_i32_i24_e32 v2, v52, v185
	v_mul_i32_i24_e32 v3, v105, v186
	;; [unrolled: 1-line block ×3, first 2 shown]
	v_add3_u32 v22, v183, v3, v2
	v_mul_i32_i24_e32 v2, v52, v190
	v_mul_i32_i24_e32 v3, v105, v191
	v_bfe_u32 v183, v60, 16, 4
	s_delay_alu instid0(VALU_DEP_2) | instskip(SKIP_3) | instid1(VALU_DEP_3)
	v_add3_u32 v54, v184, v3, v2
	v_mul_i32_i24_e32 v2, v179, v104
	v_mul_i32_i24_e32 v3, v213, v111
	v_bfe_i32 v184, v50, 0, 8
	v_mad_i32_i24 v2, v8, v106, v2
	s_delay_alu instid0(VALU_DEP_1) | instskip(NEXT) | instid1(VALU_DEP_3)
	v_add3_u32 v69, v2, v3, v4
	v_mul_i32_i24_e32 v2, v184, v97
	v_mul_i32_i24_e32 v3, v79, v183
	;; [unrolled: 1-line block ×3, first 2 shown]
	s_delay_alu instid0(VALU_DEP_2) | instskip(SKIP_2) | instid1(VALU_DEP_2)
	v_add3_u32 v50, v189, v2, v3
	v_and_b32_e32 v189, 15, v62
	v_mul_i32_i24_e32 v3, v79, v80
	v_mul_i32_i24_e32 v2, v184, v189
	s_delay_alu instid0(VALU_DEP_1) | instskip(SKIP_2) | instid1(VALU_DEP_2)
	v_add3_u32 v115, v115, v2, v3
	v_mul_i32_i24_e32 v2, v179, v116
	v_mul_i32_i24_e32 v3, v213, v119
	v_mad_i32_i24 v2, v8, v118, v2
	s_delay_alu instid0(VALU_DEP_1) | instskip(SKIP_3) | instid1(VALU_DEP_2)
	v_add3_u32 v146, v2, v3, v4
	v_mul_i32_i24_e32 v2, v103, v97
	v_mul_i32_i24_e32 v3, v5, v183
	;; [unrolled: 1-line block ×3, first 2 shown]
	v_add3_u32 v48, v122, v2, v3
	v_mul_i32_i24_e32 v2, v103, v189
	v_mul_i32_i24_e32 v3, v5, v80
	s_delay_alu instid0(VALU_DEP_1) | instskip(SKIP_2) | instid1(VALU_DEP_2)
	v_add3_u32 v122, v123, v2, v3
	v_mul_i32_i24_e32 v2, v179, v124
	v_mul_i32_i24_e32 v3, v213, v126
	v_mad_i32_i24 v2, v8, v125, v2
	s_delay_alu instid0(VALU_DEP_1) | instskip(SKIP_2) | instid1(VALU_DEP_2)
	v_add3_u32 v123, v2, v3, v4
	v_bfe_i32 v4, v46, 16, 8
	v_mul_i32_i24_e32 v2, v102, v97
	v_mul_i32_i24_e32 v3, v4, v183
	s_delay_alu instid0(VALU_DEP_1) | instskip(SKIP_4) | instid1(VALU_DEP_3)
	v_add3_u32 v46, v129, v2, v3
	v_mul_i32_i24_e32 v2, v102, v189
	v_mul_i32_i24_e32 v3, v4, v80
	;; [unrolled: 1-line block ×4, first 2 shown]
	v_add3_u32 v81, v130, v2, v3
	v_mul_i32_i24_e32 v2, v179, v147
	v_mul_i32_i24_e32 v3, v213, v149
	s_delay_alu instid0(VALU_DEP_2) | instskip(NEXT) | instid1(VALU_DEP_1)
	v_mad_i32_i24 v2, v8, v148, v2
	v_add3_u32 v141, v2, v3, v100
	v_bfe_i32 v100, v44, 0, 8
	v_bfe_i32 v3, v44, 16, 8
	s_delay_alu instid0(VALU_DEP_2) | instskip(NEXT) | instid1(VALU_DEP_2)
	v_mul_i32_i24_e32 v2, v100, v97
	v_mul_i32_i24_e32 v44, v3, v183
	s_delay_alu instid0(VALU_DEP_1) | instskip(SKIP_2) | instid1(VALU_DEP_1)
	v_add3_u32 v70, v70, v2, v44
	v_mul_i32_i24_e32 v2, v100, v189
	v_mul_i32_i24_e32 v44, v3, v80
	v_add3_u32 v96, v151, v2, v44
	v_mul_i32_i24_e32 v2, v179, v153
	v_mul_i32_i24_e32 v44, v213, v159
	s_delay_alu instid0(VALU_DEP_2) | instskip(NEXT) | instid1(VALU_DEP_1)
	v_mad_i32_i24 v2, v8, v155, v2
	v_add3_u32 v82, v2, v44, v129
	v_bfe_i32 v44, v42, 0, 8
	v_bfe_i32 v2, v42, 16, 8
	s_delay_alu instid0(VALU_DEP_2) | instskip(NEXT) | instid1(VALU_DEP_2)
	v_mul_i32_i24_e32 v42, v44, v97
	v_mul_i32_i24_e32 v129, v2, v183
	s_delay_alu instid0(VALU_DEP_1) | instskip(SKIP_2) | instid1(VALU_DEP_1)
	v_add3_u32 v73, v73, v42, v129
	v_mul_i32_i24_e32 v42, v44, v189
	v_mul_i32_i24_e32 v129, v2, v80
	v_add3_u32 v74, v74, v42, v129
	v_mul_i32_i24_e32 v42, v179, v168
	s_delay_alu instid0(VALU_DEP_1) | instskip(SKIP_3) | instid1(VALU_DEP_3)
	v_mad_i32_i24 v8, v8, v169, v42
	v_mul_i32_i24_e32 v42, v213, v171
	v_bfe_i32 v213, v23, 8, 8
	v_lshrrev_b32_e32 v23, 4, v57
	v_add3_u32 v179, v8, v42, v6
	v_mul_i32_i24_e32 v6, v38, v104
	v_mul_i32_i24_e32 v42, v38, v124
	;; [unrolled: 1-line block ×6, first 2 shown]
	v_mad_i32_i24 v106, v94, v106, v6
	v_mad_i32_i24 v124, v94, v125, v42
	;; [unrolled: 1-line block ×3, first 2 shown]
	v_bfe_i32 v104, v40, 0, 8
	v_bfe_i32 v6, v40, 16, 8
	v_mad_i32_i24 v8, v94, v118, v8
	v_mad_i32_i24 v116, v94, v155, v116
	;; [unrolled: 1-line block ×3, first 2 shown]
	v_mul_i32_i24_e32 v38, v104, v97
	v_mul_i32_i24_e32 v40, v6, v183
	v_lshrrev_b16 v23, 8, v23
	v_bfe_i32 v153, v53, 8, 8
	v_bfe_i32 v155, v10, 8, 8
	v_and_b32_e32 v10, 0xf0f0f0f, v65
	v_add3_u32 v77, v77, v38, v40
	v_mul_i32_i24_e32 v38, v104, v189
	v_mul_i32_i24_e32 v40, v6, v80
	v_and_b32_e32 v23, 15, v23
	v_lshrrev_b16 v10, 8, v10
	v_bfe_i32 v42, v55, 8, 8
	v_lshrrev_b32_e32 v118, 28, v60
	v_add3_u32 v147, v173, v38, v40
	v_and_b32_e32 v38, 0xf0f0f0f, v58
	v_and_b32_e32 v151, 0xffff, v23
	;; [unrolled: 1-line block ×3, first 2 shown]
	s_delay_alu instid0(VALU_DEP_3) | instskip(NEXT) | instid1(VALU_DEP_1)
	v_lshrrev_b16 v38, 8, v38
	v_and_b32_e32 v129, 0xffff, v38
	s_delay_alu instid0(VALU_DEP_4) | instskip(NEXT) | instid1(VALU_DEP_2)
	v_mul_i32_i24_e32 v38, v153, v151
	v_mul_i32_i24_e32 v23, v213, v129
	s_delay_alu instid0(VALU_DEP_1) | instskip(SKIP_2) | instid1(VALU_DEP_1)
	v_add3_u32 v148, v37, v38, v23
	v_mul_i32_i24_e32 v23, v180, v185
	v_mul_i32_i24_e32 v37, v14, v97
	v_add3_u32 v168, v11, v23, v37
	v_mul_i32_i24_e32 v11, v180, v190
	v_mul_i32_i24_e32 v23, v14, v189
	;; [unrolled: 1-line block ×3, first 2 shown]
	s_delay_alu instid0(VALU_DEP_2) | instskip(SKIP_2) | instid1(VALU_DEP_2)
	v_add3_u32 v169, v13, v11, v23
	v_mul_i32_i24_e32 v11, v16, v56
	v_lshrrev_b32_e32 v13, 28, v62
	v_add3_u32 v173, v36, v11, v7
	v_mul_i32_i24_e32 v7, v105, v12
	v_mul_i32_i24_e32 v11, v52, v174
	s_delay_alu instid0(VALU_DEP_1) | instskip(SKIP_2) | instid1(VALU_DEP_2)
	v_add3_u32 v185, v39, v7, v11
	v_lshrrev_b32_e32 v7, 4, v65
	v_bfe_i32 v65, v21, 8, 8
	v_lshrrev_b16 v7, 8, v7
	s_delay_alu instid0(VALU_DEP_1) | instskip(NEXT) | instid1(VALU_DEP_1)
	v_and_b32_e32 v7, 15, v7
	v_and_b32_e32 v130, 0xffff, v7
	v_mul_i32_i24_e32 v7, v42, v40
	s_delay_alu instid0(VALU_DEP_2) | instskip(NEXT) | instid1(VALU_DEP_1)
	v_mul_i32_i24_e32 v10, v155, v130
	v_add3_u32 v190, v9, v7, v10
	v_mul_i32_i24_e32 v7, v18, v97
	v_mul_i32_i24_e32 v9, v15, v183
	s_delay_alu instid0(VALU_DEP_1) | instskip(SKIP_3) | instid1(VALU_DEP_2)
	v_add3_u32 v97, v22, v7, v9
	v_mul_i32_i24_e32 v7, v18, v189
	v_mul_i32_i24_e32 v9, v15, v80
	;; [unrolled: 1-line block ×3, first 2 shown]
	v_add3_u32 v189, v54, v7, v9
	v_mul_i32_i24_e32 v7, v188, v12
	v_mul_i32_i24_e32 v9, v187, v174
	s_delay_alu instid0(VALU_DEP_1) | instskip(SKIP_2) | instid1(VALU_DEP_1)
	v_add3_u32 v69, v69, v7, v9
	v_mul_i32_i24_e32 v7, v16, v111
	v_mul_i32_i24_e32 v9, v19, v114
	v_add3_u32 v137, v106, v7, v9
	v_add_nc_u32_e32 v7, 0x814, v160
	ds_load_2addr_b32 v[22:23], v7 offset1:1
	s_wait_dscnt 0x0
	v_bfe_i32 v105, v22, 0, 8
	v_ashrrev_i32_e32 v7, 24, v22
	s_delay_alu instid0(VALU_DEP_2) | instskip(NEXT) | instid1(VALU_DEP_2)
	v_mul_i32_i24_e32 v9, v105, v138
	v_mul_i32_i24_e32 v10, v7, v118
	s_delay_alu instid0(VALU_DEP_1) | instskip(SKIP_2) | instid1(VALU_DEP_1)
	v_add3_u32 v50, v50, v10, v9
	v_mul_i32_i24_e32 v9, v105, v83
	v_mul_i32_i24_e32 v10, v7, v13
	v_add3_u32 v84, v115, v10, v9
	v_mul_i32_i24_e32 v9, v193, v12
	v_mul_i32_i24_e32 v10, v192, v174
	s_delay_alu instid0(VALU_DEP_1) | instskip(SKIP_3) | instid1(VALU_DEP_2)
	v_add3_u32 v146, v146, v9, v10
	v_mul_i32_i24_e32 v9, v16, v119
	v_mul_i32_i24_e32 v10, v19, v121
	v_bfe_i32 v119, v22, 8, 8
	v_add3_u32 v121, v8, v9, v10
	v_add_nc_u32_e32 v8, 0xc14, v160
	ds_load_2addr_b32 v[36:37], v8 offset1:1
	s_wait_dscnt 0x0
	v_bfe_i32 v106, v36, 0, 8
	v_ashrrev_i32_e32 v8, 24, v36
	s_delay_alu instid0(VALU_DEP_2) | instskip(NEXT) | instid1(VALU_DEP_2)
	v_mul_i32_i24_e32 v9, v106, v138
	v_mul_i32_i24_e32 v10, v8, v118
	s_delay_alu instid0(VALU_DEP_1) | instskip(SKIP_2) | instid1(VALU_DEP_1)
	v_add3_u32 v85, v48, v10, v9
	v_mul_i32_i24_e32 v9, v106, v83
	v_mul_i32_i24_e32 v10, v8, v13
	v_add3_u32 v122, v122, v10, v9
	v_mul_i32_i24_e32 v9, v195, v12
	v_mul_i32_i24_e32 v10, v194, v174
	s_delay_alu instid0(VALU_DEP_1) | instskip(SKIP_4) | instid1(VALU_DEP_3)
	v_add3_u32 v86, v123, v9, v10
	v_mul_i32_i24_e32 v9, v16, v126
	v_mul_i32_i24_e32 v10, v19, v127
	v_bfe_i32 v123, v22, 16, 8
	v_bfe_i32 v22, v36, 8, 8
	v_add3_u32 v89, v124, v9, v10
	v_add_nc_u32_e32 v9, 0x1014, v160
	v_bfe_u32 v124, v62, 20, 4
	ds_load_2addr_b32 v[38:39], v9 offset1:1
	s_wait_dscnt 0x0
	v_bfe_i32 v111, v38, 0, 8
	v_ashrrev_i32_e32 v9, 24, v38
	s_delay_alu instid0(VALU_DEP_2) | instskip(NEXT) | instid1(VALU_DEP_2)
	v_mul_i32_i24_e32 v10, v111, v138
	v_mul_i32_i24_e32 v11, v9, v118
	s_delay_alu instid0(VALU_DEP_1) | instskip(SKIP_2) | instid1(VALU_DEP_1)
	v_add3_u32 v90, v46, v11, v10
	v_mul_i32_i24_e32 v10, v111, v83
	v_mul_i32_i24_e32 v11, v9, v13
	v_add3_u32 v81, v81, v11, v10
	v_mul_i32_i24_e32 v10, v197, v12
	v_mul_i32_i24_e32 v11, v196, v174
	s_delay_alu instid0(VALU_DEP_1) | instskip(SKIP_2) | instid1(VALU_DEP_1)
	v_add3_u32 v141, v141, v10, v11
	v_mul_i32_i24_e32 v10, v16, v149
	v_mul_i32_i24_e32 v11, v19, v150
	v_add3_u32 v91, v125, v10, v11
	v_add_nc_u32_e32 v10, 0x1414, v160
	ds_load_2addr_b32 v[52:53], v10 offset1:1
	s_wait_dscnt 0x0
	v_bfe_i32 v114, v52, 0, 8
	v_ashrrev_i32_e32 v10, 24, v52
	s_delay_alu instid0(VALU_DEP_2) | instskip(NEXT) | instid1(VALU_DEP_2)
	v_mul_i32_i24_e32 v11, v114, v138
	v_mul_i32_i24_e32 v46, v10, v118
	s_delay_alu instid0(VALU_DEP_1) | instskip(SKIP_2) | instid1(VALU_DEP_1)
	v_add3_u32 v70, v70, v46, v11
	v_mul_i32_i24_e32 v11, v114, v83
	v_mul_i32_i24_e32 v46, v10, v13
	v_add3_u32 v96, v96, v46, v11
	v_mul_i32_i24_e32 v11, v72, v12
	v_mul_i32_i24_e32 v46, v71, v174
	;; [unrolled: 1-line block ×3, first 2 shown]
	s_delay_alu instid0(VALU_DEP_2) | instskip(SKIP_2) | instid1(VALU_DEP_1)
	v_add3_u32 v82, v82, v11, v46
	v_mul_i32_i24_e32 v11, v16, v159
	v_mul_i32_i24_e32 v46, v19, v167
	v_add3_u32 v167, v116, v11, v46
	v_add_nc_u32_e32 v11, 0x1814, v160
	ds_load_2addr_b32 v[54:55], v11 offset1:1
	s_wait_dscnt 0x0
	v_bfe_i32 v115, v54, 0, 8
	v_ashrrev_i32_e32 v11, 24, v54
	s_delay_alu instid0(VALU_DEP_2) | instskip(NEXT) | instid1(VALU_DEP_2)
	v_mul_i32_i24_e32 v46, v115, v138
	v_mul_i32_i24_e32 v48, v11, v118
	s_delay_alu instid0(VALU_DEP_1) | instskip(SKIP_2) | instid1(VALU_DEP_1)
	v_add3_u32 v73, v73, v48, v46
	v_mul_i32_i24_e32 v46, v115, v83
	v_mul_i32_i24_e32 v48, v11, v13
	v_add3_u32 v74, v74, v48, v46
	v_mul_i32_i24_e32 v46, v75, v174
	s_delay_alu instid0(VALU_DEP_1) | instskip(SKIP_2) | instid1(VALU_DEP_1)
	v_add3_u32 v174, v179, v12, v46
	v_mul_i32_i24_e32 v12, v16, v171
	v_mul_i32_i24_e32 v16, v19, v172
	v_add3_u32 v171, v94, v12, v16
	v_add_nc_u32_e32 v12, 0x1c14, v160
	ds_load_2addr_b32 v[56:57], v12 offset1:1
	s_wait_dscnt 0x0
	v_bfe_i32 v116, v56, 0, 8
	v_ashrrev_i32_e32 v12, 24, v56
	s_delay_alu instid0(VALU_DEP_2) | instskip(NEXT) | instid1(VALU_DEP_2)
	v_mul_i32_i24_e32 v16, v116, v138
	v_mul_i32_i24_e32 v19, v12, v118
	s_delay_alu instid0(VALU_DEP_1) | instskip(SKIP_2) | instid1(VALU_DEP_1)
	v_add3_u32 v77, v77, v19, v16
	v_mul_i32_i24_e32 v16, v116, v83
	v_mul_i32_i24_e32 v19, v12, v13
	v_add3_u32 v172, v147, v19, v16
	v_lshrrev_b32_e32 v16, 4, v58
	v_mul_i32_i24_e32 v19, v175, v186
	s_delay_alu instid0(VALU_DEP_2) | instskip(NEXT) | instid1(VALU_DEP_1)
	v_lshrrev_b16 v16, 8, v16
	v_and_b32_e32 v16, 15, v16
	s_delay_alu instid0(VALU_DEP_1) | instskip(NEXT) | instid1(VALU_DEP_1)
	v_and_b32_e32 v48, 0xffff, v16
	v_mul_i32_i24_e32 v16, v65, v48
	s_delay_alu instid0(VALU_DEP_1) | instskip(SKIP_1) | instid1(VALU_DEP_1)
	v_add3_u32 v21, v148, v16, v181
	v_mul_i32_i24_e32 v16, v206, v183
	v_add3_u32 v179, v168, v16, v19
	v_mul_i32_i24_e32 v16, v206, v80
	v_mul_i32_i24_e32 v19, v175, v191
	s_delay_alu instid0(VALU_DEP_1) | instskip(SKIP_1) | instid1(VALU_DEP_1)
	v_add3_u32 v80, v169, v16, v19
	v_mul_i32_i24_e32 v16, v180, v78
	v_add3_u32 v180, v173, v16, v14
	v_mul_i32_i24_e32 v14, v18, v170
	v_bfe_u32 v16, v60, 20, 4
	s_delay_alu instid0(VALU_DEP_2) | instskip(SKIP_2) | instid1(VALU_DEP_2)
	v_add3_u32 v181, v185, v14, v15
	v_lshrrev_b32_e32 v14, 4, v66
	v_and_b32_e32 v15, 0xf0f0f0f, v66
	v_lshrrev_b16 v14, 8, v14
	s_delay_alu instid0(VALU_DEP_2) | instskip(NEXT) | instid1(VALU_DEP_2)
	v_lshrrev_b16 v15, 8, v15
	v_and_b32_e32 v14, 15, v14
	s_delay_alu instid0(VALU_DEP_2) | instskip(NEXT) | instid1(VALU_DEP_2)
	v_and_b32_e32 v66, 0xffff, v15
	v_and_b32_e32 v46, 0xffff, v14
	s_delay_alu instid0(VALU_DEP_2) | instskip(NEXT) | instid1(VALU_DEP_2)
	v_mul_i32_i24_e32 v14, v68, v66
	v_mul_i32_i24_e32 v15, v64, v46
	s_delay_alu instid0(VALU_DEP_1) | instskip(SKIP_2) | instid1(VALU_DEP_1)
	v_add3_u32 v183, v190, v14, v15
	v_mul_i32_i24_e32 v14, v176, v138
	v_mul_i32_i24_e32 v15, v178, v118
	v_add3_u32 v185, v97, v15, v14
	v_mul_i32_i24_e32 v14, v176, v83
	v_mul_i32_i24_e32 v15, v178, v13
	;; [unrolled: 1-line block ×3, first 2 shown]
	s_delay_alu instid0(VALU_DEP_2) | instskip(SKIP_2) | instid1(VALU_DEP_1)
	v_add3_u32 v186, v189, v15, v14
	v_mul_i32_i24_e32 v14, v184, v170
	v_mul_i32_i24_e32 v15, v79, v207
	v_add3_u32 v189, v69, v14, v15
	v_mul_i32_i24_e32 v14, v188, v177
	v_mul_i32_i24_e32 v15, v187, v78
	v_bfe_u32 v187, v60, 12, 4
	v_bfe_u32 v188, v62, 12, 4
	v_bfe_i32 v62, v36, 16, 8
	v_bfe_i32 v36, v38, 8, 8
	v_add3_u32 v137, v137, v14, v15
	v_mul_i32_i24_e32 v14, v119, v187
	v_mul_i32_i24_e32 v15, v123, v16
	v_bfe_i32 v60, v54, 8, 8
	s_delay_alu instid0(VALU_DEP_2) | instskip(SKIP_2) | instid1(VALU_DEP_1)
	v_add3_u32 v58, v50, v14, v15
	v_mul_i32_i24_e32 v14, v119, v188
	v_mul_i32_i24_e32 v15, v123, v124
	v_add3_u32 v125, v84, v14, v15
	v_mul_i32_i24_e32 v14, v103, v170
	v_mul_i32_i24_e32 v15, v5, v207
	;; [unrolled: 1-line block ×5, first 2 shown]
	s_delay_alu instid0(VALU_DEP_4) | instskip(SKIP_2) | instid1(VALU_DEP_1)
	v_add3_u32 v126, v146, v14, v15
	v_mul_i32_i24_e32 v14, v193, v177
	v_mul_i32_i24_e32 v15, v192, v78
	v_add3_u32 v127, v121, v14, v15
	v_mul_i32_i24_e32 v14, v22, v187
	v_mul_i32_i24_e32 v15, v62, v16
	v_bfe_i32 v121, v52, 16, 8
	s_delay_alu instid0(VALU_DEP_2) | instskip(SKIP_2) | instid1(VALU_DEP_4)
	v_add3_u32 v147, v85, v14, v15
	v_mul_i32_i24_e32 v14, v22, v188
	v_mul_i32_i24_e32 v15, v62, v124
	;; [unrolled: 1-line block ×4, first 2 shown]
	s_delay_alu instid0(VALU_DEP_3) | instskip(SKIP_3) | instid1(VALU_DEP_2)
	v_add3_u32 v148, v122, v14, v15
	v_mul_i32_i24_e32 v14, v102, v170
	v_mul_i32_i24_e32 v15, v4, v207
	;; [unrolled: 1-line block ×3, first 2 shown]
	v_add3_u32 v149, v86, v14, v15
	v_mul_i32_i24_e32 v14, v195, v177
	v_mul_i32_i24_e32 v15, v194, v78
	s_delay_alu instid0(VALU_DEP_1)
	v_add3_u32 v150, v89, v14, v15
	v_bfe_i32 v14, v38, 16, 8
	v_mul_i32_i24_e32 v15, v36, v187
	v_bfe_i32 v38, v52, 8, 8
	v_mul_i32_i24_e32 v89, v11, v253
	v_mul_i32_i24_e32 v11, v11, v133
	;; [unrolled: 1-line block ×3, first 2 shown]
	s_delay_alu instid0(VALU_DEP_1) | instskip(SKIP_2) | instid1(VALU_DEP_1)
	v_add3_u32 v94, v90, v15, v18
	v_mul_i32_i24_e32 v15, v36, v188
	v_mul_i32_i24_e32 v18, v14, v124
	v_add3_u32 v122, v81, v15, v18
	v_mul_i32_i24_e32 v15, v100, v170
	v_mul_i32_i24_e32 v18, v3, v207
	;; [unrolled: 1-line block ×3, first 2 shown]
	s_delay_alu instid0(VALU_DEP_2) | instskip(SKIP_2) | instid1(VALU_DEP_1)
	v_add3_u32 v159, v141, v15, v18
	v_mul_i32_i24_e32 v15, v197, v177
	v_mul_i32_i24_e32 v18, v196, v78
	v_add3_u32 v18, v91, v15, v18
	v_mul_i32_i24_e32 v15, v38, v187
	s_delay_alu instid0(VALU_DEP_1) | instskip(SKIP_1) | instid1(VALU_DEP_1)
	v_add3_u32 v19, v70, v15, v19
	v_mul_i32_i24_e32 v15, v38, v188
	v_add3_u32 v97, v96, v15, v50
	v_mul_i32_i24_e32 v15, v44, v170
	v_mul_i32_i24_e32 v50, v2, v207
	;; [unrolled: 1-line block ×4, first 2 shown]
	v_ashrrev_i32_e32 v96, 24, v41
	s_delay_alu instid0(VALU_DEP_4) | instskip(SKIP_2) | instid1(VALU_DEP_1)
	v_add3_u32 v69, v82, v15, v50
	v_mul_i32_i24_e32 v15, v72, v177
	v_mul_i32_i24_e32 v50, v71, v78
	v_add3_u32 v167, v167, v15, v50
	v_bfe_i32 v15, v54, 16, 8
	v_mul_i32_i24_e32 v50, v60, v187
	v_bfe_i32 v54, v56, 8, 8
	v_bfe_i32 v56, v56, 16, 8
	v_add3_u32 v2, v167, v44, v2
	v_mul_i32_i24_e32 v52, v15, v16
	v_bfe_i32 v44, v43, 8, 8
	s_delay_alu instid0(VALU_DEP_2) | instskip(SKIP_2) | instid1(VALU_DEP_1)
	v_add3_u32 v168, v73, v50, v52
	v_mul_i32_i24_e32 v50, v60, v188
	v_mul_i32_i24_e32 v52, v15, v124
	v_add3_u32 v169, v74, v50, v52
	v_mul_i32_i24_e32 v50, v104, v170
	v_mul_i32_i24_e32 v52, v6, v207
	;; [unrolled: 1-line block ×5, first 2 shown]
	s_delay_alu instid0(VALU_DEP_4) | instskip(SKIP_3) | instid1(VALU_DEP_2)
	v_add3_u32 v207, v174, v50, v52
	v_mul_i32_i24_e32 v50, v75, v78
	v_mul_i32_i24_e32 v52, v76, v177
	v_ashrrev_i32_e32 v75, 24, v49
	v_add3_u32 v170, v171, v52, v50
	v_mul_i32_i24_e32 v50, v54, v187
	v_mul_i32_i24_e32 v52, v56, v16
	s_delay_alu instid0(VALU_DEP_1) | instskip(SKIP_2) | instid1(VALU_DEP_1)
	v_add3_u32 v171, v77, v50, v52
	v_mul_i32_i24_e32 v50, v54, v188
	v_mul_i32_i24_e32 v52, v56, v124
	v_add3_u32 v172, v172, v50, v52
	v_add3_u32 v50, v59, v20, v21
	v_mul_i32_i24_e32 v20, v252, v138
	v_mul_i32_i24_e32 v21, v88, v187
	s_delay_alu instid0(VALU_DEP_1) | instskip(SKIP_3) | instid1(VALU_DEP_2)
	v_add3_u32 v173, v179, v20, v21
	v_mul_i32_i24_e32 v20, v252, v83
	v_mul_i32_i24_e32 v21, v88, v188
	;; [unrolled: 1-line block ×3, first 2 shown]
	v_add3_u32 v174, v80, v20, v21
	v_mul_i32_i24_e32 v20, v175, v177
	v_mul_i32_i24_e32 v21, v206, v136
	v_ashrrev_i32_e32 v80, 24, v47
	s_delay_alu instid0(VALU_DEP_2) | instskip(SKIP_3) | instid1(VALU_DEP_2)
	v_add3_u32 v206, v180, v21, v20
	v_mul_i32_i24_e32 v20, v176, v0
	v_mul_i32_i24_e32 v21, v178, v253
	v_bfe_i32 v180, v51, 8, 8
	v_add3_u32 v175, v181, v21, v20
	v_lshrrev_b16 v20, 8, v67
	v_mul_i32_i24_e32 v21, v152, v16
	v_ashrrev_i32_e32 v181, 24, v51
	s_delay_alu instid0(VALU_DEP_3) | instskip(NEXT) | instid1(VALU_DEP_1)
	v_bfe_i32 v52, v20, 0, 8
	v_mul_i32_i24_e32 v20, v52, v30
	s_delay_alu instid0(VALU_DEP_1) | instskip(SKIP_1) | instid1(VALU_DEP_1)
	v_add3_u32 v67, v183, v20, v182
	v_mul_i32_i24_e32 v20, v98, v187
	v_add3_u32 v176, v185, v20, v21
	v_mul_i32_i24_e32 v20, v98, v188
	v_mul_i32_i24_e32 v21, v152, v124
	;; [unrolled: 1-line block ×3, first 2 shown]
	s_delay_alu instid0(VALU_DEP_2) | instskip(SKIP_3) | instid1(VALU_DEP_2)
	v_add3_u32 v177, v186, v20, v21
	v_mul_i32_i24_e32 v20, v105, v0
	v_mul_i32_i24_e32 v21, v7, v253
	;; [unrolled: 1-line block ×3, first 2 shown]
	v_add3_u32 v178, v189, v21, v20
	v_mul_i32_i24_e32 v20, v184, v154
	v_mul_i32_i24_e32 v21, v79, v136
	;; [unrolled: 1-line block ×4, first 2 shown]
	s_delay_alu instid0(VALU_DEP_3)
	v_add3_u32 v179, v137, v20, v21
	v_add_nc_u32_e32 v20, 0x2108, v166
	ds_load_2addr_b32 v[20:21], v20 offset1:1
	s_wait_dscnt 0x0
	v_bfe_u32 v183, v20, 8, 4
	v_bfe_u32 v182, v20, 24, 4
	s_delay_alu instid0(VALU_DEP_2) | instskip(NEXT) | instid1(VALU_DEP_2)
	v_mul_i32_i24_e32 v59, v180, v183
	v_mul_i32_i24_e32 v70, v181, v182
	;; [unrolled: 1-line block ×4, first 2 shown]
	s_delay_alu instid0(VALU_DEP_3)
	v_add3_u32 v184, v58, v70, v59
	v_add_nc_u32_e32 v58, 0x3188, v166
	v_add_nc_u32_e32 v166, 16, v166
	ds_load_2addr_b32 v[58:59], v58 offset1:1
	s_wait_dscnt 0x0
	v_bfe_u32 v70, v58, 8, 4
	v_bfe_u32 v71, v58, 24, 4
	s_delay_alu instid0(VALU_DEP_2) | instskip(NEXT) | instid1(VALU_DEP_2)
	v_mul_i32_i24_e32 v72, v180, v70
	v_mul_i32_i24_e32 v73, v181, v71
	;; [unrolled: 1-line block ×4, first 2 shown]
	s_delay_alu instid0(VALU_DEP_3) | instskip(SKIP_2) | instid1(VALU_DEP_2)
	v_add3_u32 v72, v125, v73, v72
	v_mul_i32_i24_e32 v73, v106, v0
	v_mul_i32_i24_e32 v106, v106, v135
	v_add3_u32 v73, v126, v74, v73
	v_mul_i32_i24_e32 v74, v103, v154
	v_and_b32_e32 v103, 15, v20
	s_delay_alu instid0(VALU_DEP_2) | instskip(SKIP_1) | instid1(VALU_DEP_2)
	v_add3_u32 v5, v127, v74, v5
	v_bfe_i32 v74, v49, 8, 8
	v_add3_u32 v5, v5, v8, v106
	s_delay_alu instid0(VALU_DEP_2) | instskip(SKIP_2) | instid1(VALU_DEP_3)
	v_mul_i32_i24_e32 v76, v74, v183
	v_bfe_i32 v8, v49, 0, 8
	v_bfe_i32 v49, v49, 16, 8
	v_add3_u32 v76, v147, v77, v76
	v_mul_i32_i24_e32 v77, v74, v70
	s_delay_alu instid0(VALU_DEP_4) | instskip(NEXT) | instid1(VALU_DEP_2)
	v_mul_i32_i24_e32 v106, v8, v103
	v_add3_u32 v77, v148, v78, v77
	v_mul_i32_i24_e32 v78, v111, v0
	s_delay_alu instid0(VALU_DEP_1) | instskip(SKIP_2) | instid1(VALU_DEP_2)
	v_add3_u32 v78, v149, v79, v78
	v_mul_i32_i24_e32 v79, v102, v154
	v_mul_i32_i24_e32 v102, v119, v142
	v_add3_u32 v4, v150, v79, v4
	v_bfe_i32 v79, v47, 8, 8
	s_delay_alu instid0(VALU_DEP_1) | instskip(NEXT) | instid1(VALU_DEP_1)
	v_mul_i32_i24_e32 v81, v79, v183
	v_add3_u32 v81, v94, v82, v81
	v_mul_i32_i24_e32 v82, v79, v70
	v_bfe_i32 v94, v41, 8, 8
	s_delay_alu instid0(VALU_DEP_2) | instskip(SKIP_2) | instid1(VALU_DEP_2)
	v_add3_u32 v82, v122, v83, v82
	v_mul_i32_i24_e32 v83, v114, v0
	v_bfe_u32 v122, v58, 16, 4
	v_add3_u32 v83, v159, v84, v83
	v_mul_i32_i24_e32 v84, v100, v154
	v_mul_i32_i24_e32 v100, v96, v71
	s_delay_alu instid0(VALU_DEP_2) | instskip(SKIP_2) | instid1(VALU_DEP_2)
	v_add3_u32 v3, v18, v84, v3
	v_bfe_i32 v18, v45, 8, 8
	v_ashrrev_i32_e32 v84, 24, v45
	v_mul_i32_i24_e32 v85, v18, v183
	s_delay_alu instid0(VALU_DEP_2) | instskip(NEXT) | instid1(VALU_DEP_1)
	v_mul_i32_i24_e32 v86, v84, v182
	v_add3_u32 v19, v19, v86, v85
	v_mul_i32_i24_e32 v85, v18, v70
	v_mul_i32_i24_e32 v86, v84, v71
	s_delay_alu instid0(VALU_DEP_1) | instskip(SKIP_3) | instid1(VALU_DEP_3)
	v_add3_u32 v85, v97, v86, v85
	v_mul_i32_i24_e32 v86, v115, v0
	v_mul_i32_i24_e32 v0, v116, v0
	v_mul_i32_i24_e32 v97, v96, v182
	v_add3_u32 v69, v69, v89, v86
	v_ashrrev_i32_e32 v86, 24, v43
	v_mul_i32_i24_e32 v89, v44, v183
	s_delay_alu instid0(VALU_DEP_2) | instskip(SKIP_1) | instid1(VALU_DEP_2)
	v_mul_i32_i24_e32 v90, v86, v182
	v_mul_i32_i24_e32 v91, v86, v71
	v_add3_u32 v89, v168, v90, v89
	v_mul_i32_i24_e32 v90, v44, v70
	s_delay_alu instid0(VALU_DEP_1) | instskip(SKIP_2) | instid1(VALU_DEP_2)
	v_add3_u32 v90, v169, v91, v90
	v_mul_i32_i24_e32 v91, v12, v253
	v_mul_i32_i24_e32 v12, v12, v133
	v_add3_u32 v91, v207, v91, v0
	v_mul_i32_i24_e32 v0, v104, v154
	v_bfe_u32 v104, v20, 16, 4
	s_delay_alu instid0(VALU_DEP_2) | instskip(SKIP_1) | instid1(VALU_DEP_1)
	v_add3_u32 v6, v170, v0, v6
	v_mul_i32_i24_e32 v0, v94, v183
	v_add3_u32 v97, v171, v97, v0
	v_mul_i32_i24_e32 v0, v94, v70
	s_delay_alu instid0(VALU_DEP_1) | instskip(SKIP_2) | instid1(VALU_DEP_1)
	v_add3_u32 v100, v172, v100, v0
	v_mul_i32_i24_e32 v0, v236, v16
	v_mul_i32_i24_e32 v16, v238, v118
	v_add3_u32 v16, v173, v0, v16
	v_mul_i32_i24_e32 v0, v236, v124
	s_delay_alu instid0(VALU_DEP_1) | instskip(SKIP_1) | instid1(VALU_DEP_1)
	v_add3_u32 v13, v174, v0, v13
	v_mul_i32_i24_e32 v0, v252, v135
	v_add3_u32 v88, v206, v0, v88
	v_mul_i32_i24_e32 v0, v152, v239
	s_delay_alu instid0(VALU_DEP_1)
	v_add3_u32 v98, v175, v98, v0
	v_add3_u32 v0, v99, v1, v67
	v_mul_i32_i24_e32 v1, v42, v183
	v_mul_i32_i24_e32 v67, v134, v182
	v_mul_i32_i24_e32 v99, v134, v71
	v_mul_i32_i24_e32 v71, v241, v71
	v_cvt_f32_i32_e32 v0, v0
	s_delay_alu instid0(VALU_DEP_4) | instskip(SKIP_3) | instid1(VALU_DEP_3)
	v_add3_u32 v1, v176, v67, v1
	v_mul_i32_i24_e32 v67, v42, v70
	v_mul_i32_i24_e32 v70, v156, v70
	;; [unrolled: 1-line block ×3, first 2 shown]
	v_add3_u32 v67, v177, v99, v67
	v_mul_i32_i24_e32 v99, v123, v239
	s_delay_alu instid0(VALU_DEP_1) | instskip(SKIP_1) | instid1(VALU_DEP_1)
	v_add3_u32 v99, v178, v102, v99
	v_mul_i32_i24_e32 v102, v105, v135
	v_add3_u32 v7, v179, v7, v102
	v_bfe_i32 v102, v51, 0, 8
	v_bfe_i32 v51, v51, 16, 8
	s_delay_alu instid0(VALU_DEP_2) | instskip(NEXT) | instid1(VALU_DEP_2)
	v_mul_i32_i24_e32 v105, v102, v103
	v_mul_i32_i24_e32 v118, v51, v104
	;; [unrolled: 1-line block ×3, first 2 shown]
	s_delay_alu instid0(VALU_DEP_2) | instskip(SKIP_1) | instid1(VALU_DEP_1)
	v_add3_u32 v105, v184, v105, v118
	v_and_b32_e32 v118, 15, v58
	v_mul_i32_i24_e32 v124, v102, v118
	s_delay_alu instid0(VALU_DEP_1) | instskip(SKIP_4) | instid1(VALU_DEP_3)
	v_add3_u32 v72, v72, v124, v125
	v_mul_i32_i24_e32 v124, v62, v239
	v_mul_i32_i24_e32 v125, v22, v142
	v_mul_i32_i24_e32 v62, v62, v128
	v_mul_i32_i24_e32 v22, v22, v158
	v_add3_u32 v73, v73, v125, v124
	v_mul_i32_i24_e32 v124, v49, v104
	s_delay_alu instid0(VALU_DEP_3) | instskip(SKIP_1) | instid1(VALU_DEP_3)
	v_add3_u32 v5, v5, v22, v62
	v_bfe_i32 v62, v37, 0, 8
	v_add3_u32 v76, v76, v106, v124
	v_mul_i32_i24_e32 v106, v8, v118
	v_mul_i32_i24_e32 v124, v49, v122
	s_delay_alu instid0(VALU_DEP_1) | instskip(SKIP_4) | instid1(VALU_DEP_3)
	v_add3_u32 v77, v77, v106, v124
	v_mul_i32_i24_e32 v106, v14, v239
	v_mul_i32_i24_e32 v124, v36, v142
	;; [unrolled: 1-line block ×4, first 2 shown]
	v_add3_u32 v78, v78, v124, v106
	v_mul_i32_i24_e32 v106, v111, v135
	s_delay_alu instid0(VALU_DEP_1) | instskip(SKIP_2) | instid1(VALU_DEP_3)
	v_add3_u32 v4, v4, v9, v106
	v_bfe_i32 v9, v47, 0, 8
	v_bfe_i32 v47, v47, 16, 8
	v_add3_u32 v4, v4, v36, v14
	s_delay_alu instid0(VALU_DEP_3) | instskip(NEXT) | instid1(VALU_DEP_3)
	v_mul_i32_i24_e32 v106, v9, v103
	v_mul_i32_i24_e32 v111, v47, v104
	v_bfe_i32 v14, v39, 0, 8
	s_delay_alu instid0(VALU_DEP_2) | instskip(SKIP_2) | instid1(VALU_DEP_1)
	v_add3_u32 v81, v81, v106, v111
	v_mul_i32_i24_e32 v106, v9, v118
	v_mul_i32_i24_e32 v111, v47, v122
	v_add3_u32 v82, v82, v106, v111
	v_mul_i32_i24_e32 v106, v121, v239
	v_mul_i32_i24_e32 v111, v38, v142
	;; [unrolled: 1-line block ×3, first 2 shown]
	s_delay_alu instid0(VALU_DEP_2) | instskip(SKIP_1) | instid1(VALU_DEP_1)
	v_add3_u32 v83, v83, v111, v106
	v_mul_i32_i24_e32 v106, v114, v135
	v_add3_u32 v3, v3, v10, v106
	v_bfe_i32 v10, v45, 0, 8
	v_bfe_i32 v45, v45, 16, 8
	s_delay_alu instid0(VALU_DEP_2) | instskip(NEXT) | instid1(VALU_DEP_2)
	v_mul_i32_i24_e32 v106, v10, v103
	v_mul_i32_i24_e32 v111, v45, v104
	s_delay_alu instid0(VALU_DEP_1) | instskip(SKIP_2) | instid1(VALU_DEP_1)
	v_add3_u32 v19, v19, v106, v111
	v_mul_i32_i24_e32 v106, v10, v118
	v_mul_i32_i24_e32 v111, v45, v122
	v_add3_u32 v85, v85, v106, v111
	v_mul_i32_i24_e32 v106, v15, v239
	v_mul_i32_i24_e32 v111, v60, v142
	;; [unrolled: 1-line block ×4, first 2 shown]
	s_delay_alu instid0(VALU_DEP_3) | instskip(SKIP_1) | instid1(VALU_DEP_1)
	v_add3_u32 v69, v69, v111, v106
	v_mul_i32_i24_e32 v106, v115, v135
	v_add3_u32 v2, v2, v11, v106
	v_bfe_i32 v11, v43, 0, 8
	v_bfe_i32 v43, v43, 16, 8
	s_delay_alu instid0(VALU_DEP_3) | instskip(NEXT) | instid1(VALU_DEP_3)
	v_add3_u32 v2, v2, v60, v15
	v_mul_i32_i24_e32 v106, v11, v103
	s_delay_alu instid0(VALU_DEP_3) | instskip(SKIP_2) | instid1(VALU_DEP_3)
	v_mul_i32_i24_e32 v111, v43, v104
	v_bfe_i32 v15, v55, 0, 8
	v_ashrrev_i32_e32 v60, 24, v55
	v_add3_u32 v89, v89, v106, v111
	v_mul_i32_i24_e32 v106, v11, v118
	v_mul_i32_i24_e32 v111, v43, v122
	s_delay_alu instid0(VALU_DEP_1) | instskip(SKIP_4) | instid1(VALU_DEP_3)
	v_add3_u32 v90, v90, v106, v111
	v_mul_i32_i24_e32 v106, v56, v239
	v_mul_i32_i24_e32 v111, v54, v142
	;; [unrolled: 1-line block ×4, first 2 shown]
	v_add3_u32 v91, v91, v111, v106
	v_mul_i32_i24_e32 v106, v116, v135
	s_delay_alu instid0(VALU_DEP_1) | instskip(SKIP_2) | instid1(VALU_DEP_3)
	v_add3_u32 v6, v6, v12, v106
	v_bfe_i32 v12, v41, 0, 8
	v_bfe_i32 v106, v41, 16, 8
	v_add3_u32 v6, v6, v54, v56
	s_delay_alu instid0(VALU_DEP_3) | instskip(NEXT) | instid1(VALU_DEP_3)
	v_mul_i32_i24_e32 v41, v12, v103
	v_mul_i32_i24_e32 v111, v106, v104
	v_bfe_i32 v54, v57, 0, 8
	v_ashrrev_i32_e32 v56, 24, v57
	s_delay_alu instid0(VALU_DEP_3) | instskip(SKIP_2) | instid1(VALU_DEP_1)
	v_add3_u32 v41, v97, v41, v111
	v_mul_i32_i24_e32 v97, v12, v118
	v_mul_i32_i24_e32 v111, v106, v122
	v_add3_u32 v97, v100, v97, v111
	v_mul_i32_i24_e32 v100, v156, v183
	v_mul_i32_i24_e32 v111, v143, v103
	s_delay_alu instid0(VALU_DEP_1) | instskip(SKIP_1) | instid1(VALU_DEP_1)
	v_add3_u32 v16, v16, v100, v111
	v_mul_i32_i24_e32 v100, v143, v118
	v_add3_u32 v13, v13, v70, v100
	v_mul_i32_i24_e32 v70, v238, v133
	v_mul_i32_i24_e32 v100, v236, v128
	s_delay_alu instid0(VALU_DEP_1) | instskip(SKIP_2) | instid1(VALU_DEP_2)
	v_add3_u32 v70, v88, v100, v70
	v_mul_i32_i24_e32 v88, v134, v144
	v_bfe_i32 v100, v23, 0, 8
	v_add3_u32 v42, v98, v88, v42
	v_mul_i32_i24_e32 v88, v87, v103
	v_mul_i32_i24_e32 v98, v117, v104
	v_ashrrev_i32_e32 v103, 24, v23
	s_delay_alu instid0(VALU_DEP_2) | instskip(SKIP_2) | instid1(VALU_DEP_1)
	v_add3_u32 v1, v1, v88, v98
	v_mul_i32_i24_e32 v88, v87, v118
	v_mul_i32_i24_e32 v98, v117, v122
	v_add3_u32 v67, v67, v88, v98
	v_mul_i32_i24_e32 v88, v181, v144
	v_mul_i32_i24_e32 v98, v180, v157
	s_delay_alu instid0(VALU_DEP_1) | instskip(SKIP_2) | instid1(VALU_DEP_1)
	v_add3_u32 v88, v99, v88, v98
	v_mul_i32_i24_e32 v98, v123, v128
	v_mul_i32_i24_e32 v99, v119, v158
	v_add3_u32 v7, v7, v99, v98
	v_bfe_u32 v98, v20, 4, 4
	v_lshrrev_b32_e32 v99, 28, v20
	s_delay_alu instid0(VALU_DEP_2) | instskip(NEXT) | instid1(VALU_DEP_2)
	v_mul_i32_i24_e32 v111, v100, v98
	v_mul_i32_i24_e32 v114, v103, v99
	;; [unrolled: 1-line block ×4, first 2 shown]
	s_delay_alu instid0(VALU_DEP_3) | instskip(SKIP_2) | instid1(VALU_DEP_2)
	v_add3_u32 v105, v105, v114, v111
	v_bfe_u32 v111, v58, 4, 4
	v_lshrrev_b32_e32 v114, 28, v58
	v_mul_i32_i24_e32 v115, v100, v111
	s_delay_alu instid0(VALU_DEP_2) | instskip(NEXT) | instid1(VALU_DEP_1)
	v_mul_i32_i24_e32 v116, v103, v114
	v_add3_u32 v72, v72, v116, v115
	v_mul_i32_i24_e32 v115, v75, v144
	v_mul_i32_i24_e32 v116, v74, v157
	;; [unrolled: 1-line block ×4, first 2 shown]
	s_delay_alu instid0(VALU_DEP_3) | instskip(SKIP_1) | instid1(VALU_DEP_3)
	v_add3_u32 v73, v73, v115, v116
	v_ashrrev_i32_e32 v115, 24, v37
	v_add3_u32 v5, v5, v75, v74
	v_bfe_i32 v74, v37, 8, 8
	v_bfe_i32 v75, v37, 16, 8
	s_delay_alu instid0(VALU_DEP_4) | instskip(NEXT) | instid1(VALU_DEP_1)
	v_mul_i32_i24_e32 v116, v115, v99
	v_add3_u32 v22, v76, v116, v22
	v_mul_i32_i24_e32 v76, v62, v111
	v_mul_i32_i24_e32 v116, v115, v114
	s_delay_alu instid0(VALU_DEP_1) | instskip(SKIP_2) | instid1(VALU_DEP_1)
	v_add3_u32 v76, v77, v116, v76
	v_mul_i32_i24_e32 v77, v80, v144
	v_mul_i32_i24_e32 v116, v79, v157
	v_add3_u32 v77, v78, v77, v116
	v_ashrrev_i32_e32 v78, 24, v39
	s_delay_alu instid0(VALU_DEP_1) | instskip(NEXT) | instid1(VALU_DEP_1)
	v_mul_i32_i24_e32 v116, v78, v99
	v_add3_u32 v36, v81, v116, v36
	v_mul_i32_i24_e32 v81, v14, v111
	v_mul_i32_i24_e32 v116, v78, v114
	s_delay_alu instid0(VALU_DEP_1) | instskip(SKIP_3) | instid1(VALU_DEP_2)
	v_add3_u32 v81, v82, v116, v81
	v_mul_i32_i24_e32 v82, v84, v144
	v_mul_i32_i24_e32 v116, v18, v157
	;; [unrolled: 1-line block ×3, first 2 shown]
	v_add3_u32 v82, v83, v82, v116
	v_mul_i32_i24_e32 v83, v121, v128
	v_ashrrev_i32_e32 v116, 24, v53
	s_delay_alu instid0(VALU_DEP_2) | instskip(SKIP_1) | instid1(VALU_DEP_3)
	v_add3_u32 v3, v3, v38, v83
	v_bfe_i32 v83, v53, 0, 8
	v_mul_i32_i24_e32 v118, v116, v99
	s_delay_alu instid0(VALU_DEP_2) | instskip(NEXT) | instid1(VALU_DEP_1)
	v_mul_i32_i24_e32 v38, v83, v98
	v_add3_u32 v19, v19, v118, v38
	v_mul_i32_i24_e32 v38, v83, v111
	v_mul_i32_i24_e32 v118, v116, v114
	s_delay_alu instid0(VALU_DEP_1) | instskip(SKIP_2) | instid1(VALU_DEP_1)
	v_add3_u32 v38, v85, v118, v38
	v_mul_i32_i24_e32 v85, v86, v144
	v_mul_i32_i24_e32 v118, v44, v157
	v_add3_u32 v69, v69, v85, v118
	v_mul_i32_i24_e32 v85, v15, v98
	v_mul_i32_i24_e32 v118, v60, v99
	s_delay_alu instid0(VALU_DEP_1) | instskip(SKIP_2) | instid1(VALU_DEP_1)
	v_add3_u32 v85, v89, v118, v85
	v_mul_i32_i24_e32 v89, v15, v111
	;; [unrolled: 7-line block ×3, first 2 shown]
	v_mul_i32_i24_e32 v118, v56, v99
	v_add3_u32 v41, v41, v118, v91
	v_mul_i32_i24_e32 v91, v54, v111
	v_mul_i32_i24_e32 v118, v56, v114
	s_delay_alu instid0(VALU_DEP_1) | instskip(SKIP_3) | instid1(VALU_DEP_2)
	v_add3_u32 v91, v97, v118, v91
	v_mul_i32_i24_e32 v97, v243, v104
	v_mul_i32_i24_e32 v104, v241, v182
	v_bfe_u32 v118, v59, 24, 4
	v_add3_u32 v16, v16, v97, v104
	v_mul_i32_i24_e32 v97, v243, v122
	s_delay_alu instid0(VALU_DEP_1) | instskip(SKIP_2) | instid1(VALU_DEP_1)
	v_add3_u32 v13, v13, v97, v71
	v_mul_i32_i24_e32 v71, v143, v251
	v_mul_i32_i24_e32 v97, v156, v40
	v_add3_u32 v70, v70, v97, v71
	v_mul_i32_i24_e32 v71, v87, v247
	v_mul_i32_i24_e32 v87, v117, v245
	s_delay_alu instid0(VALU_DEP_1) | instskip(SKIP_3) | instid1(VALU_DEP_2)
	v_add3_u32 v42, v42, v71, v87
	v_mul_i32_i24_e32 v71, v132, v98
	v_mul_i32_i24_e32 v87, v131, v99
	;; [unrolled: 1-line block ×3, first 2 shown]
	v_add3_u32 v1, v1, v87, v71
	v_mul_i32_i24_e32 v71, v132, v111
	v_mul_i32_i24_e32 v87, v131, v114
	s_delay_alu instid0(VALU_DEP_1) | instskip(SKIP_2) | instid1(VALU_DEP_1)
	v_add3_u32 v67, v67, v87, v71
	v_mul_i32_i24_e32 v71, v102, v247
	v_mul_i32_i24_e32 v87, v51, v245
	v_add3_u32 v71, v88, v71, v87
	v_mul_i32_i24_e32 v87, v181, v139
	v_mul_i32_i24_e32 v88, v180, v40
	s_delay_alu instid0(VALU_DEP_1) | instskip(SKIP_4) | instid1(VALU_DEP_2)
	v_add3_u32 v7, v7, v87, v88
	v_bfe_i32 v87, v23, 8, 8
	v_bfe_i32 v88, v23, 16, 8
	v_bfe_u32 v23, v20, 12, 4
	v_bfe_u32 v20, v20, 20, 4
	v_mul_i32_i24_e32 v97, v87, v23
	s_delay_alu instid0(VALU_DEP_2) | instskip(SKIP_1) | instid1(VALU_DEP_2)
	v_mul_i32_i24_e32 v104, v88, v20
	v_mul_i32_i24_e32 v37, v74, v23
	v_add3_u32 v97, v105, v97, v104
	v_bfe_u32 v104, v58, 12, 4
	v_bfe_u32 v58, v58, 20, 4
	s_delay_alu instid0(VALU_DEP_2) | instskip(NEXT) | instid1(VALU_DEP_2)
	v_mul_i32_i24_e32 v105, v87, v104
	v_mul_i32_i24_e32 v117, v88, v58
	s_delay_alu instid0(VALU_DEP_1) | instskip(SKIP_3) | instid1(VALU_DEP_2)
	v_add3_u32 v72, v72, v105, v117
	v_mul_i32_i24_e32 v105, v8, v247
	v_mul_i32_i24_e32 v117, v49, v245
	;; [unrolled: 1-line block ×3, first 2 shown]
	v_add3_u32 v73, v73, v105, v117
	v_mul_i32_i24_e32 v105, v75, v20
	s_delay_alu instid0(VALU_DEP_1) | instskip(SKIP_2) | instid1(VALU_DEP_1)
	v_add3_u32 v105, v22, v37, v105
	v_mul_i32_i24_e32 v22, v74, v104
	v_mul_i32_i24_e32 v37, v75, v58
	v_add3_u32 v76, v76, v22, v37
	v_mul_i32_i24_e32 v22, v9, v247
	v_mul_i32_i24_e32 v37, v47, v245
	;; [unrolled: 1-line block ×3, first 2 shown]
	s_delay_alu instid0(VALU_DEP_2) | instskip(SKIP_4) | instid1(VALU_DEP_3)
	v_add3_u32 v77, v77, v22, v37
	v_mul_i32_i24_e32 v22, v80, v139
	v_mul_i32_i24_e32 v37, v79, v40
	v_bfe_i32 v79, v39, 8, 8
	v_bfe_i32 v80, v39, 16, 8
	v_add3_u32 v4, v4, v22, v37
	s_delay_alu instid0(VALU_DEP_3) | instskip(NEXT) | instid1(VALU_DEP_3)
	v_mul_i32_i24_e32 v22, v79, v23
	v_mul_i32_i24_e32 v37, v80, v20
	s_delay_alu instid0(VALU_DEP_1) | instskip(SKIP_2) | instid1(VALU_DEP_1)
	v_add3_u32 v117, v36, v22, v37
	v_mul_i32_i24_e32 v22, v79, v104
	v_mul_i32_i24_e32 v36, v80, v58
	v_add3_u32 v81, v81, v22, v36
	v_mul_i32_i24_e32 v22, v10, v247
	v_mul_i32_i24_e32 v36, v45, v245
	;; [unrolled: 1-line block ×3, first 2 shown]
	s_delay_alu instid0(VALU_DEP_2) | instskip(SKIP_1) | instid1(VALU_DEP_1)
	v_add3_u32 v82, v82, v22, v36
	v_mul_i32_i24_e32 v22, v84, v139
	v_add3_u32 v3, v3, v22, v18
	v_bfe_i32 v18, v53, 8, 8
	v_bfe_i32 v53, v53, 16, 8
	s_delay_alu instid0(VALU_DEP_2) | instskip(NEXT) | instid1(VALU_DEP_2)
	v_mul_i32_i24_e32 v22, v18, v23
	v_mul_i32_i24_e32 v36, v53, v20
	s_delay_alu instid0(VALU_DEP_1) | instskip(SKIP_2) | instid1(VALU_DEP_1)
	v_add3_u32 v19, v19, v22, v36
	v_mul_i32_i24_e32 v22, v18, v104
	v_mul_i32_i24_e32 v36, v53, v58
	v_add3_u32 v84, v38, v22, v36
	v_mul_i32_i24_e32 v22, v11, v247
	v_mul_i32_i24_e32 v36, v43, v245
	;; [unrolled: 1-line block ×3, first 2 shown]
	s_delay_alu instid0(VALU_DEP_2) | instskip(SKIP_4) | instid1(VALU_DEP_3)
	v_add3_u32 v69, v69, v22, v36
	v_mul_i32_i24_e32 v22, v86, v139
	v_mul_i32_i24_e32 v36, v44, v40
	v_bfe_i32 v86, v55, 8, 8
	v_bfe_i32 v55, v55, 16, 8
	v_add3_u32 v2, v2, v22, v36
	s_delay_alu instid0(VALU_DEP_3) | instskip(NEXT) | instid1(VALU_DEP_3)
	v_mul_i32_i24_e32 v22, v86, v23
	v_mul_i32_i24_e32 v36, v55, v20
	s_delay_alu instid0(VALU_DEP_1) | instskip(SKIP_2) | instid1(VALU_DEP_1)
	v_add3_u32 v44, v85, v22, v36
	v_mul_i32_i24_e32 v22, v86, v104
	v_mul_i32_i24_e32 v36, v55, v58
	v_add3_u32 v85, v89, v22, v36
	v_mul_i32_i24_e32 v22, v12, v247
	v_mul_i32_i24_e32 v36, v106, v245
	v_mul_i32_i24_e32 v12, v12, v251
	s_delay_alu instid0(VALU_DEP_2) | instskip(SKIP_4) | instid1(VALU_DEP_3)
	v_add3_u32 v89, v90, v22, v36
	v_mul_i32_i24_e32 v22, v94, v40
	v_mul_i32_i24_e32 v36, v96, v139
	v_bfe_i32 v90, v57, 8, 8
	v_bfe_i32 v57, v57, 16, 8
	v_add3_u32 v6, v6, v36, v22
	s_delay_alu instid0(VALU_DEP_3) | instskip(NEXT) | instid1(VALU_DEP_3)
	v_mul_i32_i24_e32 v22, v90, v23
	v_mul_i32_i24_e32 v36, v57, v20
	s_delay_alu instid0(VALU_DEP_1) | instskip(SKIP_2) | instid1(VALU_DEP_1)
	v_add3_u32 v94, v41, v22, v36
	v_mul_i32_i24_e32 v22, v90, v104
	v_mul_i32_i24_e32 v36, v57, v58
	v_add3_u32 v91, v91, v22, v36
	v_mul_i32_i24_e32 v22, v232, v98
	v_mul_i32_i24_e32 v36, v153, v23
	v_bfe_u32 v98, v21, 24, 4
	s_delay_alu instid0(VALU_DEP_2) | instskip(SKIP_3) | instid1(VALU_DEP_2)
	v_add3_u32 v16, v16, v22, v36
	v_mul_i32_i24_e32 v22, v232, v111
	v_mul_i32_i24_e32 v36, v153, v104
	v_bfe_u32 v111, v59, 8, 4
	v_add3_u32 v13, v13, v22, v36
	v_mul_i32_i24_e32 v22, v241, v139
	v_mul_i32_i24_e32 v36, v243, v248
	s_delay_alu instid0(VALU_DEP_1) | instskip(SKIP_2) | instid1(VALU_DEP_1)
	v_add3_u32 v70, v70, v36, v22
	v_mul_i32_i24_e32 v22, v132, v234
	v_mul_i32_i24_e32 v36, v131, v233
	v_add3_u32 v96, v42, v36, v22
	v_mul_i32_i24_e32 v22, v155, v23
	v_mul_i32_i24_e32 v23, v140, v20
	;; [unrolled: 1-line block ×3, first 2 shown]
	s_delay_alu instid0(VALU_DEP_2) | instskip(SKIP_2) | instid1(VALU_DEP_4)
	v_add3_u32 v1, v1, v22, v23
	v_mul_i32_i24_e32 v22, v155, v104
	v_mul_i32_i24_e32 v23, v140, v58
	v_add3_u32 v16, v16, v20, v99
	v_mul_i32_i24_e32 v20, v218, v58
	v_mul_i32_i24_e32 v58, v216, v114
	s_delay_alu instid0(VALU_DEP_4) | instskip(SKIP_2) | instid1(VALU_DEP_4)
	v_add3_u32 v67, v67, v22, v23
	v_mul_i32_i24_e32 v22, v100, v234
	v_mul_i32_i24_e32 v23, v103, v233
	v_add3_u32 v13, v13, v20, v58
	v_mul_i32_i24_e32 v20, v232, v145
	v_mul_i32_i24_e32 v58, v153, v130
	s_delay_alu instid0(VALU_DEP_4)
	v_add3_u32 v71, v71, v23, v22
	v_mul_i32_i24_e32 v22, v102, v251
	v_mul_i32_i24_e32 v23, v51, v248
	v_bfe_u32 v51, v21, 8, 4
	v_add3_u32 v20, v70, v20, v58
	v_mul_i32_i24_e32 v58, v140, v221
	v_mul_i32_i24_e32 v70, v155, v151
	v_add3_u32 v7, v7, v22, v23
	v_add_nc_u32_e32 v22, 0x800, v160
	s_delay_alu instid0(VALU_DEP_3) | instskip(SKIP_3) | instid1(VALU_DEP_1)
	v_add3_u32 v58, v96, v70, v58
	v_mul_i32_i24_e32 v70, v68, v51
	ds_load_2addr_b32 v[22:23], v22 offset1:3
	v_mul_i32_i24_e32 v96, v255, v98
	v_add3_u32 v1, v1, v96, v70
	v_mul_i32_i24_e32 v70, v68, v111
	v_mul_i32_i24_e32 v96, v255, v118
	;; [unrolled: 1-line block ×3, first 2 shown]
	s_delay_alu instid0(VALU_DEP_2)
	v_add3_u32 v67, v67, v96, v70
	v_mul_i32_i24_e32 v70, v88, v221
	v_mul_i32_i24_e32 v96, v87, v151
	s_wait_dscnt 0x0
	v_bfe_i32 v102, v23, 8, 8
	v_ashrrev_i32_e32 v104, 24, v23
	s_delay_alu instid0(VALU_DEP_3)
	v_add3_u32 v70, v71, v96, v70
	v_mul_i32_i24_e32 v71, v100, v145
	v_mul_i32_i24_e32 v96, v103, v254
	;; [unrolled: 1-line block ×4, first 2 shown]
	v_bfe_i32 v99, v23, 0, 8
	v_bfe_i32 v23, v23, 16, 8
	v_add3_u32 v7, v7, v96, v71
	v_and_b32_e32 v71, 15, v21
	v_add3_u32 v97, v97, v37, v36
	v_mul_i32_i24_e32 v36, v102, v111
	v_mul_i32_i24_e32 v37, v104, v118
	v_bfe_u32 v96, v21, 16, 4
	v_mul_i32_i24_e32 v100, v99, v71
	s_delay_alu instid0(VALU_DEP_3) | instskip(SKIP_4) | instid1(VALU_DEP_3)
	v_add3_u32 v72, v72, v37, v36
	v_mul_i32_i24_e32 v36, v62, v234
	v_mul_i32_i24_e32 v37, v115, v233
	;; [unrolled: 1-line block ×4, first 2 shown]
	v_add3_u32 v73, v73, v37, v36
	v_mul_i32_i24_e32 v36, v49, v248
	s_delay_alu instid0(VALU_DEP_4) | instskip(SKIP_2) | instid1(VALU_DEP_4)
	v_add3_u32 v97, v97, v100, v103
	v_and_b32_e32 v100, 15, v59
	v_bfe_u32 v103, v59, 16, 4
	v_add3_u32 v5, v5, v8, v36
	v_add_nc_u32_e32 v8, 0xc00, v160
	s_delay_alu instid0(VALU_DEP_3) | instskip(SKIP_4) | instid1(VALU_DEP_2)
	v_mul_i32_i24_e32 v114, v23, v103
	ds_load_2addr_b32 v[36:37], v8 offset1:3
	s_wait_dscnt 0x0
	v_bfe_i32 v8, v37, 8, 8
	v_ashrrev_i32_e32 v49, 24, v37
	v_mul_i32_i24_e32 v38, v8, v51
	s_delay_alu instid0(VALU_DEP_2) | instskip(NEXT) | instid1(VALU_DEP_1)
	v_mul_i32_i24_e32 v39, v49, v98
	v_add3_u32 v105, v105, v39, v38
	v_mul_i32_i24_e32 v38, v8, v111
	v_mul_i32_i24_e32 v39, v49, v118
	s_delay_alu instid0(VALU_DEP_1) | instskip(SKIP_4) | instid1(VALU_DEP_3)
	v_add3_u32 v76, v76, v39, v38
	v_mul_i32_i24_e32 v38, v14, v234
	v_mul_i32_i24_e32 v39, v78, v233
	;; [unrolled: 1-line block ×4, first 2 shown]
	v_add3_u32 v77, v77, v39, v38
	v_mul_i32_i24_e32 v38, v47, v248
	s_delay_alu instid0(VALU_DEP_1) | instskip(SKIP_1) | instid1(VALU_DEP_2)
	v_add3_u32 v4, v4, v9, v38
	v_add_nc_u32_e32 v9, 0x1000, v160
	v_add3_u32 v4, v4, v78, v14
	ds_load_2addr_b32 v[38:39], v9 offset1:3
	s_wait_dscnt 0x0
	v_bfe_i32 v9, v39, 8, 8
	v_ashrrev_i32_e32 v47, 24, v39
	v_bfe_i32 v14, v39, 0, 8
	v_bfe_i32 v39, v39, 16, 8
	s_delay_alu instid0(VALU_DEP_4) | instskip(NEXT) | instid1(VALU_DEP_4)
	v_mul_i32_i24_e32 v40, v9, v51
	v_mul_i32_i24_e32 v41, v47, v98
	s_delay_alu instid0(VALU_DEP_4) | instskip(NEXT) | instid1(VALU_DEP_2)
	v_mul_i32_i24_e32 v78, v14, v71
	v_add3_u32 v117, v117, v41, v40
	v_mul_i32_i24_e32 v40, v9, v111
	v_mul_i32_i24_e32 v41, v47, v118
	s_delay_alu instid0(VALU_DEP_1) | instskip(SKIP_3) | instid1(VALU_DEP_2)
	v_add3_u32 v81, v81, v41, v40
	v_mul_i32_i24_e32 v40, v83, v234
	v_mul_i32_i24_e32 v41, v116, v233
	;; [unrolled: 1-line block ×3, first 2 shown]
	v_add3_u32 v82, v82, v41, v40
	v_mul_i32_i24_e32 v40, v45, v248
	s_delay_alu instid0(VALU_DEP_1)
	v_add3_u32 v3, v3, v10, v40
	v_add_nc_u32_e32 v10, 0x1400, v160
	ds_load_2addr_b32 v[40:41], v10 offset1:3
	s_wait_dscnt 0x0
	v_bfe_i32 v10, v41, 8, 8
	v_ashrrev_i32_e32 v119, 24, v41
	s_delay_alu instid0(VALU_DEP_2) | instskip(NEXT) | instid1(VALU_DEP_2)
	v_mul_i32_i24_e32 v42, v10, v51
	v_mul_i32_i24_e32 v45, v119, v98
	s_delay_alu instid0(VALU_DEP_1) | instskip(SKIP_2) | instid1(VALU_DEP_1)
	v_add3_u32 v19, v19, v45, v42
	v_mul_i32_i24_e32 v42, v10, v111
	v_mul_i32_i24_e32 v45, v119, v118
	v_add3_u32 v84, v84, v45, v42
	v_mul_i32_i24_e32 v42, v15, v234
	v_mul_i32_i24_e32 v45, v60, v233
	;; [unrolled: 1-line block ×4, first 2 shown]
	s_delay_alu instid0(VALU_DEP_3) | instskip(SKIP_1) | instid1(VALU_DEP_1)
	v_add3_u32 v69, v69, v45, v42
	v_mul_i32_i24_e32 v42, v43, v248
	v_add3_u32 v2, v2, v11, v42
	v_add_nc_u32_e32 v11, 0x1800, v160
	v_add_nc_u32_e32 v160, 32, v160
	s_delay_alu instid0(VALU_DEP_3)
	v_add3_u32 v2, v2, v60, v15
	ds_load_2addr_b32 v[42:43], v11 offset1:3
	s_wait_dscnt 0x0
	v_bfe_i32 v11, v43, 8, 8
	v_ashrrev_i32_e32 v121, 24, v43
	v_bfe_i32 v15, v43, 0, 8
	v_bfe_i32 v43, v43, 16, 8
	s_delay_alu instid0(VALU_DEP_4) | instskip(NEXT) | instid1(VALU_DEP_4)
	v_mul_i32_i24_e32 v45, v11, v51
	v_mul_i32_i24_e32 v122, v121, v98
	s_delay_alu instid0(VALU_DEP_4) | instskip(NEXT) | instid1(VALU_DEP_2)
	v_mul_i32_i24_e32 v60, v15, v71
	v_add3_u32 v122, v44, v122, v45
	v_mul_i32_i24_e32 v44, v11, v111
	v_mul_i32_i24_e32 v45, v121, v118
	s_delay_alu instid0(VALU_DEP_1) | instskip(SKIP_4) | instid1(VALU_DEP_3)
	v_add3_u32 v85, v85, v45, v44
	v_mul_i32_i24_e32 v44, v54, v234
	v_mul_i32_i24_e32 v45, v56, v233
	;; [unrolled: 1-line block ×4, first 2 shown]
	v_add3_u32 v89, v89, v45, v44
	v_mul_i32_i24_e32 v44, v106, v248
	s_delay_alu instid0(VALU_DEP_1)
	v_add3_u32 v6, v6, v12, v44
	ds_load_2addr_b32 v[44:45], v17 offset1:3
	v_add3_u32 v6, v6, v56, v54
	s_wait_dscnt 0x0
	v_bfe_i32 v12, v45, 8, 8
	v_ashrrev_i32_e32 v17, 24, v45
	v_bfe_i32 v54, v45, 0, 8
	v_bfe_i32 v45, v45, 16, 8
	s_delay_alu instid0(VALU_DEP_4) | instskip(NEXT) | instid1(VALU_DEP_4)
	v_mul_i32_i24_e32 v106, v12, v51
	v_mul_i32_i24_e32 v123, v17, v98
	s_delay_alu instid0(VALU_DEP_4) | instskip(SKIP_2) | instid1(VALU_DEP_4)
	v_mul_i32_i24_e32 v56, v54, v71
	v_mul_i32_i24_e32 v51, v213, v51
	;; [unrolled: 1-line block ×3, first 2 shown]
	v_add3_u32 v94, v94, v123, v106
	v_mul_i32_i24_e32 v106, v12, v111
	v_mul_i32_i24_e32 v123, v17, v118
	s_delay_alu instid0(VALU_DEP_1) | instskip(SKIP_1) | instid1(VALU_DEP_1)
	v_add3_u32 v91, v91, v123, v106
	v_mul_i32_i24_e32 v106, v99, v100
	v_add3_u32 v72, v72, v106, v114
	v_mul_i32_i24_e32 v106, v75, v221
	v_mul_i32_i24_e32 v114, v74, v151
	;; [unrolled: 1-line block ×4, first 2 shown]
	s_delay_alu instid0(VALU_DEP_3) | instskip(SKIP_1) | instid1(VALU_DEP_1)
	v_add3_u32 v73, v73, v114, v106
	v_mul_i32_i24_e32 v106, v115, v254
	v_add3_u32 v5, v5, v106, v62
	v_bfe_i32 v62, v37, 0, 8
	v_bfe_i32 v37, v37, 16, 8
	s_delay_alu instid0(VALU_DEP_3) | instskip(NEXT) | instid1(VALU_DEP_3)
	v_add3_u32 v5, v5, v74, v75
	v_mul_i32_i24_e32 v106, v62, v71
	s_delay_alu instid0(VALU_DEP_3) | instskip(SKIP_2) | instid1(VALU_DEP_3)
	v_mul_i32_i24_e32 v114, v37, v96
	v_bfe_i32 v74, v27, 0, 8
	v_ashrrev_i32_e32 v75, 24, v27
	v_add3_u32 v105, v105, v106, v114
	v_mul_i32_i24_e32 v106, v62, v100
	v_mul_i32_i24_e32 v114, v37, v103
	s_delay_alu instid0(VALU_DEP_1) | instskip(SKIP_4) | instid1(VALU_DEP_3)
	v_add3_u32 v76, v76, v106, v114
	v_mul_i32_i24_e32 v106, v80, v221
	v_mul_i32_i24_e32 v114, v79, v151
	;; [unrolled: 1-line block ×4, first 2 shown]
	v_add3_u32 v77, v77, v114, v106
	v_mul_i32_i24_e32 v106, v39, v96
	v_mul_i32_i24_e32 v114, v39, v103
	s_delay_alu instid0(VALU_DEP_4) | instskip(SKIP_4) | instid1(VALU_DEP_1)
	v_add3_u32 v4, v4, v79, v80
	v_bfe_i32 v79, v29, 0, 8
	v_ashrrev_i32_e32 v80, 24, v29
	v_add3_u32 v78, v117, v78, v106
	v_mul_i32_i24_e32 v106, v14, v100
	v_add3_u32 v81, v81, v106, v114
	v_mul_i32_i24_e32 v106, v53, v221
	v_mul_i32_i24_e32 v114, v18, v151
	;; [unrolled: 1-line block ×4, first 2 shown]
	s_delay_alu instid0(VALU_DEP_3) | instskip(SKIP_1) | instid1(VALU_DEP_1)
	v_add3_u32 v82, v82, v114, v106
	v_mul_i32_i24_e32 v106, v116, v254
	v_add3_u32 v3, v3, v106, v83
	v_bfe_i32 v83, v41, 0, 8
	v_bfe_i32 v41, v41, 16, 8
	s_delay_alu instid0(VALU_DEP_3) | instskip(NEXT) | instid1(VALU_DEP_3)
	v_add3_u32 v3, v3, v18, v53
	v_mul_i32_i24_e32 v106, v83, v71
	s_delay_alu instid0(VALU_DEP_3) | instskip(SKIP_2) | instid1(VALU_DEP_3)
	v_mul_i32_i24_e32 v114, v41, v96
	v_bfe_i32 v18, v31, 0, 8
	v_ashrrev_i32_e32 v53, 24, v31
	v_add3_u32 v19, v19, v106, v114
	v_mul_i32_i24_e32 v106, v83, v100
	v_mul_i32_i24_e32 v114, v41, v103
	s_delay_alu instid0(VALU_DEP_1) | instskip(SKIP_4) | instid1(VALU_DEP_3)
	v_add3_u32 v84, v84, v106, v114
	v_mul_i32_i24_e32 v106, v55, v221
	v_mul_i32_i24_e32 v114, v86, v151
	;; [unrolled: 1-line block ×4, first 2 shown]
	v_add3_u32 v69, v69, v114, v106
	v_mul_i32_i24_e32 v106, v43, v96
	v_mul_i32_i24_e32 v114, v43, v103
	s_delay_alu instid0(VALU_DEP_4) | instskip(SKIP_4) | instid1(VALU_DEP_1)
	v_add3_u32 v2, v2, v86, v55
	v_bfe_i32 v55, v33, 0, 8
	v_ashrrev_i32_e32 v86, 24, v33
	v_add3_u32 v60, v122, v60, v106
	v_mul_i32_i24_e32 v106, v15, v100
	v_add3_u32 v85, v85, v106, v114
	v_mul_i32_i24_e32 v106, v57, v221
	v_mul_i32_i24_e32 v114, v90, v151
	;; [unrolled: 1-line block ×4, first 2 shown]
	s_delay_alu instid0(VALU_DEP_3) | instskip(SKIP_1) | instid1(VALU_DEP_3)
	v_add3_u32 v89, v89, v114, v106
	v_mul_i32_i24_e32 v106, v45, v96
	v_add3_u32 v6, v6, v90, v57
	v_bfe_i32 v57, v35, 0, 8
	v_ashrrev_i32_e32 v90, 24, v35
	s_delay_alu instid0(VALU_DEP_4) | instskip(SKIP_2) | instid1(VALU_DEP_1)
	v_add3_u32 v56, v94, v56, v106
	v_mul_i32_i24_e32 v94, v54, v100
	v_mul_i32_i24_e32 v106, v45, v103
	v_add3_u32 v91, v91, v94, v106
	v_mul_i32_i24_e32 v94, v237, v71
	s_delay_alu instid0(VALU_DEP_1) | instskip(SKIP_2) | instid1(VALU_DEP_1)
	v_add3_u32 v16, v16, v51, v94
	v_mul_i32_i24_e32 v51, v213, v111
	v_mul_i32_i24_e32 v94, v237, v100
	v_add3_u32 v13, v13, v51, v94
	v_mul_i32_i24_e32 v51, v216, v254
	v_mul_i32_i24_e32 v94, v218, v246
	s_delay_alu instid0(VALU_DEP_1) | instskip(SKIP_1) | instid1(VALU_DEP_1)
	v_add3_u32 v20, v20, v94, v51
	v_mul_i32_i24_e32 v51, v255, v240
	v_add3_u32 v51, v58, v51, v68
	v_mul_i32_i24_e32 v58, v242, v71
	v_mul_i32_i24_e32 v68, v244, v96
	;; [unrolled: 1-line block ×3, first 2 shown]
	v_bfe_i32 v71, v25, 0, 8
	s_delay_alu instid0(VALU_DEP_3)
	v_add3_u32 v1, v1, v58, v68
	v_mul_i32_i24_e32 v58, v242, v100
	v_mul_i32_i24_e32 v68, v244, v103
	v_add3_u32 v16, v16, v96, v98
	v_mul_i32_i24_e32 v96, v226, v103
	v_mul_i32_i24_e32 v98, v228, v118
	s_delay_alu instid0(VALU_DEP_4) | instskip(SKIP_2) | instid1(VALU_DEP_4)
	v_add3_u32 v58, v67, v58, v68
	v_mul_i32_i24_e32 v67, v104, v240
	v_mul_i32_i24_e32 v68, v102, v129
	v_add3_u32 v13, v13, v96, v98
	v_mul_i32_i24_e32 v96, v237, v222
	v_mul_i32_i24_e32 v98, v213, v66
	s_delay_alu instid0(VALU_DEP_4)
	v_add3_u32 v67, v70, v67, v68
	v_mul_i32_i24_e32 v68, v88, v246
	v_mul_i32_i24_e32 v70, v87, v130
	v_ashrrev_i32_e32 v87, 24, v25
	v_add3_u32 v20, v20, v98, v96
	v_mul_i32_i24_e32 v96, v242, v230
	v_mul_i32_i24_e32 v98, v244, v229
	v_add3_u32 v7, v7, v70, v68
	v_bfe_u32 v68, v21, 4, 4
	v_lshrrev_b32_e32 v70, 28, v21
	s_delay_alu instid0(VALU_DEP_4) | instskip(NEXT) | instid1(VALU_DEP_3)
	v_add3_u32 v51, v51, v96, v98
	v_mul_i32_i24_e32 v88, v71, v68
	s_delay_alu instid0(VALU_DEP_3) | instskip(SKIP_2) | instid1(VALU_DEP_3)
	v_mul_i32_i24_e32 v94, v87, v70
	v_mul_i32_i24_e32 v96, v249, v68
	;; [unrolled: 1-line block ×3, first 2 shown]
	v_add3_u32 v88, v97, v94, v88
	v_bfe_u32 v94, v59, 4, 4
	v_lshrrev_b32_e32 v97, 28, v59
	s_delay_alu instid0(VALU_DEP_4) | instskip(NEXT) | instid1(VALU_DEP_3)
	v_add3_u32 v1, v1, v98, v96
	v_mul_i32_i24_e32 v100, v71, v94
	s_delay_alu instid0(VALU_DEP_3) | instskip(SKIP_2) | instid1(VALU_DEP_3)
	v_mul_i32_i24_e32 v106, v87, v97
	v_mul_i32_i24_e32 v96, v249, v94
	;; [unrolled: 1-line block ×3, first 2 shown]
	v_add3_u32 v72, v72, v106, v100
	v_mul_i32_i24_e32 v100, v49, v240
	v_mul_i32_i24_e32 v106, v8, v129
	s_delay_alu instid0(VALU_DEP_4)
	v_add3_u32 v58, v58, v98, v96
	v_mul_i32_i24_e32 v96, v99, v230
	v_mul_i32_i24_e32 v98, v23, v229
	;; [unrolled: 1-line block ×3, first 2 shown]
	v_add3_u32 v73, v73, v100, v106
	v_mul_i32_i24_e32 v100, v74, v68
	v_mul_i32_i24_e32 v106, v75, v70
	v_add3_u32 v67, v67, v96, v98
	v_mul_i32_i24_e32 v96, v104, v231
	v_mul_i32_i24_e32 v98, v102, v66
	;; [unrolled: 1-line block ×3, first 2 shown]
	v_add3_u32 v100, v105, v106, v100
	v_mul_i32_i24_e32 v105, v74, v94
	v_mul_i32_i24_e32 v106, v75, v97
	v_add3_u32 v7, v7, v96, v98
	v_bfe_u32 v96, v21, 20, 4
	v_bfe_u32 v21, v21, 12, 4
	v_bfe_i32 v98, v25, 8, 8
	v_bfe_i32 v25, v25, 16, 8
	v_add3_u32 v76, v76, v106, v105
	v_mul_i32_i24_e32 v105, v47, v240
	v_mul_i32_i24_e32 v106, v9, v129
	;; [unrolled: 1-line block ×4, first 2 shown]
	v_add3_u32 v5, v5, v49, v8
	v_bfe_i32 v8, v27, 8, 8
	v_add3_u32 v77, v77, v105, v106
	v_mul_i32_i24_e32 v105, v79, v68
	v_mul_i32_i24_e32 v106, v80, v70
	v_add3_u32 v88, v88, v102, v103
	v_bfe_u32 v102, v59, 12, 4
	v_bfe_u32 v59, v59, 20, 4
	v_bfe_i32 v27, v27, 16, 8
	v_add3_u32 v78, v78, v106, v105
	v_mul_i32_i24_e32 v105, v79, v94
	v_mul_i32_i24_e32 v106, v80, v97
	;; [unrolled: 1-line block ×6, first 2 shown]
	v_add3_u32 v81, v81, v106, v105
	v_mul_i32_i24_e32 v105, v119, v240
	v_mul_i32_i24_e32 v106, v10, v129
	v_add3_u32 v72, v72, v103, v104
	v_mul_i32_i24_e32 v103, v62, v230
	v_mul_i32_i24_e32 v104, v37, v229
	;; [unrolled: 1-line block ×3, first 2 shown]
	v_add3_u32 v82, v82, v105, v106
	v_mul_i32_i24_e32 v105, v18, v68
	v_mul_i32_i24_e32 v106, v53, v70
	v_add3_u32 v73, v73, v103, v104
	v_mul_i32_i24_e32 v103, v27, v96
	v_add3_u32 v4, v4, v47, v9
	v_bfe_i32 v9, v29, 8, 8
	v_add3_u32 v19, v19, v106, v105
	v_mul_i32_i24_e32 v105, v18, v94
	v_mul_i32_i24_e32 v106, v53, v97
	v_add3_u32 v49, v100, v49, v103
	v_mul_i32_i24_e32 v100, v8, v102
	v_mul_i32_i24_e32 v103, v27, v59
	v_bfe_i32 v29, v29, 16, 8
	v_add3_u32 v84, v84, v106, v105
	v_mul_i32_i24_e32 v105, v121, v240
	v_mul_i32_i24_e32 v106, v11, v129
	v_add3_u32 v76, v76, v100, v103
	v_mul_i32_i24_e32 v100, v14, v230
	v_mul_i32_i24_e32 v103, v39, v229
	v_mul_i32_i24_e32 v47, v9, v21
	v_add3_u32 v69, v69, v105, v106
	v_mul_i32_i24_e32 v105, v55, v68
	v_mul_i32_i24_e32 v106, v86, v70
	v_add3_u32 v77, v77, v100, v103
	v_mul_i32_i24_e32 v100, v29, v96
	v_mul_i32_i24_e32 v10, v10, v66
	v_mul_i32_i24_e32 v11, v11, v66
	;; [unrolled: 7-line block ×4, first 2 shown]
	v_mul_i32_i24_e32 v17, v17, v231
	v_add3_u32 v89, v89, v105, v106
	v_mul_i32_i24_e32 v105, v57, v68
	v_mul_i32_i24_e32 v106, v90, v70
	v_add3_u32 v81, v82, v81, v100
	v_mul_i32_i24_e32 v82, v119, v231
	v_add3_u32 v6, v6, v17, v12
	v_bfe_i32 v12, v35, 8, 8
	v_bfe_i32 v17, v35, 16, 8
	v_add3_u32 v56, v56, v106, v105
	v_mul_i32_i24_e32 v105, v57, v94
	v_mul_i32_i24_e32 v106, v90, v97
	v_add3_u32 v3, v3, v82, v10
	v_bfe_i32 v10, v31, 8, 8
	v_bfe_i32 v31, v31, 16, 8
	v_mul_i32_i24_e32 v35, v12, v21
	v_mul_i32_i24_e32 v66, v17, v96
	v_add3_u32 v91, v91, v106, v105
	v_mul_i32_i24_e32 v82, v10, v21
	v_mul_i32_i24_e32 v100, v31, v96
	;; [unrolled: 1-line block ×3, first 2 shown]
	v_add3_u32 v35, v56, v35, v66
	v_mul_i32_i24_e32 v56, v12, v102
	v_mul_i32_i24_e32 v66, v17, v59
	v_add3_u32 v19, v19, v82, v100
	v_mul_i32_i24_e32 v82, v10, v102
	v_mul_i32_i24_e32 v100, v31, v59
	;; [unrolled: 1-line block ×3, first 2 shown]
	v_add3_u32 v56, v91, v56, v66
	v_mul_i32_i24_e32 v66, v214, v68
	v_mul_i32_i24_e32 v68, v65, v21
	v_add3_u32 v82, v84, v82, v100
	v_mul_i32_i24_e32 v84, v15, v230
	v_mul_i32_i24_e32 v100, v43, v229
	v_add3_u32 v5, v5, v62, v37
	v_add3_u32 v16, v16, v66, v68
	v_mul_i32_i24_e32 v66, v214, v94
	v_mul_i32_i24_e32 v68, v65, v102
	v_add3_u32 v69, v69, v84, v100
	v_mul_i32_i24_e32 v84, v121, v231
	v_bfe_i32 v37, v36, 0, 8
	v_bfe_i32 v62, v36, 8, 8
	v_add3_u32 v13, v13, v66, v68
	v_mul_i32_i24_e32 v66, v228, v231
	v_mul_i32_i24_e32 v68, v226, v223
	v_add3_u32 v2, v2, v84, v11
	v_bfe_i32 v11, v33, 8, 8
	v_mul_i32_i24_e32 v14, v14, v222
	v_mul_i32_i24_e32 v39, v39, v223
	v_add3_u32 v20, v20, v68, v66
	v_mul_i32_i24_e32 v66, v249, v217
	v_mul_i32_i24_e32 v68, v250, v215
	;; [unrolled: 1-line block ×4, first 2 shown]
	v_add3_u32 v4, v4, v14, v39
	v_bfe_i32 v14, v38, 0, 8
	v_add3_u32 v51, v51, v68, v66
	v_mul_i32_i24_e32 v66, v235, v96
	v_bfe_i32 v39, v38, 8, 8
	v_mul_i32_i24_e32 v41, v41, v223
	v_bfe_i32 v33, v33, 16, 8
	v_mul_i32_i24_e32 v15, v15, v222
	v_add3_u32 v1, v1, v21, v66
	v_mul_i32_i24_e32 v21, v64, v102
	v_mul_i32_i24_e32 v66, v235, v59
	;; [unrolled: 1-line block ×6, first 2 shown]
	v_add3_u32 v21, v58, v21, v66
	v_mul_i32_i24_e32 v58, v71, v217
	v_mul_i32_i24_e32 v66, v87, v215
	v_add3_u32 v2, v2, v15, v43
	v_bfe_i32 v15, v42, 0, 8
	v_bfe_i32 v43, v42, 8, 8
	v_add3_u32 v60, v60, v84, v100
	v_add3_u32 v58, v67, v66, v58
	v_mul_i32_i24_e32 v66, v99, v222
	v_mul_i32_i24_e32 v84, v11, v102
	;; [unrolled: 1-line block ×5, first 2 shown]
	v_add3_u32 v7, v7, v66, v23
	v_bfe_i32 v23, v22, 0, 8
	v_bfe_i32 v66, v22, 8, 8
	v_add3_u32 v84, v85, v84, v100
	v_mul_i32_i24_e32 v85, v54, v230
	v_mul_i32_i24_e32 v100, v45, v229
	;; [unrolled: 1-line block ×6, first 2 shown]
	v_add3_u32 v85, v89, v85, v100
	s_delay_alu instid0(VALU_DEP_4)
	v_add3_u32 v67, v88, v67, v68
	v_mul_i32_i24_e32 v68, v23, v210
	v_mul_i32_i24_e32 v88, v66, v211
	v_add3_u32 v6, v6, v54, v45
	v_bfe_i32 v45, v44, 0, 8
	v_bfe_i32 v54, v44, 8, 8
	s_delay_alu instid0(VALU_DEP_4) | instskip(SKIP_2) | instid1(VALU_DEP_1)
	v_add3_u32 v68, v72, v68, v88
	v_mul_i32_i24_e32 v72, v74, v217
	v_mul_i32_i24_e32 v88, v75, v215
	v_add3_u32 v72, v73, v88, v72
	v_mul_i32_i24_e32 v73, v37, v208
	v_mul_i32_i24_e32 v88, v62, v209
	s_delay_alu instid0(VALU_DEP_1) | instskip(SKIP_2) | instid1(VALU_DEP_1)
	v_add3_u32 v49, v49, v73, v88
	v_mul_i32_i24_e32 v73, v37, v210
	v_mul_i32_i24_e32 v88, v62, v211
	v_add3_u32 v73, v76, v73, v88
	v_mul_i32_i24_e32 v76, v79, v217
	v_mul_i32_i24_e32 v88, v80, v215
	s_delay_alu instid0(VALU_DEP_1) | instskip(SKIP_2) | instid1(VALU_DEP_1)
	v_add3_u32 v76, v77, v88, v76
	v_mul_i32_i24_e32 v77, v14, v208
	v_mul_i32_i24_e32 v88, v39, v209
	v_add3_u32 v47, v47, v77, v88
	v_mul_i32_i24_e32 v77, v14, v210
	v_mul_i32_i24_e32 v88, v39, v211
	s_delay_alu instid0(VALU_DEP_1) | instskip(SKIP_4) | instid1(VALU_DEP_3)
	v_add3_u32 v77, v78, v77, v88
	v_mul_i32_i24_e32 v78, v18, v217
	v_mul_i32_i24_e32 v88, v53, v215
	;; [unrolled: 1-line block ×4, first 2 shown]
	v_add3_u32 v78, v81, v88, v78
	v_mul_i32_i24_e32 v81, v83, v222
	s_delay_alu instid0(VALU_DEP_1) | instskip(SKIP_2) | instid1(VALU_DEP_3)
	v_add3_u32 v3, v3, v81, v41
	v_bfe_i32 v41, v40, 0, 8
	v_bfe_i32 v81, v40, 8, 8
	v_add3_u32 v3, v3, v53, v18
	s_delay_alu instid0(VALU_DEP_3) | instskip(NEXT) | instid1(VALU_DEP_3)
	v_mul_i32_i24_e32 v83, v41, v208
	v_mul_i32_i24_e32 v88, v81, v209
	v_bfe_i32 v18, v40, 16, 8
	v_ashrrev_i32_e32 v40, 24, v40
	s_delay_alu instid0(VALU_DEP_3) | instskip(SKIP_3) | instid1(VALU_DEP_2)
	v_add3_u32 v19, v19, v83, v88
	v_mul_i32_i24_e32 v83, v41, v210
	v_mul_i32_i24_e32 v88, v81, v211
	;; [unrolled: 1-line block ×3, first 2 shown]
	v_add3_u32 v82, v82, v83, v88
	v_mul_i32_i24_e32 v83, v55, v217
	v_mul_i32_i24_e32 v88, v86, v215
	;; [unrolled: 1-line block ×3, first 2 shown]
	s_delay_alu instid0(VALU_DEP_2) | instskip(SKIP_2) | instid1(VALU_DEP_1)
	v_add3_u32 v69, v69, v88, v83
	v_mul_i32_i24_e32 v83, v15, v208
	v_mul_i32_i24_e32 v88, v43, v209
	v_add3_u32 v60, v60, v83, v88
	v_mul_i32_i24_e32 v83, v15, v210
	v_mul_i32_i24_e32 v88, v43, v211
	s_delay_alu instid0(VALU_DEP_1) | instskip(SKIP_3) | instid1(VALU_DEP_2)
	v_add3_u32 v83, v84, v83, v88
	v_mul_i32_i24_e32 v84, v57, v217
	v_mul_i32_i24_e32 v88, v90, v215
	;; [unrolled: 1-line block ×3, first 2 shown]
	v_add3_u32 v84, v85, v88, v84
	v_mul_i32_i24_e32 v85, v45, v208
	v_mul_i32_i24_e32 v88, v54, v209
	s_delay_alu instid0(VALU_DEP_1) | instskip(SKIP_2) | instid1(VALU_DEP_1)
	v_add3_u32 v35, v35, v85, v88
	v_mul_i32_i24_e32 v85, v45, v210
	v_mul_i32_i24_e32 v88, v54, v211
	v_add3_u32 v56, v56, v85, v88
	v_mul_i32_i24_e32 v85, v34, v96
	v_mul_i32_i24_e32 v34, v34, v219
	s_delay_alu instid0(VALU_DEP_2) | instskip(SKIP_2) | instid1(VALU_DEP_2)
	v_add3_u32 v16, v16, v85, v70
	v_mul_i32_i24_e32 v70, v61, v97
	v_mul_i32_i24_e32 v61, v61, v225
	v_add3_u32 v13, v13, v59, v70
	v_mul_i32_i24_e32 v59, v214, v227
	v_mul_i32_i24_e32 v70, v75, v225
	;; [unrolled: 1-line block ×4, first 2 shown]
	v_cvt_f32_i32_e32 v13, v13
	v_add3_u32 v20, v20, v59, v65
	v_mul_i32_i24_e32 v59, v235, v212
	s_delay_alu instid0(VALU_DEP_2) | instskip(NEXT) | instid1(VALU_DEP_2)
	v_add3_u32 v20, v20, v34, v61
	v_add3_u32 v51, v51, v64, v59
	v_mul_i32_i24_e32 v59, v224, v208
	v_mul_i32_i24_e32 v64, v52, v209
	;; [unrolled: 1-line block ×3, first 2 shown]
	s_delay_alu instid0(VALU_DEP_2) | instskip(SKIP_3) | instid1(VALU_DEP_2)
	v_add3_u32 v1, v1, v59, v64
	v_mul_i32_i24_e32 v59, v224, v210
	v_mul_i32_i24_e32 v64, v52, v211
	;; [unrolled: 1-line block ×3, first 2 shown]
	v_add3_u32 v21, v21, v59, v64
	v_mul_i32_i24_e32 v59, v25, v212
	v_mul_i32_i24_e32 v64, v98, v48
	s_delay_alu instid0(VALU_DEP_4)
	v_add3_u32 v34, v51, v34, v52
	v_mul_i32_i24_e32 v51, v63, v202
	v_mul_i32_i24_e32 v52, v220, v203
	;; [unrolled: 1-line block ×3, first 2 shown]
	v_add3_u32 v58, v58, v64, v59
	v_mul_i32_i24_e32 v59, v71, v227
	v_mul_i32_i24_e32 v64, v87, v225
	v_add3_u32 v1, v1, v51, v52
	v_mul_i32_i24_e32 v51, v63, v204
	v_mul_i32_i24_e32 v52, v220, v205
	s_delay_alu instid0(VALU_DEP_4) | instskip(SKIP_2) | instid1(VALU_DEP_4)
	v_add3_u32 v7, v7, v64, v59
	v_bfe_i32 v59, v22, 16, 8
	v_ashrrev_i32_e32 v22, 24, v22
	v_add3_u32 v21, v21, v51, v52
	v_mul_i32_i24_e32 v51, v201, v23
	v_mul_i32_i24_e32 v52, v32, v66
	;; [unrolled: 1-line block ×5, first 2 shown]
	v_cvt_f32_i32_e32 v1, v1
	v_add3_u32 v51, v58, v51, v52
	v_mul_i32_i24_e32 v52, v98, v46
	v_add3_u32 v64, v67, v64, v65
	v_mul_i32_i24_e32 v65, v59, v204
	v_mul_i32_i24_e32 v67, v22, v205
	s_delay_alu instid0(VALU_DEP_4) | instskip(SKIP_2) | instid1(VALU_DEP_4)
	v_add3_u32 v7, v7, v52, v25
	v_mul_i32_i24_e32 v25, v201, v37
	v_mul_i32_i24_e32 v52, v32, v62
	v_add3_u32 v65, v68, v65, v67
	v_mul_i32_i24_e32 v67, v27, v212
	v_mul_i32_i24_e32 v68, v8, v48
	;; [unrolled: 1-line block ×4, first 2 shown]
	s_delay_alu instid0(VALU_DEP_3) | instskip(SKIP_3) | instid1(VALU_DEP_4)
	v_add3_u32 v67, v72, v68, v67
	v_mul_i32_i24_e32 v68, v74, v227
	v_mul_i32_i24_e32 v72, v9, v48
	;; [unrolled: 1-line block ×3, first 2 shown]
	v_add3_u32 v25, v67, v25, v52
	s_delay_alu instid0(VALU_DEP_4)
	v_add3_u32 v5, v5, v70, v68
	v_bfe_i32 v68, v36, 16, 8
	v_ashrrev_i32_e32 v36, 24, v36
	v_mov_b32_e32 v67, v95
	v_mov_b32_e32 v95, v107
	v_add3_u32 v5, v5, v8, v27
	v_mul_i32_i24_e32 v70, v68, v202
	v_mul_i32_i24_e32 v71, v36, v203
	;; [unrolled: 1-line block ×3, first 2 shown]
	v_mov_b32_e32 v107, v109
	v_mov_b32_e32 v109, v112
	v_mul_i32_i24_e32 v27, v32, v39
	v_add3_u32 v49, v49, v70, v71
	v_mul_i32_i24_e32 v70, v68, v204
	v_mul_i32_i24_e32 v71, v36, v205
	;; [unrolled: 1-line block ×3, first 2 shown]
	v_mov_b32_e32 v112, v120
	s_delay_alu instid0(VALU_DEP_3) | instskip(SKIP_2) | instid1(VALU_DEP_2)
	v_add3_u32 v70, v73, v70, v71
	v_mul_i32_i24_e32 v71, v29, v212
	v_mul_i32_i24_e32 v73, v80, v225
	v_add3_u32 v71, v76, v72, v71
	v_mul_i32_i24_e32 v72, v79, v227
	v_mul_i32_i24_e32 v76, v11, v48
	;; [unrolled: 1-line block ×4, first 2 shown]
	v_add3_u32 v8, v71, v8, v27
	v_add3_u32 v4, v4, v73, v72
	v_bfe_i32 v72, v38, 16, 8
	v_ashrrev_i32_e32 v38, 24, v38
	v_mul_i32_i24_e32 v27, v29, v219
	v_mul_i32_i24_e32 v12, v12, v46
	v_mov_b32_e32 v71, v93
	v_mul_i32_i24_e32 v73, v72, v202
	v_mul_i32_i24_e32 v74, v38, v203
	v_add3_u32 v4, v4, v9, v27
	v_mul_i32_i24_e32 v9, v201, v41
	v_mul_i32_i24_e32 v27, v32, v81
	s_delay_alu instid0(VALU_DEP_4) | instskip(SKIP_2) | instid1(VALU_DEP_1)
	v_add3_u32 v47, v47, v73, v74
	v_mul_i32_i24_e32 v73, v72, v204
	v_mul_i32_i24_e32 v74, v38, v205
	v_add3_u32 v73, v77, v73, v74
	v_mul_i32_i24_e32 v74, v31, v212
	s_delay_alu instid0(VALU_DEP_1) | instskip(SKIP_1) | instid1(VALU_DEP_2)
	v_add3_u32 v74, v78, v75, v74
	v_mul_i32_i24_e32 v75, v40, v203
	v_add3_u32 v9, v74, v9, v27
	s_delay_alu instid0(VALU_DEP_2) | instskip(SKIP_3) | instid1(VALU_DEP_4)
	v_add3_u32 v19, v19, v53, v75
	v_mul_i32_i24_e32 v53, v18, v204
	v_mul_i32_i24_e32 v75, v40, v205
	;; [unrolled: 1-line block ×3, first 2 shown]
	v_cvt_f32_i32_e32 v19, v19
	s_delay_alu instid0(VALU_DEP_3) | instskip(SKIP_1) | instid1(VALU_DEP_4)
	v_add3_u32 v53, v82, v53, v75
	v_mul_i32_i24_e32 v75, v33, v212
	v_add3_u32 v3, v3, v10, v27
	v_mul_i32_i24_e32 v10, v201, v15
	v_mul_i32_i24_e32 v27, v32, v43
	s_delay_alu instid0(VALU_DEP_4) | instskip(SKIP_1) | instid1(VALU_DEP_2)
	v_add3_u32 v69, v69, v76, v75
	v_mul_i32_i24_e32 v75, v86, v225
	v_add3_u32 v10, v69, v10, v27
	s_delay_alu instid0(VALU_DEP_2)
	v_add3_u32 v2, v2, v75, v55
	v_bfe_i32 v55, v42, 16, 8
	v_ashrrev_i32_e32 v42, 24, v42
	v_mul_i32_i24_e32 v27, v33, v219
	s_clause 0x1
	scratch_load_b32 v69, off, off offset:60 th:TH_LOAD_LU
	scratch_load_b32 v33, off, off offset:56 th:TH_LOAD_LU
	v_mul_i32_i24_e32 v75, v55, v202
	v_mul_i32_i24_e32 v76, v42, v203
	v_add3_u32 v2, v2, v11, v27
	v_mul_i32_i24_e32 v11, v201, v45
	v_mul_i32_i24_e32 v27, v32, v54
	scratch_load_b32 v32, off, off offset:12 th:TH_LOAD_LU ; 4-byte Folded Reload
	v_add3_u32 v60, v60, v75, v76
	v_mul_i32_i24_e32 v75, v55, v204
	v_mul_i32_i24_e32 v76, v42, v205
	s_delay_alu instid0(VALU_DEP_1) | instskip(SKIP_3) | instid1(VALU_DEP_3)
	v_add3_u32 v75, v83, v75, v76
	v_mul_i32_i24_e32 v76, v17, v212
	v_mul_i32_i24_e32 v17, v17, v219
	v_mov_b32_e32 v83, v92
	v_add3_u32 v48, v84, v48, v76
	v_mul_i32_i24_e32 v76, v90, v225
	s_delay_alu instid0(VALU_DEP_2) | instskip(NEXT) | instid1(VALU_DEP_2)
	v_add3_u32 v11, v48, v11, v27
	v_add3_u32 v6, v6, v76, v57
	v_mul_i32_i24_e32 v27, v200, v22
	v_bfe_i32 v57, v44, 16, 8
	v_ashrrev_i32_e32 v44, 24, v44
	s_delay_alu instid0(VALU_DEP_4) | instskip(SKIP_4) | instid1(VALU_DEP_3)
	v_add3_u32 v6, v6, v12, v17
	v_mul_i32_i24_e32 v12, v63, v199
	v_mul_i32_i24_e32 v17, v220, v200
	;; [unrolled: 1-line block ×4, first 2 shown]
	v_add3_u32 v12, v34, v12, v17
	v_mul_i32_i24_e32 v17, v199, v59
	v_dual_mov_b32 v34, v101 :: v_dual_mov_b32 v101, v108
	v_mov_b32_e32 v108, v110
	v_mov_b32_e32 v110, v113
	s_delay_alu instid0(VALU_DEP_4)
	v_add3_u32 v17, v51, v17, v27
	v_mul_i32_i24_e32 v27, v30, v66
	s_clause 0x1
	scratch_load_b32 v113, off, off offset:72 th:TH_LOAD_LU
	scratch_load_b32 v120, off, off offset:68 th:TH_LOAD_LU
	v_add3_u32 v35, v35, v76, v77
	v_mul_i32_i24_e32 v77, v44, v205
	v_mul_i32_i24_e32 v76, v57, v204
	v_add3_u32 v7, v7, v23, v27
	v_mul_i32_i24_e32 v23, v199, v68
	v_mul_i32_i24_e32 v27, v200, v36
	s_delay_alu instid0(VALU_DEP_4) | instskip(NEXT) | instid1(VALU_DEP_2)
	v_add3_u32 v56, v56, v76, v77
	v_add3_u32 v23, v25, v23, v27
	v_mul_i32_i24_e32 v25, v28, v37
	v_mul_i32_i24_e32 v27, v30, v62
	scratch_load_b32 v37, off, off offset:8 th:TH_LOAD_LU ; 4-byte Folded Reload
	v_add3_u32 v5, v5, v25, v27
	v_mul_i32_i24_e32 v25, v199, v72
	v_mul_i32_i24_e32 v27, v200, v38
	s_delay_alu instid0(VALU_DEP_1)
	v_add3_u32 v8, v8, v25, v27
	v_mul_i32_i24_e32 v25, v30, v39
	scratch_load_b32 v39, off, off offset:20 th:TH_LOAD_LU ; 4-byte Folded Reload
	v_cvt_f32_i32_e32 v8, v8
	v_add3_u32 v4, v4, v14, v25
	v_mul_i32_i24_e32 v14, v199, v18
	v_mul_i32_i24_e32 v25, v200, v40
	s_delay_alu instid0(VALU_DEP_1)
	v_add3_u32 v9, v9, v14, v25
	v_mul_i32_i24_e32 v14, v28, v41
	v_mul_i32_i24_e32 v25, v30, v81
	scratch_load_b32 v41, off, off offset:28 th:TH_LOAD_LU ; 4-byte Folded Reload
	v_cvt_f32_i32_e32 v9, v9
	v_add3_u32 v3, v3, v14, v25
	v_mul_i32_i24_e32 v14, v199, v55
	v_mul_i32_i24_e32 v25, v200, v42
	s_delay_alu instid0(VALU_DEP_1)
	v_add3_u32 v10, v10, v14, v25
	v_mul_i32_i24_e32 v14, v28, v15
	;; [unrolled: 9-line block ×3, first 2 shown]
	v_mul_i32_i24_e32 v15, v30, v54
	s_clause 0x1
	scratch_load_b32 v45, off, off offset:44 th:TH_LOAD_LU
	scratch_load_b32 v54, off, off offset:52 th:TH_LOAD_LU
	v_cvt_f32_i32_e32 v11, v11
	v_add3_u32 v6, v6, v14, v15
	v_mul_i32_i24_e32 v14, v24, v59
	v_mul_i32_i24_e32 v15, v26, v22
	scratch_load_b32 v22, off, off offset:160 th:TH_LOAD_LU ; 4-byte Folded Reload
	v_add3_u32 v7, v7, v14, v15
	v_mul_i32_i24_e32 v14, v24, v68
	v_mul_i32_i24_e32 v15, v26, v36
	scratch_load_b32 v68, off, off offset:76 th:TH_LOAD_LU ; 4-byte Folded Reload
	v_add3_u32 v5, v5, v14, v15
	v_mul_i32_i24_e32 v14, v24, v72
	v_mul_i32_i24_e32 v15, v26, v38
	s_delay_alu instid0(VALU_DEP_1)
	v_add3_u32 v4, v4, v14, v15
	v_mul_i32_i24_e32 v14, v24, v18
	v_mul_i32_i24_e32 v15, v26, v40
	scratch_load_b32 v18, off, off offset:168 th:TH_LOAD_LU ; 4-byte Folded Reload
	v_cvt_f32_i32_e32 v4, v4
	v_add3_u32 v3, v3, v14, v15
	v_mul_i32_i24_e32 v14, v24, v55
	v_mul_i32_i24_e32 v15, v26, v42
	s_clause 0x3
	scratch_load_b32 v42, off, off offset:32 th:TH_LOAD_LU
	scratch_load_b32 v40, off, off offset:24 th:TH_LOAD_LU
	;; [unrolled: 1-line block ×4, first 2 shown]
	v_add3_u32 v2, v2, v14, v15
	v_mul_i32_i24_e32 v14, v24, v57
	v_mul_i32_i24_e32 v15, v26, v44
	v_cvt_f32_i32_e32 v3, v3
	s_delay_alu instid0(VALU_DEP_4) | instskip(NEXT) | instid1(VALU_DEP_3)
	v_cvt_f32_i32_e32 v2, v2
	v_add3_u32 v6, v6, v14, v15
	scratch_load_b32 v15, off, off offset:152 th:TH_LOAD_LU ; 4-byte Folded Reload
	v_cvt_f32_i32_e32 v14, v50
	s_wait_loadcnt 0x0
	s_delay_alu instid0(VALU_DEP_1)
	v_fma_mix_f32 v14, v15, v14, v15 op_sel:[0,0,1] op_sel_hi:[1,0,1]
	scratch_load_b32 v15, off, off offset:196 th:TH_LOAD_LU ; 4-byte Folded Reload
	v_add_f32_e32 v41, v41, v14
	scratch_load_b32 v14, off, off offset:148 th:TH_LOAD_LU ; 4-byte Folded Reload
	s_wait_loadcnt 0x1
	v_fma_mix_f32 v0, v15, v0, v15 op_sel:[0,0,1] op_sel_hi:[1,0,1]
	scratch_load_b32 v15, off, off offset:164 th:TH_LOAD_LU ; 4-byte Folded Reload
	v_add_f32_e32 v69, v69, v0
	v_cvt_f32_i32_e32 v0, v16
	scratch_load_b32 v16, off, off offset:156 th:TH_LOAD_LU ; 4-byte Folded Reload
	s_wait_loadcnt 0x2
	v_fma_mix_f32 v0, v14, v0, v14 op_sel:[0,0,1] op_sel_hi:[1,0,1]
	s_clause 0x1
	scratch_load_b32 v14, off, off offset:144 th:TH_LOAD_LU
	scratch_load_b32 v44, off, off offset:40 th:TH_LOAD_LU
	s_wait_loadcnt 0x1
	v_fma_mix_f32 v13, v14, v13, v14 op_sel:[0,0,1] op_sel_hi:[1,0,1]
	v_cvt_f32_i32_e32 v14, v64
	s_delay_alu instid0(VALU_DEP_2) | instskip(NEXT) | instid1(VALU_DEP_2)
	v_add_f32_e32 v198, v198, v13
	v_fma_mix_f32 v14, v15, v14, v15 op_sel:[0,0,1] op_sel_hi:[1,0,1]
	v_cvt_f32_i32_e32 v15, v65
	s_delay_alu instid0(VALU_DEP_2) | instskip(NEXT) | instid1(VALU_DEP_2)
	v_add_f32_e32 v45, v45, v14
	v_fma_mix_f32 v15, v16, v15, v16 op_sel:[0,0,1] op_sel_hi:[1,0,1]
	v_cvt_f32_i32_e32 v16, v49
	s_wait_loadcnt 0x0
	s_delay_alu instid0(VALU_DEP_2) | instskip(NEXT) | instid1(VALU_DEP_2)
	v_add_f32_e32 v44, v44, v15
	v_fma_mix_f32 v16, v18, v16, v18 op_sel:[0,0,1] op_sel_hi:[1,0,1]
	v_cvt_f32_i32_e32 v18, v70
	s_delay_alu instid0(VALU_DEP_2) | instskip(NEXT) | instid1(VALU_DEP_2)
	v_add_f32_e32 v40, v40, v16
	v_fma_mix_f32 v18, v22, v18, v22 op_sel:[0,0,1] op_sel_hi:[1,0,1]
	v_cvt_f32_i32_e32 v22, v47
	s_clause 0x1
	scratch_load_b32 v47, off, off offset:48 th:TH_LOAD_LU
	scratch_load_b32 v24, off, off offset:180 th:TH_LOAD_LU
	v_add_f32_e32 v39, v39, v18
	s_wait_loadcnt 0x0
	v_fma_mix_f32 v22, v24, v22, v24 op_sel:[0,0,1] op_sel_hi:[1,0,1]
	v_cvt_f32_i32_e32 v24, v73
	s_clause 0x4
	scratch_load_b32 v73, off, off offset:64 th:TH_LOAD_LU
	scratch_load_b32 v25, off, off offset:172 th:TH_LOAD_LU
	;; [unrolled: 1-line block ×5, first 2 shown]
	s_wait_loadcnt 0x4
	v_dual_add_f32 v36, v36, v22 :: v_dual_add_f32 v73, v73, v0
	s_wait_loadcnt 0x3
	v_fma_mix_f32 v24, v25, v24, v25 op_sel:[0,0,1] op_sel_hi:[1,0,1]
	scratch_load_b32 v25, off, off offset:184 th:TH_LOAD_LU ; 4-byte Folded Reload
	v_cvt_f32_i32_e32 v0, v20
	s_wait_loadcnt 0x0
	v_fma_mix_f32 v19, v25, v19, v25 op_sel:[0,0,1] op_sel_hi:[1,0,1]
	v_cvt_f32_i32_e32 v25, v53
	s_delay_alu instid0(VALU_DEP_2) | instskip(NEXT) | instid1(VALU_DEP_2)
	v_add_f32_e32 v112, v112, v19
	v_fma_mix_f32 v25, v26, v25, v26 op_sel:[0,0,1] op_sel_hi:[1,0,1]
	v_cvt_f32_i32_e32 v26, v60
	s_delay_alu instid0(VALU_DEP_2) | instskip(NEXT) | instid1(VALU_DEP_2)
	v_add_f32_e32 v110, v110, v25
	;; [unrolled: 4-line block ×3, first 2 shown]
	v_fma_mix_f32 v27, v28, v27, v28 op_sel:[0,0,1] op_sel_hi:[1,0,1]
	v_cvt_f32_i32_e32 v28, v35
	s_clause 0x4
	scratch_load_b32 v35, off, off th:TH_LOAD_LU
	scratch_load_b32 v29, off, off offset:188 th:TH_LOAD_LU
	scratch_load_b32 v13, off, off offset:132 th:TH_LOAD_LU
	;; [unrolled: 1-line block ×4, first 2 shown]
	v_add_f32_e32 v101, v101, v27
	s_wait_loadcnt 0x4
	v_add_f32_e32 v35, v35, v24
	s_wait_loadcnt 0x3
	v_fma_mix_f32 v28, v29, v28, v29 op_sel:[0,0,1] op_sel_hi:[1,0,1]
	s_wait_loadcnt 0x2
	v_fma_mix_f32 v0, v13, v0, v13 op_sel:[0,0,1] op_sel_hi:[1,0,1]
	scratch_load_b32 v13, off, off offset:140 th:TH_LOAD_LU ; 4-byte Folded Reload
	v_cvt_f32_i32_e32 v29, v56
	v_add_f32_e32 v33, v33, v28
	v_add_f32_e32 v83, v83, v0
	v_cvt_f32_i32_e32 v0, v12
	scratch_load_b32 v12, off, off offset:104 th:TH_LOAD_LU ; 4-byte Folded Reload
	s_wait_loadcnt 0x0
	v_fma_mix_f32 v0, v12, v0, v12 op_sel:[0,0,1] op_sel_hi:[1,0,1]
	scratch_load_b32 v12, off, off offset:108 th:TH_LOAD_LU ; 4-byte Folded Reload
	v_fma_mix_f32 v1, v13, v1, v13 op_sel:[0,0,1] op_sel_hi:[1,0,1]
	v_cvt_f32_i32_e32 v13, v21
	v_add_f32_e32 v71, v71, v0
	v_cvt_f32_i32_e32 v0, v7
	s_delay_alu instid0(VALU_DEP_4) | instskip(NEXT) | instid1(VALU_DEP_4)
	v_add_f32_e32 v68, v68, v1
	v_fma_mix_f32 v13, v20, v13, v20 op_sel:[0,0,1] op_sel_hi:[1,0,1]
	v_cvt_f32_i32_e32 v1, v17
	s_delay_alu instid0(VALU_DEP_2) | instskip(SKIP_4) | instid1(VALU_DEP_2)
	v_add_f32_e32 v67, v67, v13
	scratch_load_b32 v13, off, off offset:112 th:TH_LOAD_LU ; 4-byte Folded Reload
	s_wait_loadcnt 0x1
	v_fma_mix_f32 v1, v12, v1, v12 op_sel:[0,0,1] op_sel_hi:[1,0,1]
	v_cvt_f32_i32_e32 v12, v23
	v_add_f32_e32 v54, v54, v1
	scratch_load_b32 v1, off, off offset:80 th:TH_LOAD_LU ; 4-byte Folded Reload
	s_wait_loadcnt 0x1
	v_fma_mix_f32 v12, v13, v12, v13 op_sel:[0,0,1] op_sel_hi:[1,0,1]
	scratch_load_b32 v13, off, off offset:116 th:TH_LOAD_LU ; 4-byte Folded Reload
	v_add_f32_e32 v43, v43, v12
	s_wait_loadcnt 0x1
	v_fma_mix_f32 v0, v1, v0, v1 op_sel:[0,0,1] op_sel_hi:[1,0,1]
	v_cvt_f32_i32_e32 v1, v5
	scratch_load_b32 v5, off, off offset:84 th:TH_LOAD_LU ; 4-byte Folded Reload
	v_add_f32_e32 v47, v47, v0
	s_wait_loadcnt 0x1
	v_fma_mix_f32 v8, v13, v8, v13 op_sel:[0,0,1] op_sel_hi:[1,0,1]
	scratch_load_b32 v13, off, off offset:120 th:TH_LOAD_LU ; 4-byte Folded Reload
	v_add_f32_e32 v38, v38, v8
	s_wait_loadcnt 0x1
	v_fma_mix_f32 v1, v5, v1, v5 op_sel:[0,0,1] op_sel_hi:[1,0,1]
	;; [unrolled: 4-line block ×7, first 2 shown]
	s_delay_alu instid0(VALU_DEP_1)
	v_add_f32_e32 v95, v95, v11
	s_wait_loadcnt 0x0
	v_fma_mix_f32 v2, v5, v2, v5 op_sel:[0,0,1] op_sel_hi:[1,0,1]
	v_cvt_f32_i32_e32 v5, v6
	scratch_load_b32 v6, off, off offset:96 th:TH_LOAD_LU ; 4-byte Folded Reload
	v_fma_mix_f32 v29, v30, v29, v30 op_sel:[0,0,1] op_sel_hi:[1,0,1]
	v_add_f32_e32 v108, v108, v2
	s_delay_alu instid0(VALU_DEP_2) | instskip(SKIP_2) | instid1(VALU_DEP_1)
	v_add_f32_e32 v32, v32, v29
	s_wait_loadcnt 0x0
	v_fma_mix_f32 v5, v6, v5, v6 op_sel:[0,0,1] op_sel_hi:[1,0,1]
	v_add_f32_e32 v34, v34, v5
	s_cbranch_scc1 .LBB160_9
; %bb.10:                               ;   in Loop: Header=BB160_7 Depth=1
	s_and_b32 s10, s7, -4
	s_wait_storecnt 0x0
	s_wait_alu 0xfffe
	s_cmp_eq_u32 s10, 4
	s_barrier_signal -1
	s_barrier_wait -1
	global_inv scope:SCOPE_SE
	s_cbranch_scc1 .LBB160_5
; %bb.11:                               ;   in Loop: Header=BB160_7 Depth=1
	s_clause 0x5
	scratch_load_b32 v0, off, off offset:564
	scratch_load_b64 v[17:18], off, off offset:248
	scratch_load_b32 v12, off, off offset:236
	scratch_load_b32 v1, off, off offset:220
	;; [unrolled: 1-line block ×4, first 2 shown]
	s_mov_b32 s10, 12
	scratch_load_b32 v13, off, off offset:240 ; 4-byte Folded Reload
	s_wait_loadcnt 0x6
	v_add_nc_u32_e32 v10, s4, v0
	scratch_load_b32 v0, off, off offset:216 ; 4-byte Folded Reload
	s_wait_loadcnt 0x4
	v_add_nc_u32_e32 v2, v10, v1
	;; [unrolled: 3-line block ×3, first 2 shown]
	v_add_nc_u32_e32 v8, v10, v7
	v_add_nc_u32_e32 v12, v10, v12
	v_mad_co_i64_i32 v[2:3], null, v2, 36, v[17:18]
	s_wait_loadcnt 0x2
	v_add_nc_u32_e32 v14, v10, v13
	scratch_load_b32 v13, off, off offset:296 th:TH_LOAD_LU ; 4-byte Folded Reload
	v_mad_co_i64_i32 v[8:9], null, v8, 36, v[17:18]
	v_mad_co_i64_i32 v[14:15], null, v14, 36, v[17:18]
	s_wait_loadcnt 0x2
	v_add_nc_u32_e32 v0, v10, v0
	s_wait_loadcnt 0x1
	v_add_nc_u32_e32 v4, v10, v1
	scratch_load_b32 v1, off, off offset:228 ; 4-byte Folded Reload
	v_mad_co_i64_i32 v[4:5], null, v4, 36, v[17:18]
	s_wait_loadcnt 0x1
	v_add_nc_u32_e32 v16, 4, v13
	v_mad_co_i64_i32 v[12:13], null, v12, 36, v[17:18]
	s_wait_loadcnt 0x0
	v_add_nc_u32_e32 v6, v10, v1
	v_mad_co_i64_i32 v[10:11], null, v11, 36, v[17:18]
	v_mad_co_i64_i32 v[0:1], null, v0, 36, v[17:18]
	s_delay_alu instid0(VALU_DEP_3)
	v_mad_co_i64_i32 v[6:7], null, v6, 36, v[17:18]
	v_mad_co_u64_u32 v[16:17], null, v16, 36, s[2:3]
	s_clause 0x8
	global_load_b32 v10, v[10:11], off offset:4
	global_load_b32 v0, v[0:1], off offset:4
	;; [unrolled: 1-line block ×8, first 2 shown]
	global_load_b32 v7, v[16:17], off
	s_clause 0x2
	scratch_load_b32 v159, off, off offset:256
	scratch_load_b32 v160, off, off offset:260
	;; [unrolled: 1-line block ×3, first 2 shown]
	s_wait_loadcnt 0x0
	v_mad_u32_u24 v165, 0x84, v8, 64
	s_clause 0x4
	scratch_load_b32 v70, off, off offset:580
	scratch_load_b32 v162, off, off offset:576
	;; [unrolled: 1-line block ×5, first 2 shown]
	s_wait_loadcnt 0x0
	ds_store_b32 v8, v10
	scratch_load_b32 v8, off, off offset:264 ; 4-byte Folded Reload
	s_wait_loadcnt 0x0
	ds_store_b32 v8, v0
	scratch_load_b32 v0, off, off offset:268 ; 4-byte Folded Reload
	;; [unrolled: 3-line block ×8, first 2 shown]
	s_wait_loadcnt 0x0
	ds_store_b32 v0, v7
	s_wait_dscnt 0x0
	s_barrier_signal -1
	s_barrier_wait -1
	global_inv scope:SCOPE_SE
.LBB160_12:                             ;   Parent Loop BB160_7 Depth=1
                                        ; =>  This Inner Loop Header: Depth=2
	s_clause 0x13
	scratch_store_b32 off, v73, off offset:64
	scratch_store_b32 off, v37, off offset:8
	;; [unrolled: 1-line block ×18, first 2 shown]
	scratch_store_b32 off, v35, off
	scratch_store_b32 off, v34, off offset:68
	ds_load_b32 v3, v70
	ds_load_b32 v2, v162
	;; [unrolled: 1-line block ×4, first 2 shown]
	ds_load_2addr_b32 v[4:5], v159 offset1:32
	ds_load_2addr_b32 v[20:21], v160 offset0:4 offset1:7
	ds_load_2addr_b32 v[34:35], v165 offset1:1
	ds_load_2addr_b32 v[38:39], v160 offset0:1 offset1:2
	ds_load_2addr_b32 v[57:58], v165 offset0:2 offset1:3
	;; [unrolled: 1-line block ×3, first 2 shown]
	ds_load_2addr_b32 v[22:23], v160 offset1:3
	v_add_nc_u32_e32 v17, 0x414, v160
	v_add_nc_u32_e32 v24, 0x1088, v165
	;; [unrolled: 1-line block ×10, first 2 shown]
	s_wait_alu 0xfffe
	s_add_co_i32 s10, s10, 4
	v_dual_mov_b32 v125, v83 :: v_dual_mov_b32 v92, v67
	s_wait_dscnt 0x6
	v_pk_mul_f16 v6, v4, v3
	s_wait_dscnt 0x5
	v_bfe_i32 v56, v20, 16, 8
	s_wait_dscnt 0x4
	v_bfe_u32 v212, v34, 20, 4
	v_bfe_u32 v198, v34, 16, 4
	s_wait_dscnt 0x3
	v_bfe_i32 v205, v38, 16, 8
	scratch_store_b32 off, v6, off offset:152 ; 4-byte Folded Spill
	v_pk_mul_f16 v6, v4, v2
	s_wait_dscnt 0x0
	v_bfe_i32 v40, v22, 16, 8
	v_bfe_u32 v206, v35, 16, 4
	v_bfe_i32 v235, v52, 16, 8
	v_bfe_u32 v238, v35, 20, 4
	scratch_store_b32 off, v6, off offset:132 ; 4-byte Folded Spill
	v_pk_mul_f16 v6, v4, v1
	v_pk_mul_f16 v4, v4, v0
	v_ashrrev_i32_e32 v7, 24, v20
	v_bfe_u32 v199, v34, 24, 4
	v_bfe_u32 v12, v35, 24, 4
	v_lshrrev_b32_e32 v252, 28, v35
	scratch_store_b32 off, v4, off offset:144 ; 4-byte Folded Spill
	v_pk_mul_f16 v4, v3, v5
	scratch_store_b32 off, v6, off offset:148 ; 4-byte Folded Spill
	v_ashrrev_i32_e32 v173, 24, v38
	v_ashrrev_i32_e32 v237, 24, v52
	v_bfe_u32 v8, v34, 4, 4
	scratch_store_b32 off, v4, off offset:104 ; 4-byte Folded Spill
	v_pk_mul_f16 v4, v2, v5
	v_and_b32_e32 v200, 15, v34
	v_and_b32_e32 v19, 15, v35
	v_bfe_i32 v251, v52, 0, 8
	v_bfe_u32 v144, v57, 24, 4
	scratch_store_b32 off, v4, off offset:196 ; 4-byte Folded Spill
	v_pk_mul_f16 v4, v1, v5
	v_lshrrev_b32_e32 v232, 28, v57
	v_ashrrev_i32_e32 v240, 24, v39
	v_ashrrev_i32_e32 v215, 24, v53
	v_bfe_i32 v242, v39, 16, 8
	scratch_store_b32 off, v4, off offset:140 ; 4-byte Folded Spill
	v_pk_mul_f16 v4, v0, v5
	v_bfe_u32 v244, v57, 16, 4
	v_bfe_i32 v217, v53, 16, 8
	v_bfe_u32 v220, v57, 20, 4
	v_bfe_i32 v143, v39, 0, 8
	scratch_store_b32 off, v4, off offset:136 ; 4-byte Folded Spill
	ds_load_2addr_b32 v[4:5], v159 offset0:64 offset1:96
	v_dual_mov_b32 v93, v68 :: v_dual_and_b32 v246, 15, v57
	v_bfe_i32 v231, v53, 0, 8
	v_bfe_u32 v233, v57, 4, 4
	v_add_nc_u32_e32 v42, 0x400, v160
	v_bfe_i32 v148, v38, 8, 8
	v_bfe_i32 v225, v23, 16, 8
	v_bfe_u32 v228, v58, 16, 4
	v_bfe_u32 v211, v58, 20, 4
	;; [unrolled: 1-line block ×3, first 2 shown]
	v_lshrrev_b32_e32 v214, 28, v58
	v_ashrrev_i32_e32 v227, 24, v23
	v_bfe_i32 v236, v23, 0, 8
	v_and_b32_e32 v229, 15, v58
	v_bfe_i32 v213, v21, 0, 8
	v_bfe_u32 v216, v58, 4, 4
	v_bfe_i32 v156, v39, 8, 8
	v_and_b32_e32 v39, 0xf0f0f0f, v57
	s_wait_alu 0xfffe
	s_cmp_lt_u32 s10, 28
	s_wait_dscnt 0x0
	v_pk_mul_f16 v6, v3, v4
	v_lshrrev_b16 v39, 8, v39
	scratch_store_b32 off, v6, off offset:108 ; 4-byte Folded Spill
	v_pk_mul_f16 v6, v2, v4
	v_and_b32_e32 v157, 0xffff, v39
	scratch_store_b32 off, v6, off offset:80 ; 4-byte Folded Spill
	v_pk_mul_f16 v6, v1, v4
	v_pk_mul_f16 v4, v0, v4
	scratch_store_b32 off, v4, off offset:156 ; 4-byte Folded Spill
	v_pk_mul_f16 v4, v3, v5
	scratch_store_b32 off, v4, off offset:112 ; 4-byte Folded Spill
	v_pk_mul_f16 v4, v2, v5
	s_clause 0x1
	scratch_store_b32 off, v6, off offset:164
	scratch_store_b32 off, v4, off offset:84
	v_pk_mul_f16 v4, v1, v5
	scratch_store_b32 off, v4, off offset:168 ; 4-byte Folded Spill
	v_pk_mul_f16 v4, v0, v5
	scratch_store_b32 off, v4, off offset:160 ; 4-byte Folded Spill
	ds_load_2addr_b32 v[4:5], v159 offset0:128 offset1:160
	s_wait_dscnt 0x0
	v_pk_mul_f16 v6, v3, v4
	scratch_store_b32 off, v6, off offset:116 ; 4-byte Folded Spill
	v_pk_mul_f16 v6, v2, v4
	scratch_store_b32 off, v6, off offset:88 ; 4-byte Folded Spill
	v_pk_mul_f16 v6, v1, v4
	v_pk_mul_f16 v4, v0, v4
	scratch_store_b32 off, v4, off offset:172 ; 4-byte Folded Spill
	v_pk_mul_f16 v4, v3, v5
	scratch_store_b32 off, v4, off offset:120 ; 4-byte Folded Spill
	v_pk_mul_f16 v4, v2, v5
	s_clause 0x1
	scratch_store_b32 off, v6, off offset:180
	scratch_store_b32 off, v4, off offset:92
	v_pk_mul_f16 v4, v1, v5
	scratch_store_b32 off, v4, off offset:184 ; 4-byte Folded Spill
	v_pk_mul_f16 v4, v0, v5
	scratch_store_b32 off, v4, off offset:176 ; 4-byte Folded Spill
	ds_load_2addr_b32 v[4:5], v159 offset0:192 offset1:224
	v_add_nc_u32_e32 v159, 4, v159
	s_wait_dscnt 0x0
	v_pk_mul_f16 v6, v3, v4
	v_pk_mul_f16 v3, v3, v5
	scratch_store_b32 off, v3, off offset:124 ; 4-byte Folded Spill
	v_pk_mul_f16 v3, v2, v4
	v_pk_mul_f16 v2, v2, v5
	scratch_store_b32 off, v6, off offset:128 ; 4-byte Folded Spill
	v_lshrrev_b32_e32 v6, 28, v34
	s_clause 0x1
	scratch_store_b32 off, v3, off offset:100
	scratch_store_b32 off, v2, off offset:96
	v_pk_mul_f16 v2, v1, v4
	v_pk_mul_f16 v1, v1, v5
	v_ashrrev_i32_e32 v3, 24, v22
	s_clause 0x1
	scratch_store_b32 off, v2, off offset:200
	scratch_store_b32 off, v1, off offset:188
	v_pk_mul_f16 v1, v0, v4
	v_pk_mul_f16 v0, v0, v5
	v_mul_i32_i24_e32 v2, v235, v238
	v_bfe_i32 v4, v22, 0, 8
	s_clause 0x1
	scratch_store_b32 off, v1, off offset:204
	scratch_store_b32 off, v0, off offset:192
	v_mul_i32_i24_e32 v0, v212, v56
	v_mul_i32_i24_e32 v1, v205, v206
	s_delay_alu instid0(VALU_DEP_2) | instskip(NEXT) | instid1(VALU_DEP_1)
	v_mad_i32_i24 v0, v198, v40, v0
	v_add3_u32 v5, v0, v1, v2
	v_mul_i32_i24_e32 v0, v6, v7
	v_mul_i32_i24_e32 v1, v173, v12
	;; [unrolled: 1-line block ×3, first 2 shown]
	s_delay_alu instid0(VALU_DEP_3) | instskip(NEXT) | instid1(VALU_DEP_1)
	v_mad_i32_i24 v0, v199, v3, v0
	v_add3_u32 v9, v0, v1, v2
	v_bfe_i32 v2, v20, 0, 8
	v_bfe_i32 v1, v38, 0, 8
	v_lshrrev_b16 v20, 8, v20
	s_delay_alu instid0(VALU_DEP_3) | instskip(NEXT) | instid1(VALU_DEP_3)
	v_mul_i32_i24_e32 v0, v8, v2
	v_mul_i32_i24_e32 v11, v1, v19
	s_delay_alu instid0(VALU_DEP_2) | instskip(SKIP_1) | instid1(VALU_DEP_1)
	v_mad_i32_i24 v10, v200, v4, v0
	v_bfe_u32 v0, v35, 4, 4
	v_mul_i32_i24_e32 v13, v251, v0
	s_delay_alu instid0(VALU_DEP_1) | instskip(SKIP_2) | instid1(VALU_DEP_1)
	v_add3_u32 v10, v10, v11, v13
	v_mul_i32_i24_e32 v11, v240, v144
	v_mul_i32_i24_e32 v13, v215, v232
	v_add3_u32 v11, v9, v11, v13
	v_mul_i32_i24_e32 v9, v242, v244
	v_mul_i32_i24_e32 v13, v217, v220
	s_delay_alu instid0(VALU_DEP_1) | instskip(SKIP_2) | instid1(VALU_DEP_1)
	v_add3_u32 v5, v5, v9, v13
	v_mul_i32_i24_e32 v9, v143, v246
	v_mul_i32_i24_e32 v13, v231, v233
	v_add3_u32 v13, v10, v9, v13
	v_lshrrev_b16 v9, 8, v22
	s_delay_alu instid0(VALU_DEP_1)
	v_bfe_i32 v18, v9, 0, 8
	v_add_nc_u32_e32 v9, 0x2100, v165
	ds_load_2addr_b32 v[59:60], v9 offset1:1
	s_wait_dscnt 0x0
	v_and_b32_e32 v207, 15, v59
	v_bfe_u32 v208, v59, 8, 4
	v_bfe_u32 v201, v59, 16, 4
	;; [unrolled: 1-line block ×4, first 2 shown]
	v_mul_i32_i24_e32 v9, v4, v207
	v_bfe_u32 v47, v59, 4, 4
	v_mul_i32_i24_e32 v10, v40, v201
	v_mul_i32_i24_e32 v14, v3, v202
	v_bfe_u32 v80, v59, 20, 4
	v_mad_i32_i24 v9, v18, v208, v9
	v_lshrrev_b32_e32 v81, 28, v59
	v_bfe_u32 v155, v60, 8, 4
	v_bfe_u32 v161, v60, 24, 4
	;; [unrolled: 1-line block ×3, first 2 shown]
	v_add3_u32 v22, v9, v10, v14
	v_add_nc_u32_e32 v9, 0x3180, v165
	ds_load_2addr_b32 v[61:62], v9 offset1:1
	s_wait_dscnt 0x0
	v_and_b32_e32 v209, 15, v61
	v_bfe_u32 v210, v61, 8, 4
	v_bfe_u32 v203, v61, 16, 4
	;; [unrolled: 1-line block ×4, first 2 shown]
	v_mul_i32_i24_e32 v9, v4, v209
	v_bfe_u32 v50, v61, 4, 4
	v_mul_i32_i24_e32 v10, v40, v203
	v_mul_i32_i24_e32 v14, v3, v204
	v_bfe_u32 v84, v61, 20, 4
	v_mad_i32_i24 v9, v18, v210, v9
	v_lshrrev_b32_e32 v85, 28, v61
	v_ashrrev_i32_e32 v61, 24, v21
	v_bfe_u32 v168, v62, 8, 4
	v_bfe_u32 v169, v62, 24, 4
	v_add3_u32 v41, v9, v10, v14
	v_add_nc_u32_e32 v9, 0x1080, v165
	v_add_nc_u32_e32 v14, 0x404, v160
	ds_load_2addr_b32 v[9:10], v9 offset1:1
	ds_load_2addr_b32 v[54:55], v14 offset1:1
	ds_load_2addr_b32 v[63:64], v42 offset0:4 offset1:7
	ds_load_2addr_b32 v[104:105], v17 offset1:1
	ds_load_2addr_b32 v[65:66], v24 offset1:1
	ds_load_2addr_b32 v[30:31], v122 offset0:4 offset1:7
	ds_load_2addr_b32 v[32:33], v73 offset0:4 offset1:7
	;; [unrolled: 1-line block ×3, first 2 shown]
	ds_load_2addr_b32 v[67:68], v42 offset1:3
	v_bfe_u32 v188, v62, 16, 4
	v_bfe_u32 v196, v62, 12, 4
	s_wait_dscnt 0x8
	v_bfe_u32 v136, v10, 16, 4
	s_wait_dscnt 0x7
	v_bfe_i32 v14, v54, 16, 8
	v_bfe_u32 v15, v9, 20, 4
	s_wait_dscnt 0x6
	v_bfe_i32 v69, v63, 16, 8
	;; [unrolled: 3-line block ×3, first 2 shown]
	v_mul_i32_i24_e32 v16, v14, v136
	s_wait_dscnt 0x4
	v_bfe_u32 v247, v65, 16, 4
	v_bfe_i32 v117, v55, 16, 8
	v_and_b32_e32 v154, 15, v10
	v_mul_i32_i24_e32 v17, v152, v128
	v_mad_i32_i24 v16, v69, v15, v16
	v_bfe_u32 v72, v9, 4, 4
	v_mul_i32_i24_e32 v24, v117, v247
	v_bfe_i32 v75, v63, 0, 8
	v_bfe_u32 v135, v10, 4, 4
	v_bfe_i32 v174, v104, 0, 8
	v_and_b32_e32 v250, 15, v65
	v_add3_u32 v43, v16, v17, v24
	v_bfe_i32 v16, v54, 0, 8
	v_bfe_i32 v87, v55, 0, 8
	v_mul_i32_i24_e32 v24, v174, v135
	v_bfe_u32 v175, v10, 24, 4
	v_ashrrev_i32_e32 v76, 24, v54
	v_mul_i32_i24_e32 v17, v16, v154
	v_mul_i32_i24_e32 v25, v87, v250
	v_ashrrev_i32_e32 v77, 24, v63
	v_lshrrev_b32_e32 v133, 28, v10
	v_bfe_u32 v139, v65, 24, 4
	v_mad_i32_i24 v17, v75, v72, v17
	v_ashrrev_i32_e32 v176, 24, v104
	v_ashrrev_i32_e32 v134, 24, v55
	s_wait_dscnt 0x3
	v_bfe_i32 v116, v30, 8, 8
	v_bfe_i32 v118, v30, 0, 8
	v_add3_u32 v44, v17, v24, v25
	v_lshrrev_b32_e32 v17, 28, v9
	v_mul_i32_i24_e32 v24, v76, v175
	v_mul_i32_i24_e32 v25, v176, v133
	;; [unrolled: 1-line block ×3, first 2 shown]
	v_bfe_i32 v119, v30, 16, 8
	v_ashrrev_i32_e32 v121, 24, v30
	v_mad_i32_i24 v24, v77, v17, v24
	s_wait_dscnt 0x2
	v_bfe_i32 v123, v32, 8, 8
	v_bfe_i32 v124, v32, 0, 8
	;; [unrolled: 1-line block ×3, first 2 shown]
	v_ashrrev_i32_e32 v127, 24, v32
	v_add3_u32 v45, v24, v25, v26
	v_add_nc_u32_e32 v24, 0x800, v160
	s_wait_dscnt 0x1
	v_bfe_i32 v129, v36, 8, 8
	v_bfe_i32 v130, v36, 0, 8
	;; [unrolled: 1-line block ×3, first 2 shown]
	v_ashrrev_i32_e32 v138, 24, v36
	ds_load_2addr_b32 v[24:25], v24 offset0:4 offset1:7
	v_bfe_i32 v36, v21, 16, 8
	v_lshrrev_b32_e32 v253, 28, v65
	v_bfe_u32 v230, v66, 24, 4
	v_ashrrev_i32_e32 v131, 24, v105
	s_wait_dscnt 0x1
	v_ashrrev_i32_e32 v254, 24, v68
	v_bfe_u32 v145, v65, 4, 4
	v_bfe_i32 v132, v105, 0, 8
	v_and_b32_e32 v221, 15, v66
	v_bfe_i32 v241, v68, 0, 8
	v_bfe_u32 v245, v65, 20, 4
	v_bfe_i32 v140, v105, 16, 8
	v_bfe_u32 v222, v66, 16, 4
	v_bfe_i32 v243, v68, 16, 8
	v_mul_i32_i24_e32 v42, v77, v81
	v_bfe_u32 v218, v66, 20, 4
	v_bfe_i32 v234, v64, 16, 8
	v_bfe_i32 v223, v67, 0, 8
	v_bfe_u32 v226, v66, 4, 4
	v_bfe_i32 v248, v64, 0, 8
	s_wait_dscnt 0x0
	v_bfe_i32 v78, v24, 8, 8
	v_bfe_i32 v79, v24, 0, 8
	;; [unrolled: 1-line block ×3, first 2 shown]
	v_ashrrev_i32_e32 v83, 24, v24
	v_lshrrev_b32_e32 v224, 28, v66
	v_mul_i32_i24_e32 v26, v78, v46
	v_ashrrev_i32_e32 v219, 24, v67
	v_mul_i32_i24_e32 v24, v82, v80
	v_mul_i32_i24_e32 v27, v83, v81
	v_ashrrev_i32_e32 v249, 24, v64
	v_mad_i32_i24 v26, v79, v47, v26
	v_bfe_i32 v64, v64, 8, 8
	v_bfe_i32 v68, v68, 8, 8
	s_delay_alu instid0(VALU_DEP_3) | instskip(SKIP_3) | instid1(VALU_DEP_3)
	v_add3_u32 v48, v26, v24, v27
	v_mul_i32_i24_e32 v24, v78, v49
	v_mul_i32_i24_e32 v26, v82, v84
	;; [unrolled: 1-line block ×3, first 2 shown]
	v_mad_i32_i24 v24, v79, v50, v24
	s_delay_alu instid0(VALU_DEP_1)
	v_add3_u32 v86, v24, v26, v27
	ds_load_2addr_b32 v[26:27], v71 offset0:4 offset1:7
	s_wait_dscnt 0x0
	v_bfe_i32 v89, v26, 8, 8
	v_bfe_i32 v90, v26, 0, 8
	;; [unrolled: 1-line block ×3, first 2 shown]
	v_ashrrev_i32_e32 v94, 24, v26
	s_delay_alu instid0(VALU_DEP_4) | instskip(NEXT) | instid1(VALU_DEP_3)
	v_mul_i32_i24_e32 v24, v89, v46
	v_mul_i32_i24_e32 v26, v91, v80
	s_delay_alu instid0(VALU_DEP_3) | instskip(NEXT) | instid1(VALU_DEP_3)
	v_mul_i32_i24_e32 v28, v94, v81
	v_mad_i32_i24 v24, v90, v47, v24
	s_delay_alu instid0(VALU_DEP_1) | instskip(SKIP_3) | instid1(VALU_DEP_3)
	v_add3_u32 v88, v24, v26, v28
	v_mul_i32_i24_e32 v24, v89, v49
	v_mul_i32_i24_e32 v26, v91, v84
	;; [unrolled: 1-line block ×3, first 2 shown]
	v_mad_i32_i24 v24, v90, v50, v24
	s_delay_alu instid0(VALU_DEP_1)
	v_add3_u32 v96, v24, v26, v28
	v_add_nc_u32_e32 v24, 0x1000, v160
	ds_load_2addr_b32 v[28:29], v24 offset0:4 offset1:7
	s_wait_dscnt 0x0
	v_bfe_i32 v106, v28, 8, 8
	v_bfe_i32 v111, v28, 0, 8
	;; [unrolled: 1-line block ×3, first 2 shown]
	v_ashrrev_i32_e32 v115, 24, v28
	s_delay_alu instid0(VALU_DEP_4) | instskip(NEXT) | instid1(VALU_DEP_3)
	v_mul_i32_i24_e32 v24, v106, v46
	v_mul_i32_i24_e32 v26, v114, v80
	s_delay_alu instid0(VALU_DEP_3) | instskip(NEXT) | instid1(VALU_DEP_3)
	v_mul_i32_i24_e32 v28, v115, v81
	v_mad_i32_i24 v24, v111, v47, v24
	s_delay_alu instid0(VALU_DEP_1) | instskip(SKIP_3) | instid1(VALU_DEP_3)
	v_add3_u32 v97, v24, v26, v28
	v_mul_i32_i24_e32 v24, v106, v49
	v_mul_i32_i24_e32 v26, v114, v84
	v_mul_i32_i24_e32 v28, v115, v85
	v_mad_i32_i24 v24, v111, v50, v24
	s_delay_alu instid0(VALU_DEP_1) | instskip(SKIP_3) | instid1(VALU_DEP_3)
	v_add3_u32 v98, v24, v26, v28
	v_mul_i32_i24_e32 v24, v116, v46
	v_mul_i32_i24_e32 v26, v119, v80
	;; [unrolled: 6-line block ×7, first 2 shown]
	v_mul_i32_i24_e32 v28, v138, v85
	v_mad_i32_i24 v24, v130, v50, v24
	s_delay_alu instid0(VALU_DEP_1)
	v_add3_u32 v142, v24, v26, v28
	v_lshrrev_b32_e32 v26, 4, v34
	v_and_b32_e32 v24, 0xf0f0f0f, v34
	v_bfe_i32 v34, v20, 0, 8
	v_and_b32_e32 v20, 0xf0f0f0f, v35
	v_and_b32_e32 v28, 15, v9
	v_lshrrev_b16 v26, 8, v26
	v_lshrrev_b16 v24, 8, v24
	v_lshrrev_b32_e32 v35, 4, v35
	v_lshrrev_b16 v20, 8, v20
	v_mul_i32_i24_e32 v4, v28, v4
	v_and_b32_e32 v26, 15, v26
	v_and_b32_e32 v32, 0xffff, v24
	v_lshrrev_b16 v35, 8, v35
	v_and_b32_e32 v146, 0xffff, v20
	s_delay_alu instid0(VALU_DEP_4) | instskip(NEXT) | instid1(VALU_DEP_4)
	v_and_b32_e32 v147, 0xffff, v26
	v_mul_i32_i24_e32 v20, v32, v18
	s_delay_alu instid0(VALU_DEP_4) | instskip(NEXT) | instid1(VALU_DEP_4)
	v_and_b32_e32 v35, 15, v35
	v_mul_i32_i24_e32 v24, v148, v146
	s_delay_alu instid0(VALU_DEP_4) | instskip(NEXT) | instid1(VALU_DEP_1)
	v_mul_i32_i24_e32 v26, v147, v34
	v_add3_u32 v38, v20, v26, v24
	v_mul_i32_i24_e32 v20, v225, v228
	v_mul_i32_i24_e32 v24, v36, v211
	v_bfe_u32 v26, v9, 24, 4
	s_delay_alu instid0(VALU_DEP_2) | instskip(SKIP_2) | instid1(VALU_DEP_4)
	v_add3_u32 v20, v5, v20, v24
	v_mul_i32_i24_e32 v5, v227, v239
	v_mul_i32_i24_e32 v24, v61, v214
	;; [unrolled: 1-line block ×3, first 2 shown]
	s_delay_alu instid0(VALU_DEP_2) | instskip(SKIP_3) | instid1(VALU_DEP_2)
	v_add3_u32 v149, v11, v5, v24
	v_mul_i32_i24_e32 v5, v236, v229
	v_mul_i32_i24_e32 v11, v213, v216
	v_bfe_u32 v24, v9, 16, 4
	v_add3_u32 v59, v13, v5, v11
	v_mul_i32_i24_e32 v5, v2, v47
	v_mul_i32_i24_e32 v11, v34, v46
	;; [unrolled: 1-line block ×3, first 2 shown]
	s_delay_alu instid0(VALU_DEP_2) | instskip(SKIP_3) | instid1(VALU_DEP_3)
	v_add3_u32 v5, v22, v11, v5
	v_mul_i32_i24_e32 v11, v2, v50
	v_mul_i32_i24_e32 v22, v243, v222
	v_mul_i32_i24_e32 v2, v72, v2
	v_add3_u32 v11, v41, v13, v11
	v_and_b32_e32 v13, 0xf0f0f0f, v9
	v_mul_i32_i24_e32 v41, v69, v80
	s_delay_alu instid0(VALU_DEP_2) | instskip(NEXT) | instid1(VALU_DEP_1)
	v_lshrrev_b16 v13, 8, v13
	v_and_b32_e32 v30, 0xffff, v13
	v_mul_i32_i24_e32 v13, v24, v40
	s_delay_alu instid0(VALU_DEP_2) | instskip(SKIP_1) | instid1(VALU_DEP_2)
	v_mad_i32_i24 v4, v30, v18, v4
	v_mul_i32_i24_e32 v18, v241, v221
	v_add3_u32 v3, v4, v13, v3
	v_mul_i32_i24_e32 v4, v131, v253
	v_mul_i32_i24_e32 v13, v254, v230
	s_delay_alu instid0(VALU_DEP_1) | instskip(SKIP_1) | instid1(VALU_DEP_1)
	v_add3_u32 v4, v45, v4, v13
	v_mul_i32_i24_e32 v13, v132, v145
	v_add3_u32 v13, v44, v13, v18
	v_mul_i32_i24_e32 v18, v140, v245
	s_delay_alu instid0(VALU_DEP_1) | instskip(SKIP_1) | instid1(VALU_DEP_1)
	v_add3_u32 v18, v43, v18, v22
	v_lshrrev_b16 v22, 8, v63
	v_bfe_i32 v22, v22, 0, 8
	s_delay_alu instid0(VALU_DEP_1) | instskip(NEXT) | instid1(VALU_DEP_1)
	v_mul_i32_i24_e32 v40, v22, v46
	v_mad_i32_i24 v40, v75, v47, v40
	s_delay_alu instid0(VALU_DEP_1) | instskip(SKIP_3) | instid1(VALU_DEP_3)
	v_add3_u32 v150, v40, v41, v42
	v_mul_i32_i24_e32 v40, v22, v49
	v_mul_i32_i24_e32 v41, v69, v84
	;; [unrolled: 1-line block ×3, first 2 shown]
	v_mad_i32_i24 v40, v75, v50, v40
	s_delay_alu instid0(VALU_DEP_1)
	v_add3_u32 v151, v40, v41, v42
	v_add_nc_u32_e32 v40, 0x804, v160
	ds_load_2addr_b32 v[50:51], v40 offset1:1
	s_wait_dscnt 0x0
	v_bfe_i32 v166, v50, 8, 8
	v_ashrrev_i32_e32 v167, 24, v50
	s_delay_alu instid0(VALU_DEP_2) | instskip(NEXT) | instid1(VALU_DEP_2)
	v_mul_i32_i24_e32 v40, v166, v155
	v_mul_i32_i24_e32 v41, v167, v161
	s_delay_alu instid0(VALU_DEP_1) | instskip(SKIP_2) | instid1(VALU_DEP_1)
	v_add3_u32 v153, v48, v41, v40
	v_mul_i32_i24_e32 v40, v166, v168
	v_mul_i32_i24_e32 v41, v167, v169
	v_add3_u32 v86, v86, v41, v40
	v_add_nc_u32_e32 v40, 0xc04, v160
	ds_load_2addr_b32 v[48:49], v40 offset1:1
	s_wait_dscnt 0x0
	v_bfe_i32 v170, v48, 8, 8
	v_ashrrev_i32_e32 v171, 24, v48
	s_delay_alu instid0(VALU_DEP_2) | instskip(NEXT) | instid1(VALU_DEP_2)
	v_mul_i32_i24_e32 v40, v170, v155
	v_mul_i32_i24_e32 v41, v171, v161
	s_delay_alu instid0(VALU_DEP_1) | instskip(SKIP_2) | instid1(VALU_DEP_1)
	v_add3_u32 v172, v88, v41, v40
	v_mul_i32_i24_e32 v40, v170, v168
	v_mul_i32_i24_e32 v41, v171, v169
	;; [unrolled: 13-line block ×3, first 2 shown]
	v_add3_u32 v180, v98, v41, v40
	v_add_nc_u32_e32 v40, 0x1404, v160
	v_bfe_i32 v98, v104, 8, 8
	v_mul_i32_i24_e32 v104, v6, v127
	ds_load_2addr_b32 v[44:45], v40 offset1:1
	s_wait_dscnt 0x0
	v_bfe_i32 v181, v44, 8, 8
	v_ashrrev_i32_e32 v182, 24, v44
	s_delay_alu instid0(VALU_DEP_2) | instskip(NEXT) | instid1(VALU_DEP_2)
	v_mul_i32_i24_e32 v40, v181, v155
	v_mul_i32_i24_e32 v41, v182, v161
	s_delay_alu instid0(VALU_DEP_1) | instskip(SKIP_2) | instid1(VALU_DEP_1)
	v_add3_u32 v197, v99, v41, v40
	v_mul_i32_i24_e32 v40, v181, v168
	v_mul_i32_i24_e32 v41, v182, v169
	v_add3_u32 v255, v100, v41, v40
	v_add_nc_u32_e32 v40, 0x1804, v160
	v_mul_i32_i24_e32 v100, v6, v121
	ds_load_2addr_b32 v[42:43], v40 offset1:1
	s_wait_dscnt 0x0
	v_bfe_i32 v97, v42, 8, 8
	v_ashrrev_i32_e32 v99, 24, v42
	s_delay_alu instid0(VALU_DEP_2) | instskip(NEXT) | instid1(VALU_DEP_2)
	v_mul_i32_i24_e32 v40, v97, v155
	v_mul_i32_i24_e32 v41, v99, v161
	s_delay_alu instid0(VALU_DEP_1) | instskip(SKIP_3) | instid1(VALU_DEP_2)
	v_add3_u32 v183, v102, v41, v40
	v_mul_i32_i24_e32 v40, v97, v168
	v_mul_i32_i24_e32 v41, v99, v169
	v_bfe_i32 v102, v46, 16, 8
	v_add3_u32 v184, v103, v41, v40
	v_add_nc_u32_e32 v40, 0x1c04, v160
	v_bfe_i32 v103, v48, 16, 8
	ds_load_2addr_b32 v[40:41], v40 offset1:1
	s_wait_dscnt 0x0
	v_bfe_i32 v185, v40, 8, 8
	v_ashrrev_i32_e32 v186, 24, v40
	s_delay_alu instid0(VALU_DEP_2) | instskip(NEXT) | instid1(VALU_DEP_2)
	v_mul_i32_i24_e32 v63, v185, v155
	v_mul_i32_i24_e32 v88, v186, v161
	s_delay_alu instid0(VALU_DEP_1) | instskip(SKIP_2) | instid1(VALU_DEP_1)
	v_add3_u32 v141, v141, v88, v63
	v_mul_i32_i24_e32 v63, v185, v168
	v_mul_i32_i24_e32 v88, v186, v169
	v_add3_u32 v187, v142, v88, v63
	v_and_b32_e32 v142, 0xffff, v35
	v_bfe_i32 v88, v52, 8, 8
	v_mul_i32_i24_e32 v35, v156, v157
	v_bfe_i32 v63, v67, 16, 8
	s_delay_alu instid0(VALU_DEP_3) | instskip(NEXT) | instid1(VALU_DEP_1)
	v_mul_i32_i24_e32 v39, v88, v142
	v_add3_u32 v35, v38, v39, v35
	v_mul_i32_i24_e32 v38, v56, v80
	v_mul_i32_i24_e32 v39, v7, v81
	v_bfe_u32 v81, v60, 16, 4
	s_delay_alu instid0(VALU_DEP_2)
	v_add3_u32 v38, v5, v38, v39
	v_mul_i32_i24_e32 v5, v56, v84
	v_mul_i32_i24_e32 v39, v7, v85
	v_bfe_i32 v84, v50, 0, 8
	v_bfe_i32 v85, v50, 16, 8
	v_mul_i32_i24_e32 v7, v17, v7
	s_delay_alu instid0(VALU_DEP_4) | instskip(SKIP_1) | instid1(VALU_DEP_1)
	v_add3_u32 v11, v11, v5, v39
	v_lshrrev_b32_e32 v5, 4, v9
	v_lshrrev_b16 v5, 8, v5
	s_delay_alu instid0(VALU_DEP_1) | instskip(NEXT) | instid1(VALU_DEP_1)
	v_and_b32_e32 v5, 15, v5
	v_and_b32_e32 v9, 0xffff, v5
	s_delay_alu instid0(VALU_DEP_1) | instskip(NEXT) | instid1(VALU_DEP_1)
	v_mul_i32_i24_e32 v5, v9, v34
	v_add3_u32 v34, v3, v5, v2
	v_mul_i32_i24_e32 v2, v22, v147
	v_mul_i32_i24_e32 v3, v69, v212
	;; [unrolled: 1-line block ×3, first 2 shown]
	s_delay_alu instid0(VALU_DEP_3) | instskip(NEXT) | instid1(VALU_DEP_1)
	v_mad_i32_i24 v2, v75, v8, v2
	v_add3_u32 v39, v2, v3, v5
	v_lshrrev_b32_e32 v2, 4, v10
	v_and_b32_e32 v3, 0xf0f0f0f, v10
	v_bfe_i32 v10, v54, 8, 8
	v_and_b32_e32 v54, 15, v60
	s_delay_alu instid0(VALU_DEP_4) | instskip(NEXT) | instid1(VALU_DEP_4)
	v_lshrrev_b16 v2, 8, v2
	v_lshrrev_b16 v3, 8, v3
	s_delay_alu instid0(VALU_DEP_2) | instskip(NEXT) | instid1(VALU_DEP_2)
	v_and_b32_e32 v2, 15, v2
	v_and_b32_e32 v69, 0xffff, v3
	s_delay_alu instid0(VALU_DEP_2) | instskip(SKIP_1) | instid1(VALU_DEP_3)
	v_and_b32_e32 v158, 0xffff, v2
	v_mul_i32_i24_e32 v2, v22, v9
	v_mul_i32_i24_e32 v3, v10, v69
	s_delay_alu instid0(VALU_DEP_3) | instskip(NEXT) | instid1(VALU_DEP_1)
	v_mul_i32_i24_e32 v5, v98, v158
	v_add3_u32 v22, v2, v3, v5
	v_mul_i32_i24_e32 v2, v63, v24
	v_mul_i32_i24_e32 v3, v234, v218
	v_bfe_i32 v5, v48, 0, 8
	s_delay_alu instid0(VALU_DEP_2) | instskip(SKIP_2) | instid1(VALU_DEP_1)
	v_add3_u32 v75, v18, v3, v2
	v_mul_i32_i24_e32 v2, v223, v28
	v_mul_i32_i24_e32 v3, v248, v226
	v_add3_u32 v77, v13, v3, v2
	v_mul_i32_i24_e32 v2, v219, v26
	v_mul_i32_i24_e32 v3, v249, v224
	s_delay_alu instid0(VALU_DEP_1) | instskip(SKIP_3) | instid1(VALU_DEP_2)
	v_add3_u32 v80, v4, v3, v2
	v_mul_i32_i24_e32 v2, v10, v155
	v_mul_i32_i24_e32 v3, v76, v161
	;; [unrolled: 1-line block ×3, first 2 shown]
	v_add3_u32 v13, v150, v3, v2
	v_mul_i32_i24_e32 v2, v10, v168
	v_mul_i32_i24_e32 v3, v76, v169
	v_and_b32_e32 v150, 15, v62
	s_delay_alu instid0(VALU_DEP_2) | instskip(SKIP_2) | instid1(VALU_DEP_2)
	v_add3_u32 v18, v151, v3, v2
	v_mul_i32_i24_e32 v2, v147, v78
	v_mul_i32_i24_e32 v3, v212, v82
	v_mad_i32_i24 v2, v8, v79, v2
	s_delay_alu instid0(VALU_DEP_1) | instskip(SKIP_3) | instid1(VALU_DEP_2)
	v_add3_u32 v52, v2, v3, v4
	v_mul_i32_i24_e32 v2, v84, v54
	v_mul_i32_i24_e32 v3, v85, v81
	;; [unrolled: 1-line block ×3, first 2 shown]
	v_add3_u32 v50, v153, v2, v3
	v_mul_i32_i24_e32 v2, v84, v150
	v_mul_i32_i24_e32 v3, v85, v188
	v_bfe_i32 v153, v53, 8, 8
	s_delay_alu instid0(VALU_DEP_2) | instskip(SKIP_2) | instid1(VALU_DEP_2)
	v_add3_u32 v86, v86, v2, v3
	v_mul_i32_i24_e32 v2, v147, v89
	v_mul_i32_i24_e32 v3, v212, v91
	v_mad_i32_i24 v2, v8, v90, v2
	s_delay_alu instid0(VALU_DEP_1) | instskip(SKIP_4) | instid1(VALU_DEP_3)
	v_add3_u32 v189, v2, v3, v4
	v_mul_i32_i24_e32 v2, v5, v54
	v_mul_i32_i24_e32 v3, v103, v81
	;; [unrolled: 1-line block ×4, first 2 shown]
	v_add3_u32 v48, v172, v2, v3
	v_mul_i32_i24_e32 v2, v5, v150
	v_mul_i32_i24_e32 v3, v103, v188
	s_delay_alu instid0(VALU_DEP_1) | instskip(SKIP_2) | instid1(VALU_DEP_2)
	v_add3_u32 v96, v96, v2, v3
	v_mul_i32_i24_e32 v2, v147, v106
	v_mul_i32_i24_e32 v3, v212, v114
	v_mad_i32_i24 v2, v8, v111, v2
	s_delay_alu instid0(VALU_DEP_1) | instskip(SKIP_2) | instid1(VALU_DEP_2)
	v_add3_u32 v172, v2, v3, v4
	v_bfe_i32 v4, v46, 0, 8
	v_mul_i32_i24_e32 v3, v102, v81
	v_mul_i32_i24_e32 v2, v4, v54
	s_delay_alu instid0(VALU_DEP_1) | instskip(SKIP_2) | instid1(VALU_DEP_1)
	v_add3_u32 v46, v179, v2, v3
	v_mul_i32_i24_e32 v2, v4, v150
	v_mul_i32_i24_e32 v3, v102, v188
	v_add3_u32 v179, v180, v2, v3
	v_mul_i32_i24_e32 v2, v147, v116
	v_mul_i32_i24_e32 v3, v212, v119
	s_delay_alu instid0(VALU_DEP_2) | instskip(NEXT) | instid1(VALU_DEP_1)
	v_mad_i32_i24 v2, v8, v118, v2
	v_add3_u32 v180, v2, v3, v100
	v_bfe_i32 v3, v44, 0, 8
	v_bfe_i32 v100, v44, 16, 8
	s_delay_alu instid0(VALU_DEP_2) | instskip(NEXT) | instid1(VALU_DEP_2)
	v_mul_i32_i24_e32 v2, v3, v54
	v_mul_i32_i24_e32 v44, v100, v81
	s_delay_alu instid0(VALU_DEP_1) | instskip(SKIP_2) | instid1(VALU_DEP_1)
	v_add3_u32 v197, v197, v2, v44
	v_mul_i32_i24_e32 v2, v3, v150
	v_mul_i32_i24_e32 v44, v100, v188
	v_add3_u32 v255, v255, v2, v44
	v_mul_i32_i24_e32 v2, v147, v123
	v_mul_i32_i24_e32 v44, v212, v126
	s_delay_alu instid0(VALU_DEP_2) | instskip(NEXT) | instid1(VALU_DEP_1)
	v_mad_i32_i24 v2, v8, v124, v2
	v_add3_u32 v190, v2, v44, v104
	v_bfe_i32 v2, v42, 0, 8
	v_bfe_i32 v44, v42, 16, 8
	s_delay_alu instid0(VALU_DEP_2) | instskip(NEXT) | instid1(VALU_DEP_2)
	v_mul_i32_i24_e32 v42, v2, v54
	v_mul_i32_i24_e32 v104, v44, v81
	s_delay_alu instid0(VALU_DEP_1) | instskip(SKIP_2) | instid1(VALU_DEP_1)
	v_add3_u32 v183, v183, v42, v104
	v_mul_i32_i24_e32 v42, v2, v150
	v_mul_i32_i24_e32 v104, v44, v188
	v_add3_u32 v184, v184, v42, v104
	v_mul_i32_i24_e32 v42, v147, v129
	v_bfe_i32 v104, v40, 16, 8
	s_delay_alu instid0(VALU_DEP_2) | instskip(SKIP_2) | instid1(VALU_DEP_2)
	v_mad_i32_i24 v8, v8, v130, v42
	v_mul_i32_i24_e32 v42, v212, v137
	v_bfe_i32 v212, v23, 8, 8
	v_add3_u32 v147, v8, v42, v6
	v_mul_i32_i24_e32 v6, v9, v78
	v_mul_i32_i24_e32 v8, v9, v89
	;; [unrolled: 1-line block ×6, first 2 shown]
	v_mad_i32_i24 v79, v72, v79, v6
	v_bfe_i32 v6, v40, 0, 8
	v_mad_i32_i24 v90, v72, v90, v8
	v_mad_i32_i24 v111, v72, v111, v42
	;; [unrolled: 1-line block ×5, first 2 shown]
	v_mul_i32_i24_e32 v8, v6, v54
	v_mul_i32_i24_e32 v9, v104, v81
	v_bfe_i32 v42, v55, 8, 8
	v_lshrrev_b32_e32 v118, 28, v60
	s_delay_alu instid0(VALU_DEP_3) | instskip(SKIP_2) | instid1(VALU_DEP_1)
	v_add3_u32 v123, v141, v8, v9
	v_mul_i32_i24_e32 v8, v6, v150
	v_mul_i32_i24_e32 v9, v104, v188
	v_add3_u32 v124, v187, v8, v9
	v_lshrrev_b32_e32 v8, 4, v57
	v_and_b32_e32 v9, 0xf0f0f0f, v58
	s_delay_alu instid0(VALU_DEP_2) | instskip(NEXT) | instid1(VALU_DEP_2)
	v_lshrrev_b16 v8, 8, v8
	v_lshrrev_b16 v9, 8, v9
	s_delay_alu instid0(VALU_DEP_2) | instskip(NEXT) | instid1(VALU_DEP_2)
	v_and_b32_e32 v8, 15, v8
	v_and_b32_e32 v129, 0xffff, v9
	s_delay_alu instid0(VALU_DEP_2) | instskip(NEXT) | instid1(VALU_DEP_2)
	v_and_b32_e32 v151, 0xffff, v8
	v_mul_i32_i24_e32 v8, v212, v129
	s_delay_alu instid0(VALU_DEP_2) | instskip(NEXT) | instid1(VALU_DEP_1)
	v_mul_i32_i24_e32 v9, v153, v151
	v_add3_u32 v141, v35, v9, v8
	v_mul_i32_i24_e32 v8, v148, v155
	v_mul_i32_i24_e32 v9, v1, v54
	v_bfe_i32 v155, v105, 8, 8
	s_delay_alu instid0(VALU_DEP_2) | instskip(SKIP_3) | instid1(VALU_DEP_2)
	v_add3_u32 v187, v38, v8, v9
	v_mul_i32_i24_e32 v8, v148, v168
	v_mul_i32_i24_e32 v9, v1, v150
	;; [unrolled: 1-line block ×3, first 2 shown]
	v_add3_u32 v168, v11, v8, v9
	v_mul_i32_i24_e32 v8, v15, v56
	s_delay_alu instid0(VALU_DEP_1) | instskip(SKIP_2) | instid1(VALU_DEP_1)
	v_add3_u32 v191, v34, v8, v7
	v_mul_i32_i24_e32 v7, v76, v12
	v_mul_i32_i24_e32 v8, v10, v146
	v_add3_u32 v76, v39, v7, v8
	v_lshrrev_b32_e32 v7, 4, v65
	v_and_b32_e32 v8, 0xf0f0f0f, v65
	v_bfe_i32 v65, v21, 8, 8
	s_delay_alu instid0(VALU_DEP_3) | instskip(NEXT) | instid1(VALU_DEP_3)
	v_lshrrev_b16 v7, 8, v7
	v_lshrrev_b16 v8, 8, v8
	s_delay_alu instid0(VALU_DEP_2) | instskip(NEXT) | instid1(VALU_DEP_2)
	v_and_b32_e32 v7, 15, v7
	v_and_b32_e32 v40, 0xffff, v8
	s_delay_alu instid0(VALU_DEP_2) | instskip(NEXT) | instid1(VALU_DEP_2)
	v_and_b32_e32 v130, 0xffff, v7
	v_mul_i32_i24_e32 v7, v42, v40
	s_delay_alu instid0(VALU_DEP_2) | instskip(NEXT) | instid1(VALU_DEP_1)
	v_mul_i32_i24_e32 v8, v155, v130
	v_add3_u32 v192, v22, v7, v8
	v_mul_i32_i24_e32 v7, v16, v54
	v_mul_i32_i24_e32 v8, v14, v81
	s_delay_alu instid0(VALU_DEP_1) | instskip(SKIP_4) | instid1(VALU_DEP_3)
	v_add3_u32 v193, v13, v7, v8
	v_mul_i32_i24_e32 v7, v16, v150
	v_mul_i32_i24_e32 v8, v14, v188
	v_lshrrev_b32_e32 v13, 28, v62
	v_mul_i32_i24_e32 v14, v14, v206
	v_add3_u32 v18, v18, v7, v8
	v_mul_i32_i24_e32 v7, v167, v12
	v_mul_i32_i24_e32 v8, v166, v146
	s_delay_alu instid0(VALU_DEP_1) | instskip(SKIP_4) | instid1(VALU_DEP_3)
	v_add3_u32 v150, v52, v7, v8
	v_mul_i32_i24_e32 v7, v15, v82
	v_mul_i32_i24_e32 v8, v17, v83
	v_bfe_u32 v82, v60, 4, 4
	v_bfe_u32 v83, v62, 4, 4
	v_add3_u32 v79, v79, v7, v8
	v_add_nc_u32_e32 v7, 0x814, v160
	ds_load_2addr_b32 v[22:23], v7 offset1:1
	s_wait_dscnt 0x0
	v_bfe_i32 v7, v22, 0, 8
	v_ashrrev_i32_e32 v8, 24, v22
	s_delay_alu instid0(VALU_DEP_2) | instskip(NEXT) | instid1(VALU_DEP_2)
	v_mul_i32_i24_e32 v9, v7, v82
	v_mul_i32_i24_e32 v10, v8, v118
	s_delay_alu instid0(VALU_DEP_1) | instskip(SKIP_2) | instid1(VALU_DEP_1)
	v_add3_u32 v50, v50, v10, v9
	v_mul_i32_i24_e32 v9, v7, v83
	v_mul_i32_i24_e32 v10, v8, v13
	v_add3_u32 v86, v86, v10, v9
	v_mul_i32_i24_e32 v9, v171, v12
	v_mul_i32_i24_e32 v10, v170, v146
	s_delay_alu instid0(VALU_DEP_1) | instskip(SKIP_2) | instid1(VALU_DEP_1)
	v_add3_u32 v189, v189, v9, v10
	v_mul_i32_i24_e32 v9, v15, v91
	v_mul_i32_i24_e32 v10, v17, v94
	v_add3_u32 v90, v90, v9, v10
	v_add_nc_u32_e32 v9, 0xc14, v160
	ds_load_2addr_b32 v[34:35], v9 offset1:1
	s_wait_dscnt 0x0
	v_bfe_i32 v105, v34, 0, 8
	v_ashrrev_i32_e32 v106, 24, v34
	s_delay_alu instid0(VALU_DEP_2) | instskip(NEXT) | instid1(VALU_DEP_2)
	v_mul_i32_i24_e32 v9, v105, v82
	v_mul_i32_i24_e32 v10, v106, v118
	s_delay_alu instid0(VALU_DEP_1) | instskip(SKIP_2) | instid1(VALU_DEP_1)
	v_add3_u32 v91, v48, v10, v9
	v_mul_i32_i24_e32 v9, v105, v83
	v_mul_i32_i24_e32 v10, v106, v13
	v_add3_u32 v94, v96, v10, v9
	v_mul_i32_i24_e32 v9, v178, v12
	v_mul_i32_i24_e32 v10, v177, v146
	s_delay_alu instid0(VALU_DEP_1) | instskip(SKIP_2) | instid1(VALU_DEP_1)
	v_add3_u32 v96, v172, v9, v10
	v_mul_i32_i24_e32 v9, v15, v114
	v_mul_i32_i24_e32 v10, v17, v115
	;; [unrolled: 20-line block ×3, first 2 shown]
	v_add3_u32 v78, v78, v10, v11
	v_add_nc_u32_e32 v10, 0x1414, v160
	ds_load_2addr_b32 v[52:53], v10 offset1:1
	s_wait_dscnt 0x0
	v_bfe_i32 v10, v52, 0, 8
	v_ashrrev_i32_e32 v114, 24, v52
	v_bfe_i32 v119, v52, 16, 8
	s_delay_alu instid0(VALU_DEP_3) | instskip(NEXT) | instid1(VALU_DEP_3)
	v_mul_i32_i24_e32 v11, v10, v82
	v_mul_i32_i24_e32 v46, v114, v118
	s_delay_alu instid0(VALU_DEP_1) | instskip(SKIP_2) | instid1(VALU_DEP_1)
	v_add3_u32 v121, v197, v46, v11
	v_mul_i32_i24_e32 v11, v10, v83
	v_mul_i32_i24_e32 v46, v114, v13
	v_add3_u32 v197, v255, v46, v11
	v_mul_i32_i24_e32 v11, v99, v12
	v_mul_i32_i24_e32 v46, v97, v146
	;; [unrolled: 1-line block ×3, first 2 shown]
	s_delay_alu instid0(VALU_DEP_2) | instskip(SKIP_2) | instid1(VALU_DEP_1)
	v_add3_u32 v190, v190, v11, v46
	v_mul_i32_i24_e32 v11, v15, v126
	v_mul_i32_i24_e32 v46, v17, v127
	v_add3_u32 v89, v89, v11, v46
	v_add_nc_u32_e32 v11, 0x1814, v160
	ds_load_2addr_b32 v[54:55], v11 offset1:1
	s_wait_dscnt 0x0
	v_bfe_i32 v11, v54, 0, 8
	v_ashrrev_i32_e32 v115, 24, v54
	s_delay_alu instid0(VALU_DEP_2) | instskip(NEXT) | instid1(VALU_DEP_2)
	v_mul_i32_i24_e32 v46, v11, v82
	v_mul_i32_i24_e32 v48, v115, v118
	s_delay_alu instid0(VALU_DEP_1) | instskip(SKIP_2) | instid1(VALU_DEP_1)
	v_add3_u32 v183, v183, v48, v46
	v_mul_i32_i24_e32 v46, v11, v83
	v_mul_i32_i24_e32 v48, v115, v13
	v_add3_u32 v184, v184, v48, v46
	v_mul_i32_i24_e32 v46, v185, v146
	s_delay_alu instid0(VALU_DEP_1) | instskip(SKIP_2) | instid1(VALU_DEP_1)
	v_add3_u32 v146, v147, v12, v46
	v_mul_i32_i24_e32 v12, v15, v137
	v_mul_i32_i24_e32 v15, v17, v138
	v_add3_u32 v72, v72, v12, v15
	v_add_nc_u32_e32 v12, 0x1c14, v160
	ds_load_2addr_b32 v[56:57], v12 offset1:1
	s_wait_dscnt 0x0
	v_bfe_i32 v12, v56, 0, 8
	v_ashrrev_i32_e32 v116, 24, v56
	s_delay_alu instid0(VALU_DEP_2) | instskip(NEXT) | instid1(VALU_DEP_2)
	v_mul_i32_i24_e32 v15, v12, v82
	v_mul_i32_i24_e32 v17, v116, v118
	s_delay_alu instid0(VALU_DEP_1) | instskip(SKIP_3) | instid1(VALU_DEP_2)
	v_add3_u32 v137, v123, v17, v15
	v_mul_i32_i24_e32 v15, v12, v83
	v_mul_i32_i24_e32 v17, v116, v13
	v_bfe_i32 v123, v22, 16, 8
	v_add3_u32 v138, v124, v17, v15
	v_lshrrev_b32_e32 v15, 4, v58
	v_mul_i32_i24_e32 v17, v173, v161
	v_bfe_u32 v124, v62, 20, 4
	v_bfe_i32 v62, v38, 16, 8
	s_delay_alu instid0(VALU_DEP_4) | instskip(NEXT) | instid1(VALU_DEP_1)
	v_lshrrev_b16 v15, 8, v15
	v_and_b32_e32 v15, 15, v15
	s_delay_alu instid0(VALU_DEP_1) | instskip(NEXT) | instid1(VALU_DEP_1)
	v_and_b32_e32 v48, 0xffff, v15
	v_mul_i32_i24_e32 v15, v65, v48
	s_delay_alu instid0(VALU_DEP_1) | instskip(SKIP_1) | instid1(VALU_DEP_1)
	v_add3_u32 v21, v141, v15, v149
	v_mul_i32_i24_e32 v15, v205, v81
	v_add3_u32 v81, v187, v15, v17
	v_mul_i32_i24_e32 v15, v205, v188
	v_mul_i32_i24_e32 v17, v173, v169
	s_delay_alu instid0(VALU_DEP_1) | instskip(SKIP_1) | instid1(VALU_DEP_1)
	v_add3_u32 v141, v168, v15, v17
	v_mul_i32_i24_e32 v15, v148, v69
	v_add3_u32 v187, v191, v15, v1
	v_mul_i32_i24_e32 v1, v16, v19
	v_bfe_u32 v16, v60, 20, 4
	v_bfe_i32 v60, v54, 8, 8
	s_delay_alu instid0(VALU_DEP_3) | instskip(SKIP_3) | instid1(VALU_DEP_3)
	v_add3_u32 v76, v76, v1, v14
	v_lshrrev_b32_e32 v1, 4, v66
	v_and_b32_e32 v14, 0xf0f0f0f, v66
	v_mul_i32_i24_e32 v15, v123, v16
	v_lshrrev_b16 v1, 8, v1
	s_delay_alu instid0(VALU_DEP_3) | instskip(NEXT) | instid1(VALU_DEP_2)
	v_lshrrev_b16 v14, 8, v14
	v_and_b32_e32 v1, 15, v1
	s_delay_alu instid0(VALU_DEP_2) | instskip(NEXT) | instid1(VALU_DEP_2)
	v_and_b32_e32 v66, 0xffff, v14
	v_and_b32_e32 v46, 0xffff, v1
	s_delay_alu instid0(VALU_DEP_2) | instskip(NEXT) | instid1(VALU_DEP_2)
	v_mul_i32_i24_e32 v1, v68, v66
	v_mul_i32_i24_e32 v14, v64, v46
	s_delay_alu instid0(VALU_DEP_1) | instskip(SKIP_2) | instid1(VALU_DEP_1)
	v_add3_u32 v188, v192, v1, v14
	v_mul_i32_i24_e32 v1, v174, v82
	v_mul_i32_i24_e32 v14, v176, v118
	v_add3_u32 v191, v193, v14, v1
	v_mul_i32_i24_e32 v1, v174, v83
	v_mul_i32_i24_e32 v14, v176, v13
	;; [unrolled: 1-line block ×3, first 2 shown]
	s_delay_alu instid0(VALU_DEP_2) | instskip(SKIP_2) | instid1(VALU_DEP_1)
	v_add3_u32 v192, v18, v14, v1
	v_mul_i32_i24_e32 v1, v84, v19
	v_mul_i32_i24_e32 v14, v85, v206
	v_add3_u32 v193, v150, v1, v14
	v_mul_i32_i24_e32 v1, v167, v175
	v_mul_i32_i24_e32 v14, v166, v69
	s_delay_alu instid0(VALU_DEP_1) | instskip(SKIP_2) | instid1(VALU_DEP_2)
	v_add3_u32 v79, v79, v1, v14
	v_bfe_i32 v14, v22, 8, 8
	v_bfe_i32 v22, v34, 8, 8
	v_mul_i32_i24_e32 v1, v14, v195
	s_delay_alu instid0(VALU_DEP_1) | instskip(SKIP_2) | instid1(VALU_DEP_1)
	v_add3_u32 v58, v50, v1, v15
	v_mul_i32_i24_e32 v1, v14, v196
	v_mul_i32_i24_e32 v15, v123, v124
	v_add3_u32 v126, v86, v1, v15
	v_mul_i32_i24_e32 v1, v5, v19
	v_mul_i32_i24_e32 v15, v103, v206
	;; [unrolled: 1-line block ×4, first 2 shown]
	s_delay_alu instid0(VALU_DEP_3) | instskip(SKIP_2) | instid1(VALU_DEP_1)
	v_add3_u32 v127, v189, v1, v15
	v_mul_i32_i24_e32 v1, v171, v175
	v_mul_i32_i24_e32 v15, v170, v69
	v_add3_u32 v147, v90, v1, v15
	v_bfe_i32 v15, v34, 16, 8
	v_mul_i32_i24_e32 v1, v22, v195
	v_bfe_i32 v34, v38, 8, 8
	v_bfe_i32 v38, v52, 8, 8
	s_delay_alu instid0(VALU_DEP_4) | instskip(NEXT) | instid1(VALU_DEP_1)
	v_mul_i32_i24_e32 v17, v15, v16
	v_add3_u32 v148, v91, v1, v17
	v_mul_i32_i24_e32 v1, v22, v196
	v_mul_i32_i24_e32 v17, v15, v124
	s_delay_alu instid0(VALU_DEP_1) | instskip(SKIP_3) | instid1(VALU_DEP_2)
	v_add3_u32 v149, v94, v1, v17
	v_mul_i32_i24_e32 v1, v4, v19
	v_mul_i32_i24_e32 v17, v102, v206
	;; [unrolled: 1-line block ×3, first 2 shown]
	v_add3_u32 v150, v96, v1, v17
	v_mul_i32_i24_e32 v1, v178, v175
	v_mul_i32_i24_e32 v17, v177, v69
	v_bfe_i32 v178, v51, 8, 8
	s_delay_alu instid0(VALU_DEP_2) | instskip(SKIP_2) | instid1(VALU_DEP_1)
	v_add3_u32 v167, v172, v1, v17
	v_mul_i32_i24_e32 v1, v34, v195
	v_mul_i32_i24_e32 v17, v62, v16
	v_add3_u32 v168, v194, v1, v17
	v_mul_i32_i24_e32 v1, v34, v196
	v_mul_i32_i24_e32 v17, v62, v124
	s_delay_alu instid0(VALU_DEP_1) | instskip(SKIP_4) | instid1(VALU_DEP_3)
	v_add3_u32 v169, v179, v1, v17
	v_mul_i32_i24_e32 v1, v3, v19
	v_mul_i32_i24_e32 v17, v100, v206
	v_ashrrev_i32_e32 v179, 24, v51
	v_mul_i32_i24_e32 v3, v3, v154
	v_add3_u32 v170, v180, v1, v17
	v_mul_i32_i24_e32 v1, v182, v175
	v_mul_i32_i24_e32 v17, v181, v69
	s_delay_alu instid0(VALU_DEP_1) | instskip(SKIP_2) | instid1(VALU_DEP_1)
	v_add3_u32 v171, v78, v1, v17
	v_mul_i32_i24_e32 v1, v38, v195
	v_mul_i32_i24_e32 v17, v119, v16
	v_add3_u32 v172, v121, v1, v17
	v_mul_i32_i24_e32 v1, v38, v196
	v_mul_i32_i24_e32 v17, v119, v124
	v_bfe_i32 v121, v54, 16, 8
	v_mul_i32_i24_e32 v54, v186, v175
	s_delay_alu instid0(VALU_DEP_3)
	v_add3_u32 v255, v197, v1, v17
	v_mul_i32_i24_e32 v1, v2, v19
	v_mul_i32_i24_e32 v17, v44, v206
	;; [unrolled: 1-line block ×6, first 2 shown]
	v_add3_u32 v50, v190, v1, v17
	v_mul_i32_i24_e32 v1, v99, v175
	v_mul_i32_i24_e32 v17, v97, v69
	;; [unrolled: 1-line block ×3, first 2 shown]
	v_ashrrev_i32_e32 v99, 24, v45
	v_mul_i32_i24_e32 v44, v44, v136
	s_delay_alu instid0(VALU_DEP_4) | instskip(SKIP_2) | instid1(VALU_DEP_3)
	v_add3_u32 v1, v89, v1, v17
	v_mul_i32_i24_e32 v17, v60, v195
	v_ashrrev_i32_e32 v89, 24, v47
	v_add3_u32 v1, v1, v2, v44
	s_delay_alu instid0(VALU_DEP_3) | instskip(SKIP_3) | instid1(VALU_DEP_3)
	v_add3_u32 v17, v183, v17, v18
	v_mul_i32_i24_e32 v18, v60, v196
	v_bfe_i32 v2, v43, 8, 8
	v_ashrrev_i32_e32 v44, 24, v43
	v_add3_u32 v18, v184, v18, v52
	v_mul_i32_i24_e32 v52, v104, v206
	v_add3_u32 v206, v59, v20, v21
	v_mul_i32_i24_e32 v20, v251, v82
	v_mul_i32_i24_e32 v21, v88, v195
	v_ashrrev_i32_e32 v82, 24, v49
	v_add3_u32 v19, v146, v19, v52
	v_mul_i32_i24_e32 v52, v185, v69
	s_delay_alu instid0(VALU_DEP_4) | instskip(SKIP_2) | instid1(VALU_DEP_4)
	v_add3_u32 v161, v81, v20, v21
	v_mul_i32_i24_e32 v20, v251, v83
	v_mul_i32_i24_e32 v21, v88, v196
	v_add3_u32 v69, v72, v54, v52
	v_bfe_i32 v54, v56, 8, 8
	v_bfe_i32 v56, v56, 16, 8
	v_mul_i32_i24_e32 v81, v106, v252
	v_add3_u32 v166, v141, v20, v21
	v_mul_i32_i24_e32 v20, v173, v175
	v_mul_i32_i24_e32 v21, v205, v136
	;; [unrolled: 1-line block ×6, first 2 shown]
	v_add3_u32 v205, v187, v21, v20
	v_mul_i32_i24_e32 v20, v174, v0
	v_mul_i32_i24_e32 v21, v176, v252
	v_add3_u32 v94, v137, v52, v72
	v_mul_i32_i24_e32 v52, v54, v196
	v_mul_i32_i24_e32 v72, v56, v124
	s_delay_alu instid0(VALU_DEP_4) | instskip(SKIP_2) | instid1(VALU_DEP_4)
	v_add3_u32 v173, v76, v21, v20
	v_lshrrev_b16 v20, 8, v67
	v_mul_i32_i24_e32 v21, v152, v16
	v_add3_u32 v72, v138, v52, v72
	s_delay_alu instid0(VALU_DEP_3) | instskip(NEXT) | instid1(VALU_DEP_1)
	v_bfe_i32 v52, v20, 0, 8
	v_mul_i32_i24_e32 v20, v52, v30
	s_delay_alu instid0(VALU_DEP_1) | instskip(SKIP_1) | instid1(VALU_DEP_1)
	v_add3_u32 v67, v188, v20, v80
	v_mul_i32_i24_e32 v20, v98, v195
	v_add3_u32 v174, v191, v20, v21
	v_mul_i32_i24_e32 v20, v98, v196
	v_mul_i32_i24_e32 v21, v152, v124
	;; [unrolled: 1-line block ×3, first 2 shown]
	s_delay_alu instid0(VALU_DEP_2) | instskip(SKIP_4) | instid1(VALU_DEP_3)
	v_add3_u32 v175, v192, v20, v21
	v_mul_i32_i24_e32 v20, v7, v0
	v_mul_i32_i24_e32 v21, v8, v252
	v_mul_i32_i24_e32 v7, v7, v135
	v_mul_i32_i24_e32 v8, v8, v133
	v_add3_u32 v176, v193, v21, v20
	v_mul_i32_i24_e32 v20, v84, v154
	v_mul_i32_i24_e32 v21, v85, v136
	s_delay_alu instid0(VALU_DEP_1) | instskip(SKIP_1) | instid1(VALU_DEP_2)
	v_add3_u32 v177, v79, v20, v21
	v_add_nc_u32_e32 v20, 0x2108, v165
	v_add3_u32 v7, v177, v8, v7
	ds_load_2addr_b32 v[20:21], v20 offset1:1
	v_bfe_i32 v8, v51, 0, 8
	v_bfe_i32 v51, v51, 16, 8
	s_wait_dscnt 0x0
	v_bfe_u32 v181, v20, 8, 4
	v_bfe_u32 v180, v20, 24, 4
	s_delay_alu instid0(VALU_DEP_2) | instskip(NEXT) | instid1(VALU_DEP_2)
	v_mul_i32_i24_e32 v59, v178, v181
	v_mul_i32_i24_e32 v76, v179, v180
	;; [unrolled: 1-line block ×4, first 2 shown]
	s_delay_alu instid0(VALU_DEP_3)
	v_add3_u32 v182, v58, v76, v59
	v_add_nc_u32_e32 v58, 0x3188, v165
	v_add_nc_u32_e32 v165, 16, v165
	ds_load_2addr_b32 v[58:59], v58 offset1:1
	s_wait_dscnt 0x0
	v_bfe_u32 v76, v58, 8, 4
	v_bfe_u32 v78, v58, 24, 4
	s_delay_alu instid0(VALU_DEP_2) | instskip(NEXT) | instid1(VALU_DEP_2)
	v_mul_i32_i24_e32 v79, v178, v76
	v_mul_i32_i24_e32 v80, v179, v78
	;; [unrolled: 1-line block ×4, first 2 shown]
	s_delay_alu instid0(VALU_DEP_3) | instskip(SKIP_3) | instid1(VALU_DEP_3)
	v_add3_u32 v79, v126, v80, v79
	v_mul_i32_i24_e32 v80, v105, v0
	v_mul_i32_i24_e32 v126, v115, v252
	;; [unrolled: 1-line block ×3, first 2 shown]
	v_add3_u32 v80, v127, v81, v80
	v_mul_i32_i24_e32 v81, v103, v136
	v_mul_i32_i24_e32 v103, v99, v78
	v_bfe_u32 v127, v58, 16, 4
	s_delay_alu instid0(VALU_DEP_3) | instskip(SKIP_1) | instid1(VALU_DEP_3)
	v_add3_u32 v5, v147, v5, v81
	v_bfe_i32 v81, v49, 8, 8
	v_mul_i32_i24_e32 v137, v51, v127
	s_delay_alu instid0(VALU_DEP_3) | instskip(NEXT) | instid1(VALU_DEP_3)
	v_add3_u32 v5, v5, v106, v105
	v_mul_i32_i24_e32 v83, v81, v181
	v_bfe_i32 v105, v49, 0, 8
	v_bfe_i32 v49, v49, 16, 8
	s_delay_alu instid0(VALU_DEP_3) | instskip(SKIP_1) | instid1(VALU_DEP_1)
	v_add3_u32 v83, v148, v84, v83
	v_mul_i32_i24_e32 v84, v81, v76
	v_add3_u32 v84, v149, v85, v84
	v_mul_i32_i24_e32 v85, v9, v0
	v_mul_i32_i24_e32 v9, v9, v135
	s_delay_alu instid0(VALU_DEP_2) | instskip(SKIP_2) | instid1(VALU_DEP_2)
	v_add3_u32 v85, v150, v86, v85
	v_mul_i32_i24_e32 v86, v102, v136
	v_mul_i32_i24_e32 v102, v99, v180
	v_add3_u32 v4, v167, v4, v86
	v_bfe_i32 v86, v47, 8, 8
	s_delay_alu instid0(VALU_DEP_1) | instskip(NEXT) | instid1(VALU_DEP_1)
	v_mul_i32_i24_e32 v90, v86, v181
	v_add3_u32 v90, v168, v91, v90
	v_mul_i32_i24_e32 v91, v86, v76
	s_delay_alu instid0(VALU_DEP_1) | instskip(SKIP_2) | instid1(VALU_DEP_2)
	v_add3_u32 v91, v169, v96, v91
	v_mul_i32_i24_e32 v96, v10, v0
	v_mul_i32_i24_e32 v10, v10, v135
	v_add3_u32 v96, v170, v97, v96
	v_mul_i32_i24_e32 v97, v100, v136
	s_delay_alu instid0(VALU_DEP_1) | instskip(SKIP_1) | instid1(VALU_DEP_1)
	v_add3_u32 v3, v171, v3, v97
	v_bfe_i32 v97, v45, 8, 8
	v_mul_i32_i24_e32 v100, v97, v181
	s_delay_alu instid0(VALU_DEP_1) | instskip(SKIP_1) | instid1(VALU_DEP_1)
	v_add3_u32 v100, v172, v102, v100
	v_mul_i32_i24_e32 v102, v97, v76
	v_add3_u32 v102, v255, v103, v102
	v_mul_i32_i24_e32 v103, v11, v0
	v_mul_i32_i24_e32 v0, v12, v0
	;; [unrolled: 1-line block ×4, first 2 shown]
	s_delay_alu instid0(VALU_DEP_4) | instskip(SKIP_2) | instid1(VALU_DEP_1)
	v_add3_u32 v50, v50, v126, v103
	v_mul_i32_i24_e32 v103, v2, v181
	v_mul_i32_i24_e32 v126, v44, v180
	v_add3_u32 v17, v17, v126, v103
	v_mul_i32_i24_e32 v103, v2, v76
	v_mul_i32_i24_e32 v126, v44, v78
	s_delay_alu instid0(VALU_DEP_1) | instskip(SKIP_1) | instid1(VALU_DEP_1)
	v_add3_u32 v18, v18, v126, v103
	v_mul_i32_i24_e32 v103, v116, v252
	v_add3_u32 v19, v19, v103, v0
	v_mul_i32_i24_e32 v0, v6, v154
	v_mul_i32_i24_e32 v6, v104, v136
	v_ashrrev_i32_e32 v103, 24, v41
	s_delay_alu instid0(VALU_DEP_2) | instskip(SKIP_1) | instid1(VALU_DEP_3)
	v_add3_u32 v6, v69, v0, v6
	v_bfe_i32 v69, v41, 8, 8
	v_mul_i32_i24_e32 v104, v103, v180
	s_delay_alu instid0(VALU_DEP_2) | instskip(NEXT) | instid1(VALU_DEP_1)
	v_mul_i32_i24_e32 v0, v69, v181
	v_add3_u32 v94, v94, v104, v0
	v_mul_i32_i24_e32 v0, v69, v76
	v_mul_i32_i24_e32 v104, v103, v78
	s_delay_alu instid0(VALU_DEP_1)
	v_add3_u32 v72, v72, v104, v0
	v_mul_i32_i24_e32 v0, v235, v16
	v_mul_i32_i24_e32 v16, v237, v118
	;; [unrolled: 1-line block ×3, first 2 shown]
	v_bfe_u32 v118, v20, 16, 4
	v_mul_i32_i24_e32 v14, v14, v158
	s_delay_alu instid0(VALU_DEP_4) | instskip(SKIP_1) | instid1(VALU_DEP_4)
	v_add3_u32 v16, v161, v0, v16
	v_mul_i32_i24_e32 v0, v235, v124
	v_mul_i32_i24_e32 v126, v51, v118
	s_delay_alu instid0(VALU_DEP_2) | instskip(SKIP_1) | instid1(VALU_DEP_1)
	v_add3_u32 v13, v166, v0, v13
	v_mul_i32_i24_e32 v0, v251, v135
	v_add3_u32 v88, v205, v0, v88
	v_mul_i32_i24_e32 v0, v152, v238
	s_delay_alu instid0(VALU_DEP_1)
	v_add3_u32 v98, v173, v98, v0
	v_add3_u32 v0, v77, v75, v67
	v_mul_i32_i24_e32 v67, v42, v181
	v_mul_i32_i24_e32 v75, v134, v180
	;; [unrolled: 1-line block ×4, first 2 shown]
	v_cvt_f32_i32_e32 v0, v0
	s_delay_alu instid0(VALU_DEP_4) | instskip(SKIP_3) | instid1(VALU_DEP_3)
	v_add3_u32 v67, v174, v75, v67
	v_mul_i32_i24_e32 v75, v42, v76
	v_mul_i32_i24_e32 v76, v156, v76
	;; [unrolled: 1-line block ×3, first 2 shown]
	v_add3_u32 v75, v175, v77, v75
	v_mul_i32_i24_e32 v77, v123, v238
	s_delay_alu instid0(VALU_DEP_1) | instskip(SKIP_1) | instid1(VALU_DEP_1)
	v_add3_u32 v77, v176, v104, v77
	v_and_b32_e32 v104, 15, v20
	v_mul_i32_i24_e32 v124, v8, v104
	v_mul_i32_i24_e32 v106, v105, v104
	s_delay_alu instid0(VALU_DEP_2) | instskip(SKIP_1) | instid1(VALU_DEP_1)
	v_add3_u32 v124, v182, v124, v126
	v_and_b32_e32 v126, 15, v58
	v_mul_i32_i24_e32 v136, v8, v126
	s_delay_alu instid0(VALU_DEP_1) | instskip(SKIP_4) | instid1(VALU_DEP_3)
	v_add3_u32 v79, v79, v136, v137
	v_mul_i32_i24_e32 v136, v15, v238
	v_mul_i32_i24_e32 v137, v22, v142
	;; [unrolled: 1-line block ×4, first 2 shown]
	v_add3_u32 v80, v80, v137, v136
	v_mul_i32_i24_e32 v136, v49, v118
	s_delay_alu instid0(VALU_DEP_3) | instskip(SKIP_1) | instid1(VALU_DEP_3)
	v_add3_u32 v5, v5, v22, v15
	v_bfe_i32 v15, v35, 0, 8
	v_add3_u32 v83, v83, v106, v136
	v_mul_i32_i24_e32 v106, v105, v126
	v_mul_i32_i24_e32 v136, v49, v127
	s_delay_alu instid0(VALU_DEP_1) | instskip(SKIP_4) | instid1(VALU_DEP_3)
	v_add3_u32 v84, v84, v106, v136
	v_mul_i32_i24_e32 v106, v62, v238
	v_mul_i32_i24_e32 v136, v34, v142
	;; [unrolled: 1-line block ×4, first 2 shown]
	v_add3_u32 v85, v85, v136, v106
	v_mul_i32_i24_e32 v106, v111, v133
	s_delay_alu instid0(VALU_DEP_1) | instskip(SKIP_2) | instid1(VALU_DEP_3)
	v_add3_u32 v4, v4, v106, v9
	v_bfe_i32 v9, v47, 0, 8
	v_bfe_i32 v47, v47, 16, 8
	v_add3_u32 v4, v4, v34, v62
	s_delay_alu instid0(VALU_DEP_3) | instskip(NEXT) | instid1(VALU_DEP_3)
	v_mul_i32_i24_e32 v106, v9, v104
	v_mul_i32_i24_e32 v111, v47, v118
	v_bfe_i32 v62, v39, 0, 8
	s_delay_alu instid0(VALU_DEP_2) | instskip(SKIP_2) | instid1(VALU_DEP_1)
	v_add3_u32 v90, v90, v106, v111
	v_mul_i32_i24_e32 v106, v9, v126
	v_mul_i32_i24_e32 v111, v47, v127
	v_add3_u32 v91, v91, v106, v111
	v_mul_i32_i24_e32 v106, v119, v238
	v_mul_i32_i24_e32 v111, v38, v142
	;; [unrolled: 1-line block ×3, first 2 shown]
	s_delay_alu instid0(VALU_DEP_2) | instskip(SKIP_2) | instid1(VALU_DEP_2)
	v_add3_u32 v96, v96, v111, v106
	v_mul_i32_i24_e32 v106, v114, v133
	v_lshrrev_b32_e32 v114, 28, v58
	v_add3_u32 v3, v3, v106, v10
	v_bfe_i32 v10, v45, 0, 8
	v_bfe_i32 v45, v45, 16, 8
	s_delay_alu instid0(VALU_DEP_2) | instskip(NEXT) | instid1(VALU_DEP_2)
	v_mul_i32_i24_e32 v106, v10, v104
	v_mul_i32_i24_e32 v111, v45, v118
	s_delay_alu instid0(VALU_DEP_1) | instskip(SKIP_2) | instid1(VALU_DEP_1)
	v_add3_u32 v100, v100, v106, v111
	v_mul_i32_i24_e32 v106, v10, v126
	v_mul_i32_i24_e32 v111, v45, v127
	v_add3_u32 v102, v102, v106, v111
	v_mul_i32_i24_e32 v106, v121, v238
	v_mul_i32_i24_e32 v111, v60, v142
	;; [unrolled: 1-line block ×3, first 2 shown]
	s_delay_alu instid0(VALU_DEP_2) | instskip(SKIP_1) | instid1(VALU_DEP_1)
	v_add3_u32 v50, v50, v111, v106
	v_mul_i32_i24_e32 v106, v115, v133
	v_add3_u32 v1, v1, v106, v11
	v_bfe_i32 v11, v43, 0, 8
	v_bfe_i32 v43, v43, 16, 8
	s_delay_alu instid0(VALU_DEP_2) | instskip(NEXT) | instid1(VALU_DEP_2)
	v_mul_i32_i24_e32 v106, v11, v104
	v_mul_i32_i24_e32 v111, v43, v118
	s_delay_alu instid0(VALU_DEP_1) | instskip(SKIP_2) | instid1(VALU_DEP_1)
	v_add3_u32 v17, v17, v106, v111
	v_mul_i32_i24_e32 v106, v11, v126
	v_mul_i32_i24_e32 v111, v43, v127
	v_add3_u32 v18, v18, v106, v111
	v_mul_i32_i24_e32 v106, v56, v238
	v_mul_i32_i24_e32 v111, v54, v142
	;; [unrolled: 1-line block ×4, first 2 shown]
	s_delay_alu instid0(VALU_DEP_3) | instskip(SKIP_1) | instid1(VALU_DEP_1)
	v_add3_u32 v19, v19, v111, v106
	v_mul_i32_i24_e32 v106, v116, v133
	v_add3_u32 v6, v6, v106, v12
	v_bfe_i32 v12, v41, 0, 8
	v_bfe_i32 v106, v41, 16, 8
	s_delay_alu instid0(VALU_DEP_3) | instskip(NEXT) | instid1(VALU_DEP_3)
	v_add3_u32 v6, v6, v54, v56
	v_mul_i32_i24_e32 v41, v12, v104
	s_delay_alu instid0(VALU_DEP_3) | instskip(SKIP_2) | instid1(VALU_DEP_3)
	v_mul_i32_i24_e32 v111, v106, v118
	v_bfe_i32 v54, v57, 0, 8
	v_ashrrev_i32_e32 v56, 24, v57
	v_add3_u32 v41, v94, v41, v111
	v_mul_i32_i24_e32 v94, v12, v126
	v_mul_i32_i24_e32 v111, v106, v127
	s_delay_alu instid0(VALU_DEP_1) | instskip(SKIP_2) | instid1(VALU_DEP_1)
	v_add3_u32 v72, v72, v94, v111
	v_mul_i32_i24_e32 v94, v156, v181
	v_mul_i32_i24_e32 v111, v143, v104
	v_add3_u32 v16, v16, v94, v111
	v_mul_i32_i24_e32 v94, v143, v126
	s_delay_alu instid0(VALU_DEP_1) | instskip(SKIP_2) | instid1(VALU_DEP_1)
	v_add3_u32 v13, v13, v76, v94
	v_mul_i32_i24_e32 v76, v237, v133
	v_mul_i32_i24_e32 v94, v235, v128
	v_add3_u32 v76, v88, v94, v76
	v_mul_i32_i24_e32 v88, v134, v144
	v_mul_i32_i24_e32 v94, v117, v118
	;; [unrolled: 1-line block ×3, first 2 shown]
	s_delay_alu instid0(VALU_DEP_3) | instskip(SKIP_2) | instid1(VALU_DEP_2)
	v_add3_u32 v42, v98, v88, v42
	v_mul_i32_i24_e32 v88, v87, v104
	v_ashrrev_i32_e32 v98, 24, v23
	v_add3_u32 v67, v67, v88, v94
	v_mul_i32_i24_e32 v88, v87, v126
	v_mul_i32_i24_e32 v94, v117, v127
	s_delay_alu instid0(VALU_DEP_4) | instskip(NEXT) | instid1(VALU_DEP_2)
	v_mul_i32_i24_e32 v116, v98, v114
	v_add3_u32 v75, v75, v88, v94
	v_mul_i32_i24_e32 v88, v179, v144
	v_mul_i32_i24_e32 v94, v178, v157
	s_delay_alu instid0(VALU_DEP_1) | instskip(SKIP_3) | instid1(VALU_DEP_3)
	v_add3_u32 v77, v77, v88, v94
	v_mul_i32_i24_e32 v88, v123, v128
	v_bfe_i32 v94, v23, 0, 8
	v_bfe_u32 v123, v59, 24, 4
	v_add3_u32 v7, v7, v14, v88
	v_bfe_u32 v14, v20, 4, 4
	v_lshrrev_b32_e32 v88, 28, v20
	s_delay_alu instid0(VALU_DEP_2) | instskip(NEXT) | instid1(VALU_DEP_2)
	v_mul_i32_i24_e32 v104, v94, v14
	v_mul_i32_i24_e32 v111, v98, v88
	;; [unrolled: 1-line block ×4, first 2 shown]
	s_delay_alu instid0(VALU_DEP_3) | instskip(SKIP_1) | instid1(VALU_DEP_1)
	v_add3_u32 v104, v124, v111, v104
	v_bfe_u32 v111, v58, 4, 4
	v_mul_i32_i24_e32 v115, v94, v111
	s_delay_alu instid0(VALU_DEP_1) | instskip(SKIP_4) | instid1(VALU_DEP_3)
	v_add3_u32 v79, v79, v116, v115
	v_mul_i32_i24_e32 v115, v82, v144
	v_mul_i32_i24_e32 v116, v81, v157
	v_mul_i32_i24_e32 v82, v82, v139
	v_mul_i32_i24_e32 v81, v81, v40
	v_add3_u32 v80, v80, v115, v116
	v_ashrrev_i32_e32 v115, 24, v35
	s_delay_alu instid0(VALU_DEP_3) | instskip(SKIP_2) | instid1(VALU_DEP_4)
	v_add3_u32 v5, v5, v82, v81
	v_bfe_i32 v81, v35, 8, 8
	v_bfe_i32 v82, v35, 16, 8
	v_mul_i32_i24_e32 v116, v115, v88
	s_delay_alu instid0(VALU_DEP_1) | instskip(SKIP_2) | instid1(VALU_DEP_1)
	v_add3_u32 v22, v83, v116, v22
	v_mul_i32_i24_e32 v83, v15, v111
	v_mul_i32_i24_e32 v116, v115, v114
	v_add3_u32 v83, v84, v116, v83
	v_mul_i32_i24_e32 v84, v89, v144
	v_mul_i32_i24_e32 v116, v86, v157
	s_delay_alu instid0(VALU_DEP_1) | instskip(SKIP_1) | instid1(VALU_DEP_1)
	v_add3_u32 v84, v85, v84, v116
	v_ashrrev_i32_e32 v85, 24, v39
	v_mul_i32_i24_e32 v116, v85, v88
	s_delay_alu instid0(VALU_DEP_1) | instskip(SKIP_2) | instid1(VALU_DEP_1)
	v_add3_u32 v34, v90, v116, v34
	v_mul_i32_i24_e32 v90, v62, v111
	v_mul_i32_i24_e32 v116, v85, v114
	v_add3_u32 v90, v91, v116, v90
	v_mul_i32_i24_e32 v91, v99, v144
	v_mul_i32_i24_e32 v116, v97, v157
	s_delay_alu instid0(VALU_DEP_1) | instskip(SKIP_2) | instid1(VALU_DEP_2)
	v_add3_u32 v91, v96, v91, v116
	v_mul_i32_i24_e32 v96, v119, v128
	v_ashrrev_i32_e32 v116, 24, v53
	v_add3_u32 v3, v3, v38, v96
	v_bfe_i32 v96, v53, 0, 8
	s_delay_alu instid0(VALU_DEP_3) | instskip(NEXT) | instid1(VALU_DEP_2)
	v_mul_i32_i24_e32 v119, v116, v88
	v_mul_i32_i24_e32 v38, v96, v14
	s_delay_alu instid0(VALU_DEP_1) | instskip(SKIP_2) | instid1(VALU_DEP_1)
	v_add3_u32 v38, v100, v119, v38
	v_mul_i32_i24_e32 v100, v96, v111
	v_mul_i32_i24_e32 v119, v116, v114
	v_add3_u32 v100, v102, v119, v100
	v_mul_i32_i24_e32 v102, v44, v144
	v_mul_i32_i24_e32 v119, v2, v157
	;; [unrolled: 1-line block ×3, first 2 shown]
	s_delay_alu instid0(VALU_DEP_2) | instskip(SKIP_1) | instid1(VALU_DEP_1)
	v_add3_u32 v50, v50, v102, v119
	v_mul_i32_i24_e32 v102, v121, v128
	v_add3_u32 v1, v1, v60, v102
	v_bfe_i32 v60, v55, 0, 8
	v_ashrrev_i32_e32 v102, 24, v55
	s_delay_alu instid0(VALU_DEP_2) | instskip(NEXT) | instid1(VALU_DEP_2)
	v_mul_i32_i24_e32 v119, v60, v14
	v_mul_i32_i24_e32 v121, v102, v88
	s_delay_alu instid0(VALU_DEP_1) | instskip(SKIP_2) | instid1(VALU_DEP_1)
	v_add3_u32 v17, v17, v121, v119
	v_mul_i32_i24_e32 v119, v60, v111
	v_mul_i32_i24_e32 v121, v102, v114
	v_add3_u32 v18, v18, v121, v119
	v_mul_i32_i24_e32 v119, v103, v144
	v_mul_i32_i24_e32 v121, v69, v157
	s_delay_alu instid0(VALU_DEP_1) | instskip(SKIP_2) | instid1(VALU_DEP_1)
	v_add3_u32 v19, v19, v119, v121
	v_mul_i32_i24_e32 v119, v54, v14
	v_mul_i32_i24_e32 v121, v56, v88
	v_add3_u32 v41, v41, v121, v119
	v_mul_i32_i24_e32 v119, v54, v111
	v_mul_i32_i24_e32 v121, v56, v114
	s_delay_alu instid0(VALU_DEP_1) | instskip(SKIP_2) | instid1(VALU_DEP_2)
	v_add3_u32 v72, v72, v121, v119
	v_mul_i32_i24_e32 v119, v240, v180
	v_bfe_u32 v121, v59, 8, 4
	v_add3_u32 v16, v16, v118, v119
	v_mul_i32_i24_e32 v118, v242, v127
	s_delay_alu instid0(VALU_DEP_1) | instskip(SKIP_2) | instid1(VALU_DEP_1)
	v_add3_u32 v13, v13, v118, v78
	v_mul_i32_i24_e32 v78, v143, v250
	v_mul_i32_i24_e32 v118, v156, v40
	v_add3_u32 v76, v76, v118, v78
	v_mul_i32_i24_e32 v78, v87, v246
	v_mul_i32_i24_e32 v87, v117, v244
	s_delay_alu instid0(VALU_DEP_1) | instskip(SKIP_4) | instid1(VALU_DEP_3)
	v_add3_u32 v42, v42, v78, v87
	v_mul_i32_i24_e32 v78, v132, v14
	v_mul_i32_i24_e32 v87, v131, v88
	;; [unrolled: 1-line block ×4, first 2 shown]
	v_add3_u32 v67, v67, v87, v78
	v_mul_i32_i24_e32 v78, v132, v111
	v_mul_i32_i24_e32 v87, v131, v114
	s_delay_alu instid0(VALU_DEP_1) | instskip(SKIP_3) | instid1(VALU_DEP_2)
	v_add3_u32 v75, v75, v87, v78
	v_mul_i32_i24_e32 v78, v8, v246
	v_mul_i32_i24_e32 v87, v51, v244
	;; [unrolled: 1-line block ×3, first 2 shown]
	v_add3_u32 v77, v77, v78, v87
	v_mul_i32_i24_e32 v78, v179, v139
	v_mul_i32_i24_e32 v87, v178, v40
	s_delay_alu instid0(VALU_DEP_1) | instskip(SKIP_4) | instid1(VALU_DEP_2)
	v_add3_u32 v7, v7, v78, v87
	v_bfe_i32 v78, v23, 8, 8
	v_bfe_i32 v87, v23, 16, 8
	v_bfe_u32 v23, v20, 12, 4
	v_bfe_u32 v20, v20, 20, 4
	v_mul_i32_i24_e32 v117, v78, v23
	s_delay_alu instid0(VALU_DEP_2) | instskip(SKIP_1) | instid1(VALU_DEP_2)
	v_mul_i32_i24_e32 v118, v87, v20
	v_mul_i32_i24_e32 v35, v81, v23
	v_add3_u32 v104, v104, v117, v118
	v_bfe_u32 v117, v58, 12, 4
	v_bfe_u32 v58, v58, 20, 4
	s_delay_alu instid0(VALU_DEP_2) | instskip(NEXT) | instid1(VALU_DEP_2)
	v_mul_i32_i24_e32 v118, v78, v117
	v_mul_i32_i24_e32 v119, v87, v58
	s_delay_alu instid0(VALU_DEP_1) | instskip(SKIP_2) | instid1(VALU_DEP_1)
	v_add3_u32 v79, v79, v118, v119
	v_mul_i32_i24_e32 v118, v105, v246
	v_mul_i32_i24_e32 v119, v49, v244
	v_add3_u32 v80, v80, v118, v119
	v_mul_i32_i24_e32 v118, v82, v20
	s_delay_alu instid0(VALU_DEP_1) | instskip(SKIP_2) | instid1(VALU_DEP_1)
	v_add3_u32 v118, v22, v35, v118
	v_mul_i32_i24_e32 v22, v81, v117
	v_mul_i32_i24_e32 v35, v82, v58
	v_add3_u32 v83, v83, v22, v35
	v_mul_i32_i24_e32 v22, v9, v246
	v_mul_i32_i24_e32 v35, v47, v244
	;; [unrolled: 1-line block ×3, first 2 shown]
	s_delay_alu instid0(VALU_DEP_2) | instskip(SKIP_4) | instid1(VALU_DEP_3)
	v_add3_u32 v84, v84, v22, v35
	v_mul_i32_i24_e32 v22, v89, v139
	v_mul_i32_i24_e32 v35, v86, v40
	v_bfe_i32 v86, v39, 8, 8
	v_bfe_i32 v89, v39, 16, 8
	v_add3_u32 v4, v4, v22, v35
	s_delay_alu instid0(VALU_DEP_3) | instskip(NEXT) | instid1(VALU_DEP_3)
	v_mul_i32_i24_e32 v22, v86, v23
	v_mul_i32_i24_e32 v35, v89, v20
	s_delay_alu instid0(VALU_DEP_1) | instskip(SKIP_2) | instid1(VALU_DEP_1)
	v_add3_u32 v119, v34, v22, v35
	v_mul_i32_i24_e32 v22, v86, v117
	v_mul_i32_i24_e32 v34, v89, v58
	v_add3_u32 v90, v90, v22, v34
	v_mul_i32_i24_e32 v22, v10, v246
	v_mul_i32_i24_e32 v34, v45, v244
	;; [unrolled: 1-line block ×3, first 2 shown]
	s_delay_alu instid0(VALU_DEP_2) | instskip(SKIP_4) | instid1(VALU_DEP_3)
	v_add3_u32 v91, v91, v22, v34
	v_mul_i32_i24_e32 v22, v99, v139
	v_mul_i32_i24_e32 v34, v97, v40
	v_bfe_i32 v97, v53, 8, 8
	v_bfe_i32 v53, v53, 16, 8
	v_add3_u32 v3, v3, v22, v34
	s_delay_alu instid0(VALU_DEP_3) | instskip(NEXT) | instid1(VALU_DEP_3)
	v_mul_i32_i24_e32 v22, v97, v23
	v_mul_i32_i24_e32 v34, v53, v20
	s_delay_alu instid0(VALU_DEP_1) | instskip(SKIP_2) | instid1(VALU_DEP_1)
	v_add3_u32 v99, v38, v22, v34
	v_mul_i32_i24_e32 v22, v97, v117
	v_mul_i32_i24_e32 v34, v53, v58
	v_add3_u32 v100, v100, v22, v34
	v_mul_i32_i24_e32 v22, v11, v246
	v_mul_i32_i24_e32 v34, v43, v244
	;; [unrolled: 1-line block ×3, first 2 shown]
	s_delay_alu instid0(VALU_DEP_2) | instskip(SKIP_1) | instid1(VALU_DEP_1)
	v_add3_u32 v50, v50, v22, v34
	v_mul_i32_i24_e32 v22, v44, v139
	v_add3_u32 v1, v1, v22, v2
	v_bfe_i32 v2, v55, 8, 8
	v_bfe_i32 v55, v55, 16, 8
	s_delay_alu instid0(VALU_DEP_2) | instskip(NEXT) | instid1(VALU_DEP_2)
	v_mul_i32_i24_e32 v22, v2, v23
	v_mul_i32_i24_e32 v34, v55, v20
	s_delay_alu instid0(VALU_DEP_1) | instskip(SKIP_2) | instid1(VALU_DEP_1)
	v_add3_u32 v17, v17, v22, v34
	v_mul_i32_i24_e32 v22, v2, v117
	v_mul_i32_i24_e32 v34, v55, v58
	v_add3_u32 v18, v18, v22, v34
	v_mul_i32_i24_e32 v22, v12, v246
	v_mul_i32_i24_e32 v34, v106, v244
	;; [unrolled: 1-line block ×3, first 2 shown]
	s_delay_alu instid0(VALU_DEP_2) | instskip(SKIP_4) | instid1(VALU_DEP_3)
	v_add3_u32 v19, v19, v22, v34
	v_mul_i32_i24_e32 v22, v69, v40
	v_mul_i32_i24_e32 v34, v103, v139
	v_bfe_i32 v69, v57, 8, 8
	v_bfe_i32 v57, v57, 16, 8
	v_add3_u32 v6, v6, v34, v22
	s_delay_alu instid0(VALU_DEP_3) | instskip(NEXT) | instid1(VALU_DEP_3)
	v_mul_i32_i24_e32 v22, v69, v23
	v_mul_i32_i24_e32 v34, v57, v20
	s_delay_alu instid0(VALU_DEP_1) | instskip(SKIP_2) | instid1(VALU_DEP_1)
	v_add3_u32 v103, v41, v22, v34
	v_mul_i32_i24_e32 v22, v69, v117
	v_mul_i32_i24_e32 v34, v57, v58
	v_add3_u32 v72, v72, v22, v34
	v_mul_i32_i24_e32 v22, v153, v23
	v_mul_i32_i24_e32 v34, v131, v232
	s_delay_alu instid0(VALU_DEP_2) | instskip(SKIP_2) | instid1(VALU_DEP_1)
	v_add3_u32 v14, v16, v14, v22
	v_mul_i32_i24_e32 v16, v231, v111
	v_mul_i32_i24_e32 v22, v153, v117
	v_add3_u32 v13, v13, v16, v22
	v_mul_i32_i24_e32 v16, v240, v139
	v_mul_i32_i24_e32 v22, v242, v247
	s_delay_alu instid0(VALU_DEP_1) | instskip(SKIP_1) | instid1(VALU_DEP_1)
	v_add3_u32 v16, v76, v22, v16
	v_mul_i32_i24_e32 v22, v132, v233
	v_add3_u32 v76, v42, v34, v22
	v_mul_i32_i24_e32 v22, v155, v23
	v_mul_i32_i24_e32 v23, v140, v20
	;; [unrolled: 1-line block ×3, first 2 shown]
	s_delay_alu instid0(VALU_DEP_2) | instskip(SKIP_2) | instid1(VALU_DEP_4)
	v_add3_u32 v67, v67, v22, v23
	v_mul_i32_i24_e32 v22, v155, v117
	v_mul_i32_i24_e32 v23, v140, v58
	v_add3_u32 v14, v14, v20, v88
	v_mul_i32_i24_e32 v20, v217, v58
	v_mul_i32_i24_e32 v58, v215, v114
	s_delay_alu instid0(VALU_DEP_4) | instskip(SKIP_2) | instid1(VALU_DEP_4)
	v_add3_u32 v75, v75, v22, v23
	v_mul_i32_i24_e32 v22, v94, v233
	v_mul_i32_i24_e32 v23, v98, v232
	v_add3_u32 v13, v13, v20, v58
	v_mul_i32_i24_e32 v20, v231, v145
	v_mul_i32_i24_e32 v58, v153, v130
	s_delay_alu instid0(VALU_DEP_4) | instskip(SKIP_2) | instid1(VALU_DEP_4)
	v_add3_u32 v77, v77, v23, v22
	v_mul_i32_i24_e32 v22, v51, v247
	v_bfe_u32 v51, v21, 24, 4
	v_add3_u32 v16, v16, v20, v58
	v_mul_i32_i24_e32 v20, v140, v220
	v_mul_i32_i24_e32 v58, v155, v151
	v_add3_u32 v7, v7, v8, v22
	v_add_nc_u32_e32 v8, 0x800, v160
	s_delay_alu instid0(VALU_DEP_3) | instskip(SKIP_3) | instid1(VALU_DEP_1)
	v_add3_u32 v20, v76, v58, v20
	v_mul_i32_i24_e32 v76, v254, v51
	ds_load_2addr_b32 v[22:23], v8 offset1:3
	v_bfe_u32 v8, v21, 8, 4
	v_mul_i32_i24_e32 v58, v68, v8
	s_delay_alu instid0(VALU_DEP_1) | instskip(SKIP_3) | instid1(VALU_DEP_2)
	v_add3_u32 v58, v67, v76, v58
	v_mul_i32_i24_e32 v67, v68, v121
	v_mul_i32_i24_e32 v76, v254, v123
	;; [unrolled: 1-line block ×3, first 2 shown]
	v_add3_u32 v67, v75, v76, v67
	v_mul_i32_i24_e32 v75, v87, v220
	s_wait_dscnt 0x0
	v_bfe_i32 v111, v23, 8, 8
	v_ashrrev_i32_e32 v117, 24, v23
	v_mul_i32_i24_e32 v76, v78, v151
	v_bfe_i32 v88, v23, 0, 8
	v_bfe_i32 v23, v23, 16, 8
	v_mul_i32_i24_e32 v34, v111, v8
	v_mul_i32_i24_e32 v35, v117, v51
	v_add3_u32 v75, v77, v76, v75
	v_mul_i32_i24_e32 v76, v94, v145
	v_mul_i32_i24_e32 v77, v98, v253
	s_delay_alu instid0(VALU_DEP_4) | instskip(SKIP_2) | instid1(VALU_DEP_4)
	v_add3_u32 v104, v104, v35, v34
	v_mul_i32_i24_e32 v34, v111, v121
	v_mul_i32_i24_e32 v35, v117, v123
	v_add3_u32 v7, v7, v77, v76
	v_and_b32_e32 v76, 15, v21
	v_bfe_u32 v77, v21, 16, 4
	s_delay_alu instid0(VALU_DEP_4)
	v_add3_u32 v79, v79, v35, v34
	v_mul_i32_i24_e32 v34, v15, v233
	v_mul_i32_i24_e32 v35, v115, v232
	;; [unrolled: 1-line block ×5, first 2 shown]
	s_delay_alu instid0(VALU_DEP_4)
	v_add3_u32 v80, v80, v35, v34
	v_mul_i32_i24_e32 v34, v105, v250
	v_mul_i32_i24_e32 v35, v49, v247
	v_add3_u32 v94, v104, v94, v98
	v_and_b32_e32 v98, 15, v59
	v_bfe_u32 v104, v59, 16, 4
	s_delay_alu instid0(VALU_DEP_4)
	v_add3_u32 v5, v5, v34, v35
	ds_load_2addr_b32 v[34:35], v71 offset1:3
	v_mul_i32_i24_e32 v114, v23, v104
	s_wait_dscnt 0x0
	v_bfe_i32 v49, v35, 8, 8
	v_ashrrev_i32_e32 v71, 24, v35
	s_delay_alu instid0(VALU_DEP_2) | instskip(NEXT) | instid1(VALU_DEP_2)
	v_mul_i32_i24_e32 v38, v49, v8
	v_mul_i32_i24_e32 v39, v71, v51
	s_delay_alu instid0(VALU_DEP_1) | instskip(SKIP_2) | instid1(VALU_DEP_1)
	v_add3_u32 v105, v118, v39, v38
	v_mul_i32_i24_e32 v38, v49, v121
	v_mul_i32_i24_e32 v39, v71, v123
	v_add3_u32 v83, v83, v39, v38
	v_mul_i32_i24_e32 v38, v62, v233
	v_mul_i32_i24_e32 v39, v85, v232
	;; [unrolled: 1-line block ×4, first 2 shown]
	s_delay_alu instid0(VALU_DEP_3) | instskip(SKIP_1) | instid1(VALU_DEP_1)
	v_add3_u32 v84, v84, v39, v38
	v_mul_i32_i24_e32 v38, v47, v247
	v_add3_u32 v4, v4, v9, v38
	v_add_nc_u32_e32 v9, 0x1000, v160
	v_add_nc_u32_e32 v160, 32, v160
	s_delay_alu instid0(VALU_DEP_3)
	v_add3_u32 v4, v4, v85, v62
	ds_load_2addr_b32 v[38:39], v9 offset1:3
	s_wait_dscnt 0x0
	v_bfe_i32 v9, v39, 8, 8
	v_ashrrev_i32_e32 v47, 24, v39
	v_bfe_i32 v62, v39, 0, 8
	v_bfe_i32 v39, v39, 16, 8
	s_delay_alu instid0(VALU_DEP_4) | instskip(NEXT) | instid1(VALU_DEP_4)
	v_mul_i32_i24_e32 v40, v9, v8
	v_mul_i32_i24_e32 v41, v47, v51
	s_delay_alu instid0(VALU_DEP_4) | instskip(NEXT) | instid1(VALU_DEP_2)
	v_mul_i32_i24_e32 v85, v62, v76
	v_add3_u32 v118, v119, v41, v40
	v_mul_i32_i24_e32 v40, v9, v121
	v_mul_i32_i24_e32 v41, v47, v123
	s_delay_alu instid0(VALU_DEP_1) | instskip(SKIP_3) | instid1(VALU_DEP_2)
	v_add3_u32 v90, v90, v41, v40
	v_mul_i32_i24_e32 v40, v96, v233
	v_mul_i32_i24_e32 v41, v116, v232
	;; [unrolled: 1-line block ×3, first 2 shown]
	v_add3_u32 v91, v91, v41, v40
	v_mul_i32_i24_e32 v40, v45, v247
	s_delay_alu instid0(VALU_DEP_1) | instskip(SKIP_4) | instid1(VALU_DEP_2)
	v_add3_u32 v3, v3, v10, v40
	ds_load_2addr_b32 v[40:41], v122 offset1:3
	s_wait_dscnt 0x0
	v_bfe_i32 v10, v41, 8, 8
	v_ashrrev_i32_e32 v119, 24, v41
	v_mul_i32_i24_e32 v42, v10, v8
	s_delay_alu instid0(VALU_DEP_2) | instskip(NEXT) | instid1(VALU_DEP_1)
	v_mul_i32_i24_e32 v44, v119, v51
	v_add3_u32 v99, v99, v44, v42
	v_mul_i32_i24_e32 v42, v10, v121
	v_mul_i32_i24_e32 v44, v119, v123
	s_delay_alu instid0(VALU_DEP_1) | instskip(SKIP_4) | instid1(VALU_DEP_3)
	v_add3_u32 v100, v100, v44, v42
	v_mul_i32_i24_e32 v42, v60, v233
	v_mul_i32_i24_e32 v44, v102, v232
	;; [unrolled: 1-line block ×4, first 2 shown]
	v_add3_u32 v50, v50, v44, v42
	v_mul_i32_i24_e32 v42, v43, v247
	s_delay_alu instid0(VALU_DEP_1)
	v_add3_u32 v1, v1, v11, v42
	ds_load_2addr_b32 v[42:43], v73 offset1:3
	v_add3_u32 v1, v1, v102, v60
	s_wait_dscnt 0x0
	v_bfe_i32 v11, v43, 8, 8
	v_ashrrev_i32_e32 v73, 24, v43
	v_bfe_i32 v60, v43, 0, 8
	v_bfe_i32 v43, v43, 16, 8
	s_delay_alu instid0(VALU_DEP_4) | instskip(NEXT) | instid1(VALU_DEP_4)
	v_mul_i32_i24_e32 v44, v11, v8
	v_mul_i32_i24_e32 v45, v73, v51
	s_delay_alu instid0(VALU_DEP_4) | instskip(NEXT) | instid1(VALU_DEP_2)
	v_mul_i32_i24_e32 v102, v60, v76
	v_add3_u32 v17, v17, v45, v44
	v_mul_i32_i24_e32 v44, v11, v121
	v_mul_i32_i24_e32 v45, v73, v123
	s_delay_alu instid0(VALU_DEP_1) | instskip(SKIP_4) | instid1(VALU_DEP_3)
	v_add3_u32 v18, v18, v45, v44
	v_mul_i32_i24_e32 v44, v54, v233
	v_mul_i32_i24_e32 v45, v56, v232
	;; [unrolled: 1-line block ×4, first 2 shown]
	v_add3_u32 v19, v19, v45, v44
	v_mul_i32_i24_e32 v44, v106, v247
	s_delay_alu instid0(VALU_DEP_1)
	v_add3_u32 v6, v6, v12, v44
	ds_load_2addr_b32 v[44:45], v74 offset1:3
	v_add3_u32 v6, v6, v56, v54
	s_wait_dscnt 0x0
	v_bfe_i32 v12, v45, 8, 8
	v_ashrrev_i32_e32 v74, 24, v45
	v_bfe_i32 v54, v45, 0, 8
	v_bfe_i32 v45, v45, 16, 8
	s_delay_alu instid0(VALU_DEP_4) | instskip(NEXT) | instid1(VALU_DEP_4)
	v_mul_i32_i24_e32 v106, v12, v8
	v_mul_i32_i24_e32 v122, v74, v51
	s_delay_alu instid0(VALU_DEP_4) | instskip(SKIP_2) | instid1(VALU_DEP_4)
	v_mul_i32_i24_e32 v56, v54, v76
	v_mul_i32_i24_e32 v8, v212, v8
	;; [unrolled: 1-line block ×3, first 2 shown]
	v_add3_u32 v103, v103, v122, v106
	v_mul_i32_i24_e32 v106, v12, v121
	v_mul_i32_i24_e32 v122, v74, v123
	s_delay_alu instid0(VALU_DEP_1) | instskip(SKIP_1) | instid1(VALU_DEP_1)
	v_add3_u32 v72, v72, v122, v106
	v_mul_i32_i24_e32 v106, v88, v98
	v_add3_u32 v79, v79, v106, v114
	v_mul_i32_i24_e32 v106, v82, v220
	v_mul_i32_i24_e32 v114, v81, v151
	;; [unrolled: 1-line block ×4, first 2 shown]
	s_delay_alu instid0(VALU_DEP_3) | instskip(SKIP_1) | instid1(VALU_DEP_1)
	v_add3_u32 v80, v80, v114, v106
	v_mul_i32_i24_e32 v106, v115, v253
	v_add3_u32 v5, v5, v106, v15
	v_bfe_i32 v15, v35, 0, 8
	v_bfe_i32 v35, v35, 16, 8
	s_delay_alu instid0(VALU_DEP_3) | instskip(NEXT) | instid1(VALU_DEP_3)
	v_add3_u32 v5, v5, v81, v82
	v_mul_i32_i24_e32 v106, v15, v76
	s_delay_alu instid0(VALU_DEP_3) | instskip(SKIP_2) | instid1(VALU_DEP_3)
	v_mul_i32_i24_e32 v114, v35, v77
	v_bfe_i32 v81, v27, 0, 8
	v_ashrrev_i32_e32 v82, 24, v27
	v_add3_u32 v105, v105, v106, v114
	v_mul_i32_i24_e32 v106, v15, v98
	v_mul_i32_i24_e32 v114, v35, v104
	s_delay_alu instid0(VALU_DEP_1) | instskip(SKIP_4) | instid1(VALU_DEP_3)
	v_add3_u32 v83, v83, v106, v114
	v_mul_i32_i24_e32 v106, v89, v220
	v_mul_i32_i24_e32 v114, v86, v151
	v_mul_i32_i24_e32 v89, v89, v245
	v_mul_i32_i24_e32 v86, v86, v130
	v_add3_u32 v84, v84, v114, v106
	v_mul_i32_i24_e32 v106, v39, v77
	v_mul_i32_i24_e32 v114, v39, v104
	s_delay_alu instid0(VALU_DEP_4) | instskip(SKIP_4) | instid1(VALU_DEP_1)
	v_add3_u32 v4, v4, v86, v89
	v_bfe_i32 v86, v29, 0, 8
	v_ashrrev_i32_e32 v89, 24, v29
	v_add3_u32 v85, v118, v85, v106
	v_mul_i32_i24_e32 v106, v62, v98
	v_add3_u32 v90, v90, v106, v114
	v_mul_i32_i24_e32 v106, v53, v220
	v_mul_i32_i24_e32 v114, v97, v151
	;; [unrolled: 1-line block ×4, first 2 shown]
	s_delay_alu instid0(VALU_DEP_3) | instskip(SKIP_1) | instid1(VALU_DEP_1)
	v_add3_u32 v91, v91, v114, v106
	v_mul_i32_i24_e32 v106, v116, v253
	v_add3_u32 v3, v3, v106, v96
	v_bfe_i32 v96, v41, 0, 8
	v_bfe_i32 v41, v41, 16, 8
	s_delay_alu instid0(VALU_DEP_3) | instskip(NEXT) | instid1(VALU_DEP_3)
	v_add3_u32 v3, v3, v97, v53
	v_mul_i32_i24_e32 v106, v96, v76
	s_delay_alu instid0(VALU_DEP_3) | instskip(SKIP_2) | instid1(VALU_DEP_3)
	v_mul_i32_i24_e32 v114, v41, v77
	v_bfe_i32 v53, v31, 0, 8
	v_ashrrev_i32_e32 v97, 24, v31
	v_add3_u32 v99, v99, v106, v114
	v_mul_i32_i24_e32 v106, v96, v98
	v_mul_i32_i24_e32 v114, v41, v104
	s_delay_alu instid0(VALU_DEP_1) | instskip(SKIP_4) | instid1(VALU_DEP_3)
	v_add3_u32 v100, v100, v106, v114
	v_mul_i32_i24_e32 v106, v55, v220
	v_mul_i32_i24_e32 v114, v2, v151
	;; [unrolled: 1-line block ×4, first 2 shown]
	v_add3_u32 v50, v50, v114, v106
	v_mul_i32_i24_e32 v106, v43, v77
	s_delay_alu instid0(VALU_DEP_3) | instskip(SKIP_2) | instid1(VALU_DEP_4)
	v_add3_u32 v1, v1, v2, v55
	v_bfe_i32 v2, v33, 0, 8
	v_ashrrev_i32_e32 v55, 24, v33
	v_add3_u32 v17, v17, v102, v106
	v_mul_i32_i24_e32 v102, v60, v98
	v_mul_i32_i24_e32 v106, v43, v104
	s_delay_alu instid0(VALU_DEP_1) | instskip(SKIP_4) | instid1(VALU_DEP_3)
	v_add3_u32 v18, v18, v102, v106
	v_mul_i32_i24_e32 v102, v57, v220
	v_mul_i32_i24_e32 v106, v69, v151
	;; [unrolled: 1-line block ×4, first 2 shown]
	v_add3_u32 v19, v19, v106, v102
	v_mul_i32_i24_e32 v102, v45, v77
	s_delay_alu instid0(VALU_DEP_3) | instskip(SKIP_2) | instid1(VALU_DEP_4)
	v_add3_u32 v6, v6, v69, v57
	v_bfe_i32 v57, v37, 0, 8
	v_ashrrev_i32_e32 v69, 24, v37
	v_add3_u32 v56, v103, v56, v102
	v_mul_i32_i24_e32 v102, v54, v98
	v_mul_i32_i24_e32 v103, v45, v104
	s_delay_alu instid0(VALU_DEP_1) | instskip(SKIP_1) | instid1(VALU_DEP_1)
	v_add3_u32 v72, v72, v102, v103
	v_mul_i32_i24_e32 v102, v236, v76
	v_add3_u32 v8, v14, v8, v102
	v_mul_i32_i24_e32 v14, v212, v121
	v_mul_i32_i24_e32 v102, v236, v98
	s_delay_alu instid0(VALU_DEP_1) | instskip(SKIP_2) | instid1(VALU_DEP_1)
	v_add3_u32 v13, v13, v14, v102
	v_mul_i32_i24_e32 v14, v215, v253
	v_mul_i32_i24_e32 v102, v217, v245
	v_add3_u32 v14, v16, v102, v14
	v_mul_i32_i24_e32 v16, v254, v239
	s_delay_alu instid0(VALU_DEP_1) | instskip(SKIP_4) | instid1(VALU_DEP_3)
	v_add3_u32 v16, v20, v16, v68
	v_mul_i32_i24_e32 v20, v241, v76
	v_mul_i32_i24_e32 v68, v243, v77
	v_bfe_i32 v76, v25, 0, 8
	v_mul_i32_i24_e32 v77, v225, v77
	v_add3_u32 v20, v58, v20, v68
	v_mul_i32_i24_e32 v58, v241, v98
	v_mul_i32_i24_e32 v68, v243, v104
	s_delay_alu instid0(VALU_DEP_4) | instskip(SKIP_2) | instid1(VALU_DEP_4)
	v_add3_u32 v8, v8, v77, v51
	v_mul_i32_i24_e32 v51, v225, v104
	v_mul_i32_i24_e32 v77, v227, v123
	v_add3_u32 v58, v67, v58, v68
	v_mul_i32_i24_e32 v67, v117, v239
	v_mul_i32_i24_e32 v68, v111, v129
	s_delay_alu instid0(VALU_DEP_4) | instskip(SKIP_2) | instid1(VALU_DEP_4)
	v_add3_u32 v13, v13, v51, v77
	v_mul_i32_i24_e32 v51, v236, v221
	v_mul_i32_i24_e32 v77, v212, v66
	v_add3_u32 v67, v75, v67, v68
	v_mul_i32_i24_e32 v68, v87, v245
	v_mul_i32_i24_e32 v75, v78, v130
	v_ashrrev_i32_e32 v78, 24, v25
	v_add3_u32 v14, v14, v77, v51
	v_mul_i32_i24_e32 v51, v241, v229
	v_mul_i32_i24_e32 v77, v243, v228
	v_add3_u32 v7, v7, v75, v68
	v_bfe_u32 v68, v21, 4, 4
	v_lshrrev_b32_e32 v75, 28, v21
	s_delay_alu instid0(VALU_DEP_4) | instskip(NEXT) | instid1(VALU_DEP_3)
	v_add3_u32 v16, v16, v51, v77
	v_mul_i32_i24_e32 v87, v76, v68
	s_delay_alu instid0(VALU_DEP_3) | instskip(SKIP_2) | instid1(VALU_DEP_3)
	v_mul_i32_i24_e32 v98, v78, v75
	v_mul_i32_i24_e32 v51, v248, v68
	;; [unrolled: 1-line block ×3, first 2 shown]
	v_add3_u32 v87, v94, v98, v87
	v_bfe_u32 v94, v59, 4, 4
	v_lshrrev_b32_e32 v98, 28, v59
	s_delay_alu instid0(VALU_DEP_4) | instskip(NEXT) | instid1(VALU_DEP_3)
	v_add3_u32 v20, v20, v77, v51
	v_mul_i32_i24_e32 v102, v76, v94
	s_delay_alu instid0(VALU_DEP_3) | instskip(SKIP_2) | instid1(VALU_DEP_3)
	v_mul_i32_i24_e32 v103, v78, v98
	v_mul_i32_i24_e32 v51, v248, v94
	v_mul_i32_i24_e32 v77, v249, v98
	v_add3_u32 v79, v79, v103, v102
	v_mul_i32_i24_e32 v102, v71, v239
	v_mul_i32_i24_e32 v103, v49, v129
	s_delay_alu instid0(VALU_DEP_4)
	v_add3_u32 v51, v58, v77, v51
	v_mul_i32_i24_e32 v58, v88, v229
	v_mul_i32_i24_e32 v77, v23, v228
	;; [unrolled: 1-line block ×3, first 2 shown]
	v_add3_u32 v80, v80, v102, v103
	v_mul_i32_i24_e32 v102, v81, v68
	v_mul_i32_i24_e32 v103, v82, v75
	v_add3_u32 v58, v67, v58, v77
	v_mul_i32_i24_e32 v67, v117, v230
	v_mul_i32_i24_e32 v77, v111, v66
	;; [unrolled: 1-line block ×3, first 2 shown]
	v_add3_u32 v102, v105, v103, v102
	v_mul_i32_i24_e32 v103, v81, v94
	v_mul_i32_i24_e32 v105, v82, v98
	v_add3_u32 v7, v7, v67, v77
	v_bfe_u32 v67, v21, 20, 4
	v_bfe_u32 v21, v21, 12, 4
	v_bfe_i32 v77, v25, 8, 8
	v_add3_u32 v83, v83, v105, v103
	v_mul_i32_i24_e32 v103, v47, v239
	v_mul_i32_i24_e32 v105, v9, v129
	v_bfe_i32 v25, v25, 16, 8
	v_add3_u32 v5, v5, v71, v49
	v_bfe_i32 v49, v27, 8, 8
	v_bfe_i32 v27, v27, 16, 8
	v_add3_u32 v84, v84, v103, v105
	v_mul_i32_i24_e32 v103, v86, v68
	v_mul_i32_i24_e32 v105, v89, v75
	;; [unrolled: 1-line block ×6, first 2 shown]
	v_add3_u32 v85, v85, v105, v103
	v_mul_i32_i24_e32 v103, v86, v94
	v_mul_i32_i24_e32 v105, v89, v98
	;; [unrolled: 1-line block ×3, first 2 shown]
	v_add3_u32 v4, v4, v47, v9
	v_bfe_i32 v9, v29, 8, 8
	v_bfe_i32 v29, v29, 16, 8
	v_add3_u32 v90, v90, v105, v103
	v_mul_i32_i24_e32 v103, v119, v239
	v_mul_i32_i24_e32 v105, v10, v129
	;; [unrolled: 1-line block ×4, first 2 shown]
	s_delay_alu instid0(VALU_DEP_3) | instskip(SKIP_2) | instid1(VALU_DEP_1)
	v_add3_u32 v91, v91, v103, v105
	v_mul_i32_i24_e32 v103, v53, v68
	v_mul_i32_i24_e32 v105, v97, v75
	v_add3_u32 v99, v99, v105, v103
	v_mul_i32_i24_e32 v103, v53, v94
	v_mul_i32_i24_e32 v105, v97, v98
	s_delay_alu instid0(VALU_DEP_1) | instskip(SKIP_4) | instid1(VALU_DEP_3)
	v_add3_u32 v100, v100, v105, v103
	v_mul_i32_i24_e32 v103, v73, v239
	v_mul_i32_i24_e32 v105, v11, v129
	;; [unrolled: 1-line block ×4, first 2 shown]
	v_add3_u32 v50, v50, v103, v105
	v_mul_i32_i24_e32 v103, v2, v68
	v_mul_i32_i24_e32 v105, v55, v75
	s_delay_alu instid0(VALU_DEP_4) | instskip(SKIP_2) | instid1(VALU_DEP_4)
	v_add3_u32 v1, v1, v73, v11
	v_bfe_i32 v11, v33, 8, 8
	v_bfe_i32 v33, v33, 16, 8
	v_add3_u32 v17, v17, v105, v103
	v_mul_i32_i24_e32 v103, v2, v94
	v_mul_i32_i24_e32 v105, v55, v98
	;; [unrolled: 1-line block ×3, first 2 shown]
	s_delay_alu instid0(VALU_DEP_2)
	v_add3_u32 v18, v18, v105, v103
	v_mul_i32_i24_e32 v103, v74, v239
	v_mul_i32_i24_e32 v105, v12, v129
	;; [unrolled: 1-line block ×5, first 2 shown]
	s_delay_alu instid0(VALU_DEP_4)
	v_add3_u32 v19, v19, v103, v105
	v_mul_i32_i24_e32 v103, v57, v68
	v_mul_i32_i24_e32 v105, v69, v75
	v_add3_u32 v6, v6, v66, v12
	v_bfe_i32 v12, v37, 8, 8
	v_bfe_i32 v37, v37, 16, 8
	v_mul_i32_i24_e32 v68, v213, v68
	v_add3_u32 v56, v56, v105, v103
	v_mul_i32_i24_e32 v103, v57, v94
	v_mul_i32_i24_e32 v105, v69, v98
	;; [unrolled: 1-line block ×4, first 2 shown]
	s_delay_alu instid0(VALU_DEP_3) | instskip(SKIP_1) | instid1(VALU_DEP_1)
	v_add3_u32 v72, v72, v105, v103
	v_mul_i32_i24_e32 v103, v77, v21
	v_add3_u32 v87, v87, v103, v104
	v_bfe_u32 v103, v59, 12, 4
	v_bfe_u32 v59, v59, 20, 4
	s_delay_alu instid0(VALU_DEP_2) | instskip(NEXT) | instid1(VALU_DEP_2)
	v_mul_i32_i24_e32 v104, v77, v103
	v_mul_i32_i24_e32 v105, v25, v59
	s_delay_alu instid0(VALU_DEP_1) | instskip(SKIP_4) | instid1(VALU_DEP_3)
	v_add3_u32 v79, v79, v104, v105
	v_mul_i32_i24_e32 v104, v15, v229
	v_mul_i32_i24_e32 v105, v35, v228
	;; [unrolled: 1-line block ×4, first 2 shown]
	v_add3_u32 v80, v80, v104, v105
	v_mul_i32_i24_e32 v104, v27, v67
	s_delay_alu instid0(VALU_DEP_3) | instskip(SKIP_2) | instid1(VALU_DEP_4)
	v_add3_u32 v5, v5, v15, v35
	v_bfe_i32 v15, v34, 0, 8
	v_bfe_i32 v35, v34, 8, 8
	v_add3_u32 v71, v102, v71, v104
	v_mul_i32_i24_e32 v102, v49, v103
	v_mul_i32_i24_e32 v104, v27, v59
	s_delay_alu instid0(VALU_DEP_1) | instskip(SKIP_4) | instid1(VALU_DEP_3)
	v_add3_u32 v83, v83, v102, v104
	v_mul_i32_i24_e32 v102, v62, v229
	v_mul_i32_i24_e32 v104, v39, v228
	v_mul_i32_i24_e32 v62, v62, v221
	v_mul_i32_i24_e32 v39, v39, v222
	v_add3_u32 v84, v84, v102, v104
	v_mul_i32_i24_e32 v102, v29, v67
	s_delay_alu instid0(VALU_DEP_3) | instskip(SKIP_2) | instid1(VALU_DEP_4)
	v_add3_u32 v4, v4, v62, v39
	v_bfe_i32 v39, v38, 0, 8
	v_bfe_i32 v62, v38, 8, 8
	v_add3_u32 v47, v85, v47, v102
	v_mul_i32_i24_e32 v85, v9, v103
	v_mul_i32_i24_e32 v102, v29, v59
	s_delay_alu instid0(VALU_DEP_1) | instskip(SKIP_3) | instid1(VALU_DEP_2)
	v_add3_u32 v85, v90, v85, v102
	v_mul_i32_i24_e32 v90, v96, v229
	v_mul_i32_i24_e32 v102, v41, v228
	;; [unrolled: 1-line block ×3, first 2 shown]
	v_add3_u32 v90, v91, v90, v102
	v_mul_i32_i24_e32 v91, v119, v230
	s_delay_alu instid0(VALU_DEP_1) | instskip(SKIP_2) | instid1(VALU_DEP_2)
	v_add3_u32 v3, v3, v91, v10
	v_bfe_i32 v10, v31, 8, 8
	v_bfe_i32 v31, v31, 16, 8
	v_mul_i32_i24_e32 v91, v10, v21
	s_delay_alu instid0(VALU_DEP_2) | instskip(NEXT) | instid1(VALU_DEP_1)
	v_mul_i32_i24_e32 v102, v31, v67
	v_add3_u32 v91, v99, v91, v102
	v_mul_i32_i24_e32 v99, v10, v103
	v_mul_i32_i24_e32 v102, v31, v59
	s_delay_alu instid0(VALU_DEP_1) | instskip(SKIP_4) | instid1(VALU_DEP_3)
	v_add3_u32 v99, v100, v99, v102
	v_mul_i32_i24_e32 v100, v60, v229
	v_mul_i32_i24_e32 v102, v43, v228
	;; [unrolled: 1-line block ×4, first 2 shown]
	v_add3_u32 v50, v50, v100, v102
	v_mul_i32_i24_e32 v100, v33, v67
	s_delay_alu instid0(VALU_DEP_3) | instskip(SKIP_2) | instid1(VALU_DEP_4)
	v_add3_u32 v1, v1, v60, v43
	v_bfe_i32 v43, v42, 0, 8
	v_bfe_i32 v60, v42, 8, 8
	v_add3_u32 v17, v17, v73, v100
	v_mul_i32_i24_e32 v73, v11, v103
	v_mul_i32_i24_e32 v100, v33, v59
	s_delay_alu instid0(VALU_DEP_1) | instskip(SKIP_4) | instid1(VALU_DEP_3)
	v_add3_u32 v18, v18, v73, v100
	v_mul_i32_i24_e32 v73, v54, v229
	v_mul_i32_i24_e32 v100, v45, v228
	;; [unrolled: 1-line block ×4, first 2 shown]
	v_add3_u32 v19, v19, v73, v100
	v_mul_i32_i24_e32 v73, v37, v67
	s_delay_alu instid0(VALU_DEP_3) | instskip(SKIP_2) | instid1(VALU_DEP_4)
	v_add3_u32 v6, v6, v54, v45
	v_bfe_i32 v45, v44, 0, 8
	v_bfe_i32 v54, v44, 8, 8
	v_add3_u32 v56, v56, v66, v73
	v_mul_i32_i24_e32 v66, v12, v103
	v_mul_i32_i24_e32 v73, v37, v59
	s_delay_alu instid0(VALU_DEP_1) | instskip(SKIP_2) | instid1(VALU_DEP_2)
	v_add3_u32 v66, v72, v66, v73
	v_mul_i32_i24_e32 v72, v65, v21
	v_mul_i32_i24_e32 v21, v64, v21
	v_add3_u32 v8, v8, v68, v72
	v_mul_i32_i24_e32 v68, v213, v94
	v_mul_i32_i24_e32 v72, v65, v103
	;; [unrolled: 1-line block ×3, first 2 shown]
	s_delay_alu instid0(VALU_DEP_2) | instskip(SKIP_2) | instid1(VALU_DEP_1)
	v_add3_u32 v13, v13, v68, v72
	v_mul_i32_i24_e32 v68, v227, v230
	v_mul_i32_i24_e32 v72, v225, v222
	v_add3_u32 v14, v14, v72, v68
	v_mul_i32_i24_e32 v68, v248, v216
	v_mul_i32_i24_e32 v72, v249, v214
	s_delay_alu instid0(VALU_DEP_1) | instskip(SKIP_2) | instid1(VALU_DEP_2)
	v_add3_u32 v16, v16, v72, v68
	v_mul_i32_i24_e32 v68, v234, v67
	v_mul_i32_i24_e32 v67, v36, v67
	v_add3_u32 v20, v20, v21, v68
	v_mul_i32_i24_e32 v68, v234, v59
	s_delay_alu instid0(VALU_DEP_3)
	v_add3_u32 v8, v8, v67, v75
	v_mul_i32_i24_e32 v59, v36, v59
	v_mul_i32_i24_e32 v67, v61, v98
	;; [unrolled: 1-line block ×6, first 2 shown]
	v_add3_u32 v13, v13, v59, v67
	v_mul_i32_i24_e32 v59, v213, v226
	v_add3_u32 v21, v51, v21, v68
	v_mul_i32_i24_e32 v51, v76, v216
	v_mul_i32_i24_e32 v68, v78, v214
	s_delay_alu instid0(VALU_DEP_4) | instskip(SKIP_1) | instid1(VALU_DEP_3)
	v_add3_u32 v14, v14, v59, v65
	v_mul_i32_i24_e32 v59, v234, v211
	v_add3_u32 v51, v58, v68, v51
	v_mul_i32_i24_e32 v58, v88, v221
	s_delay_alu instid0(VALU_DEP_3) | instskip(SKIP_2) | instid1(VALU_DEP_4)
	v_add3_u32 v16, v16, v64, v59
	v_mul_i32_i24_e32 v59, v223, v207
	v_mul_i32_i24_e32 v64, v52, v208
	v_add3_u32 v7, v7, v58, v23
	v_bfe_i32 v23, v22, 0, 8
	v_bfe_i32 v58, v22, 8, 8
	s_delay_alu instid0(VALU_DEP_4)
	v_add3_u32 v20, v20, v59, v64
	v_mul_i32_i24_e32 v59, v223, v209
	v_mul_i32_i24_e32 v64, v52, v210
	;; [unrolled: 1-line block ×6, first 2 shown]
	v_add3_u32 v21, v21, v59, v64
	v_mul_i32_i24_e32 v59, v25, v211
	v_mul_i32_i24_e32 v64, v77, v48
	v_add3_u32 v68, v87, v68, v72
	v_mul_i32_i24_e32 v72, v23, v209
	v_mul_i32_i24_e32 v25, v25, v218
	s_delay_alu instid0(VALU_DEP_4)
	v_add3_u32 v51, v51, v64, v59
	v_mul_i32_i24_e32 v59, v76, v226
	v_mul_i32_i24_e32 v64, v78, v224
	v_add3_u32 v72, v79, v72, v73
	v_mul_i32_i24_e32 v73, v81, v216
	v_mul_i32_i24_e32 v79, v35, v208
	;; [unrolled: 1-line block ×3, first 2 shown]
	v_add3_u32 v7, v7, v64, v59
	v_bfe_i32 v59, v22, 16, 8
	v_ashrrev_i32_e32 v22, 24, v22
	v_add3_u32 v73, v80, v74, v73
	v_mul_i32_i24_e32 v74, v15, v207
	v_mul_i32_i24_e32 v80, v89, v214
	v_mul_i32_i24_e32 v64, v59, v201
	v_mul_i32_i24_e32 v65, v22, v202
	v_mul_i32_i24_e32 v67, v22, v204
	v_add3_u32 v71, v71, v74, v79
	v_mul_i32_i24_e32 v74, v15, v209
	v_mul_i32_i24_e32 v79, v35, v210
	v_add3_u32 v64, v68, v64, v65
	v_mul_i32_i24_e32 v65, v59, v203
	v_mul_i32_i24_e32 v68, v49, v48
	v_mul_i32_i24_e32 v10, v10, v46
	v_add3_u32 v74, v83, v74, v79
	v_mul_i32_i24_e32 v79, v86, v216
	v_add3_u32 v65, v72, v65, v67
	v_mul_i32_i24_e32 v67, v27, v211
	v_mul_i32_i24_e32 v72, v82, v224
	v_mul_i32_i24_e32 v83, v62, v208
	v_add3_u32 v79, v84, v80, v79
	;; [unrolled: 6-line block ×3, first 2 shown]
	v_mul_i32_i24_e32 v80, v39, v209
	v_add3_u32 v5, v5, v72, v68
	v_bfe_i32 v68, v34, 16, 8
	v_ashrrev_i32_e32 v34, 24, v34
	v_mul_i32_i24_e32 v83, v62, v210
	v_mul_i32_i24_e32 v11, v11, v46
	;; [unrolled: 1-line block ×5, first 2 shown]
	v_add3_u32 v80, v85, v80, v83
	v_mul_i32_i24_e32 v83, v53, v216
	v_mul_i32_i24_e32 v53, v53, v226
	;; [unrolled: 1-line block ×3, first 2 shown]
	v_add3_u32 v71, v71, v72, v73
	v_mul_i32_i24_e32 v72, v68, v203
	v_mul_i32_i24_e32 v73, v34, v204
	v_add3_u32 v83, v90, v84, v83
	v_mul_i32_i24_e32 v84, v96, v221
	v_mul_i32_i24_e32 v90, v55, v214
	;; [unrolled: 1-line block ×3, first 2 shown]
	v_add3_u32 v72, v74, v72, v73
	v_mul_i32_i24_e32 v73, v29, v211
	v_mul_i32_i24_e32 v74, v9, v48
	v_add3_u32 v3, v3, v84, v41
	v_bfe_i32 v41, v40, 0, 8
	v_bfe_i32 v84, v40, 8, 8
	v_mul_i32_i24_e32 v48, v12, v48
	v_add3_u32 v73, v79, v74, v73
	v_mul_i32_i24_e32 v74, v86, v226
	v_mul_i32_i24_e32 v85, v41, v207
	;; [unrolled: 1-line block ×5, first 2 shown]
	v_add3_u32 v4, v4, v75, v74
	v_bfe_i32 v74, v38, 16, 8
	v_ashrrev_i32_e32 v38, 24, v38
	v_add3_u32 v85, v91, v85, v87
	v_mul_i32_i24_e32 v87, v41, v209
	v_mul_i32_i24_e32 v9, v9, v46
	;; [unrolled: 1-line block ×5, first 2 shown]
	v_add3_u32 v87, v99, v87, v88
	v_mul_i32_i24_e32 v88, v2, v216
	v_mul_i32_i24_e32 v2, v2, v226
	v_add3_u32 v47, v47, v75, v76
	v_mul_i32_i24_e32 v75, v74, v203
	v_mul_i32_i24_e32 v76, v38, v204
	;; [unrolled: 3-line block ×3, first 2 shown]
	v_add3_u32 v1, v1, v55, v2
	v_add3_u32 v75, v80, v75, v76
	v_mul_i32_i24_e32 v76, v31, v211
	v_bfe_i32 v2, v42, 16, 8
	v_ashrrev_i32_e32 v42, 24, v42
	v_add3_u32 v17, v17, v88, v90
	v_mul_i32_i24_e32 v88, v43, v209
	v_add3_u32 v76, v83, v78, v76
	v_mul_i32_i24_e32 v78, v97, v224
	v_mul_i32_i24_e32 v90, v60, v210
	;; [unrolled: 1-line block ×3, first 2 shown]
	v_add3_u32 v4, v4, v9, v29
	v_mul_i32_i24_e32 v9, v200, v41
	v_add3_u32 v3, v3, v78, v53
	v_bfe_i32 v53, v40, 16, 8
	v_ashrrev_i32_e32 v40, 24, v40
	v_add3_u32 v18, v18, v88, v90
	v_mul_i32_i24_e32 v88, v57, v216
	v_mul_i32_i24_e32 v90, v69, v214
	;; [unrolled: 1-line block ×6, first 2 shown]
	v_add3_u32 v19, v19, v90, v88
	v_mul_i32_i24_e32 v88, v45, v207
	v_add3_u32 v78, v85, v78, v79
	v_mul_i32_i24_e32 v79, v53, v203
	v_mul_i32_i24_e32 v90, v54, v208
	v_add3_u32 v9, v76, v9, v29
	v_mul_i32_i24_e32 v29, v31, v218
	v_add3_u32 v5, v5, v49, v27
	v_add3_u32 v79, v87, v79, v80
	v_mul_i32_i24_e32 v80, v33, v211
	v_add3_u32 v56, v56, v88, v90
	v_mul_i32_i24_e32 v88, v45, v209
	v_mul_i32_i24_e32 v90, v54, v210
	v_add3_u32 v3, v3, v10, v29
	v_add3_u32 v50, v50, v81, v80
	v_mul_i32_i24_e32 v80, v42, v202
	v_mul_i32_i24_e32 v10, v200, v43
	v_add3_u32 v66, v66, v88, v90
	v_mul_i32_i24_e32 v29, v32, v60
	v_mul_i32_i24_e32 v27, v200, v39
	;; [unrolled: 3-line block ×4, first 2 shown]
	v_mov_b32_e32 v83, v125
	v_add3_u32 v18, v18, v55, v80
	v_mul_i32_i24_e32 v55, v37, v211
	v_add3_u32 v1, v1, v11, v29
	v_mul_i32_i24_e32 v11, v200, v45
	v_mul_i32_i24_e32 v29, v32, v54
	v_add3_u32 v27, v73, v27, v49
	v_add3_u32 v19, v19, v48, v55
	v_mul_i32_i24_e32 v48, v57, v226
	v_mul_i32_i24_e32 v55, v69, v224
	s_clause 0x2
	scratch_load_b32 v69, off, off offset:60 th:TH_LOAD_LU
	scratch_load_b32 v73, off, off offset:64 th:TH_LOAD_LU
	;; [unrolled: 1-line block ×3, first 2 shown]
	v_add3_u32 v11, v19, v11, v29
	v_add3_u32 v6, v6, v55, v48
	v_bfe_i32 v48, v44, 16, 8
	v_ashrrev_i32_e32 v44, 24, v44
	v_mul_i32_i24_e32 v19, v37, v218
	v_cvt_f32_i32_e32 v17, v17
	v_cvt_f32_i32_e32 v18, v18
	v_mul_i32_i24_e32 v55, v48, v201
	v_mul_i32_i24_e32 v57, v44, v202
	v_add3_u32 v6, v6, v12, v19
	v_mul_i32_i24_e32 v12, v63, v198
	v_mul_i32_i24_e32 v19, v219, v199
	s_delay_alu instid0(VALU_DEP_4) | instskip(SKIP_2) | instid1(VALU_DEP_1)
	v_add3_u32 v55, v56, v55, v57
	v_mul_i32_i24_e32 v56, v48, v203
	v_mul_i32_i24_e32 v57, v44, v204
	v_add3_u32 v56, v66, v56, v57
	v_mul_i32_i24_e32 v57, v61, v224
	s_delay_alu instid0(VALU_DEP_1) | instskip(SKIP_1) | instid1(VALU_DEP_1)
	v_add3_u32 v14, v14, v36, v57
	v_mul_i32_i24_e32 v36, v223, v200
	v_add3_u32 v16, v16, v36, v52
	v_mul_i32_i24_e32 v36, v63, v201
	v_mul_i32_i24_e32 v52, v219, v202
	s_delay_alu instid0(VALU_DEP_3) | instskip(SKIP_1) | instid1(VALU_DEP_3)
	v_add3_u32 v12, v16, v12, v19
	v_mul_i32_i24_e32 v16, v198, v59
	v_add3_u32 v20, v20, v36, v52
	v_mul_i32_i24_e32 v36, v63, v203
	v_mul_i32_i24_e32 v52, v219, v204
	;; [unrolled: 1-line block ×4, first 2 shown]
	s_delay_alu instid0(VALU_DEP_3) | instskip(SKIP_2) | instid1(VALU_DEP_1)
	v_add3_u32 v21, v21, v36, v52
	v_mul_i32_i24_e32 v36, v200, v23
	v_mul_i32_i24_e32 v52, v32, v58
	v_add3_u32 v36, v51, v36, v52
	v_mul_i32_i24_e32 v51, v77, v46
	s_delay_alu instid0(VALU_DEP_2) | instskip(NEXT) | instid1(VALU_DEP_2)
	v_add3_u32 v16, v36, v16, v19
	v_add3_u32 v7, v7, v51, v25
	v_mul_i32_i24_e32 v25, v200, v15
	v_mul_i32_i24_e32 v51, v32, v35
	;; [unrolled: 1-line block ×5, first 2 shown]
	s_clause 0x1
	scratch_load_b32 v32, off, off offset:12 th:TH_LOAD_LU
	scratch_load_b32 v36, off, off offset:4 th:TH_LOAD_LU
	v_add3_u32 v25, v67, v25, v51
	v_add3_u32 v7, v7, v19, v23
	v_mul_i32_i24_e32 v19, v198, v68
	v_mul_i32_i24_e32 v23, v199, v34
	v_mov_b32_e32 v67, v92
	s_delay_alu instid0(VALU_DEP_2)
	v_add3_u32 v19, v25, v19, v23
	v_mul_i32_i24_e32 v23, v30, v35
	v_mul_i32_i24_e32 v25, v30, v62
	scratch_load_b32 v35, off, off th:TH_LOAD_LU ; 4-byte Folded Reload
	v_add3_u32 v5, v5, v15, v23
	v_mul_i32_i24_e32 v15, v198, v74
	v_mul_i32_i24_e32 v23, v199, v38
	s_delay_alu instid0(VALU_DEP_1)
	v_add3_u32 v15, v27, v15, v23
	v_mul_i32_i24_e32 v23, v28, v39
	scratch_load_b32 v39, off, off offset:20 th:TH_LOAD_LU ; 4-byte Folded Reload
	v_add3_u32 v4, v4, v23, v25
	v_mul_i32_i24_e32 v23, v198, v53
	v_mul_i32_i24_e32 v25, v199, v40
	s_delay_alu instid0(VALU_DEP_1)
	v_add3_u32 v9, v9, v23, v25
	v_mul_i32_i24_e32 v23, v28, v41
	v_mul_i32_i24_e32 v25, v30, v84
	scratch_load_b32 v41, off, off offset:28 th:TH_LOAD_LU ; 4-byte Folded Reload
	v_cvt_f32_i32_e32 v9, v9
	v_add3_u32 v3, v3, v23, v25
	v_mul_i32_i24_e32 v23, v198, v2
	v_mul_i32_i24_e32 v25, v199, v42
	;; [unrolled: 1-line block ×3, first 2 shown]
	s_delay_alu instid0(VALU_DEP_2)
	v_add3_u32 v10, v10, v23, v25
	v_mul_i32_i24_e32 v23, v28, v43
	v_mul_i32_i24_e32 v25, v30, v60
	scratch_load_b32 v43, off, off offset:36 th:TH_LOAD_LU ; 4-byte Folded Reload
	v_cvt_f32_i32_e32 v10, v10
	v_add3_u32 v1, v1, v23, v25
	v_mul_i32_i24_e32 v23, v198, v48
	v_mul_i32_i24_e32 v25, v199, v44
	s_delay_alu instid0(VALU_DEP_1)
	v_add3_u32 v11, v11, v23, v25
	v_mul_i32_i24_e32 v23, v28, v45
	v_mul_i32_i24_e32 v25, v30, v54
	s_clause 0x1
	scratch_load_b32 v45, off, off offset:44 th:TH_LOAD_LU
	scratch_load_b32 v54, off, off offset:52 th:TH_LOAD_LU
	v_cvt_f32_i32_e32 v11, v11
	v_add3_u32 v6, v6, v23, v25
	v_mul_i32_i24_e32 v23, v24, v59
	s_delay_alu instid0(VALU_DEP_1)
	v_add3_u32 v7, v7, v23, v22
	v_mul_i32_i24_e32 v22, v24, v68
	v_mul_i32_i24_e32 v23, v26, v34
	scratch_load_b32 v34, off, off offset:68 th:TH_LOAD_LU ; 4-byte Folded Reload
	v_mov_b32_e32 v68, v93
	v_add3_u32 v5, v5, v22, v23
	v_mul_i32_i24_e32 v22, v24, v74
	v_mul_i32_i24_e32 v23, v26, v38
	s_delay_alu instid0(VALU_DEP_3) | instskip(NEXT) | instid1(VALU_DEP_2)
	v_cvt_f32_i32_e32 v5, v5
	v_add3_u32 v4, v4, v22, v23
	v_mul_i32_i24_e32 v22, v24, v53
	v_mul_i32_i24_e32 v23, v26, v40
	s_clause 0x2
	scratch_load_b32 v40, off, off offset:24 th:TH_LOAD_LU
	scratch_load_b32 v38, off, off offset:16 th:TH_LOAD_LU
	;; [unrolled: 1-line block ×3, first 2 shown]
	v_cvt_f32_i32_e32 v4, v4
	v_add3_u32 v3, v3, v22, v23
	v_mul_i32_i24_e32 v22, v26, v42
	s_delay_alu instid0(VALU_DEP_2) | instskip(NEXT) | instid1(VALU_DEP_2)
	v_cvt_f32_i32_e32 v3, v3
	v_add3_u32 v1, v1, v2, v22
	v_mul_i32_i24_e32 v2, v24, v48
	v_mul_i32_i24_e32 v22, v26, v44
	s_clause 0x1
	scratch_load_b32 v44, off, off offset:40 th:TH_LOAD_LU
	scratch_load_b32 v42, off, off offset:32 th:TH_LOAD_LU
	v_cvt_f32_i32_e32 v1, v1
	v_add3_u32 v2, v6, v2, v22
	scratch_load_b32 v22, off, off offset:152 th:TH_LOAD_LU ; 4-byte Folded Reload
	v_cvt_f32_i32_e32 v6, v206
	v_cvt_f32_i32_e32 v2, v2
	s_wait_loadcnt 0x0
	s_delay_alu instid0(VALU_DEP_2)
	v_fma_mix_f32 v6, v22, v6, v22 op_sel:[0,0,1] op_sel_hi:[1,0,1]
	scratch_load_b32 v22, off, off offset:196 th:TH_LOAD_LU ; 4-byte Folded Reload
	v_add_f32_e32 v41, v41, v6
	scratch_load_b32 v6, off, off offset:148 th:TH_LOAD_LU ; 4-byte Folded Reload
	s_wait_loadcnt 0x1
	v_fma_mix_f32 v0, v22, v0, v22 op_sel:[0,0,1] op_sel_hi:[1,0,1]
	scratch_load_b32 v22, off, off offset:156 th:TH_LOAD_LU ; 4-byte Folded Reload
	v_add_f32_e32 v69, v69, v0
	v_cvt_f32_i32_e32 v0, v8
	scratch_load_b32 v8, off, off offset:144 th:TH_LOAD_LU ; 4-byte Folded Reload
	s_wait_loadcnt 0x2
	v_fma_mix_f32 v0, v6, v0, v6 op_sel:[0,0,1] op_sel_hi:[1,0,1]
	v_cvt_f32_i32_e32 v6, v13
	scratch_load_b32 v13, off, off offset:164 th:TH_LOAD_LU ; 4-byte Folded Reload
	v_add_f32_e32 v73, v73, v0
	v_cvt_f32_i32_e32 v0, v14
	s_wait_loadcnt 0x1
	v_fma_mix_f32 v6, v8, v6, v8 op_sel:[0,0,1] op_sel_hi:[1,0,1]
	v_cvt_f32_i32_e32 v8, v64
	s_wait_loadcnt 0x0
	s_delay_alu instid0(VALU_DEP_1) | instskip(SKIP_1) | instid1(VALU_DEP_2)
	v_fma_mix_f32 v8, v13, v8, v13 op_sel:[0,0,1] op_sel_hi:[1,0,1]
	v_cvt_f32_i32_e32 v13, v65
	v_add_f32_e32 v45, v45, v8
	s_delay_alu instid0(VALU_DEP_2)
	v_fma_mix_f32 v13, v22, v13, v22 op_sel:[0,0,1] op_sel_hi:[1,0,1]
	v_cvt_f32_i32_e32 v22, v71
	s_clause 0x3
	scratch_load_b32 v71, off, off offset:72 th:TH_LOAD_LU
	scratch_load_b32 v23, off, off offset:168 th:TH_LOAD_LU
	;; [unrolled: 1-line block ×4, first 2 shown]
	v_add_f32_e32 v44, v44, v13
	s_wait_loadcnt 0x2
	v_fma_mix_f32 v22, v23, v22, v23 op_sel:[0,0,1] op_sel_hi:[1,0,1]
	v_cvt_f32_i32_e32 v23, v72
	s_wait_loadcnt 0x1
	v_add_f32_e32 v198, v198, v6
	s_delay_alu instid0(VALU_DEP_3)
	v_add_f32_e32 v40, v40, v22
	s_wait_loadcnt 0x0
	v_fma_mix_f32 v23, v24, v23, v24 op_sel:[0,0,1] op_sel_hi:[1,0,1]
	v_cvt_f32_i32_e32 v24, v47
	s_clause 0xa
	scratch_load_b32 v47, off, off offset:48 th:TH_LOAD_LU
	scratch_load_b32 v25, off, off offset:180 th:TH_LOAD_LU
	;; [unrolled: 1-line block ×11, first 2 shown]
	v_add_f32_e32 v39, v39, v23
	s_wait_loadcnt 0x9
	v_fma_mix_f32 v24, v25, v24, v25 op_sel:[0,0,1] op_sel_hi:[1,0,1]
	s_wait_loadcnt 0x8
	v_fma_mix_f32 v0, v6, v0, v6 op_sel:[0,0,1] op_sel_hi:[1,0,1]
	v_cvt_f32_i32_e32 v6, v20
	v_cvt_f32_i32_e32 v25, v75
	scratch_load_b32 v20, off, off offset:136 th:TH_LOAD_LU ; 4-byte Folded Reload
	v_add_f32_e32 v36, v36, v24
	v_add_f32_e32 v83, v83, v0
	v_cvt_f32_i32_e32 v0, v12
	scratch_load_b32 v12, off, off offset:112 th:TH_LOAD_LU ; 4-byte Folded Reload
	s_wait_loadcnt 0x9
	v_fma_mix_f32 v0, v8, v0, v8 op_sel:[0,0,1] op_sel_hi:[1,0,1]
	scratch_load_b32 v8, off, off offset:108 th:TH_LOAD_LU ; 4-byte Folded Reload
	s_wait_loadcnt 0x9
	v_fma_mix_f32 v6, v14, v6, v14 op_sel:[0,0,1] op_sel_hi:[1,0,1]
	v_cvt_f32_i32_e32 v14, v21
	v_add_f32_e32 v71, v71, v0
	v_cvt_f32_i32_e32 v0, v7
	s_delay_alu instid0(VALU_DEP_4) | instskip(SKIP_2) | instid1(VALU_DEP_1)
	v_add_f32_e32 v68, v68, v6
	v_cvt_f32_i32_e32 v6, v16
	s_wait_loadcnt 0x0
	v_fma_mix_f32 v6, v8, v6, v8 op_sel:[0,0,1] op_sel_hi:[1,0,1]
	v_cvt_f32_i32_e32 v8, v19
	s_delay_alu instid0(VALU_DEP_2) | instskip(SKIP_3) | instid1(VALU_DEP_2)
	v_add_f32_e32 v54, v54, v6
	scratch_load_b32 v6, off, off offset:80 th:TH_LOAD_LU ; 4-byte Folded Reload
	v_fma_mix_f32 v8, v12, v8, v12 op_sel:[0,0,1] op_sel_hi:[1,0,1]
	v_cvt_f32_i32_e32 v12, v15
	v_add_f32_e32 v43, v43, v8
	s_wait_loadcnt 0x0
	v_fma_mix_f32 v0, v6, v0, v6 op_sel:[0,0,1] op_sel_hi:[1,0,1]
	scratch_load_b32 v6, off, off offset:84 th:TH_LOAD_LU ; 4-byte Folded Reload
	v_fma_mix_f32 v12, v13, v12, v13 op_sel:[0,0,1] op_sel_hi:[1,0,1]
	scratch_load_b32 v13, off, off offset:120 th:TH_LOAD_LU ; 4-byte Folded Reload
	v_add_f32_e32 v47, v47, v0
	v_add_f32_e32 v38, v38, v12
	s_wait_loadcnt 0x1
	v_fma_mix_f32 v5, v6, v5, v6 op_sel:[0,0,1] op_sel_hi:[1,0,1]
	scratch_load_b32 v6, off, off offset:88 th:TH_LOAD_LU ; 4-byte Folded Reload
	s_wait_loadcnt 0x1
	v_fma_mix_f32 v9, v13, v9, v13 op_sel:[0,0,1] op_sel_hi:[1,0,1]
	scratch_load_b32 v13, off, off offset:128 th:TH_LOAD_LU ; 4-byte Folded Reload
	v_add_f32_e32 v42, v42, v5
	v_add_f32_e32 v120, v120, v9
	s_wait_loadcnt 0x1
	v_fma_mix_f32 v4, v6, v4, v6 op_sel:[0,0,1] op_sel_hi:[1,0,1]
	scratch_load_b32 v6, off, off offset:92 th:TH_LOAD_LU ; 4-byte Folded Reload
	s_wait_loadcnt 0x1
	v_fma_mix_f32 v10, v13, v10, v13 op_sel:[0,0,1] op_sel_hi:[1,0,1]
	scratch_load_b32 v13, off, off offset:124 th:TH_LOAD_LU ; 4-byte Folded Reload
	v_add_f32_e32 v37, v37, v4
	v_add_f32_e32 v109, v109, v10
	s_wait_loadcnt 0x1
	v_fma_mix_f32 v3, v6, v3, v6 op_sel:[0,0,1] op_sel_hi:[1,0,1]
	scratch_load_b32 v6, off, off offset:100 th:TH_LOAD_LU ; 4-byte Folded Reload
	v_fma_mix_f32 v25, v26, v25, v26 op_sel:[0,0,1] op_sel_hi:[1,0,1]
	v_cvt_f32_i32_e32 v26, v78
	s_wait_loadcnt 0x1
	v_fma_mix_f32 v11, v13, v11, v13 op_sel:[0,0,1] op_sel_hi:[1,0,1]
	v_add_f32_e32 v113, v113, v3
	v_add_f32_e32 v35, v35, v25
	v_fma_mix_f32 v26, v27, v26, v27 op_sel:[0,0,1] op_sel_hi:[1,0,1]
	v_cvt_f32_i32_e32 v27, v79
	s_delay_alu instid0(VALU_DEP_2) | instskip(NEXT) | instid1(VALU_DEP_2)
	v_dual_add_f32 v95, v95, v11 :: v_dual_add_f32 v112, v112, v26
	v_fma_mix_f32 v27, v28, v27, v28 op_sel:[0,0,1] op_sel_hi:[1,0,1]
	scratch_load_b32 v28, off, off offset:200 th:TH_LOAD_LU ; 4-byte Folded Reload
	v_add_f32_e32 v110, v110, v27
	s_wait_loadcnt 0x1
	v_fma_mix_f32 v1, v6, v1, v6 op_sel:[0,0,1] op_sel_hi:[1,0,1]
	scratch_load_b32 v6, off, off offset:96 th:TH_LOAD_LU ; 4-byte Folded Reload
	v_fma_mix_f32 v14, v20, v14, v20 op_sel:[0,0,1] op_sel_hi:[1,0,1]
	s_delay_alu instid0(VALU_DEP_1)
	v_dual_add_f32 v108, v108, v1 :: v_dual_add_f32 v67, v67, v14
	s_wait_loadcnt 0x1
	v_fma_mix_f32 v17, v28, v17, v28 op_sel:[0,0,1] op_sel_hi:[1,0,1]
	scratch_load_b32 v28, off, off offset:204 th:TH_LOAD_LU ; 4-byte Folded Reload
	v_add_f32_e32 v107, v107, v17
	s_wait_loadcnt 0x1
	v_fma_mix_f32 v2, v6, v2, v6 op_sel:[0,0,1] op_sel_hi:[1,0,1]
	s_delay_alu instid0(VALU_DEP_1) | instskip(SKIP_3) | instid1(VALU_DEP_2)
	v_add_f32_e32 v34, v34, v2
	s_wait_loadcnt 0x0
	v_fma_mix_f32 v18, v28, v18, v28 op_sel:[0,0,1] op_sel_hi:[1,0,1]
	v_cvt_f32_i32_e32 v28, v55
	v_add_f32_e32 v101, v101, v18
	s_delay_alu instid0(VALU_DEP_2) | instskip(SKIP_1) | instid1(VALU_DEP_2)
	v_fma_mix_f32 v28, v29, v28, v29 op_sel:[0,0,1] op_sel_hi:[1,0,1]
	v_cvt_f32_i32_e32 v29, v56
	v_add_f32_e32 v33, v33, v28
	s_delay_alu instid0(VALU_DEP_2) | instskip(NEXT) | instid1(VALU_DEP_1)
	v_fma_mix_f32 v29, v30, v29, v30 op_sel:[0,0,1] op_sel_hi:[1,0,1]
	v_add_f32_e32 v32, v32, v29
	s_cbranch_scc1 .LBB160_12
; %bb.13:                               ;   in Loop: Header=BB160_7 Depth=1
	s_wait_storecnt 0x0
	s_barrier_signal -1
	s_barrier_wait -1
	global_inv scope:SCOPE_SE
	s_branch .LBB160_5
.LBB160_14:
	s_clause 0x2
	scratch_load_b32 v1, off, off offset:584 th:TH_LOAD_LU
	scratch_load_b32 v2, off, off offset:208 th:TH_LOAD_LU
	scratch_load_b32 v3, off, off offset:588
.LBB160_15:
	s_mov_b32 s0, exec_lo
	s_wait_loadcnt 0x0
	v_cmpx_gt_u32_e64 s6, v3
	s_cbranch_execz .LBB160_66
; %bb.16:
	v_add_nc_u32_e32 v0, s14, v2
	v_mul_lo_u32 v5, v3, s12
	s_delay_alu instid0(VALU_DEP_2)
	v_cmp_gt_u32_e32 vcc_lo, s12, v0
	s_and_saveexec_b32 s1, vcc_lo
	s_cbranch_execz .LBB160_18
; %bb.17:
	v_bfe_u32 v3, v41, 16, 1
	s_delay_alu instid0(VALU_DEP_3) | instskip(SKIP_1) | instid1(VALU_DEP_3)
	v_add_nc_u32_e32 v2, v0, v5
	v_cmp_o_f32_e64 s0, v41, v41
	v_add3_u32 v4, v41, v3, 0x7fff
	v_mov_b32_e32 v3, 0
	s_delay_alu instid0(VALU_DEP_2) | instskip(NEXT) | instid1(VALU_DEP_2)
	v_lshrrev_b32_e32 v4, 16, v4
	v_lshlrev_b64_e32 v[2:3], 1, v[2:3]
	s_delay_alu instid0(VALU_DEP_2) | instskip(SKIP_1) | instid1(VALU_DEP_2)
	v_cndmask_b32_e64 v4, 0x7fc0, v4, s0
	s_wait_kmcnt 0x0
	v_add_co_u32 v2, s0, s8, v2
	s_wait_alu 0xf1ff
	s_delay_alu instid0(VALU_DEP_3)
	v_add_co_ci_u32_e64 v3, null, s9, v3, s0
	global_store_b16 v[2:3], v4, off
.LBB160_18:
	s_or_b32 exec_lo, exec_lo, s1
	v_add_nc_u32_e32 v2, 32, v0
	s_delay_alu instid0(VALU_DEP_1)
	v_cmp_gt_u32_e64 s0, s12, v2
	s_and_saveexec_b32 s2, s0
	s_cbranch_execz .LBB160_20
; %bb.19:
	v_bfe_u32 v4, v83, 16, 1
	v_add_nc_u32_e32 v3, v2, v5
	v_cmp_o_f32_e64 s1, v83, v83
	s_delay_alu instid0(VALU_DEP_3) | instskip(SKIP_1) | instid1(VALU_DEP_2)
	v_add3_u32 v6, v83, v4, 0x7fff
	v_mov_b32_e32 v4, 0
	v_lshrrev_b32_e32 v6, 16, v6
	s_delay_alu instid0(VALU_DEP_2) | instskip(SKIP_1) | instid1(VALU_DEP_2)
	v_lshlrev_b64_e32 v[3:4], 1, v[3:4]
	s_wait_alu 0xf1ff
	v_cndmask_b32_e64 v6, 0x7fc0, v6, s1
	s_wait_kmcnt 0x0
	s_delay_alu instid0(VALU_DEP_2)
	v_add_co_u32 v3, s1, s8, v3
	s_wait_alu 0xf1ff
	v_add_co_ci_u32_e64 v4, null, s9, v4, s1
	global_store_b16 v[3:4], v6, off
.LBB160_20:
	s_wait_alu 0xfffe
	s_or_b32 exec_lo, exec_lo, s2
	v_add_nc_u32_e32 v3, 64, v0
	s_delay_alu instid0(VALU_DEP_1)
	v_cmp_gt_u32_e64 s1, s12, v3
	s_and_saveexec_b32 s3, s1
	s_cbranch_execz .LBB160_22
; %bb.21:
	v_bfe_u32 v4, v73, 16, 1
	v_dual_mov_b32 v7, 0 :: v_dual_add_nc_u32 v6, v3, v5
	v_cmp_o_f32_e64 s2, v73, v73
	s_delay_alu instid0(VALU_DEP_3) | instskip(NEXT) | instid1(VALU_DEP_3)
	v_add3_u32 v4, v73, v4, 0x7fff
	v_lshlrev_b64_e32 v[6:7], 1, v[6:7]
	s_delay_alu instid0(VALU_DEP_2) | instskip(SKIP_1) | instid1(VALU_DEP_1)
	v_lshrrev_b32_e32 v4, 16, v4
	s_wait_alu 0xf1ff
	v_cndmask_b32_e64 v4, 0x7fc0, v4, s2
	s_wait_kmcnt 0x0
	s_delay_alu instid0(VALU_DEP_3)
	v_add_co_u32 v6, s2, s8, v6
	s_wait_alu 0xf1ff
	v_add_co_ci_u32_e64 v7, null, s9, v7, s2
	global_store_b16 v[6:7], v4, off
.LBB160_22:
	s_wait_alu 0xfffe
	s_or_b32 exec_lo, exec_lo, s3
	v_add_nc_u32_e32 v4, 0x60, v0
	s_delay_alu instid0(VALU_DEP_1)
	v_cmp_gt_u32_e64 s2, s12, v4
	s_and_saveexec_b32 s4, s2
	s_cbranch_execz .LBB160_24
; %bb.23:
	v_bfe_u32 v6, v198, 16, 1
	v_add_nc_u32_e32 v5, v4, v5
	v_cmp_o_f32_e64 s3, v198, v198
	s_delay_alu instid0(VALU_DEP_3) | instskip(SKIP_1) | instid1(VALU_DEP_2)
	v_add3_u32 v7, v198, v6, 0x7fff
	v_mov_b32_e32 v6, 0
	v_lshrrev_b32_e32 v7, 16, v7
	s_delay_alu instid0(VALU_DEP_2) | instskip(SKIP_1) | instid1(VALU_DEP_2)
	v_lshlrev_b64_e32 v[5:6], 1, v[5:6]
	s_wait_alu 0xf1ff
	v_cndmask_b32_e64 v7, 0x7fc0, v7, s3
	s_wait_kmcnt 0x0
	s_delay_alu instid0(VALU_DEP_2)
	v_add_co_u32 v5, s3, s8, v5
	s_wait_alu 0xf1ff
	v_add_co_ci_u32_e64 v6, null, s9, v6, s3
	global_store_b16 v[5:6], v7, off
.LBB160_24:
	s_wait_alu 0xfffe
	s_or_b32 exec_lo, exec_lo, s4
	v_add3_u32 v5, v1, s13, 8
	s_delay_alu instid0(VALU_DEP_1)
	v_cmp_gt_u32_e64 s3, s6, v5
	s_and_b32 exec_lo, exec_lo, s3
	s_cbranch_execz .LBB160_66
; %bb.25:
	v_mul_lo_u32 v5, v5, s12
	s_and_saveexec_b32 s4, vcc_lo
	s_cbranch_execnz .LBB160_67
; %bb.26:
	s_wait_alu 0xfffe
	s_or_b32 exec_lo, exec_lo, s4
	s_and_saveexec_b32 s4, s0
	s_cbranch_execnz .LBB160_68
.LBB160_27:
	s_wait_alu 0xfffe
	s_or_b32 exec_lo, exec_lo, s4
	s_and_saveexec_b32 s4, s1
	s_cbranch_execnz .LBB160_69
.LBB160_28:
	s_wait_alu 0xfffe
	s_or_b32 exec_lo, exec_lo, s4
	s_and_saveexec_b32 s4, s2
	s_cbranch_execz .LBB160_30
.LBB160_29:
	v_bfe_u32 v6, v67, 16, 1
	v_add_nc_u32_e32 v5, v5, v4
	v_cmp_o_f32_e64 s3, v67, v67
	s_delay_alu instid0(VALU_DEP_3) | instskip(SKIP_1) | instid1(VALU_DEP_2)
	v_add3_u32 v7, v67, v6, 0x7fff
	v_mov_b32_e32 v6, 0
	v_lshrrev_b32_e32 v7, 16, v7
	s_delay_alu instid0(VALU_DEP_2) | instskip(SKIP_1) | instid1(VALU_DEP_2)
	v_lshlrev_b64_e32 v[5:6], 1, v[5:6]
	s_wait_alu 0xf1ff
	v_cndmask_b32_e64 v7, 0x7fc0, v7, s3
	s_wait_kmcnt 0x0
	s_delay_alu instid0(VALU_DEP_2)
	v_add_co_u32 v5, s3, s8, v5
	s_wait_alu 0xf1ff
	v_add_co_ci_u32_e64 v6, null, s9, v6, s3
	global_store_b16 v[5:6], v7, off
.LBB160_30:
	s_wait_alu 0xfffe
	s_or_b32 exec_lo, exec_lo, s4
	v_add3_u32 v5, v1, s13, 16
	s_delay_alu instid0(VALU_DEP_1)
	v_cmp_gt_u32_e64 s3, s6, v5
	s_and_b32 exec_lo, exec_lo, s3
	s_cbranch_execz .LBB160_66
; %bb.31:
	v_mul_lo_u32 v5, v5, s12
	s_and_saveexec_b32 s4, vcc_lo
	s_cbranch_execnz .LBB160_70
; %bb.32:
	s_wait_alu 0xfffe
	s_or_b32 exec_lo, exec_lo, s4
	s_and_saveexec_b32 s4, s0
	s_cbranch_execnz .LBB160_71
.LBB160_33:
	s_wait_alu 0xfffe
	s_or_b32 exec_lo, exec_lo, s4
	s_and_saveexec_b32 s4, s1
	s_cbranch_execnz .LBB160_72
.LBB160_34:
	s_wait_alu 0xfffe
	s_or_b32 exec_lo, exec_lo, s4
	s_and_saveexec_b32 s4, s2
	s_cbranch_execz .LBB160_36
.LBB160_35:
	v_bfe_u32 v6, v44, 16, 1
	v_add_nc_u32_e32 v5, v5, v4
	v_cmp_o_f32_e64 s3, v44, v44
	s_delay_alu instid0(VALU_DEP_3) | instskip(SKIP_1) | instid1(VALU_DEP_2)
	v_add3_u32 v7, v44, v6, 0x7fff
	v_mov_b32_e32 v6, 0
	v_lshrrev_b32_e32 v7, 16, v7
	s_delay_alu instid0(VALU_DEP_2) | instskip(SKIP_1) | instid1(VALU_DEP_2)
	v_lshlrev_b64_e32 v[5:6], 1, v[5:6]
	s_wait_alu 0xf1ff
	v_cndmask_b32_e64 v7, 0x7fc0, v7, s3
	s_wait_kmcnt 0x0
	s_delay_alu instid0(VALU_DEP_2)
	v_add_co_u32 v5, s3, s8, v5
	s_wait_alu 0xf1ff
	v_add_co_ci_u32_e64 v6, null, s9, v6, s3
	global_store_b16 v[5:6], v7, off
.LBB160_36:
	s_wait_alu 0xfffe
	s_or_b32 exec_lo, exec_lo, s4
	v_add3_u32 v5, v1, s13, 24
	s_delay_alu instid0(VALU_DEP_1)
	v_cmp_gt_u32_e64 s3, s6, v5
	s_and_b32 exec_lo, exec_lo, s3
	s_cbranch_execz .LBB160_66
; %bb.37:
	v_mul_lo_u32 v5, v5, s12
	s_and_saveexec_b32 s4, vcc_lo
	s_cbranch_execnz .LBB160_73
; %bb.38:
	s_wait_alu 0xfffe
	s_or_b32 exec_lo, exec_lo, s4
	s_and_saveexec_b32 s4, s0
	s_cbranch_execnz .LBB160_74
.LBB160_39:
	s_wait_alu 0xfffe
	s_or_b32 exec_lo, exec_lo, s4
	s_and_saveexec_b32 s4, s1
	s_cbranch_execnz .LBB160_75
.LBB160_40:
	s_wait_alu 0xfffe
	s_or_b32 exec_lo, exec_lo, s4
	s_and_saveexec_b32 s4, s2
	s_cbranch_execz .LBB160_42
.LBB160_41:
	v_bfe_u32 v6, v39, 16, 1
	v_add_nc_u32_e32 v5, v5, v4
	v_cmp_o_f32_e64 s3, v39, v39
	s_delay_alu instid0(VALU_DEP_3) | instskip(SKIP_1) | instid1(VALU_DEP_2)
	v_add3_u32 v7, v39, v6, 0x7fff
	v_mov_b32_e32 v6, 0
	v_lshrrev_b32_e32 v7, 16, v7
	s_delay_alu instid0(VALU_DEP_2) | instskip(SKIP_1) | instid1(VALU_DEP_2)
	v_lshlrev_b64_e32 v[5:6], 1, v[5:6]
	s_wait_alu 0xf1ff
	v_cndmask_b32_e64 v7, 0x7fc0, v7, s3
	s_wait_kmcnt 0x0
	s_delay_alu instid0(VALU_DEP_2)
	v_add_co_u32 v5, s3, s8, v5
	s_wait_alu 0xf1ff
	v_add_co_ci_u32_e64 v6, null, s9, v6, s3
	global_store_b16 v[5:6], v7, off
.LBB160_42:
	s_wait_alu 0xfffe
	s_or_b32 exec_lo, exec_lo, s4
	v_add3_u32 v5, v1, s13, 32
	s_delay_alu instid0(VALU_DEP_1)
	v_cmp_gt_u32_e64 s3, s6, v5
	s_and_b32 exec_lo, exec_lo, s3
	s_cbranch_execz .LBB160_66
; %bb.43:
	v_mul_lo_u32 v5, v5, s12
	s_and_saveexec_b32 s4, vcc_lo
	s_cbranch_execnz .LBB160_76
; %bb.44:
	s_wait_alu 0xfffe
	s_or_b32 exec_lo, exec_lo, s4
	s_and_saveexec_b32 s4, s0
	s_cbranch_execnz .LBB160_77
.LBB160_45:
	s_wait_alu 0xfffe
	s_or_b32 exec_lo, exec_lo, s4
	s_and_saveexec_b32 s4, s1
	s_cbranch_execnz .LBB160_78
.LBB160_46:
	s_wait_alu 0xfffe
	s_or_b32 exec_lo, exec_lo, s4
	s_and_saveexec_b32 s4, s2
	s_cbranch_execz .LBB160_48
.LBB160_47:
	v_bfe_u32 v6, v35, 16, 1
	v_add_nc_u32_e32 v5, v5, v4
	v_cmp_o_f32_e64 s3, v35, v35
	s_delay_alu instid0(VALU_DEP_3) | instskip(SKIP_1) | instid1(VALU_DEP_2)
	v_add3_u32 v7, v35, v6, 0x7fff
	v_mov_b32_e32 v6, 0
	v_lshrrev_b32_e32 v7, 16, v7
	s_delay_alu instid0(VALU_DEP_2) | instskip(SKIP_1) | instid1(VALU_DEP_2)
	v_lshlrev_b64_e32 v[5:6], 1, v[5:6]
	s_wait_alu 0xf1ff
	v_cndmask_b32_e64 v7, 0x7fc0, v7, s3
	s_wait_kmcnt 0x0
	s_delay_alu instid0(VALU_DEP_2)
	v_add_co_u32 v5, s3, s8, v5
	s_wait_alu 0xf1ff
	v_add_co_ci_u32_e64 v6, null, s9, v6, s3
	global_store_b16 v[5:6], v7, off
.LBB160_48:
	s_wait_alu 0xfffe
	s_or_b32 exec_lo, exec_lo, s4
	v_add3_u32 v5, v1, s13, 40
	s_delay_alu instid0(VALU_DEP_1)
	v_cmp_gt_u32_e64 s3, s6, v5
	s_and_b32 exec_lo, exec_lo, s3
	s_cbranch_execz .LBB160_66
; %bb.49:
	v_mul_lo_u32 v5, v5, s12
	s_and_saveexec_b32 s4, vcc_lo
	s_cbranch_execnz .LBB160_79
; %bb.50:
	s_wait_alu 0xfffe
	s_or_b32 exec_lo, exec_lo, s4
	s_and_saveexec_b32 s4, s0
	s_cbranch_execnz .LBB160_80
.LBB160_51:
	s_wait_alu 0xfffe
	s_or_b32 exec_lo, exec_lo, s4
	s_and_saveexec_b32 s4, s1
	s_cbranch_execnz .LBB160_81
.LBB160_52:
	s_wait_alu 0xfffe
	s_or_b32 exec_lo, exec_lo, s4
	s_and_saveexec_b32 s4, s2
	s_cbranch_execz .LBB160_54
.LBB160_53:
	v_bfe_u32 v6, v110, 16, 1
	v_add_nc_u32_e32 v5, v5, v4
	v_cmp_o_f32_e64 s3, v110, v110
	s_delay_alu instid0(VALU_DEP_3) | instskip(SKIP_1) | instid1(VALU_DEP_2)
	v_add3_u32 v7, v110, v6, 0x7fff
	v_mov_b32_e32 v6, 0
	v_lshrrev_b32_e32 v7, 16, v7
	s_delay_alu instid0(VALU_DEP_2) | instskip(SKIP_1) | instid1(VALU_DEP_2)
	v_lshlrev_b64_e32 v[5:6], 1, v[5:6]
	s_wait_alu 0xf1ff
	v_cndmask_b32_e64 v7, 0x7fc0, v7, s3
	s_wait_kmcnt 0x0
	s_delay_alu instid0(VALU_DEP_2)
	v_add_co_u32 v5, s3, s8, v5
	s_wait_alu 0xf1ff
	v_add_co_ci_u32_e64 v6, null, s9, v6, s3
	global_store_b16 v[5:6], v7, off
.LBB160_54:
	s_wait_alu 0xfffe
	s_or_b32 exec_lo, exec_lo, s4
	v_add3_u32 v5, v1, s13, 48
	s_delay_alu instid0(VALU_DEP_1)
	v_cmp_gt_u32_e64 s3, s6, v5
	s_and_b32 exec_lo, exec_lo, s3
	s_cbranch_execz .LBB160_66
; %bb.55:
	v_mul_lo_u32 v5, v5, s12
	s_and_saveexec_b32 s4, vcc_lo
	s_cbranch_execnz .LBB160_82
; %bb.56:
	s_wait_alu 0xfffe
	s_or_b32 exec_lo, exec_lo, s4
	s_and_saveexec_b32 s4, s0
	s_cbranch_execnz .LBB160_83
.LBB160_57:
	s_wait_alu 0xfffe
	s_or_b32 exec_lo, exec_lo, s4
	s_and_saveexec_b32 s4, s1
	s_cbranch_execnz .LBB160_84
.LBB160_58:
	s_wait_alu 0xfffe
	s_or_b32 exec_lo, exec_lo, s4
	s_and_saveexec_b32 s4, s2
	s_cbranch_execz .LBB160_60
.LBB160_59:
	v_bfe_u32 v6, v101, 16, 1
	v_add_nc_u32_e32 v5, v5, v4
	v_cmp_o_f32_e64 s3, v101, v101
	s_delay_alu instid0(VALU_DEP_3) | instskip(SKIP_1) | instid1(VALU_DEP_2)
	v_add3_u32 v7, v101, v6, 0x7fff
	v_mov_b32_e32 v6, 0
	v_lshrrev_b32_e32 v7, 16, v7
	s_delay_alu instid0(VALU_DEP_2) | instskip(SKIP_1) | instid1(VALU_DEP_2)
	v_lshlrev_b64_e32 v[5:6], 1, v[5:6]
	s_wait_alu 0xf1ff
	v_cndmask_b32_e64 v7, 0x7fc0, v7, s3
	s_wait_kmcnt 0x0
	s_delay_alu instid0(VALU_DEP_2)
	v_add_co_u32 v5, s3, s8, v5
	s_wait_alu 0xf1ff
	v_add_co_ci_u32_e64 v6, null, s9, v6, s3
	global_store_b16 v[5:6], v7, off
.LBB160_60:
	s_wait_alu 0xfffe
	s_or_b32 exec_lo, exec_lo, s4
	v_add3_u32 v1, v1, s13, 56
	s_delay_alu instid0(VALU_DEP_1)
	v_cmp_gt_u32_e64 s3, s6, v1
	s_and_b32 exec_lo, exec_lo, s3
	s_cbranch_execz .LBB160_66
; %bb.61:
	v_mul_lo_u32 v1, v1, s12
	s_and_saveexec_b32 s3, vcc_lo
	s_cbranch_execnz .LBB160_85
; %bb.62:
	s_wait_alu 0xfffe
	s_or_b32 exec_lo, exec_lo, s3
	s_and_saveexec_b32 s3, s0
	s_cbranch_execnz .LBB160_86
.LBB160_63:
	s_wait_alu 0xfffe
	s_or_b32 exec_lo, exec_lo, s3
	s_and_saveexec_b32 s0, s1
	s_cbranch_execnz .LBB160_87
.LBB160_64:
	s_wait_alu 0xfffe
	s_or_b32 exec_lo, exec_lo, s0
	s_delay_alu instid0(SALU_CYCLE_1)
	s_and_b32 exec_lo, exec_lo, s2
	s_cbranch_execz .LBB160_66
.LBB160_65:
	v_bfe_u32 v2, v32, 16, 1
	v_dual_mov_b32 v1, 0 :: v_dual_add_nc_u32 v0, v1, v4
	v_cmp_o_f32_e32 vcc_lo, v32, v32
	s_delay_alu instid0(VALU_DEP_3) | instskip(NEXT) | instid1(VALU_DEP_3)
	v_add3_u32 v2, v32, v2, 0x7fff
	v_lshlrev_b64_e32 v[0:1], 1, v[0:1]
	s_delay_alu instid0(VALU_DEP_2) | instskip(SKIP_1) | instid1(VALU_DEP_1)
	v_lshrrev_b32_e32 v2, 16, v2
	s_wait_alu 0xfffd
	v_cndmask_b32_e32 v2, 0x7fc0, v2, vcc_lo
	s_wait_kmcnt 0x0
	s_delay_alu instid0(VALU_DEP_3)
	v_add_co_u32 v0, vcc_lo, s8, v0
	s_wait_alu 0xfffd
	v_add_co_ci_u32_e64 v1, null, s9, v1, vcc_lo
	global_store_b16 v[0:1], v2, off
.LBB160_66:
	s_nop 0
	s_sendmsg sendmsg(MSG_DEALLOC_VGPRS)
	s_endpgm
.LBB160_67:
	v_bfe_u32 v7, v71, 16, 1
	s_delay_alu instid0(VALU_DEP_2) | instskip(SKIP_1) | instid1(VALU_DEP_3)
	v_add_nc_u32_e32 v6, v5, v0
	v_cmp_o_f32_e64 s3, v71, v71
	v_add3_u32 v8, v71, v7, 0x7fff
	v_mov_b32_e32 v7, 0
	s_delay_alu instid0(VALU_DEP_2) | instskip(NEXT) | instid1(VALU_DEP_2)
	v_lshrrev_b32_e32 v8, 16, v8
	v_lshlrev_b64_e32 v[6:7], 1, v[6:7]
	s_wait_alu 0xf1ff
	s_delay_alu instid0(VALU_DEP_2) | instskip(SKIP_1) | instid1(VALU_DEP_2)
	v_cndmask_b32_e64 v8, 0x7fc0, v8, s3
	s_wait_kmcnt 0x0
	v_add_co_u32 v6, s3, s8, v6
	s_wait_alu 0xf1ff
	v_add_co_ci_u32_e64 v7, null, s9, v7, s3
	global_store_b16 v[6:7], v8, off
	s_wait_alu 0xfffe
	s_or_b32 exec_lo, exec_lo, s4
	s_and_saveexec_b32 s4, s0
	s_cbranch_execz .LBB160_27
.LBB160_68:
	v_bfe_u32 v7, v69, 16, 1
	v_add_nc_u32_e32 v6, v5, v2
	v_cmp_o_f32_e64 s3, v69, v69
	s_delay_alu instid0(VALU_DEP_3) | instskip(SKIP_1) | instid1(VALU_DEP_2)
	v_add3_u32 v8, v69, v7, 0x7fff
	v_mov_b32_e32 v7, 0
	v_lshrrev_b32_e32 v8, 16, v8
	s_delay_alu instid0(VALU_DEP_2) | instskip(SKIP_1) | instid1(VALU_DEP_2)
	v_lshlrev_b64_e32 v[6:7], 1, v[6:7]
	s_wait_alu 0xf1ff
	v_cndmask_b32_e64 v8, 0x7fc0, v8, s3
	s_wait_kmcnt 0x0
	s_delay_alu instid0(VALU_DEP_2)
	v_add_co_u32 v6, s3, s8, v6
	s_wait_alu 0xf1ff
	v_add_co_ci_u32_e64 v7, null, s9, v7, s3
	global_store_b16 v[6:7], v8, off
	s_wait_alu 0xfffe
	s_or_b32 exec_lo, exec_lo, s4
	s_and_saveexec_b32 s4, s1
	s_cbranch_execz .LBB160_28
.LBB160_69:
	v_bfe_u32 v7, v68, 16, 1
	v_add_nc_u32_e32 v6, v5, v3
	v_cmp_o_f32_e64 s3, v68, v68
	s_delay_alu instid0(VALU_DEP_3) | instskip(SKIP_1) | instid1(VALU_DEP_2)
	v_add3_u32 v8, v68, v7, 0x7fff
	v_mov_b32_e32 v7, 0
	v_lshrrev_b32_e32 v8, 16, v8
	s_delay_alu instid0(VALU_DEP_2) | instskip(SKIP_1) | instid1(VALU_DEP_2)
	v_lshlrev_b64_e32 v[6:7], 1, v[6:7]
	s_wait_alu 0xf1ff
	v_cndmask_b32_e64 v8, 0x7fc0, v8, s3
	s_wait_kmcnt 0x0
	s_delay_alu instid0(VALU_DEP_2)
	v_add_co_u32 v6, s3, s8, v6
	s_wait_alu 0xf1ff
	v_add_co_ci_u32_e64 v7, null, s9, v7, s3
	global_store_b16 v[6:7], v8, off
	s_wait_alu 0xfffe
	s_or_b32 exec_lo, exec_lo, s4
	s_and_saveexec_b32 s4, s2
	s_cbranch_execnz .LBB160_29
	s_branch .LBB160_30
.LBB160_70:
	v_bfe_u32 v7, v54, 16, 1
	s_delay_alu instid0(VALU_DEP_2) | instskip(SKIP_1) | instid1(VALU_DEP_3)
	v_add_nc_u32_e32 v6, v5, v0
	v_cmp_o_f32_e64 s3, v54, v54
	v_add3_u32 v8, v54, v7, 0x7fff
	v_mov_b32_e32 v7, 0
	s_delay_alu instid0(VALU_DEP_2) | instskip(NEXT) | instid1(VALU_DEP_2)
	v_lshrrev_b32_e32 v8, 16, v8
	v_lshlrev_b64_e32 v[6:7], 1, v[6:7]
	s_wait_alu 0xf1ff
	s_delay_alu instid0(VALU_DEP_2) | instskip(SKIP_1) | instid1(VALU_DEP_2)
	v_cndmask_b32_e64 v8, 0x7fc0, v8, s3
	s_wait_kmcnt 0x0
	v_add_co_u32 v6, s3, s8, v6
	s_wait_alu 0xf1ff
	v_add_co_ci_u32_e64 v7, null, s9, v7, s3
	global_store_b16 v[6:7], v8, off
	s_wait_alu 0xfffe
	s_or_b32 exec_lo, exec_lo, s4
	s_and_saveexec_b32 s4, s0
	s_cbranch_execz .LBB160_33
.LBB160_71:
	v_bfe_u32 v7, v47, 16, 1
	v_add_nc_u32_e32 v6, v5, v2
	v_cmp_o_f32_e64 s3, v47, v47
	s_delay_alu instid0(VALU_DEP_3) | instskip(SKIP_1) | instid1(VALU_DEP_2)
	v_add3_u32 v8, v47, v7, 0x7fff
	v_mov_b32_e32 v7, 0
	v_lshrrev_b32_e32 v8, 16, v8
	s_delay_alu instid0(VALU_DEP_2) | instskip(SKIP_1) | instid1(VALU_DEP_2)
	v_lshlrev_b64_e32 v[6:7], 1, v[6:7]
	s_wait_alu 0xf1ff
	v_cndmask_b32_e64 v8, 0x7fc0, v8, s3
	s_wait_kmcnt 0x0
	s_delay_alu instid0(VALU_DEP_2)
	v_add_co_u32 v6, s3, s8, v6
	s_wait_alu 0xf1ff
	v_add_co_ci_u32_e64 v7, null, s9, v7, s3
	global_store_b16 v[6:7], v8, off
	s_wait_alu 0xfffe
	s_or_b32 exec_lo, exec_lo, s4
	s_and_saveexec_b32 s4, s1
	s_cbranch_execz .LBB160_34
.LBB160_72:
	v_bfe_u32 v7, v45, 16, 1
	v_add_nc_u32_e32 v6, v5, v3
	v_cmp_o_f32_e64 s3, v45, v45
	s_delay_alu instid0(VALU_DEP_3) | instskip(SKIP_1) | instid1(VALU_DEP_2)
	v_add3_u32 v8, v45, v7, 0x7fff
	v_mov_b32_e32 v7, 0
	v_lshrrev_b32_e32 v8, 16, v8
	s_delay_alu instid0(VALU_DEP_2) | instskip(SKIP_1) | instid1(VALU_DEP_2)
	v_lshlrev_b64_e32 v[6:7], 1, v[6:7]
	s_wait_alu 0xf1ff
	v_cndmask_b32_e64 v8, 0x7fc0, v8, s3
	s_wait_kmcnt 0x0
	s_delay_alu instid0(VALU_DEP_2)
	v_add_co_u32 v6, s3, s8, v6
	s_wait_alu 0xf1ff
	v_add_co_ci_u32_e64 v7, null, s9, v7, s3
	global_store_b16 v[6:7], v8, off
	s_wait_alu 0xfffe
	s_or_b32 exec_lo, exec_lo, s4
	s_and_saveexec_b32 s4, s2
	s_cbranch_execnz .LBB160_35
	s_branch .LBB160_36
.LBB160_73:
	v_bfe_u32 v7, v43, 16, 1
	s_delay_alu instid0(VALU_DEP_2) | instskip(SKIP_1) | instid1(VALU_DEP_3)
	v_add_nc_u32_e32 v6, v5, v0
	v_cmp_o_f32_e64 s3, v43, v43
	v_add3_u32 v8, v43, v7, 0x7fff
	v_mov_b32_e32 v7, 0
	s_delay_alu instid0(VALU_DEP_2) | instskip(NEXT) | instid1(VALU_DEP_2)
	v_lshrrev_b32_e32 v8, 16, v8
	v_lshlrev_b64_e32 v[6:7], 1, v[6:7]
	s_wait_alu 0xf1ff
	s_delay_alu instid0(VALU_DEP_2) | instskip(SKIP_1) | instid1(VALU_DEP_2)
	v_cndmask_b32_e64 v8, 0x7fc0, v8, s3
	s_wait_kmcnt 0x0
	v_add_co_u32 v6, s3, s8, v6
	s_wait_alu 0xf1ff
	v_add_co_ci_u32_e64 v7, null, s9, v7, s3
	global_store_b16 v[6:7], v8, off
	s_wait_alu 0xfffe
	s_or_b32 exec_lo, exec_lo, s4
	s_and_saveexec_b32 s4, s0
	s_cbranch_execz .LBB160_39
.LBB160_74:
	v_bfe_u32 v7, v42, 16, 1
	v_add_nc_u32_e32 v6, v5, v2
	v_cmp_o_f32_e64 s3, v42, v42
	s_delay_alu instid0(VALU_DEP_3) | instskip(SKIP_1) | instid1(VALU_DEP_2)
	v_add3_u32 v8, v42, v7, 0x7fff
	v_mov_b32_e32 v7, 0
	v_lshrrev_b32_e32 v8, 16, v8
	s_delay_alu instid0(VALU_DEP_2) | instskip(SKIP_1) | instid1(VALU_DEP_2)
	v_lshlrev_b64_e32 v[6:7], 1, v[6:7]
	s_wait_alu 0xf1ff
	v_cndmask_b32_e64 v8, 0x7fc0, v8, s3
	s_wait_kmcnt 0x0
	s_delay_alu instid0(VALU_DEP_2)
	v_add_co_u32 v6, s3, s8, v6
	s_wait_alu 0xf1ff
	v_add_co_ci_u32_e64 v7, null, s9, v7, s3
	global_store_b16 v[6:7], v8, off
	s_wait_alu 0xfffe
	s_or_b32 exec_lo, exec_lo, s4
	s_and_saveexec_b32 s4, s1
	s_cbranch_execz .LBB160_40
.LBB160_75:
	v_bfe_u32 v7, v40, 16, 1
	v_add_nc_u32_e32 v6, v5, v3
	v_cmp_o_f32_e64 s3, v40, v40
	s_delay_alu instid0(VALU_DEP_3) | instskip(SKIP_1) | instid1(VALU_DEP_2)
	v_add3_u32 v8, v40, v7, 0x7fff
	v_mov_b32_e32 v7, 0
	v_lshrrev_b32_e32 v8, 16, v8
	s_delay_alu instid0(VALU_DEP_2) | instskip(SKIP_1) | instid1(VALU_DEP_2)
	v_lshlrev_b64_e32 v[6:7], 1, v[6:7]
	s_wait_alu 0xf1ff
	v_cndmask_b32_e64 v8, 0x7fc0, v8, s3
	s_wait_kmcnt 0x0
	s_delay_alu instid0(VALU_DEP_2)
	v_add_co_u32 v6, s3, s8, v6
	s_wait_alu 0xf1ff
	v_add_co_ci_u32_e64 v7, null, s9, v7, s3
	global_store_b16 v[6:7], v8, off
	s_wait_alu 0xfffe
	s_or_b32 exec_lo, exec_lo, s4
	s_and_saveexec_b32 s4, s2
	s_cbranch_execnz .LBB160_41
	s_branch .LBB160_42
.LBB160_76:
	v_bfe_u32 v7, v38, 16, 1
	s_delay_alu instid0(VALU_DEP_2) | instskip(SKIP_1) | instid1(VALU_DEP_3)
	v_add_nc_u32_e32 v6, v5, v0
	v_cmp_o_f32_e64 s3, v38, v38
	v_add3_u32 v8, v38, v7, 0x7fff
	v_mov_b32_e32 v7, 0
	s_delay_alu instid0(VALU_DEP_2) | instskip(NEXT) | instid1(VALU_DEP_2)
	v_lshrrev_b32_e32 v8, 16, v8
	v_lshlrev_b64_e32 v[6:7], 1, v[6:7]
	s_wait_alu 0xf1ff
	s_delay_alu instid0(VALU_DEP_2) | instskip(SKIP_1) | instid1(VALU_DEP_2)
	v_cndmask_b32_e64 v8, 0x7fc0, v8, s3
	s_wait_kmcnt 0x0
	v_add_co_u32 v6, s3, s8, v6
	s_wait_alu 0xf1ff
	v_add_co_ci_u32_e64 v7, null, s9, v7, s3
	global_store_b16 v[6:7], v8, off
	s_wait_alu 0xfffe
	s_or_b32 exec_lo, exec_lo, s4
	s_and_saveexec_b32 s4, s0
	s_cbranch_execz .LBB160_45
.LBB160_77:
	v_bfe_u32 v7, v37, 16, 1
	v_add_nc_u32_e32 v6, v5, v2
	v_cmp_o_f32_e64 s3, v37, v37
	s_delay_alu instid0(VALU_DEP_3) | instskip(SKIP_1) | instid1(VALU_DEP_2)
	v_add3_u32 v8, v37, v7, 0x7fff
	v_mov_b32_e32 v7, 0
	v_lshrrev_b32_e32 v8, 16, v8
	s_delay_alu instid0(VALU_DEP_2) | instskip(SKIP_1) | instid1(VALU_DEP_2)
	v_lshlrev_b64_e32 v[6:7], 1, v[6:7]
	s_wait_alu 0xf1ff
	v_cndmask_b32_e64 v8, 0x7fc0, v8, s3
	s_wait_kmcnt 0x0
	s_delay_alu instid0(VALU_DEP_2)
	v_add_co_u32 v6, s3, s8, v6
	s_wait_alu 0xf1ff
	v_add_co_ci_u32_e64 v7, null, s9, v7, s3
	global_store_b16 v[6:7], v8, off
	s_wait_alu 0xfffe
	s_or_b32 exec_lo, exec_lo, s4
	s_and_saveexec_b32 s4, s1
	s_cbranch_execz .LBB160_46
.LBB160_78:
	v_bfe_u32 v7, v36, 16, 1
	v_add_nc_u32_e32 v6, v5, v3
	v_cmp_o_f32_e64 s3, v36, v36
	s_delay_alu instid0(VALU_DEP_3) | instskip(SKIP_1) | instid1(VALU_DEP_2)
	v_add3_u32 v8, v36, v7, 0x7fff
	v_mov_b32_e32 v7, 0
	v_lshrrev_b32_e32 v8, 16, v8
	s_delay_alu instid0(VALU_DEP_2) | instskip(SKIP_1) | instid1(VALU_DEP_2)
	v_lshlrev_b64_e32 v[6:7], 1, v[6:7]
	s_wait_alu 0xf1ff
	v_cndmask_b32_e64 v8, 0x7fc0, v8, s3
	s_wait_kmcnt 0x0
	s_delay_alu instid0(VALU_DEP_2)
	v_add_co_u32 v6, s3, s8, v6
	s_wait_alu 0xf1ff
	v_add_co_ci_u32_e64 v7, null, s9, v7, s3
	global_store_b16 v[6:7], v8, off
	s_wait_alu 0xfffe
	s_or_b32 exec_lo, exec_lo, s4
	s_and_saveexec_b32 s4, s2
	s_cbranch_execnz .LBB160_47
	s_branch .LBB160_48
.LBB160_79:
	v_bfe_u32 v7, v120, 16, 1
	s_delay_alu instid0(VALU_DEP_2) | instskip(SKIP_1) | instid1(VALU_DEP_3)
	v_add_nc_u32_e32 v6, v5, v0
	v_cmp_o_f32_e64 s3, v120, v120
	v_add3_u32 v8, v120, v7, 0x7fff
	v_mov_b32_e32 v7, 0
	s_delay_alu instid0(VALU_DEP_2) | instskip(NEXT) | instid1(VALU_DEP_2)
	v_lshrrev_b32_e32 v8, 16, v8
	v_lshlrev_b64_e32 v[6:7], 1, v[6:7]
	s_wait_alu 0xf1ff
	s_delay_alu instid0(VALU_DEP_2) | instskip(SKIP_1) | instid1(VALU_DEP_2)
	v_cndmask_b32_e64 v8, 0x7fc0, v8, s3
	s_wait_kmcnt 0x0
	v_add_co_u32 v6, s3, s8, v6
	s_wait_alu 0xf1ff
	v_add_co_ci_u32_e64 v7, null, s9, v7, s3
	global_store_b16 v[6:7], v8, off
	s_wait_alu 0xfffe
	s_or_b32 exec_lo, exec_lo, s4
	s_and_saveexec_b32 s4, s0
	s_cbranch_execz .LBB160_51
.LBB160_80:
	v_bfe_u32 v7, v113, 16, 1
	v_add_nc_u32_e32 v6, v5, v2
	v_cmp_o_f32_e64 s3, v113, v113
	s_delay_alu instid0(VALU_DEP_3) | instskip(SKIP_1) | instid1(VALU_DEP_2)
	v_add3_u32 v8, v113, v7, 0x7fff
	v_mov_b32_e32 v7, 0
	v_lshrrev_b32_e32 v8, 16, v8
	s_delay_alu instid0(VALU_DEP_2) | instskip(SKIP_1) | instid1(VALU_DEP_2)
	v_lshlrev_b64_e32 v[6:7], 1, v[6:7]
	s_wait_alu 0xf1ff
	v_cndmask_b32_e64 v8, 0x7fc0, v8, s3
	s_wait_kmcnt 0x0
	s_delay_alu instid0(VALU_DEP_2)
	v_add_co_u32 v6, s3, s8, v6
	s_wait_alu 0xf1ff
	v_add_co_ci_u32_e64 v7, null, s9, v7, s3
	global_store_b16 v[6:7], v8, off
	s_wait_alu 0xfffe
	s_or_b32 exec_lo, exec_lo, s4
	s_and_saveexec_b32 s4, s1
	s_cbranch_execz .LBB160_52
.LBB160_81:
	v_bfe_u32 v7, v112, 16, 1
	v_add_nc_u32_e32 v6, v5, v3
	v_cmp_o_f32_e64 s3, v112, v112
	s_delay_alu instid0(VALU_DEP_3) | instskip(SKIP_1) | instid1(VALU_DEP_2)
	v_add3_u32 v8, v112, v7, 0x7fff
	v_mov_b32_e32 v7, 0
	v_lshrrev_b32_e32 v8, 16, v8
	s_delay_alu instid0(VALU_DEP_2) | instskip(SKIP_1) | instid1(VALU_DEP_2)
	v_lshlrev_b64_e32 v[6:7], 1, v[6:7]
	s_wait_alu 0xf1ff
	v_cndmask_b32_e64 v8, 0x7fc0, v8, s3
	s_wait_kmcnt 0x0
	s_delay_alu instid0(VALU_DEP_2)
	v_add_co_u32 v6, s3, s8, v6
	s_wait_alu 0xf1ff
	v_add_co_ci_u32_e64 v7, null, s9, v7, s3
	global_store_b16 v[6:7], v8, off
	s_wait_alu 0xfffe
	s_or_b32 exec_lo, exec_lo, s4
	s_and_saveexec_b32 s4, s2
	s_cbranch_execnz .LBB160_53
	s_branch .LBB160_54
.LBB160_82:
	v_bfe_u32 v7, v109, 16, 1
	s_delay_alu instid0(VALU_DEP_2) | instskip(SKIP_1) | instid1(VALU_DEP_3)
	v_add_nc_u32_e32 v6, v5, v0
	v_cmp_o_f32_e64 s3, v109, v109
	v_add3_u32 v8, v109, v7, 0x7fff
	v_mov_b32_e32 v7, 0
	s_delay_alu instid0(VALU_DEP_2) | instskip(NEXT) | instid1(VALU_DEP_2)
	v_lshrrev_b32_e32 v8, 16, v8
	v_lshlrev_b64_e32 v[6:7], 1, v[6:7]
	s_wait_alu 0xf1ff
	s_delay_alu instid0(VALU_DEP_2) | instskip(SKIP_1) | instid1(VALU_DEP_2)
	v_cndmask_b32_e64 v8, 0x7fc0, v8, s3
	s_wait_kmcnt 0x0
	v_add_co_u32 v6, s3, s8, v6
	s_wait_alu 0xf1ff
	v_add_co_ci_u32_e64 v7, null, s9, v7, s3
	global_store_b16 v[6:7], v8, off
	s_wait_alu 0xfffe
	s_or_b32 exec_lo, exec_lo, s4
	s_and_saveexec_b32 s4, s0
	s_cbranch_execz .LBB160_57
.LBB160_83:
	v_bfe_u32 v7, v108, 16, 1
	v_add_nc_u32_e32 v6, v5, v2
	v_cmp_o_f32_e64 s3, v108, v108
	s_delay_alu instid0(VALU_DEP_3) | instskip(SKIP_1) | instid1(VALU_DEP_2)
	v_add3_u32 v8, v108, v7, 0x7fff
	v_mov_b32_e32 v7, 0
	v_lshrrev_b32_e32 v8, 16, v8
	s_delay_alu instid0(VALU_DEP_2) | instskip(SKIP_1) | instid1(VALU_DEP_2)
	v_lshlrev_b64_e32 v[6:7], 1, v[6:7]
	s_wait_alu 0xf1ff
	v_cndmask_b32_e64 v8, 0x7fc0, v8, s3
	s_wait_kmcnt 0x0
	s_delay_alu instid0(VALU_DEP_2)
	v_add_co_u32 v6, s3, s8, v6
	s_wait_alu 0xf1ff
	v_add_co_ci_u32_e64 v7, null, s9, v7, s3
	global_store_b16 v[6:7], v8, off
	s_wait_alu 0xfffe
	s_or_b32 exec_lo, exec_lo, s4
	s_and_saveexec_b32 s4, s1
	s_cbranch_execz .LBB160_58
.LBB160_84:
	v_bfe_u32 v7, v107, 16, 1
	v_add_nc_u32_e32 v6, v5, v3
	v_cmp_o_f32_e64 s3, v107, v107
	s_delay_alu instid0(VALU_DEP_3) | instskip(SKIP_1) | instid1(VALU_DEP_2)
	v_add3_u32 v8, v107, v7, 0x7fff
	v_mov_b32_e32 v7, 0
	v_lshrrev_b32_e32 v8, 16, v8
	s_delay_alu instid0(VALU_DEP_2) | instskip(SKIP_1) | instid1(VALU_DEP_2)
	v_lshlrev_b64_e32 v[6:7], 1, v[6:7]
	s_wait_alu 0xf1ff
	v_cndmask_b32_e64 v8, 0x7fc0, v8, s3
	s_wait_kmcnt 0x0
	s_delay_alu instid0(VALU_DEP_2)
	v_add_co_u32 v6, s3, s8, v6
	s_wait_alu 0xf1ff
	v_add_co_ci_u32_e64 v7, null, s9, v7, s3
	global_store_b16 v[6:7], v8, off
	s_wait_alu 0xfffe
	s_or_b32 exec_lo, exec_lo, s4
	s_and_saveexec_b32 s4, s2
	s_cbranch_execnz .LBB160_59
	s_branch .LBB160_60
.LBB160_85:
	v_bfe_u32 v6, v95, 16, 1
	s_delay_alu instid0(VALU_DEP_2) | instskip(SKIP_1) | instid1(VALU_DEP_3)
	v_add_nc_u32_e32 v5, v1, v0
	v_cmp_o_f32_e32 vcc_lo, v95, v95
	v_add3_u32 v0, v95, v6, 0x7fff
	v_mov_b32_e32 v6, 0
	s_delay_alu instid0(VALU_DEP_2) | instskip(NEXT) | instid1(VALU_DEP_2)
	v_lshrrev_b32_e32 v0, 16, v0
	v_lshlrev_b64_e32 v[5:6], 1, v[5:6]
	s_wait_alu 0xfffd
	s_delay_alu instid0(VALU_DEP_2) | instskip(SKIP_1) | instid1(VALU_DEP_2)
	v_cndmask_b32_e32 v0, 0x7fc0, v0, vcc_lo
	s_wait_kmcnt 0x0
	v_add_co_u32 v5, vcc_lo, s8, v5
	s_wait_alu 0xfffd
	v_add_co_ci_u32_e64 v6, null, s9, v6, vcc_lo
	global_store_b16 v[5:6], v0, off
	s_wait_alu 0xfffe
	s_or_b32 exec_lo, exec_lo, s3
	s_and_saveexec_b32 s3, s0
	s_cbranch_execz .LBB160_63
.LBB160_86:
	v_bfe_u32 v0, v34, 16, 1
	v_dual_mov_b32 v6, 0 :: v_dual_add_nc_u32 v5, v1, v2
	v_cmp_o_f32_e32 vcc_lo, v34, v34
	s_delay_alu instid0(VALU_DEP_3) | instskip(NEXT) | instid1(VALU_DEP_3)
	v_add3_u32 v0, v34, v0, 0x7fff
	v_lshlrev_b64_e32 v[5:6], 1, v[5:6]
	s_delay_alu instid0(VALU_DEP_2) | instskip(SKIP_1) | instid1(VALU_DEP_1)
	v_lshrrev_b32_e32 v0, 16, v0
	s_wait_alu 0xfffd
	v_cndmask_b32_e32 v0, 0x7fc0, v0, vcc_lo
	s_wait_kmcnt 0x0
	s_delay_alu instid0(VALU_DEP_3)
	v_add_co_u32 v5, vcc_lo, s8, v5
	s_wait_alu 0xfffd
	v_add_co_ci_u32_e64 v6, null, s9, v6, vcc_lo
	global_store_b16 v[5:6], v0, off
	s_wait_alu 0xfffe
	s_or_b32 exec_lo, exec_lo, s3
	s_and_saveexec_b32 s0, s1
	s_cbranch_execz .LBB160_64
.LBB160_87:
	v_bfe_u32 v0, v33, 16, 1
	v_dual_mov_b32 v3, 0 :: v_dual_add_nc_u32 v2, v1, v3
	v_cmp_o_f32_e32 vcc_lo, v33, v33
	s_delay_alu instid0(VALU_DEP_3) | instskip(NEXT) | instid1(VALU_DEP_3)
	v_add3_u32 v0, v33, v0, 0x7fff
	v_lshlrev_b64_e32 v[2:3], 1, v[2:3]
	s_delay_alu instid0(VALU_DEP_2) | instskip(SKIP_1) | instid1(VALU_DEP_1)
	v_lshrrev_b32_e32 v0, 16, v0
	s_wait_alu 0xfffd
	v_cndmask_b32_e32 v0, 0x7fc0, v0, vcc_lo
	s_wait_kmcnt 0x0
	s_delay_alu instid0(VALU_DEP_3)
	v_add_co_u32 v2, vcc_lo, s8, v2
	s_wait_alu 0xfffd
	v_add_co_ci_u32_e64 v3, null, s9, v3, vcc_lo
	global_store_b16 v[2:3], v0, off
	s_wait_alu 0xfffe
	s_or_b32 exec_lo, exec_lo, s0
	s_delay_alu instid0(SALU_CYCLE_1)
	s_and_b32 exec_lo, exec_lo, s2
	s_cbranch_execnz .LBB160_65
	s_branch .LBB160_66
	.section	.rodata,"a",@progbits
	.p2align	6, 0x0
	.amdhsa_kernel _ZL12mul_mat_q4_1IN3c108BFloat16ELb1EEvPKvS3_PT_iiiii
		.amdhsa_group_segment_fixed_size 30336
		.amdhsa_private_segment_fixed_size 596
		.amdhsa_kernarg_size 44
		.amdhsa_user_sgpr_count 2
		.amdhsa_user_sgpr_dispatch_ptr 0
		.amdhsa_user_sgpr_queue_ptr 0
		.amdhsa_user_sgpr_kernarg_segment_ptr 1
		.amdhsa_user_sgpr_dispatch_id 0
		.amdhsa_user_sgpr_private_segment_size 0
		.amdhsa_wavefront_size32 1
		.amdhsa_uses_dynamic_stack 0
		.amdhsa_enable_private_segment 1
		.amdhsa_system_sgpr_workgroup_id_x 1
		.amdhsa_system_sgpr_workgroup_id_y 1
		.amdhsa_system_sgpr_workgroup_id_z 0
		.amdhsa_system_sgpr_workgroup_info 0
		.amdhsa_system_vgpr_workitem_id 1
		.amdhsa_next_free_vgpr 256
		.amdhsa_next_free_sgpr 17
		.amdhsa_reserve_vcc 1
		.amdhsa_float_round_mode_32 0
		.amdhsa_float_round_mode_16_64 0
		.amdhsa_float_denorm_mode_32 3
		.amdhsa_float_denorm_mode_16_64 3
		.amdhsa_fp16_overflow 0
		.amdhsa_workgroup_processor_mode 1
		.amdhsa_memory_ordered 1
		.amdhsa_forward_progress 1
		.amdhsa_inst_pref_size 255
		.amdhsa_round_robin_scheduling 0
		.amdhsa_exception_fp_ieee_invalid_op 0
		.amdhsa_exception_fp_denorm_src 0
		.amdhsa_exception_fp_ieee_div_zero 0
		.amdhsa_exception_fp_ieee_overflow 0
		.amdhsa_exception_fp_ieee_underflow 0
		.amdhsa_exception_fp_ieee_inexact 0
		.amdhsa_exception_int_div_zero 0
	.end_amdhsa_kernel
	.section	.text._ZL12mul_mat_q4_1IN3c108BFloat16ELb1EEvPKvS3_PT_iiiii,"axG",@progbits,_ZL12mul_mat_q4_1IN3c108BFloat16ELb1EEvPKvS3_PT_iiiii,comdat
.Lfunc_end160:
	.size	_ZL12mul_mat_q4_1IN3c108BFloat16ELb1EEvPKvS3_PT_iiiii, .Lfunc_end160-_ZL12mul_mat_q4_1IN3c108BFloat16ELb1EEvPKvS3_PT_iiiii
                                        ; -- End function
	.set _ZL12mul_mat_q4_1IN3c108BFloat16ELb1EEvPKvS3_PT_iiiii.num_vgpr, 256
	.set _ZL12mul_mat_q4_1IN3c108BFloat16ELb1EEvPKvS3_PT_iiiii.num_agpr, 0
	.set _ZL12mul_mat_q4_1IN3c108BFloat16ELb1EEvPKvS3_PT_iiiii.numbered_sgpr, 17
	.set _ZL12mul_mat_q4_1IN3c108BFloat16ELb1EEvPKvS3_PT_iiiii.num_named_barrier, 0
	.set _ZL12mul_mat_q4_1IN3c108BFloat16ELb1EEvPKvS3_PT_iiiii.private_seg_size, 596
	.set _ZL12mul_mat_q4_1IN3c108BFloat16ELb1EEvPKvS3_PT_iiiii.uses_vcc, 1
	.set _ZL12mul_mat_q4_1IN3c108BFloat16ELb1EEvPKvS3_PT_iiiii.uses_flat_scratch, 1
	.set _ZL12mul_mat_q4_1IN3c108BFloat16ELb1EEvPKvS3_PT_iiiii.has_dyn_sized_stack, 0
	.set _ZL12mul_mat_q4_1IN3c108BFloat16ELb1EEvPKvS3_PT_iiiii.has_recursion, 0
	.set _ZL12mul_mat_q4_1IN3c108BFloat16ELb1EEvPKvS3_PT_iiiii.has_indirect_call, 0
	.section	.AMDGPU.csdata,"",@progbits
; Kernel info:
; codeLenInByte = 41344
; TotalNumSgprs: 19
; NumVgprs: 256
; ScratchSize: 596
; MemoryBound: 0
; FloatMode: 240
; IeeeMode: 1
; LDSByteSize: 30336 bytes/workgroup (compile time only)
; SGPRBlocks: 0
; VGPRBlocks: 31
; NumSGPRsForWavesPerEU: 19
; NumVGPRsForWavesPerEU: 256
; Occupancy: 5
; WaveLimiterHint : 0
; COMPUTE_PGM_RSRC2:SCRATCH_EN: 1
; COMPUTE_PGM_RSRC2:USER_SGPR: 2
; COMPUTE_PGM_RSRC2:TRAP_HANDLER: 0
; COMPUTE_PGM_RSRC2:TGID_X_EN: 1
; COMPUTE_PGM_RSRC2:TGID_Y_EN: 1
; COMPUTE_PGM_RSRC2:TGID_Z_EN: 0
; COMPUTE_PGM_RSRC2:TIDIG_COMP_CNT: 1
	.section	.text._ZL12mul_mat_q5_0IN3c108BFloat16ELb0EEvPKvS3_PT_iiiii,"axG",@progbits,_ZL12mul_mat_q5_0IN3c108BFloat16ELb0EEvPKvS3_PT_iiiii,comdat
	.globl	_ZL12mul_mat_q5_0IN3c108BFloat16ELb0EEvPKvS3_PT_iiiii ; -- Begin function _ZL12mul_mat_q5_0IN3c108BFloat16ELb0EEvPKvS3_PT_iiiii
	.p2align	8
	.type	_ZL12mul_mat_q5_0IN3c108BFloat16ELb0EEvPKvS3_PT_iiiii,@function
_ZL12mul_mat_q5_0IN3c108BFloat16ELb0EEvPKvS3_PT_iiiii: ; @_ZL12mul_mat_q5_0IN3c108BFloat16ELb0EEvPKvS3_PT_iiiii
; %bb.0:
	s_clause 0x1
	s_load_b32 s2, s[0:1], 0x18
	s_load_b96 s[4:6], s[0:1], 0x20
	v_bfe_u32 v34, v0, 10, 10
	v_and_b32_e32 v35, 0x3ff, v0
	s_lshl_b32 s7, ttmp7, 6
	s_wait_kmcnt 0x0
	s_cmp_gt_i32 s2, 31
	s_cbranch_scc1 .LBB161_2
; %bb.1:
	v_bfe_u32 v1, v0, 10, 10
	v_and_b32_e32 v2, 0x3ff, v0
	s_mov_b32 s3, 0
	s_delay_alu instid0(VALU_DEP_2)
	v_add_nc_u32_e32 v3, s7, v1
	s_branch .LBB161_3
.LBB161_2:
	s_mov_b32 s3, -1
                                        ; implicit-def: $vgpr1
                                        ; implicit-def: $vgpr2
                                        ; implicit-def: $vgpr3
.LBB161_3:
	s_load_b64 s[8:9], s[0:1], 0x10
	v_dual_mov_b32 v64, 0 :: v_dual_mov_b32 v87, 0
	v_dual_mov_b32 v68, 0 :: v_dual_mov_b32 v103, 0
	;; [unrolled: 1-line block ×16, first 2 shown]
	s_and_not1_b32 vcc_lo, exec_lo, s3
	s_lshl_b32 s14, ttmp9, 7
	s_cbranch_vccnz .LBB161_14
; %bb.4:
	v_dual_mov_b32 v97, 0 :: v_dual_add_nc_u32 v10, s7, v34
	s_add_co_i32 s10, s4, -1
	v_bfe_u32 v96, v0, 2, 8
	v_cvt_f64_i32_e32 v[1:2], s10
	s_delay_alu instid0(VALU_DEP_3) | instskip(SKIP_3) | instid1(VALU_DEP_4)
	v_dual_mov_b32 v90, 0 :: v_dual_add_nc_u32 v5, 8, v10
	v_dual_mov_b32 v86, 0 :: v_dual_add_nc_u32 v7, 16, v10
	v_cvt_f64_u32_e32 v[3:4], v10
	v_dual_mov_b32 v84, 0 :: v_dual_add_nc_u32 v11, 32, v10
	v_cvt_f64_u32_e32 v[5:6], v5
	;; [unrolled: 2-line block ×3, first 2 shown]
	s_delay_alu instid0(VALU_DEP_4)
	v_cvt_f64_u32_e32 v[11:12], v11
	v_dual_mov_b32 v78, 0 :: v_dual_add_nc_u32 v13, 40, v10
	v_dual_mov_b32 v74, 0 :: v_dual_add_nc_u32 v15, 48, v10
	scratch_store_b32 off, v10, off offset:72 ; 4-byte Folded Spill
	v_dual_mov_b32 v70, 0 :: v_dual_add_nc_u32 v17, 56, v10
	v_cvt_f64_u32_e32 v[9:10], v9
	v_cvt_f64_u32_e32 v[13:14], v13
	;; [unrolled: 1-line block ×3, first 2 shown]
	s_delay_alu instid0(VALU_DEP_4) | instskip(SKIP_4) | instid1(VALU_DEP_2)
	v_cvt_f64_u32_e32 v[17:18], v17
	v_bfe_u32 v100, v0, 3, 7
	v_dual_mov_b32 v88, 0 :: v_dual_and_b32 v21, 31, v0
	s_ashr_i32 s3, s2, 31
	v_dual_mov_b32 v104, 0 :: v_dual_and_b32 v99, 7, v0
	v_lshl_or_b32 v110, v21, 2, 0x8200
	v_lshl_add_u32 v21, v34, 3, v96
	s_lshr_b32 s3, s3, 27
	v_dual_mov_b32 v91, 0 :: v_dual_lshlrev_b32 v20, 3, v35
	s_add_co_i32 s11, s2, s3
	v_dual_mov_b32 v75, 0 :: v_dual_lshlrev_b32 v22, 2, v35
	s_wait_alu 0xfffe
	s_ashr_i32 s15, s11, 5
	s_ashr_i32 s12, s5, 31
	v_mul_lo_u32 v95, s15, v34
	s_lshr_b32 s12, s12, 27
	v_dual_mov_b32 v66, 0 :: v_dual_and_b32 v19, 3, v0
	v_min_num_f64_e32 v[3:4], v[3:4], v[1:2]
	v_mad_u32_u24 v108, 0x104, v34, v20
	v_min_num_f64_e32 v[5:6], v[5:6], v[1:2]
	v_dual_mov_b32 v93, 0 :: v_dual_and_b32 v20, 28, v22
	v_min_num_f64_e32 v[7:8], v[7:8], v[1:2]
	v_min_num_f64_e32 v[11:12], v[11:12], v[1:2]
	v_mov_b32_e32 v89, 0
	s_lshl_b32 s16, s15, 3
	s_add_co_i32 s5, s5, s12
	v_dual_mov_b32 v79, 0 :: v_dual_add_nc_u32 v98, s16, v95
	s_ashr_i32 s5, s5, 5
	v_dual_mov_b32 v80, 0 :: v_dual_add_nc_u32 v23, 0x60, v35
	v_min_num_f64_e32 v[9:10], v[9:10], v[1:2]
	v_min_num_f64_e32 v[13:14], v[13:14], v[1:2]
	v_min_num_f64_e32 v[15:16], v[15:16], v[1:2]
	v_min_num_f64_e32 v[1:2], v[17:18], v[1:2]
	v_lshl_add_u32 v17, v34, 2, v100
	v_lshlrev_b32_e32 v18, 2, v99
	v_dual_mov_b32 v92, 0 :: v_dual_add_nc_u32 v101, s16, v98
	v_dual_mov_b32 v67, 0 :: v_dual_add_nc_u32 v24, 64, v35
	s_delay_alu instid0(VALU_DEP_4)
	v_add_nc_u32_e32 v33, 32, v17
	v_mul_lo_u32 v116, s15, v17
	v_and_b32_e32 v31, 0x7fc, v17
	v_dual_mov_b32 v87, 0 :: v_dual_lshlrev_b32 v32, 5, v17
	v_dual_mov_b32 v105, 0 :: v_dual_add_nc_u32 v106, s16, v101
	v_mov_b32_e32 v72, 0
	v_dual_mov_b32 v68, 0 :: v_dual_mov_b32 v73, 0
	s_delay_alu instid0(VALU_DEP_3)
	v_add_nc_u32_e32 v109, s16, v106
	v_dual_mov_b32 v71, 0 :: v_dual_lshlrev_b32 v36, 7, v34
	v_cvt_i32_f64_e32 v3, v[3:4]
	s_load_b128 s[0:3], s[0:1], 0x0
	v_cvt_i32_f64_e32 v4, v[5:6]
	v_add_nc_u32_e32 v111, s16, v109
	s_and_not1_b32 s11, s11, 31
	v_cvt_i32_f64_e32 v5, v[7:8]
	v_cvt_i32_f64_e32 v7, v[11:12]
	v_and_b32_e32 v11, 63, v21
	v_add3_u32 v12, v31, v18, 0xa200
	v_add_nc_u32_e32 v112, s16, v111
	v_dual_mov_b32 v76, 0 :: v_dual_lshlrev_b32 v107, 2, v19
	s_wait_alu 0xfffe
	v_add_nc_u32_e32 v121, s11, v116
	v_dual_mov_b32 v83, 0 :: v_dual_add_nc_u32 v22, 0x400, v36
	v_cvt_i32_f64_e32 v6, v[9:10]
	v_cvt_i32_f64_e32 v8, v[13:14]
	;; [unrolled: 1-line block ×4, first 2 shown]
	v_add_nc_u32_e32 v1, 64, v17
	v_add_nc_u32_e32 v2, 0x60, v17
	v_and_b32_e32 v13, 0xffc, v33
	v_add_nc_u32_e32 v113, s16, v112
	v_dual_mov_b32 v64, 0 :: v_dual_add_nc_u32 v25, 0x800, v36
	v_and_b32_e32 v15, 0xffc, v1
	v_lshlrev_b32_e32 v16, 5, v1
	v_and_b32_e32 v1, 0xffc, v2
	v_lshlrev_b32_e32 v17, 5, v2
	v_or_b32_e32 v2, s7, v11
	v_add3_u32 v13, v13, v18, 0xa200
	v_add3_u32 v15, v15, v18, 0xa200
	;; [unrolled: 1-line block ×3, first 2 shown]
	v_add_nc_u32_e32 v115, s16, v113
	v_min_i32_e32 v1, s10, v2
	v_dual_mov_b32 v77, 0 :: v_dual_add_nc_u32 v26, 0xc00, v36
	v_add_nc_u32_e32 v27, 0x1000, v36
	v_mul_lo_u32 v128, s5, v3
	s_delay_alu instid0(VALU_DEP_4)
	v_mad_co_u64_u32 v[1:2], null, v1, s5, v[19:20]
	v_mul_lo_u32 v129, s5, v4
	v_lshlrev_b32_e32 v3, 5, v35
	v_and_b32_e32 v4, 0x1fc, v23
	v_mul_lo_u32 v130, s5, v5
	v_mul_lo_u32 v132, s5, v7
	v_and_b32_e32 v5, 0x1fc, v24
	scratch_store_b64 off, v[1:2], off offset:12 ; 8-byte Folded Spill
	v_add_nc_u32_e32 v2, 32, v35
	v_and_b32_e32 v7, 0xfc, v0
	v_add_nc_u32_e32 v4, v3, v4
	v_mul_u32_u24_e32 v1, 0x104, v35
	v_add_nc_u32_e32 v5, v3, v5
	v_lshrrev_b32_e32 v0, 3, v2
	v_mul_lo_u32 v131, s5, v6
	v_and_b32_e32 v6, 0x1fc, v2
	v_add_nc_u32_e32 v7, v3, v7
	v_add_nc_u32_e32 v117, s16, v115
	scratch_store_b32 off, v0, off offset:40 ; 4-byte Folded Spill
	v_add_nc_u32_e32 v0, 0xae00, v4
	scratch_store_b32 off, v1, off offset:20 ; 4-byte Folded Spill
	v_add_nc_u32_e32 v6, v3, v6
	v_add_nc_u32_e32 v118, s16, v117
	v_dual_mov_b32 v69, 0 :: v_dual_add_nc_u32 v28, 0x1400, v36
	scratch_store_b32 off, v0, off offset:24 ; 4-byte Folded Spill
	v_add_nc_u32_e32 v0, 0xaa00, v5
	v_add_nc_u32_e32 v119, s16, v118
	;; [unrolled: 1-line block ×3, first 2 shown]
	v_dual_mov_b32 v65, 0 :: v_dual_add_nc_u32 v30, 0x1c00, v36
	scratch_store_b32 off, v0, off offset:28 ; 4-byte Folded Spill
	v_add_nc_u32_e32 v0, 0xa600, v6
	v_add_nc_u32_e32 v120, s16, v119
	v_lshlrev_b32_e32 v14, 5, v33
	v_lshl_or_b32 v11, v11, 4, v107
	v_add_nc_u32_e32 v123, s11, v121
	scratch_store_b32 off, v0, off offset:32 ; 4-byte Folded Spill
	v_add_nc_u32_e32 v0, 0xa200, v7
	s_clause 0x1
	scratch_store_b32 off, v0, off offset:36
	scratch_store_b32 off, v34, off offset:64
	v_lshl_add_u32 v0, v34, 4, 0xb280
	s_clause 0x1
	scratch_store_b32 off, v0, off
	scratch_store_b32 off, v36, off offset:8
	v_add_nc_u32_e32 v0, 0x8200, v36
	v_add_nc_u32_e32 v122, s16, v120
	v_mul_lo_u32 v133, s5, v8
	v_mul_lo_u32 v134, s5, v9
	;; [unrolled: 1-line block ×3, first 2 shown]
	scratch_store_b32 off, v0, off offset:4 ; 4-byte Folded Spill
	v_add_nc_u32_e32 v0, 0xae10, v4
	v_add_nc_u32_e32 v124, s16, v122
	s_wait_kmcnt 0x0
	v_add_co_u32 v2, s5, s2, v20
	s_mul_i32 s12, s15, s14
	scratch_store_b32 off, v0, off offset:44 ; 4-byte Folded Spill
	v_add_nc_u32_e32 v0, 0xaa10, v5
	v_add_co_ci_u32_e64 v3, null, s3, 0, s5
	s_movk_i32 s5, 0x80
	s_ashr_i32 s13, s12, 31
	scratch_store_b32 off, v0, off offset:48 ; 4-byte Folded Spill
	v_add_nc_u32_e32 v0, 0xa610, v6
	v_dual_mov_b32 v103, 0 :: v_dual_add_nc_u32 v140, 0x79e0, v108
	v_add_nc_u32_e32 v125, 0xb280, v11
	v_add_nc_u32_e32 v126, s11, v123
	scratch_store_b32 off, v0, off offset:52 ; 4-byte Folded Spill
	v_add_nc_u32_e32 v0, 0xa210, v7
	v_add_nc_u32_e32 v127, s16, v124
	s_clause 0x1
	scratch_store_b32 off, v0, off offset:56
	scratch_store_b32 off, v35, off offset:68
	s_wait_alu 0xfffe
	v_mad_u32_u24 v0, 0x104, v35, s5
	v_add_nc_u32_e32 v148, v12, v32
	v_add_nc_u32_e32 v149, v13, v14
	;; [unrolled: 1-line block ×11, first 2 shown]
	s_mul_u64 s[12:13], s[12:13], 22
	s_mov_b32 s11, 0
	s_add_nc_u64 s[0:1], s[0:1], s[12:13]
	s_add_co_i32 s5, s15, 3
	s_wait_alu 0xfffe
	s_mov_b32 s10, s11
	scratch_store_b32 off, v0, off offset:60 ; 4-byte Folded Spill
	s_branch .LBB161_6
.LBB161_5:                              ;   in Loop: Header=BB161_6 Depth=1
	s_add_co_i32 s10, s10, 8
	s_add_co_i32 s5, s5, -8
	s_wait_alu 0xfffe
	s_cmp_ge_i32 s10, s15
	s_cbranch_scc1 .LBB161_13
.LBB161_6:                              ; =>This Loop Header: Depth=1
                                        ;     Child Loop BB161_8 Depth 2
                                        ;     Child Loop BB161_11 Depth 2
	s_wait_alu 0xfffe
	s_mul_u64 s[12:13], s[10:11], 22
	v_add_nc_u32_e32 v47, 0x820, v108
	s_wait_alu 0xfffe
	s_add_nc_u64 s[12:13], s[0:1], s[12:13]
	v_add_nc_u32_e32 v48, 0x1040, v108
	s_wait_alu 0xfffe
	v_mad_co_u64_u32 v[4:5], null, v96, 22, s[12:13]
	v_add_nc_u32_e32 v49, 0x1860, v108
	s_cmp_gt_u32 s5, 3
	s_delay_alu instid0(VALU_DEP_2) | instskip(SKIP_3) | instid1(VALU_DEP_4)
	v_mad_co_u64_u32 v[6:7], null, v95, 22, v[4:5]
	v_mad_co_u64_u32 v[8:9], null, v98, 22, v[4:5]
	;; [unrolled: 1-line block ×4, first 2 shown]
	v_add_co_u32 v12, vcc_lo, v6, v107
	s_wait_alu 0xfffd
	v_add_co_ci_u32_e64 v13, null, 0, v7, vcc_lo
	v_add_co_u32 v17, vcc_lo, v8, v107
	s_wait_alu 0xfffd
	v_add_co_ci_u32_e64 v18, null, 0, v9, vcc_lo
	;; [unrolled: 3-line block ×4, first 2 shown]
	s_clause 0x5
	global_load_b32 v14, v[12:13], off offset:6
	global_load_b32 v12, v[17:18], off offset:6
	;; [unrolled: 1-line block ×6, first 2 shown]
	v_mad_co_u64_u32 v[6:7], null, v109, 22, v[4:5]
	v_mad_co_u64_u32 v[8:9], null, v111, 22, v[4:5]
	;; [unrolled: 1-line block ×4, first 2 shown]
	s_delay_alu instid0(VALU_DEP_4)
	v_add_co_u32 v30, vcc_lo, v6, v107
	s_clause 0x1
	global_load_b32 v20, v[8:9], off offset:2
	global_load_b32 v23, v[6:7], off offset:2
	s_wait_alu 0xfffd
	v_add_co_ci_u32_e64 v31, null, 0, v7, vcc_lo
	v_add_co_u32 v6, vcc_lo, v26, v107
	s_wait_alu 0xfffd
	v_add_co_ci_u32_e64 v7, null, 0, v27, vcc_lo
	v_add_co_u32 v10, vcc_lo, v28, v107
	;; [unrolled: 3-line block ×3, first 2 shown]
	s_wait_alu 0xfffd
	v_add_co_ci_u32_e64 v33, null, 0, v9, vcc_lo
	s_clause 0x7
	global_load_b32 v21, v[21:22], off offset:6
	global_load_b32 v18, v[24:25], off offset:6
	;; [unrolled: 1-line block ×8, first 2 shown]
	v_mad_co_u64_u32 v[29:30], null, v115, 22, v[4:5]
	v_mad_co_u64_u32 v[6:7], null, v99, 22, s[12:13]
	;; [unrolled: 1-line block ×5, first 2 shown]
	v_add_co_u32 v26, vcc_lo, v29, v107
	v_mad_co_u64_u32 v[24:25], null, v116, 22, v[6:7]
	s_wait_alu 0xfffd
	v_add_co_ci_u32_e64 v27, null, 0, v30, vcc_lo
	v_add_co_u32 v41, vcc_lo, v31, v107
	s_wait_alu 0xfffd
	v_add_co_ci_u32_e64 v42, null, 0, v32, vcc_lo
	v_add_co_u32 v43, vcc_lo, v33, v107
	;; [unrolled: 3-line block ×3, first 2 shown]
	s_wait_alu 0xfffd
	v_add_co_ci_u32_e64 v46, null, 0, v36, vcc_lo
	s_clause 0x8
	global_load_u16 v25, v[24:25], off
	global_load_b32 v50, v[26:27], off offset:6
	global_load_b32 v41, v[41:42], off offset:6
	;; [unrolled: 1-line block ×8, first 2 shown]
	v_mad_co_u64_u32 v[37:38], null, v120, 22, v[4:5]
	v_mad_co_u64_u32 v[39:40], null, v122, 22, v[4:5]
	s_wait_loadcnt 0x18
	v_and_b32_e32 v30, 0xf0f0f0f, v14
	v_lshrrev_b32_e32 v14, 4, v14
	s_wait_loadcnt 0x16
	v_ashrrev_i32_e32 v13, v107, v13
	s_wait_loadcnt 0x15
	v_ashrrev_i32_e32 v15, v107, v15
	;; [unrolled: 2-line block ×4, first 2 shown]
	v_and_b32_e32 v32, 0xf0f0f0f, v12
	v_lshrrev_b32_e32 v12, 4, v12
	v_lshlrev_b32_e32 v169, 4, v15
	v_lshlrev_b32_e32 v162, 4, v16
	;; [unrolled: 1-line block ×6, first 2 shown]
	v_lshrrev_b32_e32 v159, 12, v17
	s_wait_loadcnt 0x12
	v_ashrrev_i32_e32 v20, v107, v20
	s_wait_loadcnt 0x11
	v_ashrrev_i32_e32 v23, v107, v23
	v_lshrrev_b32_e32 v160, 5, v17
	v_lshlrev_b32_e32 v161, 2, v17
	v_lshlrev_b32_e32 v17, 9, v17
	;; [unrolled: 1-line block ×10, first 2 shown]
	s_wait_loadcnt 0xc
	v_and_b32_e32 v36, 0xf0f0f0f, v19
	v_lshrrev_b32_e32 v19, 4, v19
	v_lshrrev_b32_e32 v57, 12, v20
	;; [unrolled: 1-line block ×3, first 2 shown]
	v_lshlrev_b32_e32 v59, 2, v20
	v_lshlrev_b32_e32 v20, 9, v20
	;; [unrolled: 1-line block ×3, first 2 shown]
	s_wait_loadcnt 0xb
	v_and_b32_e32 v35, 0xf0f0f0f, v22
	v_lshrrev_b32_e32 v22, 4, v22
	v_lshrrev_b32_e32 v46, 12, v23
	;; [unrolled: 1-line block ×3, first 2 shown]
	v_lshlrev_b32_e32 v164, 18, v16
	v_lshlrev_b32_e32 v165, 25, v16
	v_lshrrev_b32_e32 v166, 12, v16
	v_lshrrev_b32_e32 v167, 5, v16
	v_lshlrev_b32_e32 v168, 2, v16
	v_lshlrev_b32_e32 v16, 9, v16
	;; [unrolled: 1-line block ×3, first 2 shown]
	v_and_b32_e32 v33, 0xf0f0f0f, v21
	v_lshrrev_b32_e32 v21, 4, v21
	v_lshlrev_b32_e32 v171, 18, v15
	v_lshlrev_b32_e32 v172, 25, v15
	v_lshrrev_b32_e32 v173, 12, v15
	v_lshrrev_b32_e32 v174, 5, v15
	v_lshlrev_b32_e32 v175, 2, v15
	v_lshlrev_b32_e32 v15, 9, v15
	;; [unrolled: 1-line block ×6, first 2 shown]
	v_and_b32_e32 v14, 0xf0f0f0f, v14
	v_and_b32_e32 v19, 0xf0f0f0f, v19
	;; [unrolled: 1-line block ×44, first 2 shown]
	v_or3_b32 v42, v42, v35, v43
	v_or3_b32 v35, v35, v44, v45
	;; [unrolled: 1-line block ×13, first 2 shown]
	v_lshrrev_b32_e32 v18, 4, v18
	v_lshlrev_b32_e32 v178, 18, v13
	v_lshlrev_b32_e32 v179, 25, v13
	v_lshrrev_b32_e32 v180, 12, v13
	v_lshrrev_b32_e32 v181, 5, v13
	v_lshlrev_b32_e32 v182, 2, v13
	v_lshlrev_b32_e32 v13, 9, v13
	v_or3_b32 v51, v173, v21, v174
	v_or3_b32 v15, v21, v175, v15
	;; [unrolled: 1-line block ×6, first 2 shown]
	v_lshrrev_b32_e32 v19, 16, v19
	v_lshrrev_b32_e32 v30, 16, v30
	v_and_b32_e32 v56, 0x1f00, v20
	v_lshlrev_b16 v20, 8, v20
	v_and_b32_e32 v57, 0x1f00, v45
	v_lshlrev_b16 v45, 8, v45
	v_and_b32_e32 v164, 0x100000, v164
	v_and_b32_e32 v165, 0x10000000, v165
	v_and_b32_e32 v58, 0x1f00, v17
	v_lshlrev_b16 v17, 8, v17
	v_and_b32_e32 v171, 0x100000, v171
	v_and_b32_e32 v172, 0x10000000, v172
	;; [unrolled: 4-line block ×3, first 2 shown]
	v_and_b32_e32 v179, 0x10000000, v179
	v_and_b32_e32 v180, 16, v180
	;; [unrolled: 1-line block ×6, first 2 shown]
	v_lshlrev_b16 v21, 8, v21
	v_and_b32_e32 v162, 0x1f00, v19
	v_lshlrev_b16 v163, 8, v19
	v_add_nc_u16 v19, 0xf000, v56
	v_add_nc_u16 v20, 0xf000, v20
	v_and_b32_e32 v56, 0x1f00, v30
	v_lshlrev_b16 v30, 8, v30
	v_add_nc_u16 v45, 0xf000, v45
	v_or3_b32 v32, v32, v164, v165
	v_add_nc_u16 v17, 0xf000, v17
	v_or3_b32 v33, v33, v171, v172
	;; [unrolled: 2-line block ×3, first 2 shown]
	v_or3_b32 v52, v180, v18, v181
	v_or3_b32 v13, v18, v182, v13
	v_add_nc_u16 v21, 0xf000, v21
	v_lshrrev_b32_e32 v14, 16, v14
	v_perm_b32 v19, v20, v19, 0xc0c0105
	v_add_nc_u16 v20, 0xf000, v56
	v_add_nc_u16 v30, 0xf000, v30
	v_lshrrev_b16 v45, 8, v45
	v_lshrrev_b32_e32 v22, 16, v22
	v_and_b32_e32 v53, 0x1f00, v43
	v_lshlrev_b16 v43, 8, v43
	v_lshrrev_b32_e32 v36, 16, v36
	v_lshrrev_b32_e32 v32, 16, v32
	;; [unrolled: 1-line block ×3, first 2 shown]
	v_and_b32_e32 v59, 0x1f00, v46
	v_lshlrev_b16 v46, 8, v46
	v_lshrrev_b16 v17, 8, v17
	v_lshrrev_b32_e32 v33, 16, v33
	v_lshrrev_b32_e32 v15, 16, v15
	v_and_b32_e32 v61, 0x1f00, v51
	v_lshlrev_b16 v51, 8, v51
	v_lshrrev_b16 v16, 8, v16
	v_lshrrev_b32_e32 v34, 16, v34
	v_lshrrev_b32_e32 v13, 16, v13
	v_and_b32_e32 v63, 0x1f00, v52
	v_lshlrev_b16 v52, 8, v52
	v_lshrrev_b16 v21, 8, v21
	v_and_b32_e32 v164, 0x1f00, v14
	v_lshlrev_b16 v14, 8, v14
	v_perm_b32 v20, v30, v20, 0xc0c0105
	v_or_b32_e32 v30, v57, v45
	v_add_nc_u16 v53, 0xf000, v53
	v_add_nc_u16 v43, 0xf000, v43
	v_and_b32_e32 v160, 0x1f00, v22
	v_and_b32_e32 v161, 0x1f00, v36
	;; [unrolled: 1-line block ×3, first 2 shown]
	v_lshlrev_b16 v32, 8, v32
	v_add_nc_u16 v59, 0xf000, v59
	v_add_nc_u16 v46, 0xf000, v46
	v_and_b32_e32 v166, 0x1f00, v12
	v_lshlrev_b16 v12, 8, v12
	v_or_b32_e32 v17, v58, v17
	v_and_b32_e32 v167, 0x1f00, v33
	v_lshlrev_b16 v33, 8, v33
	v_add_nc_u16 v61, 0xf000, v61
	v_add_nc_u16 v51, 0xf000, v51
	v_and_b32_e32 v168, 0x1f00, v15
	v_lshlrev_b16 v15, 8, v15
	v_or_b32_e32 v16, v60, v16
	v_lshrrev_b32_e32 v18, 16, v35
	v_and_b32_e32 v35, 0x1f00, v42
	v_lshlrev_b16 v42, 8, v42
	v_and_b32_e32 v169, 0x1f00, v34
	v_lshlrev_b16 v34, 8, v34
	v_add_nc_u16 v63, 0xf000, v63
	v_add_nc_u16 v52, 0xf000, v52
	v_and_b32_e32 v170, 0x1f00, v13
	v_lshlrev_b16 v13, 8, v13
	v_or_b32_e32 v21, v62, v21
	v_add_nc_u16 v56, 0xf000, v164
	v_add_nc_u16 v14, 0xf000, v14
	v_lshl_or_b32 v19, v20, 16, v19
	v_add_nc_u16 v20, 0xf000, v30
	v_perm_b32 v43, v43, v53, 0xc0c0105
	v_add_nc_u16 v53, 0xf000, v160
	v_add_nc_u16 v160, 0xf000, v161
	;; [unrolled: 1-line block ×5, first 2 shown]
	v_perm_b32 v46, v46, v59, 0xc0c0105
	v_add_nc_u16 v59, 0xf000, v166
	v_add_nc_u16 v12, 0xf000, v12
	;; [unrolled: 1-line block ×5, first 2 shown]
	v_perm_b32 v51, v51, v61, 0xc0c0105
	v_add_nc_u16 v61, 0xf000, v168
	v_add_nc_u16 v15, 0xf000, v15
	;; [unrolled: 1-line block ×3, first 2 shown]
	v_and_b32_e32 v159, 0x1f00, v18
	v_lshlrev_b16 v18, 8, v18
	v_add_nc_u16 v42, 0xf000, v42
	v_add_nc_u16 v165, 0xf000, v169
	;; [unrolled: 1-line block ×3, first 2 shown]
	v_perm_b32 v52, v52, v63, 0xc0c0105
	v_add_nc_u16 v63, 0xf000, v170
	v_add_nc_u16 v13, 0xf000, v13
	;; [unrolled: 1-line block ×3, first 2 shown]
	v_perm_b32 v14, v14, v56, 0xc0c0105
	v_and_b32_e32 v20, 0xffff, v20
	v_perm_b32 v32, v32, v162, 0xc0c0105
	v_perm_b32 v12, v12, v59, 0xc0c0105
	v_and_b32_e32 v17, 0xffff, v17
	v_perm_b32 v33, v33, v164, 0xc0c0105
	v_perm_b32 v15, v15, v61, 0xc0c0105
	v_and_b32_e32 v16, 0xffff, v16
	v_add_nc_u16 v159, 0xf000, v159
	v_add_nc_u16 v18, 0xf000, v18
	v_lshrrev_b16 v42, 8, v42
	v_perm_b32 v34, v34, v165, 0xc0c0105
	v_perm_b32 v13, v13, v63, 0xc0c0105
	v_and_b32_e32 v21, 0xffff, v21
	v_lshl_or_b32 v14, v14, 16, v20
	v_lshl_or_b32 v12, v12, 16, v46
	;; [unrolled: 1-line block ×5, first 2 shown]
	v_perm_b32 v159, v18, v159, 0xc0c0105
	v_or_b32_e32 v18, v35, v42
	v_lshl_or_b32 v13, v13, 16, v52
	v_lshl_or_b32 v20, v34, 16, v21
	ds_store_2addr_b32 v108, v19, v14 offset1:1
	ds_store_2addr_b32 v47, v17, v12 offset1:1
	;; [unrolled: 1-line block ×4, first 2 shown]
	v_mad_co_u64_u32 v[14:15], null, v124, 22, v[4:5]
	v_and_b32_e32 v54, 0x1f00, v23
	v_lshlrev_b16 v23, 8, v23
	v_mad_co_u64_u32 v[4:5], null, v127, 22, v[4:5]
	v_add_nc_u16 v18, 0xf000, v18
	v_add_co_u32 v12, vcc_lo, v37, v107
	s_wait_alu 0xfffd
	v_add_co_ci_u32_e64 v13, null, 0, v38, vcc_lo
	v_add_co_u32 v16, vcc_lo, v39, v107
	v_add_nc_u16 v23, 0xf000, v23
	v_and_b32_e32 v30, 0xffff, v18
	s_wait_alu 0xfffd
	v_add_co_ci_u32_e64 v17, null, 0, v40, vcc_lo
	v_add_co_u32 v18, vcc_lo, v14, v107
	s_wait_alu 0xfffd
	v_add_co_ci_u32_e64 v19, null, 0, v15, vcc_lo
	v_add_co_u32 v20, vcc_lo, v4, v107
	v_lshrrev_b16 v23, 8, v23
	s_wait_alu 0xfffd
	v_add_co_ci_u32_e64 v21, null, 0, v5, vcc_lo
	s_clause 0x7
	global_load_b32 v12, v[12:13], off offset:6
	global_load_b32 v13, v[16:17], off offset:6
	global_load_b32 v16, v[18:19], off offset:6
	global_load_b32 v17, v[20:21], off offset:6
	global_load_b32 v18, v[4:5], off offset:2
	global_load_b32 v14, v[14:15], off offset:2
	global_load_b32 v15, v[39:40], off offset:2
	global_load_b32 v19, v[37:38], off offset:2
	v_and_b32_e32 v55, 0x1f00, v44
	v_lshlrev_b16 v44, 8, v44
	v_lshlrev_b16 v36, 8, v36
	v_or_b32_e32 v23, v54, v23
	v_add_nc_u16 v32, 0xf000, v163
	v_add_nc_u16 v55, 0xf000, v55
	;; [unrolled: 1-line block ×5, first 2 shown]
	s_wait_loadcnt 0x11
	v_ashrrev_i32_e32 v11, v107, v11
	v_perm_b32 v21, v32, v161, 0xc0c0105
	v_perm_b32 v20, v44, v55, 0xc0c0105
	;; [unrolled: 1-line block ×3, first 2 shown]
	v_and_b32_e32 v5, 0xffff, v23
	v_lshl_or_b32 v23, v159, 16, v30
	v_lshlrev_b32_e32 v30, 25, v11
	v_lshl_or_b32 v20, v21, 16, v20
	v_lshlrev_b32_e32 v21, 18, v11
	;; [unrolled: 2-line block ×3, first 2 shown]
	v_lshlrev_b32_e32 v33, 11, v11
	v_and_b32_e32 v32, 0xf0f0f0f, v10
	v_and_b32_e32 v21, 0x100000, v21
	;; [unrolled: 1-line block ×4, first 2 shown]
	v_lshrrev_b32_e32 v10, 4, v10
	v_lshrrev_b32_e32 v34, 12, v11
	;; [unrolled: 1-line block ×3, first 2 shown]
	v_and_b32_e32 v33, 0x1000, v33
	v_or3_b32 v21, v32, v21, v30
	v_and_b32_e32 v10, 0xf0f0f0f, v10
	v_and_b32_e32 v30, 16, v34
	;; [unrolled: 1-line block ×3, first 2 shown]
	v_or3_b32 v5, v5, v32, v33
	v_lshlrev_b32_e32 v32, 2, v11
	v_lshlrev_b32_e32 v11, 9, v11
	v_lshrrev_b32_e32 v21, 16, v21
	v_or3_b32 v30, v30, v10, v34
	v_and_b32_e32 v33, 0x1f00, v5
	v_and_b32_e32 v32, 0x100000, v32
	;; [unrolled: 1-line block ×3, first 2 shown]
	v_lshlrev_b16 v5, 8, v5
	v_lshlrev_b16 v34, 8, v30
	v_add_nc_u16 v33, 0xf000, v33
	v_and_b32_e32 v35, 0x1f00, v21
	v_or3_b32 v10, v10, v32, v11
	v_add_nc_u16 v5, 0xf000, v5
	v_add_nc_u16 v11, 0xf000, v34
	v_lshlrev_b16 v21, 8, v21
	v_and_b32_e32 v30, 0x1f00, v30
	v_lshrrev_b32_e32 v10, 16, v10
	v_perm_b32 v5, v5, v33, 0xc0c0105
	v_lshrrev_b16 v11, 8, v11
	v_add_nc_u16 v32, 0xf000, v35
	v_add_nc_u16 v21, 0xf000, v21
	v_and_b32_e32 v33, 0x1f00, v10
	v_lshlrev_b16 v10, 8, v10
	v_or_b32_e32 v11, v30, v11
	v_ashrrev_i32_e32 v9, v107, v9
	v_perm_b32 v21, v21, v32, 0xc0c0105
	v_add_nc_u16 v30, 0xf000, v33
	v_add_nc_u16 v10, 0xf000, v10
	;; [unrolled: 1-line block ×3, first 2 shown]
	v_lshrrev_b32_e32 v33, 12, v9
	v_lshrrev_b32_e32 v34, 5, v9
	v_lshl_or_b32 v5, v21, 16, v5
	v_perm_b32 v10, v10, v30, 0xc0c0105
	v_and_b32_e32 v30, 0xf0f0f0f, v8
	v_lshrrev_b32_e32 v8, 4, v8
	v_lshlrev_b32_e32 v21, 4, v9
	v_lshlrev_b32_e32 v32, 11, v9
	;; [unrolled: 1-line block ×4, first 2 shown]
	v_and_b32_e32 v8, 0xf0f0f0f, v8
	v_and_b32_e32 v33, 16, v33
	;; [unrolled: 1-line block ×6, first 2 shown]
	v_lshlrev_b32_e32 v37, 2, v9
	v_lshlrev_b32_e32 v9, 9, v9
	v_and_b32_e32 v36, 0x10000000, v36
	v_or3_b32 v33, v33, v8, v34
	v_or3_b32 v21, v21, v30, v32
	v_and_b32_e32 v32, 0x100000, v37
	v_and_b32_e32 v9, 0x10000000, v9
	v_or3_b32 v30, v30, v35, v36
	v_lshlrev_b16 v34, 8, v33
	v_and_b32_e32 v35, 0x1f00, v21
	v_and_b32_e32 v33, 0x1f00, v33
	v_or3_b32 v8, v8, v32, v9
	v_lshrrev_b32_e32 v9, 16, v30
	v_add_nc_u16 v30, 0xf000, v34
	v_lshlrev_b16 v21, 8, v21
	v_add_nc_u16 v32, 0xf000, v35
	v_lshrrev_b32_e32 v8, 16, v8
	v_and_b32_e32 v34, 0x1f00, v9
	v_lshrrev_b16 v30, 8, v30
	v_add_nc_u16 v21, 0xf000, v21
	v_lshlrev_b16 v9, 8, v9
	v_and_b32_e32 v35, 0x1f00, v8
	v_lshlrev_b16 v8, 8, v8
	v_or_b32_e32 v30, v33, v30
	v_add_nc_u16 v33, 0xf000, v34
	s_wait_loadcnt 0x8
	v_ashrrev_i32_e32 v29, v107, v29
	v_add_nc_u16 v34, 0xf000, v35
	v_add_nc_u16 v8, 0xf000, v8
	;; [unrolled: 1-line block ×3, first 2 shown]
	v_and_b32_e32 v11, 0xffff, v11
	v_add_nc_u16 v9, 0xf000, v9
	v_perm_b32 v21, v21, v32, 0xc0c0105
	v_perm_b32 v8, v8, v34, 0xc0c0105
	v_and_b32_e32 v30, 0xffff, v30
	v_lshlrev_b32_e32 v32, 11, v29
	v_perm_b32 v9, v9, v33, 0xc0c0105
	v_lshl_or_b32 v10, v10, 16, v11
	v_lshlrev_b32_e32 v11, 4, v29
	v_lshl_or_b32 v8, v8, 16, v30
	v_and_b32_e32 v30, 0x1000, v32
	v_lshrrev_b32_e32 v32, 4, v50
	v_lshrrev_b32_e32 v33, 12, v29
	;; [unrolled: 1-line block ×3, first 2 shown]
	v_lshl_or_b32 v9, v9, 16, v21
	v_and_b32_e32 v21, 0xf0f0f0f, v50
	v_and_b32_e32 v11, 16, v11
	v_lshlrev_b32_e32 v35, 18, v29
	v_lshlrev_b32_e32 v36, 25, v29
	v_and_b32_e32 v32, 0xf0f0f0f, v32
	v_and_b32_e32 v33, 16, v33
	;; [unrolled: 1-line block ×3, first 2 shown]
	v_lshlrev_b32_e32 v37, 2, v29
	v_lshlrev_b32_e32 v29, 9, v29
	v_and_b32_e32 v35, 0x100000, v35
	v_and_b32_e32 v36, 0x10000000, v36
	v_or3_b32 v33, v33, v32, v34
	v_or3_b32 v11, v11, v21, v30
	v_and_b32_e32 v30, 0x100000, v37
	v_and_b32_e32 v29, 0x10000000, v29
	v_or3_b32 v21, v21, v35, v36
	v_lshlrev_b16 v34, 8, v33
	v_and_b32_e32 v35, 0x1f00, v11
	v_lshlrev_b16 v22, 8, v22
	v_or3_b32 v29, v32, v30, v29
	v_lshrrev_b32_e32 v21, 16, v21
	v_add_nc_u16 v30, 0xf000, v34
	v_lshlrev_b16 v11, 8, v11
	v_add_nc_u16 v32, 0xf000, v35
	v_lshrrev_b32_e32 v29, 16, v29
	v_and_b32_e32 v33, 0x1f00, v33
	v_lshrrev_b16 v30, 8, v30
	v_and_b32_e32 v34, 0x1f00, v21
	v_lshlrev_b16 v21, 8, v21
	v_and_b32_e32 v35, 0x1f00, v29
	v_lshlrev_b16 v29, 8, v29
	v_add_nc_u16 v22, 0xf000, v22
	v_add_nc_u16 v11, 0xf000, v11
	v_or_b32_e32 v30, v33, v30
	v_add_nc_u16 v33, 0xf000, v34
	v_add_nc_u16 v21, 0xf000, v21
	;; [unrolled: 1-line block ×4, first 2 shown]
	v_ashrrev_i32_e32 v31, v107, v31
	v_perm_b32 v22, v22, v53, 0xc0c0105
	v_perm_b32 v11, v11, v32, 0xc0c0105
	;; [unrolled: 1-line block ×4, first 2 shown]
	v_lshlrev_b32_e32 v32, 4, v31
	v_lshlrev_b32_e32 v33, 11, v31
	;; [unrolled: 1-line block ×4, first 2 shown]
	v_lshl_or_b32 v22, v22, 16, v43
	v_and_b32_e32 v36, 0xf0f0f0f, v41
	v_and_b32_e32 v32, 16, v32
	;; [unrolled: 1-line block ×4, first 2 shown]
	v_add_nc_u32_e32 v37, 0x2080, v108
	v_and_b32_e32 v35, 0x10000000, v35
	v_add_nc_u32_e32 v38, 0x28a0, v108
	v_add_nc_u32_e32 v39, 0x30c0, v108
	;; [unrolled: 1-line block ×3, first 2 shown]
	ds_store_2addr_b32 v37, v23, v22 offset1:1
	ds_store_2addr_b32 v38, v4, v20 offset1:1
	;; [unrolled: 1-line block ×4, first 2 shown]
	v_lshl_or_b32 v10, v21, 16, v11
	v_or3_b32 v4, v36, v34, v35
	v_or3_b32 v5, v32, v36, v33
	v_lshrrev_b32_e32 v8, 4, v41
	v_lshrrev_b32_e32 v9, 12, v31
	;; [unrolled: 1-line block ×3, first 2 shown]
	v_lshlrev_b32_e32 v22, 2, v31
	v_lshlrev_b32_e32 v23, 9, v31
	v_add_nc_u16 v30, 0xf000, v30
	v_lshrrev_b32_e32 v4, 16, v4
	v_and_b32_e32 v20, 0x1f00, v5
	v_and_b32_e32 v8, 0xf0f0f0f, v8
	;; [unrolled: 1-line block ×4, first 2 shown]
	v_lshlrev_b16 v5, 8, v5
	v_and_b32_e32 v22, 0x100000, v22
	v_and_b32_e32 v23, 0x10000000, v23
	;; [unrolled: 1-line block ×3, first 2 shown]
	v_add_nc_u16 v20, 0xf000, v20
	v_or3_b32 v21, v9, v8, v21
	v_add_nc_u16 v5, 0xf000, v5
	v_and_b32_e32 v9, 0x1f00, v4
	v_lshlrev_b16 v4, 8, v4
	v_or3_b32 v8, v8, v22, v23
	v_lshl_or_b32 v11, v29, 16, v30
	v_perm_b32 v20, v5, v20, 0xc0c0105
	v_add_nc_u16 v23, 0xf000, v9
	v_add_nc_u16 v29, 0xf000, v4
	v_mad_co_u64_u32 v[4:5], null, v121, 22, v[6:7]
	v_lshrrev_b32_e32 v30, 16, v8
	v_mad_co_u64_u32 v[8:9], null, v123, 22, v[6:7]
	v_mad_co_u64_u32 v[6:7], null, v126, 22, v[6:7]
	s_clause 0x2
	global_load_u16 v4, v[4:5], off
	global_load_u16 v5, v[8:9], off
	;; [unrolled: 1-line block ×3, first 2 shown]
	v_lshlrev_b16 v22, 8, v21
	v_and_b32_e32 v31, 0x1f00, v30
	v_lshlrev_b16 v30, 8, v30
	v_and_b32_e32 v21, 0x1f00, v21
	v_ashrrev_i32_e32 v28, v107, v28
	v_add_nc_u16 v22, 0xf000, v22
	v_add_nc_u16 v7, 0xf000, v31
	;; [unrolled: 1-line block ×3, first 2 shown]
	s_delay_alu instid0(VALU_DEP_4) | instskip(NEXT) | instid1(VALU_DEP_4)
	v_lshrrev_b32_e32 v30, 5, v28
	v_lshrrev_b16 v22, 8, v22
	v_lshlrev_b32_e32 v31, 18, v28
	s_delay_alu instid0(VALU_DEP_4)
	v_perm_b32 v7, v8, v7, 0xc0c0105
	v_lshlrev_b32_e32 v32, 25, v28
	v_and_b32_e32 v30, 0x1000, v30
	v_or_b32_e32 v9, v21, v22
	v_perm_b32 v21, v29, v23, 0xc0c0105
	v_lshrrev_b32_e32 v29, 12, v28
	v_lshlrev_b32_e32 v22, 4, v28
	v_lshlrev_b32_e32 v23, 11, v28
	v_add_nc_u16 v8, 0xf000, v9
	v_and_b32_e32 v9, 0xf0f0f0f, v27
	v_lshrrev_b32_e32 v27, 4, v27
	v_and_b32_e32 v29, 16, v29
	v_and_b32_e32 v22, 16, v22
	;; [unrolled: 1-line block ×3, first 2 shown]
	v_lshlrev_b32_e32 v33, 2, v28
	v_and_b32_e32 v27, 0xf0f0f0f, v27
	v_lshlrev_b32_e32 v28, 9, v28
	v_and_b32_e32 v31, 0x100000, v31
	v_and_b32_e32 v32, 0x10000000, v32
	v_or3_b32 v22, v22, v9, v23
	v_or3_b32 v29, v29, v27, v30
	v_and_b32_e32 v23, 0x100000, v33
	v_and_b32_e32 v28, 0x10000000, v28
	v_or3_b32 v9, v9, v31, v32
	v_and_b32_e32 v31, 0x1f00, v22
	v_lshlrev_b16 v30, 8, v29
	v_and_b32_e32 v29, 0x1f00, v29
	v_or3_b32 v23, v27, v23, v28
	v_lshrrev_b32_e32 v9, 16, v9
	v_lshlrev_b16 v22, 8, v22
	v_add_nc_u16 v27, 0xf000, v30
	v_add_nc_u16 v28, 0xf000, v31
	v_lshrrev_b32_e32 v23, 16, v23
	v_and_b32_e32 v30, 0x1f00, v9
	v_lshlrev_b16 v9, 8, v9
	v_lshrrev_b16 v27, 8, v27
	v_add_nc_u16 v22, 0xf000, v22
	v_and_b32_e32 v31, 0x1f00, v23
	v_lshlrev_b16 v23, 8, v23
	v_add_nc_u16 v9, 0xf000, v9
	v_or_b32_e32 v27, v29, v27
	v_add_nc_u16 v29, 0xf000, v30
	v_add_nc_u16 v30, 0xf000, v31
	;; [unrolled: 1-line block ×3, first 2 shown]
	v_and_b32_e32 v8, 0xffff, v8
	v_add_nc_u16 v27, 0xf000, v27
	v_perm_b32 v22, v22, v28, 0xc0c0105
	v_perm_b32 v9, v9, v29, 0xc0c0105
	;; [unrolled: 1-line block ×3, first 2 shown]
	v_lshl_or_b32 v20, v21, 16, v20
	v_and_b32_e32 v27, 0xffff, v27
	v_lshl_or_b32 v7, v7, 16, v8
	v_ashrrev_i32_e32 v8, v107, v26
	v_add_nc_u32_e32 v21, 0x4100, v108
	v_lshl_or_b32 v9, v9, 16, v22
	v_lshl_or_b32 v22, v23, 16, v27
	v_cvt_f32_f16_e32 v23, v25
	v_add_nc_u32_e32 v25, 0x4920, v108
	ds_store_2addr_b32 v21, v10, v11 offset1:1
	v_lshlrev_b32_e32 v10, 4, v8
	v_lshlrev_b32_e32 v11, 11, v8
	v_add_nc_u32_e32 v26, 0x5140, v108
	ds_store_2addr_b32 v25, v20, v7 offset1:1
	ds_store_2addr_b32 v26, v9, v22 offset1:1
	v_and_b32_e32 v9, 16, v10
	v_and_b32_e32 v10, 0x1000, v11
	v_lshrrev_b32_e32 v11, 4, v24
	v_lshrrev_b32_e32 v20, 12, v8
	;; [unrolled: 1-line block ×3, first 2 shown]
	v_and_b32_e32 v7, 0xf0f0f0f, v24
	v_lshlrev_b32_e32 v22, 18, v8
	v_lshlrev_b32_e32 v24, 25, v8
	v_and_b32_e32 v11, 0xf0f0f0f, v11
	v_and_b32_e32 v20, 16, v20
	;; [unrolled: 1-line block ×4, first 2 shown]
	v_lshlrev_b32_e32 v25, 2, v8
	v_lshlrev_b32_e32 v8, 9, v8
	v_and_b32_e32 v24, 0x10000000, v24
	v_or3_b32 v20, v20, v11, v21
	v_or3_b32 v9, v9, v7, v10
	v_and_b32_e32 v10, 0x100000, v25
	v_and_b32_e32 v8, 0x10000000, v8
	v_or3_b32 v7, v7, v22, v24
	v_lshlrev_b16 v21, 8, v20
	v_and_b32_e32 v22, 0x1f00, v9
	v_lshlrev_b16 v9, 8, v9
	v_or3_b32 v8, v11, v10, v8
	v_lshrrev_b32_e32 v7, 16, v7
	v_add_nc_u16 v10, 0xf000, v21
	v_and_b32_e32 v20, 0x1f00, v20
	v_add_nc_u16 v11, 0xf000, v22
	v_lshrrev_b32_e32 v8, 16, v8
	v_and_b32_e32 v21, 0x1f00, v7
	v_lshrrev_b16 v10, 8, v10
	v_lshlrev_b16 v7, 8, v7
	v_add_nc_u16 v9, 0xf000, v9
	v_and_b32_e32 v22, 0x1f00, v8
	v_lshlrev_b16 v8, 8, v8
	v_or_b32_e32 v10, v20, v10
	v_add_nc_u16 v20, 0xf000, v21
	v_add_nc_u16 v7, 0xf000, v7
	s_wait_loadcnt 0x3
	v_ashrrev_i32_e32 v19, v107, v19
	v_add_nc_u16 v21, 0xf000, v22
	v_add_nc_u16 v8, 0xf000, v8
	;; [unrolled: 1-line block ×3, first 2 shown]
	v_perm_b32 v9, v9, v11, 0xc0c0105
	v_perm_b32 v7, v7, v20, 0xc0c0105
	v_lshlrev_b32_e32 v11, 18, v19
	v_lshlrev_b32_e32 v20, 25, v19
	v_perm_b32 v8, v8, v21, 0xc0c0105
	v_and_b32_e32 v10, 0xffff, v10
	v_and_b32_e32 v21, 0xf0f0f0f, v12
	v_lshlrev_b32_e32 v22, 4, v19
	v_lshlrev_b32_e32 v24, 11, v19
	v_and_b32_e32 v11, 0x100000, v11
	v_and_b32_e32 v20, 0x10000000, v20
	v_lshl_or_b32 v7, v7, 16, v9
	v_lshl_or_b32 v8, v8, 16, v10
	v_and_b32_e32 v9, 16, v22
	v_and_b32_e32 v10, 0x1000, v24
	v_or3_b32 v11, v21, v11, v20
	v_lshrrev_b32_e32 v12, 4, v12
	v_lshrrev_b32_e32 v20, 12, v19
	;; [unrolled: 1-line block ×3, first 2 shown]
	v_or3_b32 v9, v9, v21, v10
	v_lshrrev_b32_e32 v10, 16, v11
	v_and_b32_e32 v11, 0xf0f0f0f, v12
	v_and_b32_e32 v12, 16, v20
	;; [unrolled: 1-line block ×3, first 2 shown]
	v_lshlrev_b32_e32 v21, 2, v19
	v_lshlrev_b32_e32 v19, 9, v19
	v_and_b32_e32 v22, 0x1f00, v9
	v_lshlrev_b16 v9, 8, v9
	v_or3_b32 v12, v12, v11, v20
	v_and_b32_e32 v20, 0x100000, v21
	v_add_nc_u32_e32 v21, 0x5960, v108
	v_and_b32_e32 v19, 0x10000000, v19
	v_add_nc_u16 v22, 0xf000, v22
	v_lshlrev_b16 v24, 8, v12
	v_and_b32_e32 v12, 0x1f00, v12
	ds_store_2addr_b32 v21, v7, v8 offset1:1
	v_or3_b32 v7, v11, v20, v19
	v_and_b32_e32 v8, 0x1f00, v10
	v_add_nc_u16 v11, 0xf000, v24
	v_lshlrev_b16 v10, 8, v10
	v_add_nc_u16 v9, 0xf000, v9
	v_lshrrev_b32_e32 v7, 16, v7
	v_add_nc_u16 v8, 0xf000, v8
	v_lshrrev_b16 v11, 8, v11
	v_add_nc_u16 v10, 0xf000, v10
	v_ashrrev_i32_e32 v15, v107, v15
	v_and_b32_e32 v19, 0x1f00, v7
	v_lshlrev_b16 v7, 8, v7
	v_or_b32_e32 v11, v12, v11
	v_perm_b32 v9, v9, v22, 0xc0c0105
	v_perm_b32 v8, v10, v8, 0xc0c0105
	v_add_nc_u16 v10, 0xf000, v19
	v_lshlrev_b32_e32 v12, 4, v15
	v_add_nc_u16 v7, 0xf000, v7
	v_add_nc_u16 v11, 0xf000, v11
	v_lshlrev_b32_e32 v19, 11, v15
	v_lshlrev_b32_e32 v21, 18, v15
	;; [unrolled: 1-line block ×3, first 2 shown]
	v_and_b32_e32 v20, 0xf0f0f0f, v13
	v_and_b32_e32 v12, 16, v12
	;; [unrolled: 1-line block ×3, first 2 shown]
	v_perm_b32 v7, v7, v10, 0xc0c0105
	v_and_b32_e32 v10, 0xffff, v11
	v_and_b32_e32 v11, 0x100000, v21
	;; [unrolled: 1-line block ×3, first 2 shown]
	v_or3_b32 v12, v12, v20, v19
	v_lshl_or_b32 v8, v8, 16, v9
	v_lshl_or_b32 v7, v7, 16, v10
	v_lshrrev_b32_e32 v9, 4, v13
	v_or3_b32 v10, v20, v11, v21
	v_lshlrev_b32_e32 v13, 2, v15
	v_lshlrev_b32_e32 v19, 9, v15
	v_lshrrev_b32_e32 v20, 12, v15
	v_lshrrev_b32_e32 v15, 5, v15
	v_and_b32_e32 v9, 0xf0f0f0f, v9
	v_and_b32_e32 v13, 0x100000, v13
	;; [unrolled: 1-line block ×3, first 2 shown]
	v_lshrrev_b32_e32 v10, 16, v10
	v_and_b32_e32 v20, 16, v20
	v_and_b32_e32 v15, 0x1000, v15
	;; [unrolled: 1-line block ×3, first 2 shown]
	v_or3_b32 v13, v9, v13, v19
	v_lshlrev_b16 v12, 8, v12
	v_and_b32_e32 v19, 0x1f00, v10
	v_or3_b32 v9, v20, v9, v15
	v_add_nc_u16 v11, 0xf000, v11
	v_lshlrev_b16 v10, 8, v10
	v_lshrrev_b32_e32 v13, 16, v13
	v_add_nc_u16 v12, 0xf000, v12
	v_add_nc_u16 v15, 0xf000, v19
	v_lshlrev_b16 v19, 8, v9
	v_add_nc_u16 v10, 0xf000, v10
	v_and_b32_e32 v20, 0x1f00, v13
	v_perm_b32 v11, v12, v11, 0xc0c0105
	v_ashrrev_i32_e32 v12, v107, v14
	v_add_nc_u16 v14, 0xf000, v19
	v_perm_b32 v10, v10, v15, 0xc0c0105
	v_add_nc_u16 v15, 0xf000, v20
	v_lshlrev_b16 v13, 8, v13
	v_lshlrev_b32_e32 v19, 4, v12
	v_and_b32_e32 v9, 0x1f00, v9
	v_lshrrev_b16 v14, 8, v14
	v_lshlrev_b32_e32 v20, 11, v12
	v_lshlrev_b32_e32 v22, 18, v12
	;; [unrolled: 1-line block ×3, first 2 shown]
	v_and_b32_e32 v21, 0xf0f0f0f, v16
	v_and_b32_e32 v19, 16, v19
	;; [unrolled: 1-line block ×3, first 2 shown]
	v_add_nc_u16 v13, 0xf000, v13
	v_or_b32_e32 v9, v9, v14
	v_and_b32_e32 v14, 0x100000, v22
	v_and_b32_e32 v22, 0x10000000, v24
	v_or3_b32 v19, v19, v21, v20
	v_lshl_or_b32 v10, v10, 16, v11
	v_perm_b32 v11, v13, v15, 0xc0c0105
	v_lshrrev_b32_e32 v15, 4, v16
	v_or3_b32 v13, v21, v14, v22
	v_lshrrev_b32_e32 v16, 12, v12
	v_lshrrev_b32_e32 v20, 5, v12
	v_lshlrev_b32_e32 v21, 2, v12
	v_lshlrev_b32_e32 v12, 9, v12
	v_and_b32_e32 v15, 0xf0f0f0f, v15
	v_and_b32_e32 v16, 16, v16
	;; [unrolled: 1-line block ×6, first 2 shown]
	v_lshlrev_b16 v19, 8, v19
	v_lshrrev_b32_e32 v13, 16, v13
	v_or3_b32 v16, v16, v15, v20
	v_or3_b32 v12, v15, v21, v12
	v_add_nc_u16 v14, 0xf000, v14
	v_add_nc_u16 v15, 0xf000, v19
	v_and_b32_e32 v19, 0x1f00, v13
	v_lshlrev_b16 v20, 8, v16
	v_lshrrev_b32_e32 v12, 16, v12
	v_lshlrev_b16 v13, 8, v13
	v_perm_b32 v14, v15, v14, 0xc0c0105
	v_add_nc_u16 v15, 0xf000, v19
	v_add_nc_u16 v19, 0xf000, v20
	v_and_b32_e32 v20, 0x1f00, v12
	v_lshlrev_b16 v12, 8, v12
	v_ashrrev_i32_e32 v18, v107, v18
	v_and_b32_e32 v16, 0x1f00, v16
	v_lshrrev_b16 v19, 8, v19
	v_add_nc_u16 v20, 0xf000, v20
	v_add_nc_u16 v12, 0xf000, v12
	v_add_nc_u16 v13, 0xf000, v13
	v_lshrrev_b32_e32 v21, 12, v18
	v_lshrrev_b32_e32 v22, 5, v18
	v_or_b32_e32 v16, v16, v19
	v_perm_b32 v12, v12, v20, 0xc0c0105
	v_and_b32_e32 v20, 0xf0f0f0f, v17
	v_lshrrev_b32_e32 v17, 4, v17
	v_perm_b32 v13, v13, v15, 0xc0c0105
	v_lshlrev_b32_e32 v15, 4, v18
	v_lshlrev_b32_e32 v19, 11, v18
	v_and_b32_e32 v21, 16, v21
	v_and_b32_e32 v17, 0xf0f0f0f, v17
	;; [unrolled: 1-line block ×5, first 2 shown]
	v_lshlrev_b32_e32 v24, 18, v18
	v_lshlrev_b32_e32 v25, 25, v18
	;; [unrolled: 1-line block ×4, first 2 shown]
	v_or3_b32 v21, v21, v17, v22
	v_and_b32_e32 v24, 0x100000, v24
	v_and_b32_e32 v25, 0x10000000, v25
	v_or3_b32 v15, v15, v20, v19
	v_and_b32_e32 v19, 0x100000, v26
	v_and_b32_e32 v18, 0x10000000, v18
	v_lshlrev_b16 v22, 8, v21
	v_or3_b32 v20, v20, v24, v25
	v_and_b32_e32 v24, 0x1f00, v15
	v_and_b32_e32 v21, 0x1f00, v21
	v_or3_b32 v17, v17, v19, v18
	v_add_nc_u16 v19, 0xf000, v22
	v_lshrrev_b32_e32 v18, 16, v20
	v_lshlrev_b16 v15, 8, v15
	v_add_nc_u16 v20, 0xf000, v24
	v_lshrrev_b32_e32 v17, 16, v17
	v_lshrrev_b16 v19, 8, v19
	v_and_b32_e32 v22, 0x1f00, v18
	v_lshlrev_b16 v18, 8, v18
	v_add_nc_u16 v9, 0xf000, v9
	v_and_b32_e32 v24, 0x1f00, v17
	v_lshlrev_b16 v17, 8, v17
	v_or_b32_e32 v19, v21, v19
	v_add_nc_u16 v15, 0xf000, v15
	v_add_nc_u16 v21, 0xf000, v22
	;; [unrolled: 1-line block ×7, first 2 shown]
	v_and_b32_e32 v9, 0xffff, v9
	v_perm_b32 v15, v15, v20, 0xc0c0105
	v_perm_b32 v18, v18, v21, 0xc0c0105
	v_perm_b32 v17, v17, v22, 0xc0c0105
	v_and_b32_e32 v19, 0xffff, v19
	v_and_b32_e32 v16, 0xffff, v16
	v_lshl_or_b32 v9, v11, 16, v9
	v_lshl_or_b32 v11, v13, 16, v14
	v_add_nc_u32_e32 v13, 0x6180, v108
	v_lshl_or_b32 v15, v18, 16, v15
	v_lshl_or_b32 v17, v17, 16, v19
	s_wait_loadcnt 0x1
	v_cvt_f32_f16_e32 v5, v5
	v_add_nc_u32_e32 v14, 0x69a0, v108
	v_cvt_f32_f16_e32 v4, v4
	s_wait_loadcnt 0x0
	v_cvt_f32_f16_e32 v6, v6
	v_lshl_or_b32 v12, v12, 16, v16
	v_add_nc_u32_e32 v16, 0x71c0, v108
	ds_store_2addr_b32 v13, v8, v7 offset1:1
	ds_store_2addr_b32 v14, v10, v9 offset1:1
	;; [unrolled: 1-line block ×4, first 2 shown]
	ds_store_b32 v148, v23
	ds_store_b32 v149, v4
	;; [unrolled: 1-line block ×4, first 2 shown]
	s_cbranch_scc0 .LBB161_5
; %bb.7:                                ;   in Loop: Header=BB161_6 Depth=1
	scratch_load_b64 v[0:1], off, off offset:12 ; 8-byte Folded Reload
	v_add_nc_u32_e32 v12, s10, v100
	s_mov_b32 s12, -4
	s_delay_alu instid0(VALU_DEP_1)
	v_add_nc_u32_e32 v14, v12, v135
	v_add_nc_u32_e32 v4, v12, v128
	;; [unrolled: 1-line block ×8, first 2 shown]
	v_mad_co_i64_i32 v[14:15], null, v14, 36, v[2:3]
	v_mad_co_i64_i32 v[4:5], null, v4, 36, v[2:3]
	;; [unrolled: 1-line block ×8, first 2 shown]
	s_wait_loadcnt 0x0
	v_add_nc_u32_e32 v159, s10, v0
	s_delay_alu instid0(VALU_DEP_1)
	v_mad_co_u64_u32 v[12:13], null, v159, 36, s[2:3]
	s_clause 0x8
	global_load_b32 v12, v[12:13], off
	global_load_b32 v13, v[14:15], off offset:4
	global_load_b32 v4, v[4:5], off offset:4
	;; [unrolled: 1-line block ×8, first 2 shown]
	s_clause 0x7
	scratch_load_b32 v0, off, off offset:8
	scratch_load_b32 v161, off, off offset:4
	;; [unrolled: 1-line block ×3, first 2 shown]
	scratch_load_b32 v163, off, off
	scratch_load_b32 v164, off, off offset:36
	scratch_load_b32 v165, off, off offset:32
	;; [unrolled: 1-line block ×4, first 2 shown]
	s_wait_loadcnt 0x10
	v_cvt_f32_f16_e32 v11, v12
	s_wait_loadcnt 0x7
	v_add_nc_u32_e32 v160, v110, v0
	ds_store_b32 v158, v13
	ds_store_b32 v160, v4
	;; [unrolled: 1-line block ×9, first 2 shown]
	s_wait_storecnt 0x0
	s_wait_loadcnt_dscnt 0x0
	s_barrier_signal -1
	s_barrier_wait -1
	global_inv scope:SCOPE_SE
.LBB161_8:                              ;   Parent Loop BB161_6 Depth=1
                                        ; =>  This Inner Loop Header: Depth=2
	ds_load_2addr_b32 v[4:5], v163 offset1:32
	ds_load_b32 v9, v164
	ds_load_b32 v8, v165
	;; [unrolled: 1-line block ×4, first 2 shown]
	v_add_nc_u32_e32 v58, 0x1814, v161
	v_add_nc_u32_e32 v167, 4, v167
	;; [unrolled: 1-line block ×5, first 2 shown]
	s_wait_alu 0xfffe
	s_add_co_i32 s12, s12, 4
	s_wait_alu 0xfffe
	s_cmp_lt_u32 s12, 12
	s_wait_dscnt 0x3
	v_mul_f32_e32 v191, v4, v9
	s_wait_dscnt 0x1
	v_dual_mul_f32 v188, v4, v8 :: v_dual_mul_f32 v187, v7, v5
	v_mul_f32_e32 v190, v4, v7
	s_wait_dscnt 0x0
	v_dual_mul_f32 v189, v4, v6 :: v_dual_mul_f32 v186, v9, v5
	v_mul_f32_e32 v194, v8, v5
	v_mul_f32_e32 v184, v6, v5
	ds_load_2addr_b32 v[4:5], v163 offset0:64 offset1:96
	v_add_nc_u32_e32 v22, 0x2098, v162
	s_wait_dscnt 0x0
	v_dual_mul_f32 v185, v9, v4 :: v_dual_add_nc_u32 v40, 0x80c, v161
	v_mul_f32_e32 v183, v8, v4
	v_mul_f32_e32 v182, v7, v4
	v_dual_mul_f32 v181, v6, v4 :: v_dual_mul_f32 v180, v9, v5
	v_mul_f32_e32 v179, v8, v5
	v_mul_f32_e32 v178, v7, v5
	;; [unrolled: 1-line block ×3, first 2 shown]
	ds_load_2addr_b32 v[4:5], v163 offset0:128 offset1:160
	v_add_nc_u32_e32 v25, 0x414, v161
	s_wait_dscnt 0x0
	v_mul_f32_e32 v177, v9, v4
	v_mul_f32_e32 v175, v8, v4
	;; [unrolled: 1-line block ×3, first 2 shown]
	v_dual_mul_f32 v173, v6, v4 :: v_dual_mul_f32 v172, v9, v5
	v_mul_f32_e32 v171, v8, v5
	v_mul_f32_e32 v170, v7, v5
	;; [unrolled: 1-line block ×3, first 2 shown]
	ds_load_2addr_b32 v[4:5], v163 offset0:192 offset1:224
	v_add_nc_u32_e32 v163, 4, v163
	s_wait_dscnt 0x0
	v_mul_f32_e32 v169, v9, v4
	v_dual_mul_f32 v192, v9, v5 :: v_dual_mul_f32 v199, v6, v4
	v_mul_f32_e32 v193, v8, v4
	v_dual_mul_f32 v196, v8, v5 :: v_dual_mul_f32 v197, v7, v4
	v_mul_f32_e32 v195, v7, v5
	v_mul_f32_e32 v198, v6, v5
	ds_load_2addr_b32 v[12:13], v161 offset1:7
	ds_load_2addr_b32 v[10:11], v162 offset1:1
	ds_load_2addr_b32 v[4:5], v162 offset0:2 offset1:3
	ds_load_2addr_b32 v[6:7], v162 offset0:4 offset1:5
	;; [unrolled: 1-line block ×3, first 2 shown]
	s_wait_dscnt 0x4
	v_lshlrev_b32_e32 v213, 8, v13
	s_wait_dscnt 0x3
	v_perm_b32 v14, v12, v11, 0xc0c0703
	s_wait_dscnt 0x2
	v_perm_b32 v15, v5, v4, 0x7030c0c
	v_lshlrev_b32_e32 v215, 16, v13
	s_wait_dscnt 0x0
	v_perm_b32 v17, v9, v8, 0x7030c0c
	v_perm_b32 v251, v11, v11, 0x2010003
	v_or_b32_e32 v14, v15, v14
	v_add_nc_u32_e32 v15, 0x1c14, v161
	ds_load_2addr_b32 v[26:27], v15 offset1:1
	ds_load_2addr_b32 v[20:21], v161 offset0:3 offset1:4
	ds_load_2addr_b32 v[30:31], v161 offset0:5 offset1:6
	;; [unrolled: 1-line block ×3, first 2 shown]
	s_wait_dscnt 0x2
	v_perm_b32 v15, v10, v21, 0xc0c0703
	v_perm_b32 v18, v13, v20, 0x7030c0c
	s_wait_dscnt 0x0
	v_perm_b32 v16, v30, v32, 0x7030c0c
	v_lshlrev_b32_e32 v243, 8, v32
	v_lshlrev_b32_e32 v244, 8, v30
	v_lshlrev_b32_e32 v245, 8, v21
	v_lshlrev_b32_e32 v220, 8, v33
	v_or_b32_e32 v15, v16, v15
	v_perm_b32 v16, v7, v6, 0xc0c0703
	v_lshlrev_b32_e32 v219, 8, v31
	v_perm_b32 v47, v10, v245, 0xc0c0603
	v_lshlrev_b32_e32 v214, 8, v20
	v_dot4_i32_iu8 v14, v15, v14, 0 neg_lo:[1,1,0]
	v_or_b32_e32 v16, v17, v16
	v_perm_b32 v17, v31, v33, 0xc0c0703
	v_add_nc_u32_e32 v15, 0x400, v161
	v_perm_b32 v50, v213, v214, 0x7030c0c
	v_lshlrev_b32_e32 v246, 16, v32
	v_lshlrev_b32_e32 v247, 16, v30
	v_or_b32_e32 v17, v18, v17
	v_lshlrev_b32_e32 v248, 16, v21
	v_lshlrev_b32_e32 v218, 16, v33
	;; [unrolled: 1-line block ×4, first 2 shown]
	v_dot4_i32_iu8 v200, v17, v16, v14 neg_lo:[1,1,0]
	v_add_nc_u32_e32 v14, 0x2080, v162
	v_add_nc_u32_e32 v16, 0x2088, v162
	;; [unrolled: 1-line block ×3, first 2 shown]
	ds_load_2addr_b32 v[18:19], v14 offset1:1
	ds_load_2addr_b32 v[14:15], v15 offset1:7
	;; [unrolled: 1-line block ×5, first 2 shown]
	s_wait_dscnt 0x4
	v_bfe_i32 v22, v18, 16, 8
	s_wait_dscnt 0x3
	v_bfe_i32 v23, v14, 16, 8
	v_bfe_i32 v24, v14, 0, 8
	v_perm_b32 v136, v19, v19, 0x2010003
	s_delay_alu instid0(VALU_DEP_3) | instskip(SKIP_1) | instid1(VALU_DEP_1)
	v_mul_i32_i24_e32 v22, v23, v22
	v_bfe_i32 v23, v18, 0, 8
	v_mad_i32_i24 v36, v24, v23, v22
	v_ashrrev_i32_e32 v22, 24, v18
	v_ashrrev_i32_e32 v23, 24, v14
	v_lshrrev_b16 v24, 8, v14
	s_delay_alu instid0(VALU_DEP_2) | instskip(SKIP_1) | instid1(VALU_DEP_3)
	v_mul_i32_i24_e32 v22, v23, v22
	v_lshrrev_b16 v23, 8, v18
	v_bfe_i32 v24, v24, 0, 8
	s_delay_alu instid0(VALU_DEP_2) | instskip(NEXT) | instid1(VALU_DEP_1)
	v_bfe_i32 v23, v23, 0, 8
	v_mad_i32_i24 v37, v24, v23, v22
	v_add_nc_u32_e32 v22, 0x40c, v161
	v_add_nc_u32_e32 v24, 0x404, v161
	ds_load_2addr_b32 v[22:23], v22 offset1:1
	ds_load_2addr_b32 v[38:39], v24 offset1:1
	;; [unrolled: 1-line block ×4, first 2 shown]
	v_bfe_i32 v40, v19, 8, 8
	s_wait_dscnt 0x3
	v_bfe_i32 v41, v23, 8, 8
	v_ashrrev_i32_e32 v42, 24, v23
	s_wait_dscnt 0x2
	v_bfe_i32 v43, v38, 16, 8
	s_wait_dscnt 0x1
	v_bfe_i32 v44, v35, 0, 8
	v_bfe_i32 v45, v22, 0, 8
	v_mul_i32_i24_e32 v40, v41, v40
	v_ashrrev_i32_e32 v41, 24, v19
	v_bfe_i32 v46, v22, 16, 8
	s_delay_alu instid0(VALU_DEP_2) | instskip(SKIP_3) | instid1(VALU_DEP_2)
	v_mad_i32_i24 v201, v42, v41, v40
	v_bfe_i32 v40, v48, 8, 8
	v_bfe_i32 v41, v38, 8, 8
	;; [unrolled: 1-line block ×3, first 2 shown]
	v_mul_i32_i24_e32 v40, v41, v40
	v_bfe_i32 v41, v48, 0, 8
	s_delay_alu instid0(VALU_DEP_1) | instskip(SKIP_2) | instid1(VALU_DEP_1)
	v_mad_i32_i24 v40, v42, v41, v40
	v_ashrrev_i32_e32 v41, 24, v49
	v_ashrrev_i32_e32 v42, 24, v34
	v_mul_i32_i24_e32 v41, v42, v41
	v_bfe_i32 v42, v48, 16, 8
	s_delay_alu instid0(VALU_DEP_1) | instskip(SKIP_3) | instid1(VALU_DEP_2)
	v_mad_i32_i24 v202, v43, v42, v41
	v_bfe_i32 v41, v49, 8, 8
	v_bfe_i32 v42, v34, 8, 8
	;; [unrolled: 1-line block ×3, first 2 shown]
	v_mul_i32_i24_e32 v41, v42, v41
	v_bfe_i32 v42, v49, 0, 8
	s_delay_alu instid0(VALU_DEP_1) | instskip(SKIP_3) | instid1(VALU_DEP_2)
	v_mad_i32_i24 v203, v43, v42, v41
	v_bfe_i32 v41, v28, 8, 8
	v_bfe_i32 v42, v39, 8, 8
	v_bfe_i32 v43, v39, 0, 8
	v_mul_i32_i24_e32 v41, v42, v41
	v_bfe_i32 v42, v28, 0, 8
	s_delay_alu instid0(VALU_DEP_1) | instskip(SKIP_2) | instid1(VALU_DEP_1)
	v_mad_i32_i24 v41, v43, v42, v41
	v_bfe_i32 v42, v29, 8, 8
	v_bfe_i32 v43, v35, 8, 8
	v_mul_i32_i24_e32 v42, v43, v42
	v_bfe_i32 v43, v29, 0, 8
	s_delay_alu instid0(VALU_DEP_1) | instskip(SKIP_2) | instid1(VALU_DEP_1)
	v_mad_i32_i24 v42, v44, v43, v42
	v_bfe_i32 v43, v16, 8, 8
	v_bfe_i32 v44, v22, 8, 8
	v_mul_i32_i24_e32 v43, v44, v43
	v_bfe_i32 v44, v16, 0, 8
	s_delay_alu instid0(VALU_DEP_1) | instskip(SKIP_2) | instid1(VALU_DEP_1)
	v_mad_i32_i24 v43, v45, v44, v43
	v_ashrrev_i32_e32 v44, 24, v17
	v_ashrrev_i32_e32 v45, 24, v15
	v_mul_i32_i24_e32 v44, v45, v44
	v_bfe_i32 v45, v16, 16, 8
	s_delay_alu instid0(VALU_DEP_1) | instskip(SKIP_3) | instid1(VALU_DEP_2)
	v_mad_i32_i24 v204, v46, v45, v44
	v_bfe_i32 v44, v17, 8, 8
	v_bfe_i32 v45, v15, 8, 8
	;; [unrolled: 1-line block ×3, first 2 shown]
	v_mul_i32_i24_e32 v44, v45, v44
	v_bfe_i32 v45, v17, 0, 8
	s_delay_alu instid0(VALU_DEP_1) | instskip(SKIP_3) | instid1(VALU_DEP_2)
	v_mad_i32_i24 v205, v46, v45, v44
	v_perm_b32 v44, v12, v11, 0xc0c0602
	v_perm_b32 v45, v5, v4, 0x6020c0c
	;; [unrolled: 1-line block ×3, first 2 shown]
	v_or_b32_e32 v44, v45, v44
	v_perm_b32 v45, v7, v6, 0xc0c0602
	s_delay_alu instid0(VALU_DEP_1) | instskip(SKIP_1) | instid1(VALU_DEP_1)
	v_or_b32_e32 v45, v46, v45
	v_perm_b32 v46, v244, v243, 0x7030c0c
	v_or_b32_e32 v46, v46, v47
	v_perm_b32 v47, v219, v220, 0xc0c0703
	s_delay_alu instid0(VALU_DEP_2) | instskip(NEXT) | instid1(VALU_DEP_2)
	v_dot4_i32_iu8 v44, v46, v44, 0 neg_lo:[1,1,0]
	v_or_b32_e32 v47, v50, v47
	v_perm_b32 v46, v9, v8, 0x5010c0c
	v_perm_b32 v50, v215, v216, 0x7030c0c
	s_delay_alu instid0(VALU_DEP_3) | instskip(SKIP_4) | instid1(VALU_DEP_3)
	v_dot4_i32_iu8 v206, v47, v45, v44 neg_lo:[1,1,0]
	v_perm_b32 v44, v12, v11, 0xc0c0501
	v_perm_b32 v45, v5, v4, 0x5010c0c
	;; [unrolled: 1-line block ×4, first 2 shown]
	v_or_b32_e32 v44, v45, v44
	v_perm_b32 v45, v7, v6, 0xc0c0501
	s_delay_alu instid0(VALU_DEP_1) | instskip(SKIP_1) | instid1(VALU_DEP_1)
	v_or_b32_e32 v45, v46, v45
	v_perm_b32 v46, v247, v246, 0x7030c0c
	v_or_b32_e32 v46, v46, v47
	v_perm_b32 v47, v217, v218, 0xc0c0703
	s_delay_alu instid0(VALU_DEP_2) | instskip(NEXT) | instid1(VALU_DEP_2)
	v_dot4_i32_iu8 v44, v46, v44, 0 neg_lo:[1,1,0]
	v_or_b32_e32 v47, v50, v47
	s_delay_alu instid0(VALU_DEP_1) | instskip(SKIP_2) | instid1(VALU_DEP_1)
	v_dot4_i32_iu8 v207, v47, v45, v44 neg_lo:[1,1,0]
	v_bfe_i32 v44, v23, 0, 8
	v_bfe_i32 v45, v19, 0, 8
	v_mul_i32_i24_e32 v44, v44, v45
	v_add_nc_u32_e32 v45, 0x1414, v161
	s_delay_alu instid0(VALU_DEP_2) | instskip(SKIP_3) | instid1(VALU_DEP_2)
	v_add3_u32 v208, v36, v37, v44
	v_bfe_i32 v36, v23, 16, 8
	v_bfe_i32 v37, v19, 16, 8
	v_ashrrev_i32_e32 v44, 24, v48
	v_mul_i32_i24_e32 v36, v36, v37
	v_ashrrev_i32_e32 v37, 24, v38
	s_delay_alu instid0(VALU_DEP_1) | instskip(SKIP_1) | instid1(VALU_DEP_2)
	v_mul_i32_i24_e32 v37, v37, v44
	v_add_nc_u32_e32 v44, 0x1014, v161
	v_add3_u32 v209, v36, v37, v40
	v_bfe_i32 v36, v34, 16, 8
	v_bfe_i32 v37, v49, 16, 8
	v_ashrrev_i32_e32 v40, 24, v28
	s_delay_alu instid0(VALU_DEP_2) | instskip(SKIP_1) | instid1(VALU_DEP_1)
	v_mul_i32_i24_e32 v36, v36, v37
	v_ashrrev_i32_e32 v37, 24, v39
	v_mul_i32_i24_e32 v37, v37, v40
	v_ashrrev_i32_e32 v40, 24, v29
	s_delay_alu instid0(VALU_DEP_2) | instskip(SKIP_2) | instid1(VALU_DEP_1)
	v_add3_u32 v210, v36, v37, v41
	v_bfe_i32 v36, v39, 16, 8
	v_bfe_i32 v37, v28, 16, 8
	v_mul_i32_i24_e32 v36, v36, v37
	v_ashrrev_i32_e32 v37, 24, v35
	s_delay_alu instid0(VALU_DEP_1) | instskip(SKIP_1) | instid1(VALU_DEP_2)
	v_mul_i32_i24_e32 v37, v37, v40
	v_ashrrev_i32_e32 v40, 24, v16
	v_add3_u32 v211, v36, v37, v42
	v_bfe_i32 v36, v35, 16, 8
	v_bfe_i32 v37, v29, 16, 8
	v_add_nc_u32_e32 v42, 0x1004, v161
	s_delay_alu instid0(VALU_DEP_2) | instskip(SKIP_1) | instid1(VALU_DEP_1)
	v_mul_i32_i24_e32 v36, v36, v37
	v_ashrrev_i32_e32 v37, 24, v22
	v_mul_i32_i24_e32 v37, v37, v40
	v_add_nc_u32_e32 v40, 0x814, v161
	s_delay_alu instid0(VALU_DEP_2) | instskip(SKIP_4) | instid1(VALU_DEP_3)
	v_add3_u32 v212, v36, v37, v43
	v_lshlrev_b32_e32 v36, 16, v23
	v_lshlrev_b32_e32 v37, 8, v23
	v_add_nc_u32_e32 v43, 0xc14, v161
	v_perm_b32 v23, v23, v23, 0xc0c0003
	v_perm_b32 v229, v37, v36, 0x7030c0c
	v_lshlrev_b32_e32 v36, 16, v38
	v_lshlrev_b32_e32 v37, 8, v38
	v_perm_b32 v38, v38, v38, 0xc0c0003
	s_delay_alu instid0(VALU_DEP_4) | instskip(SKIP_1) | instid1(VALU_DEP_4)
	v_or_b32_e32 v23, v229, v23
	v_add_nc_u32_e32 v229, 0x6180, v162
	v_perm_b32 v230, v37, v36, 0x7030c0c
	s_wait_dscnt 0x0
	v_lshlrev_b32_e32 v36, 16, v25
	v_lshlrev_b32_e32 v37, 8, v25
	v_perm_b32 v25, v25, v25, 0xc0c0003
	v_dot4_i32_iu8 v254, v23, v251, 0 neg_lo:[1,1,0]
	s_delay_alu instid0(VALU_DEP_3)
	v_perm_b32 v231, v37, v36, 0x7030c0c
	v_add_nc_u32_e32 v36, 0x804, v161
	v_add_nc_u32_e32 v37, 0xc04, v161
	ds_load_2addr_b32 v[62:63], v36 offset1:1
	ds_load_2addr_b32 v[60:61], v37 offset1:1
	;; [unrolled: 1-line block ×3, first 2 shown]
	v_or_b32_e32 v25, v231, v25
	v_add_nc_u32_e32 v231, 0x4108, v162
	s_delay_alu instid0(VALU_DEP_2) | instskip(SKIP_4) | instid1(VALU_DEP_1)
	v_dot4_i32_iu8 v0, v25, v251, 0 neg_lo:[1,1,0]
	v_dot4_i32_iu8 v143, v25, v136, 0 neg_lo:[1,1,0]
	s_wait_dscnt 0x2
	v_lshlrev_b32_e32 v36, 16, v62
	v_lshlrev_b32_e32 v37, 8, v62
	v_perm_b32 v232, v37, v36, 0x7030c0c
	v_add_nc_u32_e32 v36, 0xc0c, v161
	ds_load_2addr_b32 v[36:37], v36 offset1:1
	s_wait_dscnt 0x0
	v_lshlrev_b32_e32 v40, 16, v37
	v_lshlrev_b32_e32 v41, 8, v37
	v_perm_b32 v37, v37, v37, 0xc0c0003
	s_delay_alu instid0(VALU_DEP_2) | instskip(SKIP_2) | instid1(VALU_DEP_3)
	v_perm_b32 v233, v41, v40, 0x7030c0c
	v_lshlrev_b32_e32 v40, 16, v60
	v_lshlrev_b32_e32 v41, 8, v60
	v_or_b32_e32 v250, v233, v37
	v_perm_b32 v37, v60, v60, 0xc0c0003
	s_delay_alu instid0(VALU_DEP_3)
	v_perm_b32 v234, v41, v40, 0x7030c0c
	v_add_nc_u32_e32 v40, 0x100c, v161
	ds_load_2addr_b32 v[40:41], v40 offset1:1
	ds_load_2addr_b32 v[221:222], v42 offset1:1
	;; [unrolled: 1-line block ×4, first 2 shown]
	v_add_nc_u32_e32 v44, 0x1404, v161
	v_or_b32_e32 v60, v234, v37
	v_add_nc_u32_e32 v233, 0x4110, v162
	v_dot4_i32_iu8 v145, v250, v251, 0 neg_lo:[1,1,0]
	v_dot4_i32_iu8 v146, v250, v136, 0 neg_lo:[1,1,0]
	s_wait_dscnt 0x3
	v_lshlrev_b32_e32 v42, 16, v41
	v_lshlrev_b32_e32 v43, 8, v41
	v_perm_b32 v37, v41, v41, 0xc0c0003
	s_delay_alu instid0(VALU_DEP_2) | instskip(SKIP_3) | instid1(VALU_DEP_3)
	v_perm_b32 v235, v43, v42, 0x7030c0c
	s_wait_dscnt 0x2
	v_lshlrev_b32_e32 v42, 16, v221
	v_lshlrev_b32_e32 v43, 8, v221
	v_or_b32_e32 v41, v235, v37
	v_perm_b32 v37, v221, v221, 0xc0c0003
	s_delay_alu instid0(VALU_DEP_3)
	v_perm_b32 v236, v43, v42, 0x7030c0c
	v_add_nc_u32_e32 v42, 0x140c, v161
	ds_load_2addr_b32 v[42:43], v42 offset1:1
	ds_load_2addr_b32 v[223:224], v44 offset1:1
	;; [unrolled: 1-line block ×3, first 2 shown]
	v_or_b32_e32 v221, v236, v37
	v_add_nc_u32_e32 v235, 0x4118, v162
	v_dot4_i32_iu8 v81, v41, v251, 0 neg_lo:[1,1,0]
	v_dot4_i32_iu8 v82, v41, v136, 0 neg_lo:[1,1,0]
	s_wait_dscnt 0x2
	v_lshlrev_b32_e32 v44, 16, v43
	v_lshlrev_b32_e32 v45, 8, v43
	v_perm_b32 v37, v43, v43, 0xc0c0003
	s_delay_alu instid0(VALU_DEP_2) | instskip(SKIP_3) | instid1(VALU_DEP_3)
	v_perm_b32 v237, v45, v44, 0x7030c0c
	s_wait_dscnt 0x1
	v_lshlrev_b32_e32 v44, 16, v223
	v_lshlrev_b32_e32 v45, 8, v223
	v_or_b32_e32 v43, v237, v37
	v_perm_b32 v37, v223, v223, 0xc0c0003
	s_delay_alu instid0(VALU_DEP_3)
	v_perm_b32 v238, v45, v44, 0x7030c0c
	v_add_nc_u32_e32 v44, 0x180c, v161
	v_add_nc_u32_e32 v237, 0x6188, v162
	v_dot4_i32_iu8 v85, v43, v251, 0 neg_lo:[1,1,0]
	v_dot4_i32_iu8 v141, v43, v136, 0 neg_lo:[1,1,0]
	v_or_b32_e32 v223, v238, v37
	ds_load_2addr_b32 v[44:45], v44 offset1:1
	s_wait_dscnt 0x0
	v_lshlrev_b32_e32 v46, 16, v45
	v_lshlrev_b32_e32 v47, 8, v45
	v_perm_b32 v37, v45, v45, 0xc0c0003
	s_delay_alu instid0(VALU_DEP_2)
	v_perm_b32 v239, v47, v46, 0x7030c0c
	v_add_nc_u32_e32 v46, 0x1804, v161
	v_add_nc_u32_e32 v47, 0x1c04, v161
	ds_load_2addr_b32 v[225:226], v46 offset1:1
	ds_load_2addr_b32 v[227:228], v47 offset1:1
	;; [unrolled: 1-line block ×3, first 2 shown]
	v_or_b32_e32 v45, v239, v37
	v_add_nc_u32_e32 v239, 0x6190, v162
	s_delay_alu instid0(VALU_DEP_2)
	v_dot4_i32_iu8 v114, v45, v251, 0 neg_lo:[1,1,0]
	v_dot4_i32_iu8 v1, v45, v136, 0 neg_lo:[1,1,0]
	s_wait_dscnt 0x2
	v_lshlrev_b32_e32 v46, 16, v225
	v_lshlrev_b32_e32 v47, 8, v225
	v_perm_b32 v37, v225, v225, 0xc0c0003
	s_wait_dscnt 0x1
	v_lshlrev_b32_e32 v249, 8, v227
	s_delay_alu instid0(VALU_DEP_3) | instskip(SKIP_1) | instid1(VALU_DEP_2)
	v_perm_b32 v240, v47, v46, 0x7030c0c
	v_add_nc_u32_e32 v46, 0x1c0c, v161
	v_or_b32_e32 v225, v240, v37
	ds_load_2addr_b32 v[46:47], v46 offset1:1
	s_wait_dscnt 0x0
	v_lshlrev_b32_e32 v241, 16, v47
	v_lshlrev_b32_e32 v242, 8, v47
	v_perm_b32 v37, v47, v47, 0xc0c0003
	s_delay_alu instid0(VALU_DEP_2) | instskip(SKIP_1) | instid1(VALU_DEP_2)
	v_perm_b32 v241, v242, v241, 0x7030c0c
	v_lshlrev_b32_e32 v242, 16, v227
	v_or_b32_e32 v47, v241, v37
	s_delay_alu instid0(VALU_DEP_2)
	v_perm_b32 v242, v249, v242, 0x7030c0c
	v_perm_b32 v37, v227, v227, 0xc0c0003
	v_or_b32_e32 v249, v230, v38
	v_perm_b32 v38, v62, v62, 0xc0c0003
	v_add_nc_u32_e32 v241, 0x6198, v162
	v_dot4_i32_iu8 v251, v47, v251, 0 neg_lo:[1,1,0]
	v_or_b32_e32 v227, v242, v37
	v_add_nc_u32_e32 v37, 0x4100, v162
	v_or_b32_e32 v62, v232, v38
	ds_load_2addr_b32 v[37:38], v37 offset1:1
	ds_load_2addr_b32 v[229:230], v229 offset1:1
	ds_load_2addr_b32 v[231:232], v231 offset1:1
	ds_load_2addr_b32 v[233:234], v233 offset1:1
	ds_load_2addr_b32 v[235:236], v235 offset1:1
	ds_load_2addr_b32 v[237:238], v237 offset1:1
	ds_load_2addr_b32 v[239:240], v239 offset1:1
	ds_load_2addr_b32 v[241:242], v241 offset1:1
	v_dot4_i32_iu8 v136, v47, v136, 0 neg_lo:[1,1,0]
	v_add_nc_u32_e32 v162, 32, v162
	s_wait_dscnt 0x7
	v_perm_b32 v252, v38, v38, 0x2010003
	s_wait_dscnt 0x6
	v_perm_b32 v253, v230, v230, 0x2010003
	s_wait_dscnt 0x5
	v_perm_b32 v138, v231, v231, 0x2010003
	v_dot4_i32_iu8 v255, v23, v252, 0 neg_lo:[1,1,0]
	s_delay_alu instid0(VALU_DEP_3)
	v_dot4_i32_iu8 v23, v23, v253, 0 neg_lo:[1,1,0]
	v_dot4_i32_iu8 v144, v25, v252, 0 neg_lo:[1,1,0]
	v_dot4_i32_iu8 v25, v25, v253, 0 neg_lo:[1,1,0]
	v_dot4_i32_iu8 v147, v250, v252, 0 neg_lo:[1,1,0]
	v_dot4_i32_iu8 v250, v250, v253, 0 neg_lo:[1,1,0]
	v_dot4_i32_iu8 v102, v41, v252, 0 neg_lo:[1,1,0]
	v_dot4_i32_iu8 v41, v41, v253, 0 neg_lo:[1,1,0]
	v_dot4_i32_iu8 v142, v43, v252, 0 neg_lo:[1,1,0]
	v_dot4_i32_iu8 v43, v43, v253, 0 neg_lo:[1,1,0]
	v_dot4_i32_iu8 v137, v45, v252, 0 neg_lo:[1,1,0]
	v_dot4_i32_iu8 v45, v45, v253, 0 neg_lo:[1,1,0]
	v_dot4_i32_iu8 v252, v47, v252, 0 neg_lo:[1,1,0]
	v_dot4_i32_iu8 v47, v47, v253, 0 neg_lo:[1,1,0]
	v_perm_b32 v253, v4, v4, 0x2010003
	s_wait_dscnt 0x2
	v_perm_b32 v139, v237, v237, 0x2010003
	v_dot4_i32_iu8 v255, v249, v138, v255 neg_lo:[1,1,0]
	v_dot4_i32_iu8 v102, v221, v138, v102 neg_lo:[1,1,0]
	;; [unrolled: 1-line block ×5, first 2 shown]
	v_perm_b32 v249, v48, v48, 0x2010003
	v_dot4_i32_iu8 v81, v221, v253, v81 neg_lo:[1,1,0]
	v_dot4_i32_iu8 v41, v221, v139, v41 neg_lo:[1,1,0]
	;; [unrolled: 1-line block ×5, first 2 shown]
	v_lshlrev_b32_e32 v221, 24, v21
	v_dot4_i32_iu8 v143, v62, v249, v143 neg_lo:[1,1,0]
	v_dot4_i32_iu8 v62, v60, v253, v145 neg_lo:[1,1,0]
	;; [unrolled: 1-line block ×8, first 2 shown]
	v_perm_b32 v139, v21, v245, 0x7030c0c
	v_perm_b32 v21, v248, v221, 0xc0c0703
	v_dot4_i32_iu8 v85, v223, v253, v85 neg_lo:[1,1,0]
	v_dot4_i32_iu8 v141, v223, v249, v141 neg_lo:[1,1,0]
	v_dot4_i32_iu8 v142, v223, v138, v142 neg_lo:[1,1,0]
	v_dot4_i32_iu8 v114, v225, v253, v114 neg_lo:[1,1,0]
	v_or_b32_e32 v21, v139, v21
	v_lshlrev_b32_e32 v139, 24, v32
	v_perm_b32 v32, v32, v243, 0x7030c0c
	v_dot4_i32_iu8 v1, v225, v249, v1 neg_lo:[1,1,0]
	v_dot4_i32_iu8 v137, v225, v138, v137 neg_lo:[1,1,0]
	;; [unrolled: 1-line block ×3, first 2 shown]
	v_perm_b32 v223, v246, v139, 0xc0c0703
	v_dot4_i32_iu8 v136, v227, v249, v136 neg_lo:[1,1,0]
	v_dot4_i32_iu8 v138, v227, v138, v252 neg_lo:[1,1,0]
	;; [unrolled: 1-line block ×3, first 2 shown]
	v_perm_b32 v4, v5, v4, 0x4000c0c
	v_or_b32_e32 v32, v32, v223
	v_lshlrev_b32_e32 v223, 24, v30
	v_perm_b32 v30, v30, v244, 0x7030c0c
	v_dot4_i32_iu8 v227, v21, v230, v227 neg_lo:[1,1,0]
	v_perm_b32 v230, v238, v238, 0x2010003
	v_or_b32_e32 v4, v4, v11
	v_perm_b32 v225, v247, v223, 0xc0c0703
	s_delay_alu instid0(VALU_DEP_4) | instskip(SKIP_1) | instid1(VALU_DEP_3)
	v_dot4_i32_iu8 v227, v32, v237, v227 neg_lo:[1,1,0]
	v_lshlrev_b32_e32 v237, 8, v58
	v_or_b32_e32 v30, v30, v225
	v_dot4_i32_iu8 v225, v12, v37, 0 neg_lo:[1,1,0]
	s_delay_alu instid0(VALU_DEP_2) | instskip(NEXT) | instid1(VALU_DEP_2)
	v_dot4_i32_iu8 v227, v30, v238, v227 neg_lo:[1,1,0]
	v_dot4_i32_iu8 v38, v21, v38, v225 neg_lo:[1,1,0]
	v_perm_b32 v225, v232, v232, 0x2010003
	v_lshlrev_b32_e32 v238, 8, v26
	s_delay_alu instid0(VALU_DEP_3) | instskip(SKIP_2) | instid1(VALU_DEP_3)
	v_dot4_i32_iu8 v38, v32, v231, v38 neg_lo:[1,1,0]
	v_dot4_i32_iu8 v231, v18, v12, 0 neg_lo:[1,1,0]
	v_perm_b32 v12, v10, v221, 0xc0c0403
	v_dot4_i32_iu8 v38, v30, v232, v38 neg_lo:[1,1,0]
	s_delay_alu instid0(VALU_DEP_3) | instskip(SKIP_3) | instid1(VALU_DEP_4)
	v_dot4_i32_iu8 v19, v21, v19, v231 neg_lo:[1,1,0]
	v_perm_b32 v21, v49, v49, 0x2010003
	v_lshlrev_b32_e32 v231, 8, v52
	v_lshlrev_b32_e32 v232, 8, v56
	v_dot4_i32_iu8 v19, v32, v48, v19 neg_lo:[1,1,0]
	v_lshlrev_b32_e32 v32, 8, v34
	v_lshlrev_b32_e32 v48, 8, v50
	s_delay_alu instid0(VALU_DEP_3) | instskip(SKIP_3) | instid1(VALU_DEP_3)
	v_dot4_i32_iu8 v19, v30, v49, v19 neg_lo:[1,1,0]
	v_lshlrev_b32_e32 v30, 16, v34
	v_lshlrev_b32_e32 v49, 8, v54
	v_perm_b32 v34, v34, v34, 0xc0c0003
	v_perm_b32 v30, v32, v30, 0x7030c0c
	v_lshlrev_b32_e32 v32, 16, v50
	s_delay_alu instid0(VALU_DEP_2) | instskip(NEXT) | instid1(VALU_DEP_2)
	v_or_b32_e32 v30, v30, v34
	v_perm_b32 v32, v48, v32, 0x7030c0c
	v_lshlrev_b32_e32 v48, 16, v54
	v_perm_b32 v34, v50, v50, 0xc0c0003
	v_perm_b32 v50, v58, v58, 0xc0c0003
	v_dot4_i32_iu8 v23, v30, v230, v23 neg_lo:[1,1,0]
	s_delay_alu instid0(VALU_DEP_4) | instskip(SKIP_3) | instid1(VALU_DEP_3)
	v_perm_b32 v48, v49, v48, 0x7030c0c
	v_lshlrev_b32_e32 v49, 16, v52
	v_or_b32_e32 v32, v32, v34
	v_perm_b32 v34, v54, v54, 0xc0c0003
	v_perm_b32 v49, v231, v49, 0x7030c0c
	v_lshlrev_b32_e32 v231, 16, v56
	s_delay_alu instid0(VALU_DEP_3)
	v_or_b32_e32 v34, v48, v34
	v_perm_b32 v48, v52, v52, 0xc0c0003
	v_perm_b32 v52, v5, v5, 0x2010003
	v_dot4_i32_iu8 v25, v32, v230, v25 neg_lo:[1,1,0]
	v_perm_b32 v231, v232, v231, 0x7030c0c
	v_lshlrev_b32_e32 v232, 16, v58
	v_or_b32_e32 v48, v49, v48
	v_perm_b32 v49, v56, v56, 0xc0c0003
	v_dot4_i32_iu8 v54, v30, v52, v254 neg_lo:[1,1,0]
	v_dot4_i32_iu8 v56, v30, v225, v255 neg_lo:[1,1,0]
	v_perm_b32 v232, v237, v232, 0x7030c0c
	v_lshlrev_b32_e32 v237, 16, v26
	v_perm_b32 v26, v26, v26, 0xc0c0003
	v_or_b32_e32 v49, v231, v49
	v_dot4_i32_iu8 v0, v32, v52, v0 neg_lo:[1,1,0]
	v_or_b32_e32 v50, v232, v50
	v_perm_b32 v237, v238, v237, 0x7030c0c
	v_dot4_i32_iu8 v30, v32, v21, v143 neg_lo:[1,1,0]
	v_dot4_i32_iu8 v58, v32, v225, v144 neg_lo:[1,1,0]
	;; [unrolled: 1-line block ×4, first 2 shown]
	v_or_b32_e32 v26, v237, v26
	v_dot4_i32_iu8 v143, v34, v225, v146 neg_lo:[1,1,0]
	v_dot4_i32_iu8 v34, v34, v230, v60 neg_lo:[1,1,0]
	;; [unrolled: 1-line block ×18, first 2 shown]
	v_lshlrev_b32_e32 v47, 16, v39
	v_lshlrev_b32_e32 v136, 8, v39
	;; [unrolled: 1-line block ×8, first 2 shown]
	v_perm_b32 v146, v222, v222, 0xc0c0003
	v_lshlrev_b32_e32 v147, 16, v224
	v_lshlrev_b32_e32 v222, 8, v224
	;; [unrolled: 1-line block ×6, first 2 shown]
	v_perm_b32 v39, v39, v39, 0xc0c0003
	v_perm_b32 v63, v63, v63, 0xc0c0003
	;; [unrolled: 1-line block ×13, first 2 shown]
	v_or_b32_e32 v39, v47, v39
	v_or_b32_e32 v47, v136, v63
	;; [unrolled: 1-line block ×7, first 2 shown]
	v_perm_b32 v141, v6, v6, 0x2010003
	v_perm_b32 v142, v233, v233, 0x2010003
	s_wait_dscnt 0x1
	v_perm_b32 v144, v239, v239, 0x2010003
	v_lshlrev_b32_e32 v145, 16, v57
	v_lshlrev_b32_e32 v146, 8, v57
	v_dot4_i32_iu8 v54, v39, v141, v54 neg_lo:[1,1,0]
	v_dot4_i32_iu8 v56, v39, v142, v56 neg_lo:[1,1,0]
	;; [unrolled: 1-line block ×3, first 2 shown]
	v_perm_b32 v39, v28, v28, 0x2010003
	v_dot4_i32_iu8 v0, v47, v141, v0 neg_lo:[1,1,0]
	v_dot4_i32_iu8 v58, v47, v142, v58 neg_lo:[1,1,0]
	;; [unrolled: 1-line block ×16, first 2 shown]
	v_perm_b32 v52, v33, v220, 0x7030c0c
	v_lshlrev_b32_e32 v33, 24, v33
	v_dot4_i32_iu8 v82, v136, v142, v102 neg_lo:[1,1,0]
	v_perm_b32 v102, v31, v219, 0x7030c0c
	v_lshlrev_b32_e32 v31, 24, v31
	v_dot4_i32_iu8 v48, v136, v141, v48 neg_lo:[1,1,0]
	v_perm_b32 v218, v218, v33, 0xc0c0703
	v_dot4_i32_iu8 v43, v136, v144, v43 neg_lo:[1,1,0]
	v_dot4_i32_iu8 v49, v137, v141, v49 neg_lo:[1,1,0]
	v_perm_b32 v217, v217, v31, 0xc0c0703
	v_dot4_i32_iu8 v85, v137, v142, v114 neg_lo:[1,1,0]
	v_or_b32_e32 v52, v52, v218
	v_dot4_i32_iu8 v45, v137, v144, v45 neg_lo:[1,1,0]
	v_dot4_i32_iu8 v50, v138, v141, v50 neg_lo:[1,1,0]
	;; [unrolled: 1-line block ×3, first 2 shown]
	v_lshlrev_b32_e32 v114, 16, v35
	v_lshlrev_b32_e32 v136, 8, v35
	;; [unrolled: 1-line block ×12, first 2 shown]
	v_or_b32_e32 v102, v102, v217
	v_dot4_i32_iu8 v38, v52, v233, v38 neg_lo:[1,1,0]
	v_dot4_i32_iu8 v218, v52, v239, v227 neg_lo:[1,1,0]
	;; [unrolled: 1-line block ×3, first 2 shown]
	v_perm_b32 v35, v35, v35, 0xc0c0003
	v_perm_b32 v51, v51, v51, 0xc0c0003
	;; [unrolled: 1-line block ×7, first 2 shown]
	v_dot4_i32_iu8 v38, v102, v234, v38 neg_lo:[1,1,0]
	v_dot4_i32_iu8 v218, v102, v240, v218 neg_lo:[1,1,0]
	;; [unrolled: 1-line block ×3, first 2 shown]
	v_perm_b32 v19, v29, v29, 0x2010003
	v_perm_b32 v28, v136, v114, 0x7030c0c
	;; [unrolled: 1-line block ×10, first 2 shown]
	v_or_b32_e32 v28, v28, v35
	v_or_b32_e32 v29, v29, v51
	v_or_b32_e32 v35, v102, v55
	v_or_b32_e32 v51, v114, v53
	v_or_b32_e32 v53, v136, v57
	v_or_b32_e32 v55, v137, v59
	v_or_b32_e32 v27, v138, v27
	v_perm_b32 v57, v7, v7, 0x2010003
	v_dot4_i32_iu8 v56, v28, v217, v56 neg_lo:[1,1,0]
	v_dot4_i32_iu8 v23, v28, v224, v23 neg_lo:[1,1,0]
	;; [unrolled: 1-line block ×27, first 2 shown]
	v_lshlrev_b32_e32 v27, 16, v22
	v_lshlrev_b32_e32 v39, 8, v22
	;; [unrolled: 1-line block ×10, first 2 shown]
	v_perm_b32 v22, v22, v22, 0xc0c0003
	v_perm_b32 v36, v36, v36, 0xc0c0003
	v_perm_b32 v40, v40, v40, 0xc0c0003
	v_lshlrev_b32_e32 v82, 16, v42
	v_lshlrev_b32_e32 v85, 8, v42
	v_perm_b32 v44, v44, v44, 0xc0c0003
	v_lshlrev_b32_e32 v136, 16, v46
	v_lshlrev_b32_e32 v137, 8, v46
	v_perm_b32 v27, v39, v27, 0x7030c0c
	v_perm_b32 v39, v57, v55, 0x7030c0c
	;; [unrolled: 1-line block ×10, first 2 shown]
	v_or_b32_e32 v22, v27, v22
	v_or_b32_e32 v27, v55, v36
	;; [unrolled: 1-line block ×4, first 2 shown]
	v_perm_b32 v44, v8, v8, 0x2010003
	v_or_b32_e32 v24, v39, v24
	v_or_b32_e32 v39, v61, v42
	;; [unrolled: 1-line block ×3, first 2 shown]
	s_wait_dscnt 0x0
	v_perm_b32 v85, v242, v242, 0x2010003
	v_dot4_i32_iu8 v46, v22, v44, v54 neg_lo:[1,1,0]
	v_perm_b32 v54, v235, v235, 0x2010003
	v_dot4_i32_iu8 v35, v36, v44, v35 neg_lo:[1,1,0]
	v_dot4_i32_iu8 v0, v24, v44, v0 neg_lo:[1,1,0]
	;; [unrolled: 1-line block ×3, first 2 shown]
	v_perm_b32 v5, v7, v6, 0xc0c0400
	v_dot4_i32_iu8 v55, v22, v54, v56 neg_lo:[1,1,0]
	v_perm_b32 v56, v241, v241, 0x2010003
	v_dot4_i32_iu8 v59, v36, v54, v59 neg_lo:[1,1,0]
	v_dot4_i32_iu8 v62, v24, v54, v30 neg_lo:[1,1,0]
	;; [unrolled: 1-line block ×3, first 2 shown]
	v_perm_b32 v6, v9, v8, 0x4000c0c
	v_dot4_i32_iu8 v57, v22, v56, v23 neg_lo:[1,1,0]
	v_perm_b32 v22, v16, v16, 0x2010003
	v_dot4_i32_iu8 v63, v24, v56, v25 neg_lo:[1,1,0]
	v_dot4_i32_iu8 v34, v27, v56, v34 neg_lo:[1,1,0]
	v_perm_b32 v7, v223, v139, 0x7030c0c
	v_or_b32_e32 v5, v6, v5
	v_dot4_i32_iu8 v58, v36, v22, v58 neg_lo:[1,1,0]
	v_dot4_i32_iu8 v36, v36, v56, v41 neg_lo:[1,1,0]
	;; [unrolled: 1-line block ×8, first 2 shown]
	v_lshlrev_b32_e32 v53, 24, v20
	v_dot4_i32_iu8 v1, v40, v22, v1 neg_lo:[1,1,0]
	v_dot4_i32_iu8 v40, v40, v56, v45 neg_lo:[1,1,0]
	;; [unrolled: 1-line block ×6, first 2 shown]
	v_perm_b32 v19, v20, v214, 0x7030c0c
	v_perm_b32 v20, v216, v53, 0xc0c0703
	v_lshlrev_b32_e32 v56, 24, v13
	v_perm_b32 v13, v13, v213, 0x7030c0c
	v_dot4_i32_iu8 v61, v24, v22, v28 neg_lo:[1,1,0]
	v_dot4_i32_iu8 v32, v27, v22, v32 neg_lo:[1,1,0]
	v_or_b32_e32 v54, v19, v20
	v_perm_b32 v19, v215, v56, 0xc0c0703
	v_lshlrev_b32_e32 v20, 8, v15
	v_perm_b32 v60, v236, v236, 0x2010003
	v_perm_b32 v6, v31, v33, 0xc0c0703
	v_dot4_i32_iu8 v16, v54, v16, v52 neg_lo:[1,1,0]
	v_or_b32_e32 v13, v13, v19
	v_dot4_i32_iu8 v19, v54, v235, v38 neg_lo:[1,1,0]
	v_perm_b32 v8, v56, v53, 0x7030c0c
	v_or_b32_e32 v7, v7, v12
	s_delay_alu instid0(VALU_DEP_3) | instskip(SKIP_1) | instid1(VALU_DEP_4)
	v_dot4_i32_iu8 v38, v13, v236, v19 neg_lo:[1,1,0]
	v_dot4_i32_iu8 v19, v54, v241, v218 neg_lo:[1,1,0]
	v_or_b32_e32 v6, v8, v6
	s_delay_alu instid0(VALU_DEP_4) | instskip(SKIP_1) | instid1(VALU_DEP_4)
	v_dot4_i32_iu8 v4, v7, v4, 0 neg_lo:[1,1,0]
	v_add_nc_u32_e32 v8, v207, v200
	v_dot4_i32_iu8 v82, v13, v242, v19 neg_lo:[1,1,0]
	v_lshlrev_b32_e32 v19, 16, v15
	v_dot4_i32_iu8 v13, v13, v17, v16 neg_lo:[1,1,0]
	v_bfe_i32 v16, v17, 16, 8
	v_dot4_i32_iu8 v4, v6, v5, v4 neg_lo:[1,1,0]
	v_add3_u32 v5, v208, v201, v209
	v_perm_b32 v102, v20, v19, 0x7030c0c
	v_add_nc_u32_e32 v19, 0x800, v161
	v_add3_u32 v6, v202, v203, v210
	v_add3_u32 v4, v4, v206, v8
	ds_load_2addr_b32 v[19:20], v19 offset1:7
	v_cvt_f32_i32_e32 v4, v4
	s_delay_alu instid0(VALU_DEP_1) | instskip(SKIP_4) | instid1(VALU_DEP_2)
	v_fmac_f32_e32 v90, v191, v4
	s_wait_dscnt 0x0
	v_lshlrev_b32_e32 v21, 16, v20
	v_lshlrev_b32_e32 v22, 8, v20
	v_perm_b32 v20, v20, v20, 0xc0c0003
	v_perm_b32 v114, v22, v21, 0x7030c0c
	v_add_nc_u32_e32 v21, 0xc00, v161
	s_delay_alu instid0(VALU_DEP_2) | instskip(SKIP_3) | instid1(VALU_DEP_2)
	v_or_b32_e32 v20, v114, v20
	ds_load_2addr_b32 v[21:22], v21 offset1:7
	v_perm_b32 v114, v9, v9, 0x2010003
	v_dot4_i32_iu8 v62, v20, v60, v62 neg_lo:[1,1,0]
	v_dot4_i32_iu8 v0, v20, v114, v0 neg_lo:[1,1,0]
	s_delay_alu instid0(VALU_DEP_1) | instskip(NEXT) | instid1(VALU_DEP_1)
	v_dot4_i32_iu8 v0, v10, v19, v0 neg_lo:[1,1,0]
	v_cvt_f32_i32_e32 v0, v0
	s_wait_dscnt 0x0
	v_lshlrev_b32_e32 v23, 16, v22
	v_lshlrev_b32_e32 v24, 8, v22
	v_perm_b32 v22, v22, v22, 0xc0c0003
	v_fmac_f32_e32 v91, v185, v0
	s_delay_alu instid0(VALU_DEP_3) | instskip(SKIP_1) | instid1(VALU_DEP_2)
	v_perm_b32 v136, v24, v23, 0x7030c0c
	v_add_nc_u32_e32 v23, 0x1000, v161
	v_or_b32_e32 v22, v136, v22
	ds_load_2addr_b32 v[23:24], v23 offset1:7
	v_dot4_i32_iu8 v47, v22, v60, v47 neg_lo:[1,1,0]
	s_delay_alu instid0(VALU_DEP_1) | instskip(SKIP_4) | instid1(VALU_DEP_2)
	v_dot4_i32_iu8 v47, v21, v37, v47 neg_lo:[1,1,0]
	s_wait_dscnt 0x0
	v_lshlrev_b32_e32 v25, 16, v24
	v_lshlrev_b32_e32 v26, 8, v24
	v_perm_b32 v24, v24, v24, 0xc0c0003
	v_perm_b32 v137, v26, v25, 0x7030c0c
	v_add_nc_u32_e32 v25, 0x1400, v161
	s_delay_alu instid0(VALU_DEP_2)
	v_or_b32_e32 v24, v137, v24
	ds_load_2addr_b32 v[25:26], v25 offset1:7
	s_wait_dscnt 0x0
	v_lshlrev_b32_e32 v27, 16, v26
	v_lshlrev_b32_e32 v28, 8, v26
	v_perm_b32 v26, v26, v26, 0xc0c0003
	s_delay_alu instid0(VALU_DEP_2) | instskip(SKIP_1) | instid1(VALU_DEP_2)
	v_perm_b32 v138, v28, v27, 0x7030c0c
	v_add_nc_u32_e32 v27, 0x1800, v161
	v_or_b32_e32 v26, v138, v26
	ds_load_2addr_b32 v[27:28], v27 offset1:7
	s_wait_dscnt 0x0
	v_lshlrev_b32_e32 v29, 16, v28
	v_lshlrev_b32_e32 v30, 8, v28
	v_perm_b32 v28, v28, v28, 0xc0c0003
	s_delay_alu instid0(VALU_DEP_2) | instskip(SKIP_2) | instid1(VALU_DEP_3)
	v_perm_b32 v141, v30, v29, 0x7030c0c
	v_add_nc_u32_e32 v29, 0x1c00, v161
	v_add_nc_u32_e32 v161, 32, v161
	v_or_b32_e32 v28, v141, v28
	ds_load_2addr_b32 v[29:30], v29 offset1:7
	s_wait_dscnt 0x0
	v_lshlrev_b32_e32 v142, 16, v30
	v_lshlrev_b32_e32 v143, 8, v30
	v_perm_b32 v30, v30, v30, 0xc0c0003
	s_delay_alu instid0(VALU_DEP_2) | instskip(SKIP_2) | instid1(VALU_DEP_3)
	v_perm_b32 v142, v143, v142, 0x7030c0c
	v_perm_b32 v143, v15, v15, 0xc0c0003
	v_bfe_i32 v15, v15, 16, 8
	v_or_b32_e32 v30, v142, v30
	s_delay_alu instid0(VALU_DEP_3) | instskip(NEXT) | instid1(VALU_DEP_3)
	v_or_b32_e32 v102, v102, v143
	v_mul_i32_i24_e32 v15, v15, v16
	s_delay_alu instid0(VALU_DEP_2) | instskip(SKIP_4) | instid1(VALU_DEP_2)
	v_dot4_i32_iu8 v46, v102, v114, v46 neg_lo:[1,1,0]
	v_dot4_i32_iu8 v55, v102, v60, v55 neg_lo:[1,1,0]
	;; [unrolled: 1-line block ×3, first 2 shown]
	v_perm_b32 v102, v17, v17, 0x2010003
	v_add3_u32 v15, v204, v205, v15
	v_dot4_i32_iu8 v61, v20, v102, v61 neg_lo:[1,1,0]
	v_dot4_i32_iu8 v20, v20, v85, v63 neg_lo:[1,1,0]
	;; [unrolled: 1-line block ×26, first 2 shown]
	v_cvt_f32_i32_e32 v0, v42
	v_dot4_i32_iu8 v21, v21, v229, v22 neg_lo:[1,1,0]
	v_dot4_i32_iu8 v22, v10, v23, v34 neg_lo:[1,1,0]
	;; [unrolled: 1-line block ×4, first 2 shown]
	v_fmac_f32_e32 v89, v183, v0
	v_cvt_f32_i32_e32 v0, v49
	v_dot4_i32_iu8 v23, v23, v229, v24 neg_lo:[1,1,0]
	v_dot4_i32_iu8 v24, v10, v25, v36 neg_lo:[1,1,0]
	;; [unrolled: 1-line block ×4, first 2 shown]
	v_fmac_f32_e32 v88, v182, v0
	v_cvt_f32_i32_e32 v0, v19
	v_dot4_i32_iu8 v25, v25, v229, v26 neg_lo:[1,1,0]
	v_add3_u32 v7, v211, v212, v15
	v_dot4_i32_iu8 v26, v10, v27, v39 neg_lo:[1,1,0]
	v_dot4_i32_iu8 v1, v18, v27, v1 neg_lo:[1,1,0]
	v_fmac_f32_e32 v87, v181, v0
	v_cvt_f32_i32_e32 v0, v20
	v_add3_u32 v5, v5, v6, v7
	v_dot4_i32_iu8 v39, v27, v37, v43 neg_lo:[1,1,0]
	v_dot4_i32_iu8 v27, v27, v229, v28 neg_lo:[1,1,0]
	;; [unrolled: 1-line block ×3, first 2 shown]
	v_fmac_f32_e32 v86, v180, v0
	v_cvt_f32_i32_e32 v0, v32
	v_cvt_f32_i32_e32 v4, v5
	v_dot4_i32_iu8 v10, v10, v29, v40 neg_lo:[1,1,0]
	v_dot4_i32_iu8 v18, v18, v29, v44 neg_lo:[1,1,0]
	;; [unrolled: 1-line block ×3, first 2 shown]
	v_fmac_f32_e32 v84, v179, v0
	v_cvt_f32_i32_e32 v0, v47
	v_fmac_f32_e32 v94, v194, v4
	v_cvt_f32_i32_e32 v4, v38
	v_dot4_i32_iu8 v37, v29, v37, v45 neg_lo:[1,1,0]
	v_dot4_i32_iu8 v29, v29, v229, v30 neg_lo:[1,1,0]
	v_fmac_f32_e32 v83, v178, v0
	v_cvt_f32_i32_e32 v0, v21
	v_fmac_f32_e32 v104, v190, v4
	v_cvt_f32_i32_e32 v4, v82
	v_dot4_i32_iu8 v14, v14, v229, v57 neg_lo:[1,1,0]
	s_delay_alu instid0(VALU_DEP_4) | instskip(SKIP_1) | instid1(VALU_DEP_4)
	v_fmac_f32_e32 v80, v176, v0
	v_cvt_f32_i32_e32 v0, v22
	v_fmac_f32_e32 v103, v189, v4
	v_cvt_f32_i32_e32 v4, v13
	s_delay_alu instid0(VALU_DEP_3) | instskip(SKIP_1) | instid1(VALU_DEP_3)
	v_fmac_f32_e32 v79, v177, v0
	v_cvt_f32_i32_e32 v0, v34
	v_fmac_f32_e32 v105, v188, v4
	v_cvt_f32_i32_e32 v4, v28
	s_delay_alu instid0(VALU_DEP_3) | instskip(SKIP_1) | instid1(VALU_DEP_3)
	;; [unrolled: 5-line block ×4, first 2 shown]
	v_fmac_f32_e32 v76, v173, v0
	v_cvt_f32_i32_e32 v0, v24
	v_fmac_f32_e32 v92, v184, v4
	s_delay_alu instid0(VALU_DEP_2) | instskip(SKIP_1) | instid1(VALU_DEP_1)
	v_fmac_f32_e32 v75, v172, v0
	v_cvt_f32_i32_e32 v0, v36
	v_fmac_f32_e32 v74, v171, v0
	v_cvt_f32_i32_e32 v0, v41
	s_delay_alu instid0(VALU_DEP_1) | instskip(SKIP_1) | instid1(VALU_DEP_1)
	v_fmac_f32_e32 v73, v170, v0
	v_cvt_f32_i32_e32 v0, v25
	v_fmac_f32_e32 v72, v168, v0
	v_cvt_f32_i32_e32 v0, v26
	s_delay_alu instid0(VALU_DEP_1) | instskip(SKIP_2) | instid1(VALU_DEP_2)
	v_fmac_f32_e32 v71, v169, v0
	v_cvt_f32_i32_e32 v0, v1
	v_cvt_f32_i32_e32 v1, v29
	v_fmac_f32_e32 v70, v193, v0
	v_cvt_f32_i32_e32 v0, v39
	s_delay_alu instid0(VALU_DEP_1) | instskip(SKIP_1) | instid1(VALU_DEP_1)
	v_dual_fmac_f32 v64, v198, v1 :: v_dual_fmac_f32 v69, v197, v0
	v_cvt_f32_i32_e32 v0, v27
	v_fmac_f32_e32 v68, v199, v0
	v_cvt_f32_i32_e32 v0, v10
	s_delay_alu instid0(VALU_DEP_1) | instskip(SKIP_1) | instid1(VALU_DEP_1)
	v_fmac_f32_e32 v67, v192, v0
	v_cvt_f32_i32_e32 v0, v18
	v_fmac_f32_e32 v66, v196, v0
	v_cvt_f32_i32_e32 v0, v37
	s_delay_alu instid0(VALU_DEP_1)
	v_fmac_f32_e32 v65, v195, v0
	s_cbranch_scc1 .LBB161_8
; %bb.9:                                ;   in Loop: Header=BB161_6 Depth=1
	s_and_b32 s12, s5, -4
	s_wait_loadcnt 0x0
	s_wait_alu 0xfffe
	s_cmp_eq_u32 s12, 4
	s_barrier_signal -1
	s_barrier_wait -1
	global_inv scope:SCOPE_SE
	s_cbranch_scc1 .LBB161_5
; %bb.10:                               ;   in Loop: Header=BB161_6 Depth=1
	scratch_load_b32 v0, off, off offset:40 ; 4-byte Folded Reload
	v_add_nc_u32_e32 v12, 4, v159
	s_mov_b32 s12, 12
	s_delay_alu instid0(VALU_DEP_1) | instskip(SKIP_2) | instid1(VALU_DEP_1)
	v_mad_co_u64_u32 v[12:13], null, v12, 36, s[2:3]
	s_wait_loadcnt 0x0
	v_add_nc_u32_e32 v0, s10, v0
	v_add_nc_u32_e32 v1, v0, v128
	;; [unrolled: 1-line block ×6, first 2 shown]
	v_mad_co_i64_i32 v[4:5], null, v1, 36, v[2:3]
	v_add_nc_u32_e32 v1, v0, v132
	v_mad_co_i64_i32 v[14:15], null, v14, 36, v[2:3]
	v_add_nc_u32_e32 v18, v0, v133
	;; [unrolled: 2-line block ×3, first 2 shown]
	v_mad_co_i64_i32 v[8:9], null, v8, 36, v[2:3]
	v_mad_co_i64_i32 v[10:11], null, v10, 36, v[2:3]
	;; [unrolled: 1-line block ×5, first 2 shown]
	s_clause 0x8
	global_load_b32 v0, v[12:13], off
	global_load_b32 v1, v[14:15], off offset:4
	global_load_b32 v4, v[4:5], off offset:4
	;; [unrolled: 1-line block ×8, first 2 shown]
	s_clause 0x6
	scratch_load_b32 v159, off, off
	scratch_load_b32 v161, off, off offset:4
	scratch_load_b32 v162, off, off offset:60
	;; [unrolled: 1-line block ×6, first 2 shown]
	s_wait_loadcnt 0xf
	v_cvt_f32_f16_e32 v0, v0
	s_wait_loadcnt 0xe
	ds_store_b32 v158, v1
	s_wait_loadcnt 0xd
	ds_store_b32 v160, v4
	s_wait_loadcnt 0xc
	ds_store_b32 v152, v5
	s_wait_loadcnt 0xb
	ds_store_b32 v153, v6
	s_wait_loadcnt 0xa
	ds_store_b32 v154, v7
	s_wait_loadcnt 0x9
	ds_store_b32 v155, v8
	s_wait_loadcnt 0x8
	ds_store_b32 v156, v9
	s_wait_loadcnt 0x7
	ds_store_b32 v157, v10
	ds_store_b32 v125, v0
	s_wait_loadcnt_dscnt 0x0
	s_barrier_signal -1
	s_barrier_wait -1
	global_inv scope:SCOPE_SE
.LBB161_11:                             ;   Parent Loop BB161_6 Depth=1
                                        ; =>  This Inner Loop Header: Depth=2
	ds_load_2addr_b32 v[4:5], v159 offset1:32
	ds_load_b32 v9, v163
	ds_load_b32 v8, v164
	ds_load_b32 v7, v165
	ds_load_b32 v6, v166
	v_add_nc_u32_e32 v58, 0x1814, v161
	v_add_nc_u32_e32 v166, 4, v166
	;; [unrolled: 1-line block ×5, first 2 shown]
	s_wait_alu 0xfffe
	s_add_co_i32 s12, s12, 4
	v_add_nc_u32_e32 v17, 0x2090, v162
	s_wait_alu 0xfffe
	s_cmp_lt_u32 s12, 28
	s_wait_dscnt 0x3
	v_mul_f32_e32 v189, v4, v9
	s_wait_dscnt 0x1
	v_dual_mul_f32 v186, v4, v8 :: v_dual_mul_f32 v185, v7, v5
	v_mul_f32_e32 v188, v4, v7
	s_wait_dscnt 0x0
	v_dual_mul_f32 v187, v4, v6 :: v_dual_mul_f32 v184, v9, v5
	v_mul_f32_e32 v192, v8, v5
	v_mul_f32_e32 v182, v6, v5
	ds_load_2addr_b32 v[4:5], v159 offset0:64 offset1:96
	v_add_nc_u32_e32 v22, 0x2098, v162
	s_wait_dscnt 0x0
	v_dual_mul_f32 v183, v9, v4 :: v_dual_add_nc_u32 v24, 0x404, v161
	v_mul_f32_e32 v181, v8, v4
	v_mul_f32_e32 v180, v7, v4
	v_dual_mul_f32 v179, v6, v4 :: v_dual_mul_f32 v178, v9, v5
	v_mul_f32_e32 v177, v8, v5
	v_mul_f32_e32 v176, v7, v5
	;; [unrolled: 1-line block ×3, first 2 shown]
	ds_load_2addr_b32 v[4:5], v159 offset0:128 offset1:160
	v_add_nc_u32_e32 v25, 0x414, v161
	s_wait_dscnt 0x0
	v_dual_mul_f32 v175, v9, v4 :: v_dual_add_nc_u32 v36, 0x80c, v161
	v_mul_f32_e32 v173, v8, v4
	v_mul_f32_e32 v172, v7, v4
	v_dual_mul_f32 v171, v6, v4 :: v_dual_mul_f32 v170, v9, v5
	v_mul_f32_e32 v169, v8, v5
	v_mul_f32_e32 v168, v7, v5
	;; [unrolled: 1-line block ×3, first 2 shown]
	ds_load_2addr_b32 v[4:5], v159 offset0:192 offset1:224
	v_add_nc_u32_e32 v159, 4, v159
	s_wait_dscnt 0x0
	v_mul_f32_e32 v167, v9, v4
	v_dual_mul_f32 v190, v9, v5 :: v_dual_mul_f32 v197, v6, v4
	v_mul_f32_e32 v191, v8, v4
	v_dual_mul_f32 v194, v8, v5 :: v_dual_mul_f32 v195, v7, v4
	v_mul_f32_e32 v193, v7, v5
	v_mul_f32_e32 v196, v6, v5
	ds_load_2addr_b32 v[12:13], v161 offset1:7
	ds_load_2addr_b32 v[10:11], v162 offset1:1
	ds_load_2addr_b32 v[4:5], v162 offset0:2 offset1:3
	ds_load_2addr_b32 v[6:7], v162 offset0:4 offset1:5
	;; [unrolled: 1-line block ×3, first 2 shown]
	s_wait_dscnt 0x4
	v_lshlrev_b32_e32 v211, 8, v13
	s_wait_dscnt 0x3
	v_perm_b32 v0, v12, v11, 0xc0c0703
	s_wait_dscnt 0x2
	v_perm_b32 v1, v5, v4, 0x7030c0c
	v_lshlrev_b32_e32 v213, 16, v13
	s_wait_dscnt 0x0
	v_perm_b32 v15, v9, v8, 0x7030c0c
	s_delay_alu instid0(VALU_DEP_3)
	v_or_b32_e32 v14, v1, v0
	v_add_nc_u32_e32 v0, 0x1c14, v161
	ds_load_2addr_b32 v[26:27], v0 offset1:1
	ds_load_2addr_b32 v[20:21], v161 offset0:3 offset1:4
	ds_load_2addr_b32 v[30:31], v161 offset0:5 offset1:6
	;; [unrolled: 1-line block ×3, first 2 shown]
	s_wait_dscnt 0x2
	v_perm_b32 v0, v10, v21, 0xc0c0703
	v_perm_b32 v16, v13, v20, 0x7030c0c
	s_wait_dscnt 0x0
	v_perm_b32 v1, v30, v32, 0x7030c0c
	v_lshlrev_b32_e32 v81, 8, v32
	v_lshlrev_b32_e32 v82, 8, v30
	;; [unrolled: 1-line block ×4, first 2 shown]
	v_or_b32_e32 v0, v1, v0
	v_perm_b32 v1, v7, v6, 0xc0c0703
	v_lshlrev_b32_e32 v217, 8, v31
	v_perm_b32 v45, v10, v85, 0xc0c0603
	v_lshlrev_b32_e32 v212, 8, v20
	v_dot4_i32_iu8 v0, v0, v14, 0 neg_lo:[1,1,0]
	v_or_b32_e32 v1, v15, v1
	v_perm_b32 v15, v31, v33, 0xc0c0703
	v_lshlrev_b32_e32 v102, 16, v32
	v_perm_b32 v46, v211, v212, 0x7030c0c
	v_lshlrev_b32_e32 v114, 16, v30
	v_lshlrev_b32_e32 v136, 16, v21
	v_or_b32_e32 v15, v16, v15
	v_add_nc_u32_e32 v16, 0x2088, v162
	v_lshlrev_b32_e32 v216, 16, v33
	v_lshlrev_b32_e32 v215, 16, v31
	v_lshlrev_b32_e32 v214, 16, v20
	v_dot4_i32_iu8 v198, v15, v1, v0 neg_lo:[1,1,0]
	v_add_nc_u32_e32 v0, 0x2080, v162
	v_add_nc_u32_e32 v1, 0x400, v161
	ds_load_2addr_b32 v[18:19], v0 offset1:1
	ds_load_2addr_b32 v[14:15], v1 offset1:7
	ds_load_2addr_b32 v[48:49], v16 offset1:1
	ds_load_2addr_b32 v[28:29], v17 offset1:1
	ds_load_2addr_b32 v[16:17], v22 offset1:1
	v_perm_b32 v85, v21, v85, 0x7030c0c
	s_wait_dscnt 0x4
	v_bfe_i32 v0, v18, 16, 8
	s_wait_dscnt 0x3
	v_bfe_i32 v1, v14, 16, 8
	v_bfe_i32 v22, v14, 0, 8
	v_lshrrev_b16 v23, 8, v14
	s_delay_alu instid0(VALU_DEP_3) | instskip(SKIP_1) | instid1(VALU_DEP_3)
	v_mul_i32_i24_e32 v0, v1, v0
	v_bfe_i32 v1, v18, 0, 8
	v_bfe_i32 v23, v23, 0, 8
	s_delay_alu instid0(VALU_DEP_2) | instskip(SKIP_2) | instid1(VALU_DEP_1)
	v_mad_i32_i24 v0, v22, v1, v0
	v_ashrrev_i32_e32 v1, 24, v18
	v_ashrrev_i32_e32 v22, 24, v14
	v_mul_i32_i24_e32 v1, v22, v1
	v_lshrrev_b16 v22, 8, v18
	s_delay_alu instid0(VALU_DEP_1) | instskip(NEXT) | instid1(VALU_DEP_1)
	v_bfe_i32 v22, v22, 0, 8
	v_mad_i32_i24 v1, v23, v22, v1
	v_add_nc_u32_e32 v22, 0x40c, v161
	ds_load_2addr_b32 v[22:23], v22 offset1:1
	ds_load_2addr_b32 v[38:39], v24 offset1:1
	;; [unrolled: 1-line block ×4, first 2 shown]
	v_bfe_i32 v36, v19, 8, 8
	s_wait_dscnt 0x3
	v_bfe_i32 v37, v23, 8, 8
	v_ashrrev_i32_e32 v40, 24, v23
	s_wait_dscnt 0x2
	v_bfe_i32 v41, v38, 16, 8
	s_wait_dscnt 0x1
	v_bfe_i32 v42, v35, 0, 8
	v_bfe_i32 v43, v22, 0, 8
	v_mul_i32_i24_e32 v36, v37, v36
	v_ashrrev_i32_e32 v37, 24, v19
	v_bfe_i32 v44, v22, 16, 8
	s_delay_alu instid0(VALU_DEP_2) | instskip(SKIP_3) | instid1(VALU_DEP_2)
	v_mad_i32_i24 v199, v40, v37, v36
	v_bfe_i32 v36, v48, 8, 8
	v_bfe_i32 v37, v38, 8, 8
	;; [unrolled: 1-line block ×3, first 2 shown]
	v_mul_i32_i24_e32 v36, v37, v36
	v_bfe_i32 v37, v48, 0, 8
	s_delay_alu instid0(VALU_DEP_1) | instskip(SKIP_2) | instid1(VALU_DEP_1)
	v_mad_i32_i24 v36, v40, v37, v36
	v_ashrrev_i32_e32 v37, 24, v49
	v_ashrrev_i32_e32 v40, 24, v34
	v_mul_i32_i24_e32 v37, v40, v37
	v_bfe_i32 v40, v48, 16, 8
	s_delay_alu instid0(VALU_DEP_1) | instskip(SKIP_3) | instid1(VALU_DEP_2)
	v_mad_i32_i24 v200, v41, v40, v37
	v_bfe_i32 v37, v49, 8, 8
	v_bfe_i32 v40, v34, 8, 8
	;; [unrolled: 1-line block ×3, first 2 shown]
	v_mul_i32_i24_e32 v37, v40, v37
	v_bfe_i32 v40, v49, 0, 8
	s_delay_alu instid0(VALU_DEP_1) | instskip(SKIP_3) | instid1(VALU_DEP_2)
	v_mad_i32_i24 v201, v41, v40, v37
	v_bfe_i32 v37, v28, 8, 8
	v_bfe_i32 v40, v39, 8, 8
	;; [unrolled: 1-line block ×3, first 2 shown]
	v_mul_i32_i24_e32 v37, v40, v37
	v_bfe_i32 v40, v28, 0, 8
	s_delay_alu instid0(VALU_DEP_1) | instskip(SKIP_2) | instid1(VALU_DEP_1)
	v_mad_i32_i24 v37, v41, v40, v37
	v_bfe_i32 v40, v29, 8, 8
	v_bfe_i32 v41, v35, 8, 8
	v_mul_i32_i24_e32 v40, v41, v40
	v_bfe_i32 v41, v29, 0, 8
	s_delay_alu instid0(VALU_DEP_1) | instskip(SKIP_2) | instid1(VALU_DEP_1)
	v_mad_i32_i24 v40, v42, v41, v40
	v_bfe_i32 v41, v16, 8, 8
	v_bfe_i32 v42, v22, 8, 8
	v_mul_i32_i24_e32 v41, v42, v41
	v_bfe_i32 v42, v16, 0, 8
	s_delay_alu instid0(VALU_DEP_1) | instskip(SKIP_2) | instid1(VALU_DEP_1)
	v_mad_i32_i24 v41, v43, v42, v41
	v_ashrrev_i32_e32 v42, 24, v17
	v_ashrrev_i32_e32 v43, 24, v15
	v_mul_i32_i24_e32 v42, v43, v42
	v_bfe_i32 v43, v16, 16, 8
	s_delay_alu instid0(VALU_DEP_1) | instskip(SKIP_3) | instid1(VALU_DEP_2)
	v_mad_i32_i24 v202, v44, v43, v42
	v_bfe_i32 v42, v17, 8, 8
	v_bfe_i32 v43, v15, 8, 8
	;; [unrolled: 1-line block ×3, first 2 shown]
	v_mul_i32_i24_e32 v42, v43, v42
	v_bfe_i32 v43, v17, 0, 8
	s_delay_alu instid0(VALU_DEP_1) | instskip(SKIP_3) | instid1(VALU_DEP_2)
	v_mad_i32_i24 v203, v44, v43, v42
	v_perm_b32 v42, v12, v11, 0xc0c0602
	v_perm_b32 v43, v5, v4, 0x6020c0c
	;; [unrolled: 1-line block ×3, first 2 shown]
	v_or_b32_e32 v42, v43, v42
	v_perm_b32 v43, v7, v6, 0xc0c0602
	s_delay_alu instid0(VALU_DEP_1) | instskip(SKIP_1) | instid1(VALU_DEP_1)
	v_or_b32_e32 v43, v44, v43
	v_perm_b32 v44, v82, v81, 0x7030c0c
	v_or_b32_e32 v44, v44, v45
	v_perm_b32 v45, v217, v218, 0xc0c0703
	s_delay_alu instid0(VALU_DEP_2) | instskip(NEXT) | instid1(VALU_DEP_2)
	v_dot4_i32_iu8 v42, v44, v42, 0 neg_lo:[1,1,0]
	v_or_b32_e32 v45, v46, v45
	v_perm_b32 v44, v9, v8, 0x5010c0c
	v_perm_b32 v46, v213, v214, 0x7030c0c
	s_delay_alu instid0(VALU_DEP_3) | instskip(SKIP_3) | instid1(VALU_DEP_2)
	v_dot4_i32_iu8 v204, v45, v43, v42 neg_lo:[1,1,0]
	v_perm_b32 v42, v12, v11, 0xc0c0501
	v_perm_b32 v43, v5, v4, 0x5010c0c
	v_perm_b32 v45, v10, v136, 0xc0c0503
	v_or_b32_e32 v42, v43, v42
	v_perm_b32 v43, v7, v6, 0xc0c0501
	s_delay_alu instid0(VALU_DEP_1) | instskip(SKIP_1) | instid1(VALU_DEP_1)
	v_or_b32_e32 v43, v44, v43
	v_perm_b32 v44, v114, v102, 0x7030c0c
	v_or_b32_e32 v44, v44, v45
	v_perm_b32 v45, v215, v216, 0xc0c0703
	s_delay_alu instid0(VALU_DEP_2) | instskip(NEXT) | instid1(VALU_DEP_2)
	v_dot4_i32_iu8 v42, v44, v42, 0 neg_lo:[1,1,0]
	v_or_b32_e32 v45, v46, v45
	v_add_nc_u32_e32 v44, 0x1014, v161
	s_delay_alu instid0(VALU_DEP_2) | instskip(SKIP_3) | instid1(VALU_DEP_2)
	v_dot4_i32_iu8 v205, v45, v43, v42 neg_lo:[1,1,0]
	v_bfe_i32 v42, v23, 0, 8
	v_bfe_i32 v43, v19, 0, 8
	v_add_nc_u32_e32 v45, 0x1414, v161
	v_mul_i32_i24_e32 v42, v42, v43
	v_add_nc_u32_e32 v43, 0xc14, v161
	s_delay_alu instid0(VALU_DEP_2) | instskip(SKIP_3) | instid1(VALU_DEP_2)
	v_add3_u32 v206, v0, v1, v42
	v_bfe_i32 v0, v23, 16, 8
	v_bfe_i32 v1, v19, 16, 8
	v_ashrrev_i32_e32 v42, 24, v48
	v_mul_i32_i24_e32 v0, v0, v1
	v_ashrrev_i32_e32 v1, 24, v38
	s_delay_alu instid0(VALU_DEP_1) | instskip(SKIP_1) | instid1(VALU_DEP_2)
	v_mul_i32_i24_e32 v1, v1, v42
	v_add_nc_u32_e32 v42, 0x1004, v161
	v_add3_u32 v207, v0, v1, v36
	v_bfe_i32 v0, v34, 16, 8
	v_bfe_i32 v1, v49, 16, 8
	v_ashrrev_i32_e32 v36, 24, v28
	s_delay_alu instid0(VALU_DEP_2) | instskip(SKIP_1) | instid1(VALU_DEP_1)
	v_mul_i32_i24_e32 v0, v0, v1
	v_ashrrev_i32_e32 v1, 24, v39
	v_mul_i32_i24_e32 v1, v1, v36
	v_ashrrev_i32_e32 v36, 24, v29
	s_delay_alu instid0(VALU_DEP_2) | instskip(SKIP_4) | instid1(VALU_DEP_2)
	v_add3_u32 v208, v0, v1, v37
	v_bfe_i32 v0, v39, 16, 8
	v_bfe_i32 v1, v28, 16, 8
	s_wait_dscnt 0x0
	v_lshlrev_b32_e32 v37, 8, v25
	v_mul_i32_i24_e32 v0, v0, v1
	v_ashrrev_i32_e32 v1, 24, v35
	s_delay_alu instid0(VALU_DEP_1) | instskip(SKIP_1) | instid1(VALU_DEP_2)
	v_mul_i32_i24_e32 v1, v1, v36
	v_ashrrev_i32_e32 v36, 24, v16
	v_add3_u32 v209, v0, v1, v40
	v_bfe_i32 v0, v35, 16, 8
	v_bfe_i32 v1, v29, 16, 8
	v_add_nc_u32_e32 v40, 0x814, v161
	s_delay_alu instid0(VALU_DEP_2) | instskip(SKIP_1) | instid1(VALU_DEP_1)
	v_mul_i32_i24_e32 v0, v0, v1
	v_ashrrev_i32_e32 v1, 24, v22
	v_mul_i32_i24_e32 v1, v1, v36
	v_lshlrev_b32_e32 v36, 8, v38
	s_delay_alu instid0(VALU_DEP_2) | instskip(SKIP_3) | instid1(VALU_DEP_2)
	v_add3_u32 v210, v0, v1, v41
	v_lshlrev_b32_e32 v0, 16, v23
	v_lshlrev_b32_e32 v1, 8, v23
	v_perm_b32 v23, v23, v23, 0xc0c0003
	v_perm_b32 v0, v1, v0, 0x7030c0c
	v_lshlrev_b32_e32 v1, 16, v38
	s_delay_alu instid0(VALU_DEP_2) | instskip(NEXT) | instid1(VALU_DEP_2)
	v_or_b32_e32 v0, v0, v23
	v_perm_b32 v1, v36, v1, 0x7030c0c
	v_lshlrev_b32_e32 v36, 16, v25
	v_perm_b32 v23, v38, v38, 0xc0c0003
	s_delay_alu instid0(VALU_DEP_2)
	v_perm_b32 v137, v37, v36, 0x7030c0c
	v_add_nc_u32_e32 v36, 0x804, v161
	v_add_nc_u32_e32 v37, 0xc04, v161
	ds_load_2addr_b32 v[62:63], v36 offset1:1
	ds_load_2addr_b32 v[60:61], v37 offset1:1
	;; [unrolled: 1-line block ×3, first 2 shown]
	v_or_b32_e32 v1, v1, v23
	v_perm_b32 v23, v25, v25, 0xc0c0003
	s_delay_alu instid0(VALU_DEP_1) | instskip(SKIP_4) | instid1(VALU_DEP_2)
	v_or_b32_e32 v23, v137, v23
	s_wait_dscnt 0x2
	v_lshlrev_b32_e32 v36, 16, v62
	v_lshlrev_b32_e32 v37, 8, v62
	v_perm_b32 v25, v62, v62, 0xc0c0003
	v_perm_b32 v138, v37, v36, 0x7030c0c
	v_add_nc_u32_e32 v36, 0xc0c, v161
	s_delay_alu instid0(VALU_DEP_2)
	v_or_b32_e32 v25, v138, v25
	ds_load_2addr_b32 v[36:37], v36 offset1:1
	s_wait_dscnt 0x0
	v_lshlrev_b32_e32 v40, 16, v37
	v_lshlrev_b32_e32 v41, 8, v37
	v_perm_b32 v37, v37, v37, 0xc0c0003
	s_delay_alu instid0(VALU_DEP_2) | instskip(SKIP_2) | instid1(VALU_DEP_3)
	v_perm_b32 v139, v41, v40, 0x7030c0c
	v_lshlrev_b32_e32 v40, 16, v60
	v_lshlrev_b32_e32 v41, 8, v60
	v_or_b32_e32 v62, v139, v37
	v_perm_b32 v37, v60, v60, 0xc0c0003
	s_delay_alu instid0(VALU_DEP_3)
	v_perm_b32 v141, v41, v40, 0x7030c0c
	v_add_nc_u32_e32 v40, 0x100c, v161
	ds_load_2addr_b32 v[40:41], v40 offset1:1
	ds_load_2addr_b32 v[219:220], v42 offset1:1
	ds_load_2addr_b32 v[52:53], v44 offset1:1
	ds_load_2addr_b32 v[54:55], v43 offset1:1
	v_add_nc_u32_e32 v44, 0x1404, v161
	v_or_b32_e32 v60, v141, v37
	s_wait_dscnt 0x3
	v_lshlrev_b32_e32 v42, 16, v41
	v_lshlrev_b32_e32 v43, 8, v41
	v_perm_b32 v37, v41, v41, 0xc0c0003
	s_delay_alu instid0(VALU_DEP_2) | instskip(SKIP_3) | instid1(VALU_DEP_3)
	v_perm_b32 v142, v43, v42, 0x7030c0c
	s_wait_dscnt 0x2
	v_lshlrev_b32_e32 v42, 16, v219
	v_lshlrev_b32_e32 v43, 8, v219
	v_or_b32_e32 v41, v142, v37
	v_perm_b32 v37, v219, v219, 0xc0c0003
	s_delay_alu instid0(VALU_DEP_3)
	v_perm_b32 v143, v43, v42, 0x7030c0c
	v_add_nc_u32_e32 v42, 0x140c, v161
	ds_load_2addr_b32 v[42:43], v42 offset1:1
	ds_load_2addr_b32 v[221:222], v44 offset1:1
	;; [unrolled: 1-line block ×3, first 2 shown]
	v_or_b32_e32 v137, v143, v37
	v_add_nc_u32_e32 v142, 0x6180, v162
	v_add_nc_u32_e32 v143, 0x4108, v162
	;; [unrolled: 1-line block ×3, first 2 shown]
	s_wait_dscnt 0x2
	v_lshlrev_b32_e32 v44, 16, v43
	v_lshlrev_b32_e32 v45, 8, v43
	v_perm_b32 v37, v43, v43, 0xc0c0003
	s_delay_alu instid0(VALU_DEP_2) | instskip(SKIP_3) | instid1(VALU_DEP_3)
	v_perm_b32 v144, v45, v44, 0x7030c0c
	s_wait_dscnt 0x1
	v_lshlrev_b32_e32 v44, 16, v221
	v_lshlrev_b32_e32 v45, 8, v221
	v_or_b32_e32 v43, v144, v37
	v_perm_b32 v37, v221, v221, 0xc0c0003
	s_delay_alu instid0(VALU_DEP_3) | instskip(SKIP_2) | instid1(VALU_DEP_3)
	v_perm_b32 v145, v45, v44, 0x7030c0c
	v_add_nc_u32_e32 v44, 0x180c, v161
	v_add_nc_u32_e32 v144, 0x6188, v162
	v_or_b32_e32 v138, v145, v37
	ds_load_2addr_b32 v[44:45], v44 offset1:1
	v_add_nc_u32_e32 v145, 0x4110, v162
	s_wait_dscnt 0x0
	v_lshlrev_b32_e32 v46, 16, v45
	v_lshlrev_b32_e32 v47, 8, v45
	v_perm_b32 v37, v45, v45, 0xc0c0003
	s_delay_alu instid0(VALU_DEP_2)
	v_perm_b32 v146, v47, v46, 0x7030c0c
	v_add_nc_u32_e32 v46, 0x1804, v161
	v_add_nc_u32_e32 v47, 0x1c04, v161
	ds_load_2addr_b32 v[223:224], v46 offset1:1
	ds_load_2addr_b32 v[225:226], v47 offset1:1
	;; [unrolled: 1-line block ×3, first 2 shown]
	v_or_b32_e32 v45, v146, v37
	v_add_nc_u32_e32 v146, 0x6190, v162
	s_wait_dscnt 0x2
	v_lshlrev_b32_e32 v46, 16, v223
	v_lshlrev_b32_e32 v47, 8, v223
	v_perm_b32 v37, v223, v223, 0xc0c0003
	s_wait_dscnt 0x1
	v_lshlrev_b32_e32 v229, 8, v225
	s_delay_alu instid0(VALU_DEP_3) | instskip(SKIP_1) | instid1(VALU_DEP_2)
	v_perm_b32 v147, v47, v46, 0x7030c0c
	v_add_nc_u32_e32 v46, 0x1c0c, v161
	v_or_b32_e32 v139, v147, v37
	ds_load_2addr_b32 v[46:47], v46 offset1:1
	v_add_nc_u32_e32 v147, 0x4118, v162
	s_wait_dscnt 0x0
	v_lshlrev_b32_e32 v227, 16, v47
	v_lshlrev_b32_e32 v228, 8, v47
	v_perm_b32 v37, v47, v47, 0xc0c0003
	s_delay_alu instid0(VALU_DEP_2) | instskip(SKIP_1) | instid1(VALU_DEP_2)
	v_perm_b32 v227, v228, v227, 0x7030c0c
	v_lshlrev_b32_e32 v228, 16, v225
	v_or_b32_e32 v47, v227, v37
	s_delay_alu instid0(VALU_DEP_2) | instskip(SKIP_1) | instid1(VALU_DEP_1)
	v_perm_b32 v228, v229, v228, 0x7030c0c
	v_perm_b32 v37, v225, v225, 0xc0c0003
	v_or_b32_e32 v141, v228, v37
	v_add_nc_u32_e32 v37, 0x4100, v162
	ds_load_2addr_b32 v[37:38], v37 offset1:1
	ds_load_2addr_b32 v[227:228], v142 offset1:1
	;; [unrolled: 1-line block ×8, first 2 shown]
	v_perm_b32 v142, v11, v11, 0x2010003
	v_perm_b32 v147, v19, v19, 0x2010003
	;; [unrolled: 1-line block ×3, first 2 shown]
	v_add_nc_u32_e32 v162, 32, v162
	s_delay_alu instid0(VALU_DEP_4)
	v_dot4_i32_iu8 v145, v0, v142, 0 neg_lo:[1,1,0]
	v_dot4_i32_iu8 v219, v23, v142, 0 neg_lo:[1,1,0]
	v_dot4_i32_iu8 v221, v23, v147, 0 neg_lo:[1,1,0]
	v_dot4_i32_iu8 v225, v62, v142, 0 neg_lo:[1,1,0]
	v_dot4_i32_iu8 v241, v62, v147, 0 neg_lo:[1,1,0]
	v_dot4_i32_iu8 v243, v41, v142, 0 neg_lo:[1,1,0]
	v_dot4_i32_iu8 v244, v41, v147, 0 neg_lo:[1,1,0]
	s_wait_dscnt 0x7
	v_perm_b32 v143, v38, v38, 0x2010003
	s_wait_dscnt 0x6
	v_perm_b32 v144, v228, v228, 0x2010003
	v_dot4_i32_iu8 v246, v43, v142, 0 neg_lo:[1,1,0]
	v_dot4_i32_iu8 v247, v43, v147, 0 neg_lo:[1,1,0]
	;; [unrolled: 1-line block ×20, first 2 shown]
	v_perm_b32 v144, v4, v4, 0x2010003
	s_wait_dscnt 0x5
	v_perm_b32 v252, v229, v229, 0x2010003
	s_wait_dscnt 0x2
	v_perm_b32 v253, v235, v235, 0x2010003
	v_perm_b32 v4, v5, v4, 0x4000c0c
	v_dot4_i32_iu8 v145, v1, v144, v145 neg_lo:[1,1,0]
	v_dot4_i32_iu8 v146, v1, v252, v146 neg_lo:[1,1,0]
	s_delay_alu instid0(VALU_DEP_4)
	v_dot4_i32_iu8 v0, v1, v253, v0 neg_lo:[1,1,0]
	v_dot4_i32_iu8 v1, v25, v144, v219 neg_lo:[1,1,0]
	v_perm_b32 v219, v48, v48, 0x2010003
	v_dot4_i32_iu8 v223, v25, v252, v223 neg_lo:[1,1,0]
	v_dot4_i32_iu8 v23, v25, v253, v23 neg_lo:[1,1,0]
	;; [unrolled: 1-line block ×23, first 2 shown]
	v_lshlrev_b32_e32 v141, 24, v21
	v_lshlrev_b32_e32 v144, 8, v56
	;; [unrolled: 1-line block ×4, first 2 shown]
	v_or_b32_e32 v4, v4, v11
	v_perm_b32 v21, v136, v141, 0xc0c0703
	v_dot4_i32_iu8 v136, v18, v12, 0 neg_lo:[1,1,0]
	s_delay_alu instid0(VALU_DEP_2)
	v_or_b32_e32 v21, v85, v21
	v_lshlrev_b32_e32 v85, 24, v32
	v_perm_b32 v32, v32, v81, 0x7030c0c
	v_lshlrev_b32_e32 v81, 24, v30
	v_perm_b32 v30, v30, v82, 0x7030c0c
	v_dot4_i32_iu8 v82, v12, v37, 0 neg_lo:[1,1,0]
	v_perm_b32 v102, v102, v85, 0xc0c0703
	v_dot4_i32_iu8 v19, v21, v19, v136 neg_lo:[1,1,0]
	v_lshlrev_b32_e32 v136, 8, v52
	s_delay_alu instid0(VALU_DEP_4) | instskip(NEXT) | instid1(VALU_DEP_4)
	v_dot4_i32_iu8 v38, v21, v38, v82 neg_lo:[1,1,0]
	v_or_b32_e32 v32, v32, v102
	v_perm_b32 v102, v114, v81, 0xc0c0703
	v_perm_b32 v82, v230, v230, 0x2010003
	;; [unrolled: 1-line block ×3, first 2 shown]
	s_delay_alu instid0(VALU_DEP_4) | instskip(NEXT) | instid1(VALU_DEP_4)
	v_dot4_i32_iu8 v38, v32, v229, v38 neg_lo:[1,1,0]
	v_or_b32_e32 v30, v30, v102
	v_dot4_i32_iu8 v102, v12, v227, 0 neg_lo:[1,1,0]
	v_dot4_i32_iu8 v19, v32, v48, v19 neg_lo:[1,1,0]
	v_lshlrev_b32_e32 v48, 8, v50
	v_lshlrev_b32_e32 v229, 16, v226
	v_dot4_i32_iu8 v38, v30, v230, v38 neg_lo:[1,1,0]
	v_dot4_i32_iu8 v102, v21, v228, v102 neg_lo:[1,1,0]
	;; [unrolled: 1-line block ×3, first 2 shown]
	v_perm_b32 v21, v49, v49, 0x2010003
	v_lshlrev_b32_e32 v49, 8, v54
	v_lshlrev_b32_e32 v228, 8, v224
	v_dot4_i32_iu8 v102, v32, v235, v102 neg_lo:[1,1,0]
	v_lshlrev_b32_e32 v32, 8, v34
	v_lshlrev_b32_e32 v230, 8, v226
	v_perm_b32 v226, v226, v226, 0xc0c0003
	v_perm_b32 v12, v10, v141, 0xc0c0403
	v_dot4_i32_iu8 v102, v30, v236, v102 neg_lo:[1,1,0]
	v_lshlrev_b32_e32 v30, 16, v34
	v_perm_b32 v34, v34, v34, 0xc0c0003
	s_delay_alu instid0(VALU_DEP_2) | instskip(SKIP_1) | instid1(VALU_DEP_2)
	v_perm_b32 v30, v32, v30, 0x7030c0c
	v_lshlrev_b32_e32 v32, 16, v50
	v_or_b32_e32 v30, v30, v34
	s_delay_alu instid0(VALU_DEP_2) | instskip(SKIP_4) | instid1(VALU_DEP_4)
	v_perm_b32 v32, v48, v32, 0x7030c0c
	v_lshlrev_b32_e32 v48, 16, v54
	v_perm_b32 v34, v50, v50, 0xc0c0003
	v_perm_b32 v50, v58, v58, 0xc0c0003
	v_dot4_i32_iu8 v0, v30, v114, v0 neg_lo:[1,1,0]
	v_perm_b32 v48, v49, v48, 0x7030c0c
	v_lshlrev_b32_e32 v49, 16, v52
	v_or_b32_e32 v32, v32, v34
	v_perm_b32 v34, v54, v54, 0xc0c0003
	s_delay_alu instid0(VALU_DEP_3) | instskip(SKIP_1) | instid1(VALU_DEP_3)
	v_perm_b32 v49, v136, v49, 0x7030c0c
	v_lshlrev_b32_e32 v136, 16, v56
	v_or_b32_e32 v34, v48, v34
	v_perm_b32 v48, v52, v52, 0xc0c0003
	v_perm_b32 v52, v5, v5, 0x2010003
	v_dot4_i32_iu8 v23, v32, v114, v23 neg_lo:[1,1,0]
	v_perm_b32 v136, v144, v136, 0x7030c0c
	v_lshlrev_b32_e32 v144, 16, v58
	v_or_b32_e32 v48, v49, v48
	v_perm_b32 v49, v56, v56, 0xc0c0003
	v_dot4_i32_iu8 v54, v30, v52, v145 neg_lo:[1,1,0]
	v_dot4_i32_iu8 v56, v30, v82, v146 neg_lo:[1,1,0]
	v_perm_b32 v144, v147, v144, 0x7030c0c
	v_lshlrev_b32_e32 v147, 16, v26
	v_perm_b32 v26, v26, v26, 0xc0c0003
	v_or_b32_e32 v49, v136, v49
	v_dot4_i32_iu8 v1, v32, v52, v1 neg_lo:[1,1,0]
	v_or_b32_e32 v50, v144, v50
	v_perm_b32 v147, v219, v147, 0x7030c0c
	v_dot4_i32_iu8 v30, v32, v21, v221 neg_lo:[1,1,0]
	v_dot4_i32_iu8 v58, v32, v82, v223 neg_lo:[1,1,0]
	;; [unrolled: 1-line block ×4, first 2 shown]
	v_or_b32_e32 v26, v147, v26
	v_dot4_i32_iu8 v136, v34, v82, v241 neg_lo:[1,1,0]
	v_dot4_i32_iu8 v34, v34, v114, v60 neg_lo:[1,1,0]
	v_dot4_i32_iu8 v60, v48, v52, v62 neg_lo:[1,1,0]
	v_dot4_i32_iu8 v62, v48, v21, v242 neg_lo:[1,1,0]
	v_dot4_i32_iu8 v144, v48, v82, v243 neg_lo:[1,1,0]
	v_dot4_i32_iu8 v41, v48, v114, v41 neg_lo:[1,1,0]
	v_dot4_i32_iu8 v48, v49, v52, v137 neg_lo:[1,1,0]
	v_dot4_i32_iu8 v137, v49, v21, v244 neg_lo:[1,1,0]
	v_dot4_i32_iu8 v145, v49, v82, v245 neg_lo:[1,1,0]
	v_dot4_i32_iu8 v43, v49, v114, v43 neg_lo:[1,1,0]
	v_dot4_i32_iu8 v49, v50, v52, v138 neg_lo:[1,1,0]
	v_dot4_i32_iu8 v138, v50, v21, v246 neg_lo:[1,1,0]
	v_dot4_i32_iu8 v146, v50, v82, v247 neg_lo:[1,1,0]
	v_dot4_i32_iu8 v45, v50, v114, v45 neg_lo:[1,1,0]
	v_dot4_i32_iu8 v50, v26, v52, v139 neg_lo:[1,1,0]
	v_dot4_i32_iu8 v21, v26, v21, v142 neg_lo:[1,1,0]
	v_dot4_i32_iu8 v52, v26, v82, v143 neg_lo:[1,1,0]
	v_dot4_i32_iu8 v26, v26, v114, v47 neg_lo:[1,1,0]
	v_lshlrev_b32_e32 v47, 16, v39
	v_lshlrev_b32_e32 v82, 8, v39
	;; [unrolled: 1-line block ×11, first 2 shown]
	v_perm_b32 v39, v39, v39, 0xc0c0003
	v_perm_b32 v63, v63, v63, 0xc0c0003
	;; [unrolled: 1-line block ×13, first 2 shown]
	v_or_b32_e32 v39, v47, v39
	v_or_b32_e32 v47, v82, v63
	;; [unrolled: 1-line block ×7, first 2 shown]
	v_perm_b32 v142, v6, v6, 0x2010003
	v_perm_b32 v143, v231, v231, 0x2010003
	s_wait_dscnt 0x1
	v_perm_b32 v147, v237, v237, 0x2010003
	v_lshlrev_b32_e32 v219, 16, v59
	v_lshlrev_b32_e32 v220, 8, v59
	v_dot4_i32_iu8 v54, v39, v142, v54 neg_lo:[1,1,0]
	v_dot4_i32_iu8 v56, v39, v143, v56 neg_lo:[1,1,0]
	;; [unrolled: 1-line block ×3, first 2 shown]
	v_perm_b32 v39, v28, v28, 0x2010003
	v_dot4_i32_iu8 v1, v47, v142, v1 neg_lo:[1,1,0]
	v_dot4_i32_iu8 v58, v47, v143, v58 neg_lo:[1,1,0]
	;; [unrolled: 1-line block ×19, first 2 shown]
	v_perm_b32 v52, v33, v218, 0x7030c0c
	v_lshlrev_b32_e32 v33, 24, v33
	v_dot4_i32_iu8 v49, v114, v142, v49 neg_lo:[1,1,0]
	v_dot4_i32_iu8 v137, v114, v143, v146 neg_lo:[1,1,0]
	;; [unrolled: 1-line block ×3, first 2 shown]
	v_perm_b32 v114, v31, v217, 0x7030c0c
	v_lshlrev_b32_e32 v31, 24, v31
	v_perm_b32 v216, v216, v33, 0xc0c0703
	v_dot4_i32_iu8 v50, v139, v142, v50 neg_lo:[1,1,0]
	v_dot4_i32_iu8 v26, v139, v147, v26 neg_lo:[1,1,0]
	v_lshlrev_b32_e32 v138, 16, v35
	v_perm_b32 v215, v215, v31, 0xc0c0703
	v_or_b32_e32 v52, v52, v216
	v_lshlrev_b32_e32 v139, 8, v35
	v_lshlrev_b32_e32 v142, 16, v51
	;; [unrolled: 1-line block ×11, first 2 shown]
	v_or_b32_e32 v114, v114, v215
	v_dot4_i32_iu8 v38, v52, v231, v38 neg_lo:[1,1,0]
	v_dot4_i32_iu8 v102, v52, v237, v102 neg_lo:[1,1,0]
	;; [unrolled: 1-line block ×3, first 2 shown]
	v_perm_b32 v35, v35, v35, 0xc0c0003
	v_perm_b32 v51, v51, v51, 0xc0c0003
	;; [unrolled: 1-line block ×7, first 2 shown]
	v_dot4_i32_iu8 v38, v114, v232, v38 neg_lo:[1,1,0]
	v_dot4_i32_iu8 v102, v114, v238, v102 neg_lo:[1,1,0]
	v_dot4_i32_iu8 v52, v114, v29, v19 neg_lo:[1,1,0]
	v_perm_b32 v19, v29, v29, 0x2010003
	v_perm_b32 v28, v139, v138, 0x7030c0c
	v_perm_b32 v29, v143, v142, 0x7030c0c
	v_perm_b32 v114, v145, v144, 0x7030c0c
	v_perm_b32 v138, v147, v146, 0x7030c0c
	v_perm_b32 v139, v218, v217, 0x7030c0c
	v_perm_b32 v142, v220, v219, 0x7030c0c
	v_perm_b32 v143, v222, v221, 0x7030c0c
	v_perm_b32 v215, v232, v232, 0x2010003
	v_perm_b32 v216, v238, v238, 0x2010003
	v_or_b32_e32 v28, v28, v35
	v_or_b32_e32 v29, v29, v51
	;; [unrolled: 1-line block ×7, first 2 shown]
	v_perm_b32 v57, v7, v7, 0x2010003
	v_dot4_i32_iu8 v56, v28, v215, v56 neg_lo:[1,1,0]
	v_dot4_i32_iu8 v0, v28, v216, v0 neg_lo:[1,1,0]
	;; [unrolled: 1-line block ×27, first 2 shown]
	v_lshlrev_b32_e32 v27, 16, v22
	v_lshlrev_b32_e32 v39, 8, v22
	;; [unrolled: 1-line block ×10, first 2 shown]
	v_perm_b32 v22, v22, v22, 0xc0c0003
	v_perm_b32 v36, v36, v36, 0xc0c0003
	;; [unrolled: 1-line block ×3, first 2 shown]
	v_lshlrev_b32_e32 v114, 16, v42
	v_lshlrev_b32_e32 v136, 8, v42
	v_perm_b32 v44, v44, v44, 0xc0c0003
	v_lshlrev_b32_e32 v139, 16, v46
	v_lshlrev_b32_e32 v142, 8, v46
	v_perm_b32 v27, v39, v27, 0x7030c0c
	v_perm_b32 v39, v57, v55, 0x7030c0c
	;; [unrolled: 1-line block ×10, first 2 shown]
	v_or_b32_e32 v22, v27, v22
	v_or_b32_e32 v27, v55, v36
	;; [unrolled: 1-line block ×4, first 2 shown]
	v_perm_b32 v44, v8, v8, 0x2010003
	v_or_b32_e32 v24, v39, v24
	v_or_b32_e32 v39, v61, v42
	;; [unrolled: 1-line block ×3, first 2 shown]
	s_wait_dscnt 0x0
	v_perm_b32 v114, v240, v240, 0x2010003
	v_dot4_i32_iu8 v46, v22, v44, v54 neg_lo:[1,1,0]
	v_perm_b32 v54, v233, v233, 0x2010003
	v_dot4_i32_iu8 v1, v24, v44, v1 neg_lo:[1,1,0]
	v_dot4_i32_iu8 v63, v27, v44, v25 neg_lo:[1,1,0]
	;; [unrolled: 1-line block ×3, first 2 shown]
	v_perm_b32 v5, v7, v6, 0xc0c0400
	v_dot4_i32_iu8 v55, v22, v54, v56 neg_lo:[1,1,0]
	v_perm_b32 v56, v239, v239, 0x2010003
	v_dot4_i32_iu8 v61, v24, v54, v30 neg_lo:[1,1,0]
	v_dot4_i32_iu8 v32, v27, v54, v32 neg_lo:[1,1,0]
	;; [unrolled: 1-line block ×3, first 2 shown]
	v_perm_b32 v6, v9, v8, 0x4000c0c
	v_dot4_i32_iu8 v0, v22, v56, v0 neg_lo:[1,1,0]
	v_perm_b32 v22, v16, v16, 0x2010003
	v_dot4_i32_iu8 v62, v24, v56, v23 neg_lo:[1,1,0]
	v_dot4_i32_iu8 v34, v27, v56, v34 neg_lo:[1,1,0]
	v_perm_b32 v7, v81, v85, 0x7030c0c
	v_or_b32_e32 v5, v6, v5
	v_dot4_i32_iu8 v47, v36, v22, v47 neg_lo:[1,1,0]
	v_dot4_i32_iu8 v36, v36, v56, v41 neg_lo:[1,1,0]
	v_dot4_i32_iu8 v41, v39, v44, v48 neg_lo:[1,1,0]
	v_dot4_i32_iu8 v48, v39, v22, v51 neg_lo:[1,1,0]
	v_dot4_i32_iu8 v51, v39, v54, v59 neg_lo:[1,1,0]
	v_dot4_i32_iu8 v39, v39, v56, v43 neg_lo:[1,1,0]
	v_dot4_i32_iu8 v43, v40, v44, v49 neg_lo:[1,1,0]
	v_dot4_i32_iu8 v49, v40, v22, v53 neg_lo:[1,1,0]
	v_dot4_i32_iu8 v53, v40, v54, v60 neg_lo:[1,1,0]
	v_dot4_i32_iu8 v44, v42, v44, v50 neg_lo:[1,1,0]
	v_dot4_i32_iu8 v50, v42, v54, v21 neg_lo:[1,1,0]
	v_lshlrev_b32_e32 v54, 24, v20
	v_dot4_i32_iu8 v40, v40, v56, v45 neg_lo:[1,1,0]
	v_dot4_i32_iu8 v45, v42, v22, v19 neg_lo:[1,1,0]
	v_perm_b32 v19, v20, v212, 0x7030c0c
	v_lshlrev_b32_e32 v59, 24, v13
	v_perm_b32 v20, v214, v54, 0xc0c0703
	v_dot4_i32_iu8 v42, v42, v56, v26 neg_lo:[1,1,0]
	v_perm_b32 v13, v13, v211, 0x7030c0c
	v_dot4_i32_iu8 v57, v24, v22, v28 neg_lo:[1,1,0]
	v_dot4_i32_iu8 v82, v27, v22, v29 neg_lo:[1,1,0]
	v_or_b32_e32 v56, v19, v20
	v_perm_b32 v19, v213, v59, 0xc0c0703
	v_lshlrev_b32_e32 v20, 8, v15
	v_perm_b32 v60, v234, v234, 0x2010003
	v_perm_b32 v6, v31, v33, 0xc0c0703
	;; [unrolled: 1-line block ×3, first 2 shown]
	v_or_b32_e32 v13, v13, v19
	v_dot4_i32_iu8 v19, v56, v233, v38 neg_lo:[1,1,0]
	v_or_b32_e32 v7, v7, v12
	s_delay_alu instid0(VALU_DEP_4) | instskip(SKIP_1) | instid1(VALU_DEP_4)
	v_or_b32_e32 v6, v8, v6
	v_add_nc_u32_e32 v8, v205, v198
	v_dot4_i32_iu8 v38, v13, v234, v19 neg_lo:[1,1,0]
	v_dot4_i32_iu8 v19, v56, v239, v102 neg_lo:[1,1,0]
	;; [unrolled: 1-line block ×3, first 2 shown]
	s_delay_alu instid0(VALU_DEP_2) | instskip(SKIP_1) | instid1(VALU_DEP_3)
	v_dot4_i32_iu8 v102, v13, v240, v19 neg_lo:[1,1,0]
	v_lshlrev_b32_e32 v19, 16, v15
	v_dot4_i32_iu8 v4, v6, v5, v4 neg_lo:[1,1,0]
	v_add3_u32 v5, v206, v199, v207
	v_add3_u32 v6, v200, v201, v208
	s_delay_alu instid0(VALU_DEP_4) | instskip(SKIP_4) | instid1(VALU_DEP_1)
	v_perm_b32 v136, v20, v19, 0x7030c0c
	v_add_nc_u32_e32 v19, 0x800, v161
	v_add3_u32 v4, v4, v204, v8
	ds_load_2addr_b32 v[19:20], v19 offset1:7
	v_cvt_f32_i32_e32 v4, v4
	v_fmac_f32_e32 v90, v189, v4
	s_wait_dscnt 0x0
	v_lshlrev_b32_e32 v21, 16, v20
	v_lshlrev_b32_e32 v22, 8, v20
	v_perm_b32 v20, v20, v20, 0xc0c0003
	s_delay_alu instid0(VALU_DEP_2) | instskip(SKIP_1) | instid1(VALU_DEP_2)
	v_perm_b32 v137, v22, v21, 0x7030c0c
	v_add_nc_u32_e32 v21, 0xc00, v161
	v_or_b32_e32 v20, v137, v20
	ds_load_2addr_b32 v[21:22], v21 offset1:7
	v_perm_b32 v137, v9, v9, 0x2010003
	v_dot4_i32_iu8 v61, v20, v60, v61 neg_lo:[1,1,0]
	s_delay_alu instid0(VALU_DEP_2) | instskip(NEXT) | instid1(VALU_DEP_1)
	v_dot4_i32_iu8 v1, v20, v137, v1 neg_lo:[1,1,0]
	v_dot4_i32_iu8 v1, v10, v19, v1 neg_lo:[1,1,0]
	s_wait_dscnt 0x0
	v_lshlrev_b32_e32 v23, 16, v22
	v_lshlrev_b32_e32 v24, 8, v22
	v_perm_b32 v22, v22, v22, 0xc0c0003
	s_delay_alu instid0(VALU_DEP_2) | instskip(SKIP_1) | instid1(VALU_DEP_2)
	v_perm_b32 v138, v24, v23, 0x7030c0c
	v_add_nc_u32_e32 v23, 0x1000, v161
	v_or_b32_e32 v22, v138, v22
	ds_load_2addr_b32 v[23:24], v23 offset1:7
	v_dot4_i32_iu8 v32, v22, v60, v32 neg_lo:[1,1,0]
	s_delay_alu instid0(VALU_DEP_1) | instskip(SKIP_4) | instid1(VALU_DEP_2)
	v_dot4_i32_iu8 v32, v21, v37, v32 neg_lo:[1,1,0]
	s_wait_dscnt 0x0
	v_lshlrev_b32_e32 v25, 16, v24
	v_lshlrev_b32_e32 v26, 8, v24
	v_perm_b32 v24, v24, v24, 0xc0c0003
	v_perm_b32 v139, v26, v25, 0x7030c0c
	v_add_nc_u32_e32 v25, 0x1400, v161
	s_delay_alu instid0(VALU_DEP_2)
	v_or_b32_e32 v24, v139, v24
	ds_load_2addr_b32 v[25:26], v25 offset1:7
	s_wait_dscnt 0x0
	v_lshlrev_b32_e32 v27, 16, v26
	v_lshlrev_b32_e32 v28, 8, v26
	v_perm_b32 v26, v26, v26, 0xc0c0003
	s_delay_alu instid0(VALU_DEP_2) | instskip(SKIP_1) | instid1(VALU_DEP_2)
	v_perm_b32 v142, v28, v27, 0x7030c0c
	v_add_nc_u32_e32 v27, 0x1800, v161
	v_or_b32_e32 v26, v142, v26
	ds_load_2addr_b32 v[27:28], v27 offset1:7
	s_wait_dscnt 0x0
	v_lshlrev_b32_e32 v29, 16, v28
	v_lshlrev_b32_e32 v30, 8, v28
	v_perm_b32 v28, v28, v28, 0xc0c0003
	s_delay_alu instid0(VALU_DEP_2) | instskip(SKIP_2) | instid1(VALU_DEP_3)
	v_perm_b32 v143, v30, v29, 0x7030c0c
	v_add_nc_u32_e32 v29, 0x1c00, v161
	v_add_nc_u32_e32 v161, 32, v161
	v_or_b32_e32 v28, v143, v28
	ds_load_2addr_b32 v[29:30], v29 offset1:7
	s_wait_dscnt 0x0
	v_lshlrev_b32_e32 v144, 16, v30
	v_lshlrev_b32_e32 v145, 8, v30
	v_perm_b32 v30, v30, v30, 0xc0c0003
	s_delay_alu instid0(VALU_DEP_2) | instskip(SKIP_2) | instid1(VALU_DEP_3)
	v_perm_b32 v144, v145, v144, 0x7030c0c
	v_perm_b32 v145, v15, v15, 0xc0c0003
	v_bfe_i32 v15, v15, 16, 8
	v_or_b32_e32 v30, v144, v30
	s_delay_alu instid0(VALU_DEP_3) | instskip(NEXT) | instid1(VALU_DEP_1)
	v_or_b32_e32 v136, v136, v145
	v_dot4_i32_iu8 v0, v136, v114, v0 neg_lo:[1,1,0]
	v_dot4_i32_iu8 v46, v136, v137, v46 neg_lo:[1,1,0]
	;; [unrolled: 1-line block ×3, first 2 shown]
	v_perm_b32 v136, v17, v17, 0x2010003
	s_delay_alu instid0(VALU_DEP_4) | instskip(NEXT) | instid1(VALU_DEP_2)
	v_dot4_i32_iu8 v0, v14, v227, v0 neg_lo:[1,1,0]
	v_dot4_i32_iu8 v57, v20, v136, v57 neg_lo:[1,1,0]
	;; [unrolled: 1-line block ×3, first 2 shown]
	s_delay_alu instid0(VALU_DEP_3)
	v_cvt_f32_i32_e32 v0, v0
	v_dot4_i32_iu8 v62, v22, v137, v63 neg_lo:[1,1,0]
	v_dot4_i32_iu8 v63, v22, v136, v82 neg_lo:[1,1,0]
	;; [unrolled: 1-line block ×20, first 2 shown]
	v_fmac_f32_e32 v92, v182, v0
	v_cvt_f32_i32_e32 v0, v1
	v_dot4_i32_iu8 v50, v19, v37, v61 neg_lo:[1,1,0]
	v_dot4_i32_iu8 v19, v19, v227, v20 neg_lo:[1,1,0]
	v_dot4_i32_iu8 v20, v10, v21, v62 neg_lo:[1,1,0]
	v_dot4_i32_iu8 v51, v18, v21, v63 neg_lo:[1,1,0]
	v_fmac_f32_e32 v91, v183, v0
	v_cvt_f32_i32_e32 v0, v42
	v_dot4_i32_iu8 v21, v21, v227, v22 neg_lo:[1,1,0]
	v_dot4_i32_iu8 v22, v10, v23, v34 neg_lo:[1,1,0]
	v_dot4_i32_iu8 v34, v18, v23, v35 neg_lo:[1,1,0]
	v_dot4_i32_iu8 v35, v23, v37, v47 neg_lo:[1,1,0]
	;; [unrolled: 6-line block ×6, first 2 shown]
	v_fmac_f32_e32 v84, v177, v0
	v_cvt_f32_i32_e32 v0, v32
	v_dot4_i32_iu8 v13, v13, v17, v14 neg_lo:[1,1,0]
	v_bfe_i32 v14, v17, 16, 8
	v_cvt_f32_i32_e32 v1, v29
	s_delay_alu instid0(VALU_DEP_4) | instskip(SKIP_1) | instid1(VALU_DEP_4)
	v_fmac_f32_e32 v83, v176, v0
	v_cvt_f32_i32_e32 v0, v21
	v_mul_i32_i24_e32 v14, v15, v14
	s_delay_alu instid0(VALU_DEP_4) | instskip(NEXT) | instid1(VALU_DEP_3)
	v_fmac_f32_e32 v64, v196, v1
	v_fmac_f32_e32 v80, v174, v0
	v_cvt_f32_i32_e32 v0, v22
	s_delay_alu instid0(VALU_DEP_4) | instskip(NEXT) | instid1(VALU_DEP_2)
	v_add3_u32 v14, v202, v203, v14
	v_fmac_f32_e32 v79, v175, v0
	v_cvt_f32_i32_e32 v0, v34
	s_delay_alu instid0(VALU_DEP_3) | instskip(NEXT) | instid1(VALU_DEP_2)
	v_add3_u32 v7, v209, v210, v14
	v_fmac_f32_e32 v78, v173, v0
	v_cvt_f32_i32_e32 v0, v35
	s_delay_alu instid0(VALU_DEP_3) | instskip(NEXT) | instid1(VALU_DEP_2)
	;; [unrolled: 4-line block ×3, first 2 shown]
	v_cvt_f32_i32_e32 v4, v5
	v_fmac_f32_e32 v76, v171, v0
	v_cvt_f32_i32_e32 v0, v24
	s_delay_alu instid0(VALU_DEP_3) | instskip(SKIP_1) | instid1(VALU_DEP_3)
	v_fmac_f32_e32 v94, v192, v4
	v_cvt_f32_i32_e32 v4, v38
	v_fmac_f32_e32 v75, v170, v0
	v_cvt_f32_i32_e32 v0, v36
	s_delay_alu instid0(VALU_DEP_3) | instskip(SKIP_1) | instid1(VALU_DEP_3)
	v_fmac_f32_e32 v104, v188, v4
	;; [unrolled: 5-line block ×5, first 2 shown]
	v_cvt_f32_i32_e32 v4, v40
	v_fmac_f32_e32 v71, v167, v0
	v_cvt_f32_i32_e32 v0, v39
	s_delay_alu instid0(VALU_DEP_3) | instskip(NEXT) | instid1(VALU_DEP_2)
	v_fmac_f32_e32 v93, v185, v4
	v_fmac_f32_e32 v70, v191, v0
	v_cvt_f32_i32_e32 v0, v43
	s_delay_alu instid0(VALU_DEP_1) | instskip(SKIP_1) | instid1(VALU_DEP_1)
	v_fmac_f32_e32 v69, v195, v0
	v_cvt_f32_i32_e32 v0, v27
	v_fmac_f32_e32 v68, v197, v0
	v_cvt_f32_i32_e32 v0, v10
	s_delay_alu instid0(VALU_DEP_1) | instskip(SKIP_1) | instid1(VALU_DEP_1)
	v_fmac_f32_e32 v67, v190, v0
	v_cvt_f32_i32_e32 v0, v18
	v_fmac_f32_e32 v66, v194, v0
	v_cvt_f32_i32_e32 v0, v37
	s_delay_alu instid0(VALU_DEP_1)
	v_fmac_f32_e32 v65, v193, v0
	s_cbranch_scc1 .LBB161_11
; %bb.12:                               ;   in Loop: Header=BB161_6 Depth=1
	s_wait_loadcnt 0x0
	s_barrier_signal -1
	s_barrier_wait -1
	global_inv scope:SCOPE_SE
	s_branch .LBB161_5
.LBB161_13:
	s_clause 0x2
	scratch_load_b32 v1, off, off offset:64 th:TH_LOAD_LU
	scratch_load_b32 v2, off, off offset:68 th:TH_LOAD_LU
	scratch_load_b32 v3, off, off offset:72
.LBB161_14:
	s_mov_b32 s0, exec_lo
	s_wait_loadcnt 0x0
	v_cmpx_gt_u32_e64 s4, v3
	s_cbranch_execz .LBB161_65
; %bb.15:
	v_add_nc_u32_e32 v0, s14, v2
	v_mul_lo_u32 v5, v3, s6
	s_delay_alu instid0(VALU_DEP_2)
	v_cmp_gt_u32_e32 vcc_lo, s6, v0
	s_and_saveexec_b32 s1, vcc_lo
	s_cbranch_execz .LBB161_17
; %bb.16:
	v_bfe_u32 v3, v90, 16, 1
	s_delay_alu instid0(VALU_DEP_3) | instskip(SKIP_1) | instid1(VALU_DEP_3)
	v_add_nc_u32_e32 v2, v0, v5
	v_cmp_o_f32_e64 s0, v90, v90
	v_add3_u32 v4, v90, v3, 0x7fff
	v_mov_b32_e32 v3, 0
	s_delay_alu instid0(VALU_DEP_2) | instskip(NEXT) | instid1(VALU_DEP_2)
	v_lshrrev_b32_e32 v4, 16, v4
	v_lshlrev_b64_e32 v[2:3], 1, v[2:3]
	s_delay_alu instid0(VALU_DEP_2) | instskip(SKIP_1) | instid1(VALU_DEP_2)
	v_cndmask_b32_e64 v4, 0x7fc0, v4, s0
	s_wait_kmcnt 0x0
	v_add_co_u32 v2, s0, s8, v2
	s_wait_alu 0xf1ff
	s_delay_alu instid0(VALU_DEP_3)
	v_add_co_ci_u32_e64 v3, null, s9, v3, s0
	global_store_b16 v[2:3], v4, off
.LBB161_17:
	s_or_b32 exec_lo, exec_lo, s1
	v_add_nc_u32_e32 v2, 32, v0
	s_delay_alu instid0(VALU_DEP_1)
	v_cmp_gt_u32_e64 s0, s6, v2
	s_and_saveexec_b32 s2, s0
	s_cbranch_execz .LBB161_19
; %bb.18:
	v_bfe_u32 v4, v105, 16, 1
	v_add_nc_u32_e32 v3, v2, v5
	v_cmp_o_f32_e64 s1, v105, v105
	s_delay_alu instid0(VALU_DEP_3) | instskip(SKIP_1) | instid1(VALU_DEP_2)
	v_add3_u32 v6, v105, v4, 0x7fff
	v_mov_b32_e32 v4, 0
	v_lshrrev_b32_e32 v6, 16, v6
	s_delay_alu instid0(VALU_DEP_2) | instskip(SKIP_1) | instid1(VALU_DEP_2)
	v_lshlrev_b64_e32 v[3:4], 1, v[3:4]
	s_wait_alu 0xf1ff
	v_cndmask_b32_e64 v6, 0x7fc0, v6, s1
	s_wait_kmcnt 0x0
	s_delay_alu instid0(VALU_DEP_2)
	v_add_co_u32 v3, s1, s8, v3
	s_wait_alu 0xf1ff
	v_add_co_ci_u32_e64 v4, null, s9, v4, s1
	global_store_b16 v[3:4], v6, off
.LBB161_19:
	s_wait_alu 0xfffe
	s_or_b32 exec_lo, exec_lo, s2
	v_add_nc_u32_e32 v3, 64, v0
	s_delay_alu instid0(VALU_DEP_1)
	v_cmp_gt_u32_e64 s1, s6, v3
	s_and_saveexec_b32 s3, s1
	s_cbranch_execz .LBB161_21
; %bb.20:
	v_bfe_u32 v4, v104, 16, 1
	v_dual_mov_b32 v7, 0 :: v_dual_add_nc_u32 v6, v3, v5
	v_cmp_o_f32_e64 s2, v104, v104
	s_delay_alu instid0(VALU_DEP_3) | instskip(NEXT) | instid1(VALU_DEP_3)
	v_add3_u32 v4, v104, v4, 0x7fff
	v_lshlrev_b64_e32 v[6:7], 1, v[6:7]
	s_delay_alu instid0(VALU_DEP_2) | instskip(SKIP_1) | instid1(VALU_DEP_1)
	v_lshrrev_b32_e32 v4, 16, v4
	s_wait_alu 0xf1ff
	v_cndmask_b32_e64 v4, 0x7fc0, v4, s2
	s_wait_kmcnt 0x0
	s_delay_alu instid0(VALU_DEP_3)
	v_add_co_u32 v6, s2, s8, v6
	s_wait_alu 0xf1ff
	v_add_co_ci_u32_e64 v7, null, s9, v7, s2
	global_store_b16 v[6:7], v4, off
.LBB161_21:
	s_wait_alu 0xfffe
	s_or_b32 exec_lo, exec_lo, s3
	v_add_nc_u32_e32 v4, 0x60, v0
	s_delay_alu instid0(VALU_DEP_1)
	v_cmp_gt_u32_e64 s2, s6, v4
	s_and_saveexec_b32 s5, s2
	s_cbranch_execz .LBB161_23
; %bb.22:
	v_bfe_u32 v6, v103, 16, 1
	v_add_nc_u32_e32 v5, v4, v5
	v_cmp_o_f32_e64 s3, v103, v103
	s_delay_alu instid0(VALU_DEP_3) | instskip(SKIP_1) | instid1(VALU_DEP_2)
	v_add3_u32 v7, v103, v6, 0x7fff
	v_mov_b32_e32 v6, 0
	v_lshrrev_b32_e32 v7, 16, v7
	s_delay_alu instid0(VALU_DEP_2) | instskip(SKIP_1) | instid1(VALU_DEP_2)
	v_lshlrev_b64_e32 v[5:6], 1, v[5:6]
	s_wait_alu 0xf1ff
	v_cndmask_b32_e64 v7, 0x7fc0, v7, s3
	s_wait_kmcnt 0x0
	s_delay_alu instid0(VALU_DEP_2)
	v_add_co_u32 v5, s3, s8, v5
	s_wait_alu 0xf1ff
	v_add_co_ci_u32_e64 v6, null, s9, v6, s3
	global_store_b16 v[5:6], v7, off
.LBB161_23:
	s_wait_alu 0xfffe
	s_or_b32 exec_lo, exec_lo, s5
	v_add3_u32 v5, v1, s7, 8
	s_delay_alu instid0(VALU_DEP_1)
	v_cmp_gt_u32_e64 s3, s4, v5
	s_and_b32 exec_lo, exec_lo, s3
	s_cbranch_execz .LBB161_65
; %bb.24:
	v_mul_lo_u32 v5, v5, s6
	s_and_saveexec_b32 s5, vcc_lo
	s_cbranch_execnz .LBB161_66
; %bb.25:
	s_wait_alu 0xfffe
	s_or_b32 exec_lo, exec_lo, s5
	s_and_saveexec_b32 s5, s0
	s_cbranch_execnz .LBB161_67
.LBB161_26:
	s_wait_alu 0xfffe
	s_or_b32 exec_lo, exec_lo, s5
	s_and_saveexec_b32 s5, s1
	s_cbranch_execnz .LBB161_68
.LBB161_27:
	s_wait_alu 0xfffe
	s_or_b32 exec_lo, exec_lo, s5
	s_and_saveexec_b32 s5, s2
	s_cbranch_execz .LBB161_29
.LBB161_28:
	v_bfe_u32 v6, v92, 16, 1
	v_add_nc_u32_e32 v5, v5, v4
	v_cmp_o_f32_e64 s3, v92, v92
	s_delay_alu instid0(VALU_DEP_3) | instskip(SKIP_1) | instid1(VALU_DEP_2)
	v_add3_u32 v7, v92, v6, 0x7fff
	v_mov_b32_e32 v6, 0
	v_lshrrev_b32_e32 v7, 16, v7
	s_delay_alu instid0(VALU_DEP_2) | instskip(SKIP_1) | instid1(VALU_DEP_2)
	v_lshlrev_b64_e32 v[5:6], 1, v[5:6]
	s_wait_alu 0xf1ff
	v_cndmask_b32_e64 v7, 0x7fc0, v7, s3
	s_wait_kmcnt 0x0
	s_delay_alu instid0(VALU_DEP_2)
	v_add_co_u32 v5, s3, s8, v5
	s_wait_alu 0xf1ff
	v_add_co_ci_u32_e64 v6, null, s9, v6, s3
	global_store_b16 v[5:6], v7, off
.LBB161_29:
	s_wait_alu 0xfffe
	s_or_b32 exec_lo, exec_lo, s5
	v_add3_u32 v5, v1, s7, 16
	s_delay_alu instid0(VALU_DEP_1)
	v_cmp_gt_u32_e64 s3, s4, v5
	s_and_b32 exec_lo, exec_lo, s3
	s_cbranch_execz .LBB161_65
; %bb.30:
	v_mul_lo_u32 v5, v5, s6
	s_and_saveexec_b32 s5, vcc_lo
	s_cbranch_execnz .LBB161_69
; %bb.31:
	s_wait_alu 0xfffe
	s_or_b32 exec_lo, exec_lo, s5
	s_and_saveexec_b32 s5, s0
	s_cbranch_execnz .LBB161_70
.LBB161_32:
	s_wait_alu 0xfffe
	s_or_b32 exec_lo, exec_lo, s5
	s_and_saveexec_b32 s5, s1
	s_cbranch_execnz .LBB161_71
.LBB161_33:
	s_wait_alu 0xfffe
	s_or_b32 exec_lo, exec_lo, s5
	s_and_saveexec_b32 s5, s2
	s_cbranch_execz .LBB161_35
.LBB161_34:
	v_bfe_u32 v6, v87, 16, 1
	v_add_nc_u32_e32 v5, v5, v4
	v_cmp_o_f32_e64 s3, v87, v87
	s_delay_alu instid0(VALU_DEP_3) | instskip(SKIP_1) | instid1(VALU_DEP_2)
	v_add3_u32 v7, v87, v6, 0x7fff
	v_mov_b32_e32 v6, 0
	v_lshrrev_b32_e32 v7, 16, v7
	s_delay_alu instid0(VALU_DEP_2) | instskip(SKIP_1) | instid1(VALU_DEP_2)
	v_lshlrev_b64_e32 v[5:6], 1, v[5:6]
	s_wait_alu 0xf1ff
	v_cndmask_b32_e64 v7, 0x7fc0, v7, s3
	s_wait_kmcnt 0x0
	s_delay_alu instid0(VALU_DEP_2)
	v_add_co_u32 v5, s3, s8, v5
	s_wait_alu 0xf1ff
	v_add_co_ci_u32_e64 v6, null, s9, v6, s3
	global_store_b16 v[5:6], v7, off
.LBB161_35:
	s_wait_alu 0xfffe
	s_or_b32 exec_lo, exec_lo, s5
	v_add3_u32 v5, v1, s7, 24
	s_delay_alu instid0(VALU_DEP_1)
	v_cmp_gt_u32_e64 s3, s4, v5
	s_and_b32 exec_lo, exec_lo, s3
	s_cbranch_execz .LBB161_65
; %bb.36:
	v_mul_lo_u32 v5, v5, s6
	s_and_saveexec_b32 s5, vcc_lo
	s_cbranch_execnz .LBB161_72
; %bb.37:
	s_wait_alu 0xfffe
	s_or_b32 exec_lo, exec_lo, s5
	s_and_saveexec_b32 s5, s0
	s_cbranch_execnz .LBB161_73
.LBB161_38:
	s_wait_alu 0xfffe
	s_or_b32 exec_lo, exec_lo, s5
	s_and_saveexec_b32 s5, s1
	s_cbranch_execnz .LBB161_74
.LBB161_39:
	s_wait_alu 0xfffe
	s_or_b32 exec_lo, exec_lo, s5
	s_and_saveexec_b32 s5, s2
	s_cbranch_execz .LBB161_41
.LBB161_40:
	v_bfe_u32 v6, v80, 16, 1
	v_add_nc_u32_e32 v5, v5, v4
	v_cmp_o_f32_e64 s3, v80, v80
	s_delay_alu instid0(VALU_DEP_3) | instskip(SKIP_1) | instid1(VALU_DEP_2)
	v_add3_u32 v7, v80, v6, 0x7fff
	v_mov_b32_e32 v6, 0
	v_lshrrev_b32_e32 v7, 16, v7
	s_delay_alu instid0(VALU_DEP_2) | instskip(SKIP_1) | instid1(VALU_DEP_2)
	v_lshlrev_b64_e32 v[5:6], 1, v[5:6]
	s_wait_alu 0xf1ff
	v_cndmask_b32_e64 v7, 0x7fc0, v7, s3
	s_wait_kmcnt 0x0
	s_delay_alu instid0(VALU_DEP_2)
	v_add_co_u32 v5, s3, s8, v5
	s_wait_alu 0xf1ff
	v_add_co_ci_u32_e64 v6, null, s9, v6, s3
	global_store_b16 v[5:6], v7, off
.LBB161_41:
	s_wait_alu 0xfffe
	s_or_b32 exec_lo, exec_lo, s5
	v_add3_u32 v5, v1, s7, 32
	s_delay_alu instid0(VALU_DEP_1)
	v_cmp_gt_u32_e64 s3, s4, v5
	s_and_b32 exec_lo, exec_lo, s3
	s_cbranch_execz .LBB161_65
; %bb.42:
	v_mul_lo_u32 v5, v5, s6
	s_and_saveexec_b32 s5, vcc_lo
	s_cbranch_execnz .LBB161_75
; %bb.43:
	s_wait_alu 0xfffe
	s_or_b32 exec_lo, exec_lo, s5
	s_and_saveexec_b32 s5, s0
	s_cbranch_execnz .LBB161_76
.LBB161_44:
	s_wait_alu 0xfffe
	s_or_b32 exec_lo, exec_lo, s5
	s_and_saveexec_b32 s5, s1
	s_cbranch_execnz .LBB161_77
.LBB161_45:
	s_wait_alu 0xfffe
	s_or_b32 exec_lo, exec_lo, s5
	s_and_saveexec_b32 s5, s2
	s_cbranch_execz .LBB161_47
.LBB161_46:
	v_bfe_u32 v6, v76, 16, 1
	v_add_nc_u32_e32 v5, v5, v4
	v_cmp_o_f32_e64 s3, v76, v76
	s_delay_alu instid0(VALU_DEP_3) | instskip(SKIP_1) | instid1(VALU_DEP_2)
	v_add3_u32 v7, v76, v6, 0x7fff
	v_mov_b32_e32 v6, 0
	v_lshrrev_b32_e32 v7, 16, v7
	s_delay_alu instid0(VALU_DEP_2) | instskip(SKIP_1) | instid1(VALU_DEP_2)
	v_lshlrev_b64_e32 v[5:6], 1, v[5:6]
	s_wait_alu 0xf1ff
	v_cndmask_b32_e64 v7, 0x7fc0, v7, s3
	s_wait_kmcnt 0x0
	s_delay_alu instid0(VALU_DEP_2)
	v_add_co_u32 v5, s3, s8, v5
	s_wait_alu 0xf1ff
	v_add_co_ci_u32_e64 v6, null, s9, v6, s3
	global_store_b16 v[5:6], v7, off
.LBB161_47:
	s_wait_alu 0xfffe
	s_or_b32 exec_lo, exec_lo, s5
	v_add3_u32 v5, v1, s7, 40
	s_delay_alu instid0(VALU_DEP_1)
	v_cmp_gt_u32_e64 s3, s4, v5
	s_and_b32 exec_lo, exec_lo, s3
	s_cbranch_execz .LBB161_65
; %bb.48:
	v_mul_lo_u32 v5, v5, s6
	s_and_saveexec_b32 s5, vcc_lo
	s_cbranch_execnz .LBB161_78
; %bb.49:
	s_wait_alu 0xfffe
	s_or_b32 exec_lo, exec_lo, s5
	s_and_saveexec_b32 s5, s0
	s_cbranch_execnz .LBB161_79
.LBB161_50:
	s_wait_alu 0xfffe
	s_or_b32 exec_lo, exec_lo, s5
	s_and_saveexec_b32 s5, s1
	s_cbranch_execnz .LBB161_80
.LBB161_51:
	s_wait_alu 0xfffe
	s_or_b32 exec_lo, exec_lo, s5
	s_and_saveexec_b32 s5, s2
	s_cbranch_execz .LBB161_53
.LBB161_52:
	v_bfe_u32 v6, v72, 16, 1
	v_add_nc_u32_e32 v5, v5, v4
	v_cmp_o_f32_e64 s3, v72, v72
	s_delay_alu instid0(VALU_DEP_3) | instskip(SKIP_1) | instid1(VALU_DEP_2)
	v_add3_u32 v7, v72, v6, 0x7fff
	v_mov_b32_e32 v6, 0
	v_lshrrev_b32_e32 v7, 16, v7
	s_delay_alu instid0(VALU_DEP_2) | instskip(SKIP_1) | instid1(VALU_DEP_2)
	v_lshlrev_b64_e32 v[5:6], 1, v[5:6]
	s_wait_alu 0xf1ff
	v_cndmask_b32_e64 v7, 0x7fc0, v7, s3
	s_wait_kmcnt 0x0
	s_delay_alu instid0(VALU_DEP_2)
	v_add_co_u32 v5, s3, s8, v5
	s_wait_alu 0xf1ff
	v_add_co_ci_u32_e64 v6, null, s9, v6, s3
	global_store_b16 v[5:6], v7, off
.LBB161_53:
	s_wait_alu 0xfffe
	s_or_b32 exec_lo, exec_lo, s5
	v_add3_u32 v5, v1, s7, 48
	s_delay_alu instid0(VALU_DEP_1)
	v_cmp_gt_u32_e64 s3, s4, v5
	s_and_b32 exec_lo, exec_lo, s3
	s_cbranch_execz .LBB161_65
; %bb.54:
	v_mul_lo_u32 v5, v5, s6
	s_and_saveexec_b32 s5, vcc_lo
	s_cbranch_execnz .LBB161_81
; %bb.55:
	s_wait_alu 0xfffe
	s_or_b32 exec_lo, exec_lo, s5
	s_and_saveexec_b32 s5, s0
	s_cbranch_execnz .LBB161_82
.LBB161_56:
	s_wait_alu 0xfffe
	s_or_b32 exec_lo, exec_lo, s5
	s_and_saveexec_b32 s5, s1
	s_cbranch_execnz .LBB161_83
.LBB161_57:
	s_wait_alu 0xfffe
	s_or_b32 exec_lo, exec_lo, s5
	s_and_saveexec_b32 s5, s2
	s_cbranch_execz .LBB161_59
.LBB161_58:
	v_bfe_u32 v6, v68, 16, 1
	v_add_nc_u32_e32 v5, v5, v4
	v_cmp_o_f32_e64 s3, v68, v68
	s_delay_alu instid0(VALU_DEP_3) | instskip(SKIP_1) | instid1(VALU_DEP_2)
	v_add3_u32 v7, v68, v6, 0x7fff
	v_mov_b32_e32 v6, 0
	v_lshrrev_b32_e32 v7, 16, v7
	s_delay_alu instid0(VALU_DEP_2) | instskip(SKIP_1) | instid1(VALU_DEP_2)
	v_lshlrev_b64_e32 v[5:6], 1, v[5:6]
	s_wait_alu 0xf1ff
	v_cndmask_b32_e64 v7, 0x7fc0, v7, s3
	s_wait_kmcnt 0x0
	s_delay_alu instid0(VALU_DEP_2)
	v_add_co_u32 v5, s3, s8, v5
	s_wait_alu 0xf1ff
	v_add_co_ci_u32_e64 v6, null, s9, v6, s3
	global_store_b16 v[5:6], v7, off
.LBB161_59:
	s_wait_alu 0xfffe
	s_or_b32 exec_lo, exec_lo, s5
	v_add3_u32 v1, v1, s7, 56
	s_delay_alu instid0(VALU_DEP_1)
	v_cmp_gt_u32_e64 s3, s4, v1
	s_and_b32 exec_lo, exec_lo, s3
	s_cbranch_execz .LBB161_65
; %bb.60:
	v_mul_lo_u32 v1, v1, s6
	s_and_saveexec_b32 s3, vcc_lo
	s_cbranch_execnz .LBB161_84
; %bb.61:
	s_wait_alu 0xfffe
	s_or_b32 exec_lo, exec_lo, s3
	s_and_saveexec_b32 s3, s0
	s_cbranch_execnz .LBB161_85
.LBB161_62:
	s_wait_alu 0xfffe
	s_or_b32 exec_lo, exec_lo, s3
	s_and_saveexec_b32 s0, s1
	s_cbranch_execnz .LBB161_86
.LBB161_63:
	s_wait_alu 0xfffe
	s_or_b32 exec_lo, exec_lo, s0
	s_delay_alu instid0(SALU_CYCLE_1)
	s_and_b32 exec_lo, exec_lo, s2
	s_cbranch_execz .LBB161_65
.LBB161_64:
	v_bfe_u32 v2, v64, 16, 1
	v_dual_mov_b32 v1, 0 :: v_dual_add_nc_u32 v0, v1, v4
	v_cmp_o_f32_e32 vcc_lo, v64, v64
	s_delay_alu instid0(VALU_DEP_3) | instskip(NEXT) | instid1(VALU_DEP_3)
	v_add3_u32 v2, v64, v2, 0x7fff
	v_lshlrev_b64_e32 v[0:1], 1, v[0:1]
	s_delay_alu instid0(VALU_DEP_2) | instskip(SKIP_1) | instid1(VALU_DEP_1)
	v_lshrrev_b32_e32 v2, 16, v2
	s_wait_alu 0xfffd
	v_cndmask_b32_e32 v2, 0x7fc0, v2, vcc_lo
	s_wait_kmcnt 0x0
	s_delay_alu instid0(VALU_DEP_3)
	v_add_co_u32 v0, vcc_lo, s8, v0
	s_wait_alu 0xfffd
	v_add_co_ci_u32_e64 v1, null, s9, v1, vcc_lo
	global_store_b16 v[0:1], v2, off
.LBB161_65:
	s_nop 0
	s_sendmsg sendmsg(MSG_DEALLOC_VGPRS)
	s_endpgm
.LBB161_66:
	v_bfe_u32 v7, v97, 16, 1
	s_delay_alu instid0(VALU_DEP_2) | instskip(SKIP_1) | instid1(VALU_DEP_3)
	v_add_nc_u32_e32 v6, v5, v0
	v_cmp_o_f32_e64 s3, v97, v97
	v_add3_u32 v8, v97, v7, 0x7fff
	v_mov_b32_e32 v7, 0
	s_delay_alu instid0(VALU_DEP_2) | instskip(NEXT) | instid1(VALU_DEP_2)
	v_lshrrev_b32_e32 v8, 16, v8
	v_lshlrev_b64_e32 v[6:7], 1, v[6:7]
	s_wait_alu 0xf1ff
	s_delay_alu instid0(VALU_DEP_2) | instskip(SKIP_1) | instid1(VALU_DEP_2)
	v_cndmask_b32_e64 v8, 0x7fc0, v8, s3
	s_wait_kmcnt 0x0
	v_add_co_u32 v6, s3, s8, v6
	s_wait_alu 0xf1ff
	v_add_co_ci_u32_e64 v7, null, s9, v7, s3
	global_store_b16 v[6:7], v8, off
	s_wait_alu 0xfffe
	s_or_b32 exec_lo, exec_lo, s5
	s_and_saveexec_b32 s5, s0
	s_cbranch_execz .LBB161_26
.LBB161_67:
	v_bfe_u32 v7, v94, 16, 1
	v_add_nc_u32_e32 v6, v5, v2
	v_cmp_o_f32_e64 s3, v94, v94
	s_delay_alu instid0(VALU_DEP_3) | instskip(SKIP_1) | instid1(VALU_DEP_2)
	v_add3_u32 v8, v94, v7, 0x7fff
	v_mov_b32_e32 v7, 0
	v_lshrrev_b32_e32 v8, 16, v8
	s_delay_alu instid0(VALU_DEP_2) | instskip(SKIP_1) | instid1(VALU_DEP_2)
	v_lshlrev_b64_e32 v[6:7], 1, v[6:7]
	s_wait_alu 0xf1ff
	v_cndmask_b32_e64 v8, 0x7fc0, v8, s3
	s_wait_kmcnt 0x0
	s_delay_alu instid0(VALU_DEP_2)
	v_add_co_u32 v6, s3, s8, v6
	s_wait_alu 0xf1ff
	v_add_co_ci_u32_e64 v7, null, s9, v7, s3
	global_store_b16 v[6:7], v8, off
	s_wait_alu 0xfffe
	s_or_b32 exec_lo, exec_lo, s5
	s_and_saveexec_b32 s5, s1
	s_cbranch_execz .LBB161_27
.LBB161_68:
	v_bfe_u32 v7, v93, 16, 1
	v_add_nc_u32_e32 v6, v5, v3
	v_cmp_o_f32_e64 s3, v93, v93
	s_delay_alu instid0(VALU_DEP_3) | instskip(SKIP_1) | instid1(VALU_DEP_2)
	v_add3_u32 v8, v93, v7, 0x7fff
	v_mov_b32_e32 v7, 0
	v_lshrrev_b32_e32 v8, 16, v8
	s_delay_alu instid0(VALU_DEP_2) | instskip(SKIP_1) | instid1(VALU_DEP_2)
	v_lshlrev_b64_e32 v[6:7], 1, v[6:7]
	s_wait_alu 0xf1ff
	v_cndmask_b32_e64 v8, 0x7fc0, v8, s3
	s_wait_kmcnt 0x0
	s_delay_alu instid0(VALU_DEP_2)
	v_add_co_u32 v6, s3, s8, v6
	s_wait_alu 0xf1ff
	v_add_co_ci_u32_e64 v7, null, s9, v7, s3
	global_store_b16 v[6:7], v8, off
	s_wait_alu 0xfffe
	s_or_b32 exec_lo, exec_lo, s5
	s_and_saveexec_b32 s5, s2
	s_cbranch_execnz .LBB161_28
	s_branch .LBB161_29
.LBB161_69:
	v_bfe_u32 v7, v91, 16, 1
	s_delay_alu instid0(VALU_DEP_2) | instskip(SKIP_1) | instid1(VALU_DEP_3)
	v_add_nc_u32_e32 v6, v5, v0
	v_cmp_o_f32_e64 s3, v91, v91
	v_add3_u32 v8, v91, v7, 0x7fff
	v_mov_b32_e32 v7, 0
	s_delay_alu instid0(VALU_DEP_2) | instskip(NEXT) | instid1(VALU_DEP_2)
	v_lshrrev_b32_e32 v8, 16, v8
	v_lshlrev_b64_e32 v[6:7], 1, v[6:7]
	s_wait_alu 0xf1ff
	s_delay_alu instid0(VALU_DEP_2) | instskip(SKIP_1) | instid1(VALU_DEP_2)
	v_cndmask_b32_e64 v8, 0x7fc0, v8, s3
	s_wait_kmcnt 0x0
	v_add_co_u32 v6, s3, s8, v6
	s_wait_alu 0xf1ff
	v_add_co_ci_u32_e64 v7, null, s9, v7, s3
	global_store_b16 v[6:7], v8, off
	s_wait_alu 0xfffe
	s_or_b32 exec_lo, exec_lo, s5
	s_and_saveexec_b32 s5, s0
	s_cbranch_execz .LBB161_32
.LBB161_70:
	v_bfe_u32 v7, v89, 16, 1
	v_add_nc_u32_e32 v6, v5, v2
	v_cmp_o_f32_e64 s3, v89, v89
	s_delay_alu instid0(VALU_DEP_3) | instskip(SKIP_1) | instid1(VALU_DEP_2)
	v_add3_u32 v8, v89, v7, 0x7fff
	v_mov_b32_e32 v7, 0
	v_lshrrev_b32_e32 v8, 16, v8
	s_delay_alu instid0(VALU_DEP_2) | instskip(SKIP_1) | instid1(VALU_DEP_2)
	v_lshlrev_b64_e32 v[6:7], 1, v[6:7]
	s_wait_alu 0xf1ff
	v_cndmask_b32_e64 v8, 0x7fc0, v8, s3
	s_wait_kmcnt 0x0
	s_delay_alu instid0(VALU_DEP_2)
	v_add_co_u32 v6, s3, s8, v6
	s_wait_alu 0xf1ff
	v_add_co_ci_u32_e64 v7, null, s9, v7, s3
	global_store_b16 v[6:7], v8, off
	s_wait_alu 0xfffe
	s_or_b32 exec_lo, exec_lo, s5
	s_and_saveexec_b32 s5, s1
	s_cbranch_execz .LBB161_33
.LBB161_71:
	v_bfe_u32 v7, v88, 16, 1
	v_add_nc_u32_e32 v6, v5, v3
	v_cmp_o_f32_e64 s3, v88, v88
	s_delay_alu instid0(VALU_DEP_3) | instskip(SKIP_1) | instid1(VALU_DEP_2)
	v_add3_u32 v8, v88, v7, 0x7fff
	v_mov_b32_e32 v7, 0
	v_lshrrev_b32_e32 v8, 16, v8
	s_delay_alu instid0(VALU_DEP_2) | instskip(SKIP_1) | instid1(VALU_DEP_2)
	v_lshlrev_b64_e32 v[6:7], 1, v[6:7]
	s_wait_alu 0xf1ff
	v_cndmask_b32_e64 v8, 0x7fc0, v8, s3
	s_wait_kmcnt 0x0
	s_delay_alu instid0(VALU_DEP_2)
	v_add_co_u32 v6, s3, s8, v6
	s_wait_alu 0xf1ff
	v_add_co_ci_u32_e64 v7, null, s9, v7, s3
	global_store_b16 v[6:7], v8, off
	s_wait_alu 0xfffe
	s_or_b32 exec_lo, exec_lo, s5
	s_and_saveexec_b32 s5, s2
	s_cbranch_execnz .LBB161_34
	s_branch .LBB161_35
.LBB161_72:
	v_bfe_u32 v7, v86, 16, 1
	s_delay_alu instid0(VALU_DEP_2) | instskip(SKIP_1) | instid1(VALU_DEP_3)
	v_add_nc_u32_e32 v6, v5, v0
	v_cmp_o_f32_e64 s3, v86, v86
	v_add3_u32 v8, v86, v7, 0x7fff
	v_mov_b32_e32 v7, 0
	s_delay_alu instid0(VALU_DEP_2) | instskip(NEXT) | instid1(VALU_DEP_2)
	v_lshrrev_b32_e32 v8, 16, v8
	v_lshlrev_b64_e32 v[6:7], 1, v[6:7]
	s_wait_alu 0xf1ff
	s_delay_alu instid0(VALU_DEP_2) | instskip(SKIP_1) | instid1(VALU_DEP_2)
	v_cndmask_b32_e64 v8, 0x7fc0, v8, s3
	s_wait_kmcnt 0x0
	v_add_co_u32 v6, s3, s8, v6
	s_wait_alu 0xf1ff
	v_add_co_ci_u32_e64 v7, null, s9, v7, s3
	global_store_b16 v[6:7], v8, off
	s_wait_alu 0xfffe
	s_or_b32 exec_lo, exec_lo, s5
	s_and_saveexec_b32 s5, s0
	s_cbranch_execz .LBB161_38
.LBB161_73:
	v_bfe_u32 v7, v84, 16, 1
	v_add_nc_u32_e32 v6, v5, v2
	v_cmp_o_f32_e64 s3, v84, v84
	s_delay_alu instid0(VALU_DEP_3) | instskip(SKIP_1) | instid1(VALU_DEP_2)
	v_add3_u32 v8, v84, v7, 0x7fff
	v_mov_b32_e32 v7, 0
	v_lshrrev_b32_e32 v8, 16, v8
	s_delay_alu instid0(VALU_DEP_2) | instskip(SKIP_1) | instid1(VALU_DEP_2)
	v_lshlrev_b64_e32 v[6:7], 1, v[6:7]
	s_wait_alu 0xf1ff
	v_cndmask_b32_e64 v8, 0x7fc0, v8, s3
	s_wait_kmcnt 0x0
	s_delay_alu instid0(VALU_DEP_2)
	v_add_co_u32 v6, s3, s8, v6
	s_wait_alu 0xf1ff
	v_add_co_ci_u32_e64 v7, null, s9, v7, s3
	global_store_b16 v[6:7], v8, off
	s_wait_alu 0xfffe
	s_or_b32 exec_lo, exec_lo, s5
	s_and_saveexec_b32 s5, s1
	s_cbranch_execz .LBB161_39
.LBB161_74:
	v_bfe_u32 v7, v83, 16, 1
	v_add_nc_u32_e32 v6, v5, v3
	v_cmp_o_f32_e64 s3, v83, v83
	s_delay_alu instid0(VALU_DEP_3) | instskip(SKIP_1) | instid1(VALU_DEP_2)
	v_add3_u32 v8, v83, v7, 0x7fff
	v_mov_b32_e32 v7, 0
	v_lshrrev_b32_e32 v8, 16, v8
	s_delay_alu instid0(VALU_DEP_2) | instskip(SKIP_1) | instid1(VALU_DEP_2)
	v_lshlrev_b64_e32 v[6:7], 1, v[6:7]
	s_wait_alu 0xf1ff
	v_cndmask_b32_e64 v8, 0x7fc0, v8, s3
	s_wait_kmcnt 0x0
	s_delay_alu instid0(VALU_DEP_2)
	v_add_co_u32 v6, s3, s8, v6
	s_wait_alu 0xf1ff
	v_add_co_ci_u32_e64 v7, null, s9, v7, s3
	global_store_b16 v[6:7], v8, off
	s_wait_alu 0xfffe
	s_or_b32 exec_lo, exec_lo, s5
	s_and_saveexec_b32 s5, s2
	s_cbranch_execnz .LBB161_40
	s_branch .LBB161_41
.LBB161_75:
	v_bfe_u32 v7, v79, 16, 1
	s_delay_alu instid0(VALU_DEP_2) | instskip(SKIP_1) | instid1(VALU_DEP_3)
	v_add_nc_u32_e32 v6, v5, v0
	v_cmp_o_f32_e64 s3, v79, v79
	v_add3_u32 v8, v79, v7, 0x7fff
	v_mov_b32_e32 v7, 0
	s_delay_alu instid0(VALU_DEP_2) | instskip(NEXT) | instid1(VALU_DEP_2)
	v_lshrrev_b32_e32 v8, 16, v8
	v_lshlrev_b64_e32 v[6:7], 1, v[6:7]
	s_wait_alu 0xf1ff
	s_delay_alu instid0(VALU_DEP_2) | instskip(SKIP_1) | instid1(VALU_DEP_2)
	v_cndmask_b32_e64 v8, 0x7fc0, v8, s3
	s_wait_kmcnt 0x0
	v_add_co_u32 v6, s3, s8, v6
	s_wait_alu 0xf1ff
	v_add_co_ci_u32_e64 v7, null, s9, v7, s3
	global_store_b16 v[6:7], v8, off
	s_wait_alu 0xfffe
	s_or_b32 exec_lo, exec_lo, s5
	s_and_saveexec_b32 s5, s0
	s_cbranch_execz .LBB161_44
.LBB161_76:
	v_bfe_u32 v7, v78, 16, 1
	v_add_nc_u32_e32 v6, v5, v2
	v_cmp_o_f32_e64 s3, v78, v78
	s_delay_alu instid0(VALU_DEP_3) | instskip(SKIP_1) | instid1(VALU_DEP_2)
	v_add3_u32 v8, v78, v7, 0x7fff
	v_mov_b32_e32 v7, 0
	v_lshrrev_b32_e32 v8, 16, v8
	s_delay_alu instid0(VALU_DEP_2) | instskip(SKIP_1) | instid1(VALU_DEP_2)
	v_lshlrev_b64_e32 v[6:7], 1, v[6:7]
	s_wait_alu 0xf1ff
	v_cndmask_b32_e64 v8, 0x7fc0, v8, s3
	s_wait_kmcnt 0x0
	s_delay_alu instid0(VALU_DEP_2)
	v_add_co_u32 v6, s3, s8, v6
	s_wait_alu 0xf1ff
	v_add_co_ci_u32_e64 v7, null, s9, v7, s3
	global_store_b16 v[6:7], v8, off
	s_wait_alu 0xfffe
	s_or_b32 exec_lo, exec_lo, s5
	s_and_saveexec_b32 s5, s1
	s_cbranch_execz .LBB161_45
.LBB161_77:
	v_bfe_u32 v7, v77, 16, 1
	v_add_nc_u32_e32 v6, v5, v3
	v_cmp_o_f32_e64 s3, v77, v77
	s_delay_alu instid0(VALU_DEP_3) | instskip(SKIP_1) | instid1(VALU_DEP_2)
	v_add3_u32 v8, v77, v7, 0x7fff
	v_mov_b32_e32 v7, 0
	v_lshrrev_b32_e32 v8, 16, v8
	s_delay_alu instid0(VALU_DEP_2) | instskip(SKIP_1) | instid1(VALU_DEP_2)
	v_lshlrev_b64_e32 v[6:7], 1, v[6:7]
	s_wait_alu 0xf1ff
	v_cndmask_b32_e64 v8, 0x7fc0, v8, s3
	s_wait_kmcnt 0x0
	s_delay_alu instid0(VALU_DEP_2)
	v_add_co_u32 v6, s3, s8, v6
	s_wait_alu 0xf1ff
	v_add_co_ci_u32_e64 v7, null, s9, v7, s3
	global_store_b16 v[6:7], v8, off
	s_wait_alu 0xfffe
	s_or_b32 exec_lo, exec_lo, s5
	s_and_saveexec_b32 s5, s2
	s_cbranch_execnz .LBB161_46
	s_branch .LBB161_47
.LBB161_78:
	v_bfe_u32 v7, v75, 16, 1
	s_delay_alu instid0(VALU_DEP_2) | instskip(SKIP_1) | instid1(VALU_DEP_3)
	v_add_nc_u32_e32 v6, v5, v0
	v_cmp_o_f32_e64 s3, v75, v75
	v_add3_u32 v8, v75, v7, 0x7fff
	v_mov_b32_e32 v7, 0
	s_delay_alu instid0(VALU_DEP_2) | instskip(NEXT) | instid1(VALU_DEP_2)
	v_lshrrev_b32_e32 v8, 16, v8
	v_lshlrev_b64_e32 v[6:7], 1, v[6:7]
	s_wait_alu 0xf1ff
	s_delay_alu instid0(VALU_DEP_2) | instskip(SKIP_1) | instid1(VALU_DEP_2)
	v_cndmask_b32_e64 v8, 0x7fc0, v8, s3
	s_wait_kmcnt 0x0
	v_add_co_u32 v6, s3, s8, v6
	s_wait_alu 0xf1ff
	v_add_co_ci_u32_e64 v7, null, s9, v7, s3
	global_store_b16 v[6:7], v8, off
	s_wait_alu 0xfffe
	s_or_b32 exec_lo, exec_lo, s5
	s_and_saveexec_b32 s5, s0
	s_cbranch_execz .LBB161_50
.LBB161_79:
	v_bfe_u32 v7, v74, 16, 1
	v_add_nc_u32_e32 v6, v5, v2
	v_cmp_o_f32_e64 s3, v74, v74
	s_delay_alu instid0(VALU_DEP_3) | instskip(SKIP_1) | instid1(VALU_DEP_2)
	v_add3_u32 v8, v74, v7, 0x7fff
	v_mov_b32_e32 v7, 0
	v_lshrrev_b32_e32 v8, 16, v8
	s_delay_alu instid0(VALU_DEP_2) | instskip(SKIP_1) | instid1(VALU_DEP_2)
	v_lshlrev_b64_e32 v[6:7], 1, v[6:7]
	s_wait_alu 0xf1ff
	v_cndmask_b32_e64 v8, 0x7fc0, v8, s3
	s_wait_kmcnt 0x0
	s_delay_alu instid0(VALU_DEP_2)
	v_add_co_u32 v6, s3, s8, v6
	s_wait_alu 0xf1ff
	v_add_co_ci_u32_e64 v7, null, s9, v7, s3
	global_store_b16 v[6:7], v8, off
	s_wait_alu 0xfffe
	s_or_b32 exec_lo, exec_lo, s5
	s_and_saveexec_b32 s5, s1
	s_cbranch_execz .LBB161_51
.LBB161_80:
	v_bfe_u32 v7, v73, 16, 1
	v_add_nc_u32_e32 v6, v5, v3
	v_cmp_o_f32_e64 s3, v73, v73
	s_delay_alu instid0(VALU_DEP_3) | instskip(SKIP_1) | instid1(VALU_DEP_2)
	v_add3_u32 v8, v73, v7, 0x7fff
	v_mov_b32_e32 v7, 0
	v_lshrrev_b32_e32 v8, 16, v8
	s_delay_alu instid0(VALU_DEP_2) | instskip(SKIP_1) | instid1(VALU_DEP_2)
	v_lshlrev_b64_e32 v[6:7], 1, v[6:7]
	s_wait_alu 0xf1ff
	v_cndmask_b32_e64 v8, 0x7fc0, v8, s3
	s_wait_kmcnt 0x0
	s_delay_alu instid0(VALU_DEP_2)
	v_add_co_u32 v6, s3, s8, v6
	s_wait_alu 0xf1ff
	v_add_co_ci_u32_e64 v7, null, s9, v7, s3
	global_store_b16 v[6:7], v8, off
	s_wait_alu 0xfffe
	s_or_b32 exec_lo, exec_lo, s5
	s_and_saveexec_b32 s5, s2
	s_cbranch_execnz .LBB161_52
	s_branch .LBB161_53
.LBB161_81:
	v_bfe_u32 v7, v71, 16, 1
	s_delay_alu instid0(VALU_DEP_2) | instskip(SKIP_1) | instid1(VALU_DEP_3)
	v_add_nc_u32_e32 v6, v5, v0
	v_cmp_o_f32_e64 s3, v71, v71
	v_add3_u32 v8, v71, v7, 0x7fff
	v_mov_b32_e32 v7, 0
	s_delay_alu instid0(VALU_DEP_2) | instskip(NEXT) | instid1(VALU_DEP_2)
	v_lshrrev_b32_e32 v8, 16, v8
	v_lshlrev_b64_e32 v[6:7], 1, v[6:7]
	s_wait_alu 0xf1ff
	s_delay_alu instid0(VALU_DEP_2) | instskip(SKIP_1) | instid1(VALU_DEP_2)
	v_cndmask_b32_e64 v8, 0x7fc0, v8, s3
	s_wait_kmcnt 0x0
	v_add_co_u32 v6, s3, s8, v6
	s_wait_alu 0xf1ff
	v_add_co_ci_u32_e64 v7, null, s9, v7, s3
	global_store_b16 v[6:7], v8, off
	s_wait_alu 0xfffe
	s_or_b32 exec_lo, exec_lo, s5
	s_and_saveexec_b32 s5, s0
	s_cbranch_execz .LBB161_56
.LBB161_82:
	v_bfe_u32 v7, v70, 16, 1
	v_add_nc_u32_e32 v6, v5, v2
	v_cmp_o_f32_e64 s3, v70, v70
	s_delay_alu instid0(VALU_DEP_3) | instskip(SKIP_1) | instid1(VALU_DEP_2)
	v_add3_u32 v8, v70, v7, 0x7fff
	v_mov_b32_e32 v7, 0
	v_lshrrev_b32_e32 v8, 16, v8
	s_delay_alu instid0(VALU_DEP_2) | instskip(SKIP_1) | instid1(VALU_DEP_2)
	v_lshlrev_b64_e32 v[6:7], 1, v[6:7]
	s_wait_alu 0xf1ff
	v_cndmask_b32_e64 v8, 0x7fc0, v8, s3
	s_wait_kmcnt 0x0
	s_delay_alu instid0(VALU_DEP_2)
	v_add_co_u32 v6, s3, s8, v6
	s_wait_alu 0xf1ff
	v_add_co_ci_u32_e64 v7, null, s9, v7, s3
	global_store_b16 v[6:7], v8, off
	s_wait_alu 0xfffe
	s_or_b32 exec_lo, exec_lo, s5
	s_and_saveexec_b32 s5, s1
	s_cbranch_execz .LBB161_57
.LBB161_83:
	v_bfe_u32 v7, v69, 16, 1
	v_add_nc_u32_e32 v6, v5, v3
	v_cmp_o_f32_e64 s3, v69, v69
	s_delay_alu instid0(VALU_DEP_3) | instskip(SKIP_1) | instid1(VALU_DEP_2)
	v_add3_u32 v8, v69, v7, 0x7fff
	v_mov_b32_e32 v7, 0
	v_lshrrev_b32_e32 v8, 16, v8
	s_delay_alu instid0(VALU_DEP_2) | instskip(SKIP_1) | instid1(VALU_DEP_2)
	v_lshlrev_b64_e32 v[6:7], 1, v[6:7]
	s_wait_alu 0xf1ff
	v_cndmask_b32_e64 v8, 0x7fc0, v8, s3
	s_wait_kmcnt 0x0
	s_delay_alu instid0(VALU_DEP_2)
	v_add_co_u32 v6, s3, s8, v6
	s_wait_alu 0xf1ff
	v_add_co_ci_u32_e64 v7, null, s9, v7, s3
	global_store_b16 v[6:7], v8, off
	s_wait_alu 0xfffe
	s_or_b32 exec_lo, exec_lo, s5
	s_and_saveexec_b32 s5, s2
	s_cbranch_execnz .LBB161_58
	s_branch .LBB161_59
.LBB161_84:
	v_bfe_u32 v6, v67, 16, 1
	s_delay_alu instid0(VALU_DEP_2) | instskip(SKIP_1) | instid1(VALU_DEP_3)
	v_add_nc_u32_e32 v5, v1, v0
	v_cmp_o_f32_e32 vcc_lo, v67, v67
	v_add3_u32 v0, v67, v6, 0x7fff
	v_mov_b32_e32 v6, 0
	s_delay_alu instid0(VALU_DEP_2) | instskip(NEXT) | instid1(VALU_DEP_2)
	v_lshrrev_b32_e32 v0, 16, v0
	v_lshlrev_b64_e32 v[5:6], 1, v[5:6]
	s_wait_alu 0xfffd
	s_delay_alu instid0(VALU_DEP_2) | instskip(SKIP_1) | instid1(VALU_DEP_2)
	v_cndmask_b32_e32 v0, 0x7fc0, v0, vcc_lo
	s_wait_kmcnt 0x0
	v_add_co_u32 v5, vcc_lo, s8, v5
	s_wait_alu 0xfffd
	v_add_co_ci_u32_e64 v6, null, s9, v6, vcc_lo
	global_store_b16 v[5:6], v0, off
	s_wait_alu 0xfffe
	s_or_b32 exec_lo, exec_lo, s3
	s_and_saveexec_b32 s3, s0
	s_cbranch_execz .LBB161_62
.LBB161_85:
	v_bfe_u32 v0, v66, 16, 1
	v_dual_mov_b32 v6, 0 :: v_dual_add_nc_u32 v5, v1, v2
	v_cmp_o_f32_e32 vcc_lo, v66, v66
	s_delay_alu instid0(VALU_DEP_3) | instskip(NEXT) | instid1(VALU_DEP_3)
	v_add3_u32 v0, v66, v0, 0x7fff
	v_lshlrev_b64_e32 v[5:6], 1, v[5:6]
	s_delay_alu instid0(VALU_DEP_2) | instskip(SKIP_1) | instid1(VALU_DEP_1)
	v_lshrrev_b32_e32 v0, 16, v0
	s_wait_alu 0xfffd
	v_cndmask_b32_e32 v0, 0x7fc0, v0, vcc_lo
	s_wait_kmcnt 0x0
	s_delay_alu instid0(VALU_DEP_3)
	v_add_co_u32 v5, vcc_lo, s8, v5
	s_wait_alu 0xfffd
	v_add_co_ci_u32_e64 v6, null, s9, v6, vcc_lo
	global_store_b16 v[5:6], v0, off
	s_wait_alu 0xfffe
	s_or_b32 exec_lo, exec_lo, s3
	s_and_saveexec_b32 s0, s1
	s_cbranch_execz .LBB161_63
.LBB161_86:
	v_bfe_u32 v0, v65, 16, 1
	v_dual_mov_b32 v3, 0 :: v_dual_add_nc_u32 v2, v1, v3
	v_cmp_o_f32_e32 vcc_lo, v65, v65
	s_delay_alu instid0(VALU_DEP_3) | instskip(NEXT) | instid1(VALU_DEP_3)
	v_add3_u32 v0, v65, v0, 0x7fff
	v_lshlrev_b64_e32 v[2:3], 1, v[2:3]
	s_delay_alu instid0(VALU_DEP_2) | instskip(SKIP_1) | instid1(VALU_DEP_1)
	v_lshrrev_b32_e32 v0, 16, v0
	s_wait_alu 0xfffd
	v_cndmask_b32_e32 v0, 0x7fc0, v0, vcc_lo
	s_wait_kmcnt 0x0
	s_delay_alu instid0(VALU_DEP_3)
	v_add_co_u32 v2, vcc_lo, s8, v2
	s_wait_alu 0xfffd
	v_add_co_ci_u32_e64 v3, null, s9, v3, vcc_lo
	global_store_b16 v[2:3], v0, off
	s_wait_alu 0xfffe
	s_or_b32 exec_lo, exec_lo, s0
	s_delay_alu instid0(SALU_CYCLE_1)
	s_and_b32 exec_lo, exec_lo, s2
	s_cbranch_execnz .LBB161_64
	s_branch .LBB161_65
	.section	.rodata,"a",@progbits
	.p2align	6, 0x0
	.amdhsa_kernel _ZL12mul_mat_q5_0IN3c108BFloat16ELb0EEvPKvS3_PT_iiiii
		.amdhsa_group_segment_fixed_size 46720
		.amdhsa_private_segment_fixed_size 80
		.amdhsa_kernarg_size 44
		.amdhsa_user_sgpr_count 2
		.amdhsa_user_sgpr_dispatch_ptr 0
		.amdhsa_user_sgpr_queue_ptr 0
		.amdhsa_user_sgpr_kernarg_segment_ptr 1
		.amdhsa_user_sgpr_dispatch_id 0
		.amdhsa_user_sgpr_private_segment_size 0
		.amdhsa_wavefront_size32 1
		.amdhsa_uses_dynamic_stack 0
		.amdhsa_enable_private_segment 1
		.amdhsa_system_sgpr_workgroup_id_x 1
		.amdhsa_system_sgpr_workgroup_id_y 1
		.amdhsa_system_sgpr_workgroup_id_z 0
		.amdhsa_system_sgpr_workgroup_info 0
		.amdhsa_system_vgpr_workitem_id 1
		.amdhsa_next_free_vgpr 256
		.amdhsa_next_free_sgpr 17
		.amdhsa_reserve_vcc 1
		.amdhsa_float_round_mode_32 0
		.amdhsa_float_round_mode_16_64 0
		.amdhsa_float_denorm_mode_32 3
		.amdhsa_float_denorm_mode_16_64 3
		.amdhsa_fp16_overflow 0
		.amdhsa_workgroup_processor_mode 1
		.amdhsa_memory_ordered 1
		.amdhsa_forward_progress 1
		.amdhsa_inst_pref_size 228
		.amdhsa_round_robin_scheduling 0
		.amdhsa_exception_fp_ieee_invalid_op 0
		.amdhsa_exception_fp_denorm_src 0
		.amdhsa_exception_fp_ieee_div_zero 0
		.amdhsa_exception_fp_ieee_overflow 0
		.amdhsa_exception_fp_ieee_underflow 0
		.amdhsa_exception_fp_ieee_inexact 0
		.amdhsa_exception_int_div_zero 0
	.end_amdhsa_kernel
	.section	.text._ZL12mul_mat_q5_0IN3c108BFloat16ELb0EEvPKvS3_PT_iiiii,"axG",@progbits,_ZL12mul_mat_q5_0IN3c108BFloat16ELb0EEvPKvS3_PT_iiiii,comdat
.Lfunc_end161:
	.size	_ZL12mul_mat_q5_0IN3c108BFloat16ELb0EEvPKvS3_PT_iiiii, .Lfunc_end161-_ZL12mul_mat_q5_0IN3c108BFloat16ELb0EEvPKvS3_PT_iiiii
                                        ; -- End function
	.set _ZL12mul_mat_q5_0IN3c108BFloat16ELb0EEvPKvS3_PT_iiiii.num_vgpr, 256
	.set _ZL12mul_mat_q5_0IN3c108BFloat16ELb0EEvPKvS3_PT_iiiii.num_agpr, 0
	.set _ZL12mul_mat_q5_0IN3c108BFloat16ELb0EEvPKvS3_PT_iiiii.numbered_sgpr, 17
	.set _ZL12mul_mat_q5_0IN3c108BFloat16ELb0EEvPKvS3_PT_iiiii.num_named_barrier, 0
	.set _ZL12mul_mat_q5_0IN3c108BFloat16ELb0EEvPKvS3_PT_iiiii.private_seg_size, 80
	.set _ZL12mul_mat_q5_0IN3c108BFloat16ELb0EEvPKvS3_PT_iiiii.uses_vcc, 1
	.set _ZL12mul_mat_q5_0IN3c108BFloat16ELb0EEvPKvS3_PT_iiiii.uses_flat_scratch, 1
	.set _ZL12mul_mat_q5_0IN3c108BFloat16ELb0EEvPKvS3_PT_iiiii.has_dyn_sized_stack, 0
	.set _ZL12mul_mat_q5_0IN3c108BFloat16ELb0EEvPKvS3_PT_iiiii.has_recursion, 0
	.set _ZL12mul_mat_q5_0IN3c108BFloat16ELb0EEvPKvS3_PT_iiiii.has_indirect_call, 0
	.section	.AMDGPU.csdata,"",@progbits
; Kernel info:
; codeLenInByte = 29148
; TotalNumSgprs: 19
; NumVgprs: 256
; ScratchSize: 80
; MemoryBound: 0
; FloatMode: 240
; IeeeMode: 1
; LDSByteSize: 46720 bytes/workgroup (compile time only)
; SGPRBlocks: 0
; VGPRBlocks: 31
; NumSGPRsForWavesPerEU: 19
; NumVGPRsForWavesPerEU: 256
; Occupancy: 4
; WaveLimiterHint : 0
; COMPUTE_PGM_RSRC2:SCRATCH_EN: 1
; COMPUTE_PGM_RSRC2:USER_SGPR: 2
; COMPUTE_PGM_RSRC2:TRAP_HANDLER: 0
; COMPUTE_PGM_RSRC2:TGID_X_EN: 1
; COMPUTE_PGM_RSRC2:TGID_Y_EN: 1
; COMPUTE_PGM_RSRC2:TGID_Z_EN: 0
; COMPUTE_PGM_RSRC2:TIDIG_COMP_CNT: 1
	.section	.text._ZL12mul_mat_q5_0IN3c108BFloat16ELb1EEvPKvS3_PT_iiiii,"axG",@progbits,_ZL12mul_mat_q5_0IN3c108BFloat16ELb1EEvPKvS3_PT_iiiii,comdat
	.globl	_ZL12mul_mat_q5_0IN3c108BFloat16ELb1EEvPKvS3_PT_iiiii ; -- Begin function _ZL12mul_mat_q5_0IN3c108BFloat16ELb1EEvPKvS3_PT_iiiii
	.p2align	8
	.type	_ZL12mul_mat_q5_0IN3c108BFloat16ELb1EEvPKvS3_PT_iiiii,@function
_ZL12mul_mat_q5_0IN3c108BFloat16ELb1EEvPKvS3_PT_iiiii: ; @_ZL12mul_mat_q5_0IN3c108BFloat16ELb1EEvPKvS3_PT_iiiii
; %bb.0:
	s_clause 0x1
	s_load_b128 s[4:7], s[0:1], 0x18
	s_load_b32 s12, s[0:1], 0x28
	v_bfe_u32 v48, v0, 10, 10
	v_and_b32_e32 v1, 0x3ff, v0
	s_lshl_b32 s13, ttmp7, 6
	scratch_store_b32 off, v1, off offset:56 ; 4-byte Folded Spill
	s_wait_kmcnt 0x0
	s_cmp_gt_i32 s4, 31
	s_cbranch_scc1 .LBB162_2
; %bb.1:
	v_bfe_u32 v1, v0, 10, 10
	v_and_b32_e32 v2, 0x3ff, v0
	s_mov_b32 s2, 0
	s_delay_alu instid0(VALU_DEP_2)
	v_add_nc_u32_e32 v3, s13, v1
	s_branch .LBB162_3
.LBB162_2:
	s_mov_b32 s2, -1
                                        ; implicit-def: $vgpr1
                                        ; implicit-def: $vgpr2
                                        ; implicit-def: $vgpr3
.LBB162_3:
	s_load_b64 s[8:9], s[0:1], 0x10
	v_dual_mov_b32 v80, 0 :: v_dual_mov_b32 v103, 0
	v_dual_mov_b32 v84, 0 :: v_dual_mov_b32 v123, 0
	;; [unrolled: 1-line block ×16, first 2 shown]
	s_and_not1_b32 vcc_lo, exec_lo, s2
	s_lshl_b32 s14, ttmp9, 7
	s_cbranch_vccnz .LBB162_14
; %bb.4:
	v_dual_mov_b32 v102, 0 :: v_dual_and_b32 v49, 0x3ff, v0
	s_not_b32 s16, s14
	v_dual_mov_b32 v100, 0 :: v_dual_add_nc_u32 v37, 8, v48
	s_ashr_i32 s10, s4, 31
	v_dual_mov_b32 v95, 0 :: v_dual_add_nc_u32 v38, 16, v48
	s_add_co_i32 s5, s5, s16
	v_dual_mov_b32 v106, 0 :: v_dual_add_nc_u32 v39, 24, v48
	s_lshr_b32 s10, s10, 27
	v_dual_mov_b32 v91, 0 :: v_dual_add_nc_u32 v40, 32, v48
	v_dual_mov_b32 v121, 0 :: v_dual_and_b32 v18, 3, v0
	v_min_i32_e32 v1, s5, v48
	v_dual_mov_b32 v120, 0 :: v_dual_lshlrev_b32 v17, 3, v49
	v_dual_mov_b32 v94, 0 :: v_dual_add_nc_u32 v41, 40, v48
	s_add_co_i32 s4, s4, s10
	v_min_i32_e32 v3, s5, v37
	v_dual_mov_b32 v87, 0 :: v_dual_add_nc_u32 v42, 48, v48
	v_min_i32_e32 v4, s5, v38
	v_dual_mov_b32 v90, 0 :: v_dual_add_nc_u32 v43, 56, v48
	s_wait_alu 0xfffe
	s_ashr_i32 s15, s4, 5
	v_min_i32_e32 v5, s5, v39
	v_min_i32_e32 v6, s5, v40
	v_mul_lo_u32 v109, v1, s15
	v_mad_co_u64_u32 v[1:2], null, 0x104, v1, v[17:18]
	v_min_i32_e32 v7, s5, v41
	v_mul_lo_u32 v110, v3, s15
	v_mad_co_u64_u32 v[2:3], null, 0x104, v3, v[17:18]
	;; [unrolled: 3-line block ×4, first 2 shown]
	v_dual_mov_b32 v82, 0 :: v_dual_add_nc_u32 v29, s13, v48
	v_mul_lo_u32 v114, v6, s15
	v_mad_co_u64_u32 v[5:6], null, 0x104, v6, v[17:18]
	v_mul_lo_u32 v115, v7, s15
	v_mad_co_u64_u32 v[6:7], null, 0x104, v7, v[17:18]
	;; [unrolled: 2-line block ×4, first 2 shown]
	v_dual_mov_b32 v124, 0 :: v_dual_add_nc_u32 v9, 8, v29
	v_dual_mov_b32 v131, 0 :: v_dual_add_nc_u32 v12, 16, v29
	;; [unrolled: 1-line block ×3, first 2 shown]
	s_ashr_i32 s11, s7, 31
	s_delay_alu instid0(VALU_DEP_3) | instskip(NEXT) | instid1(VALU_DEP_3)
	v_cvt_f64_u32_e32 v[21:22], v9
	v_cvt_f64_u32_e32 v[23:24], v12
	v_dual_mov_b32 v118, 0 :: v_dual_add_nc_u32 v9, 32, v29
	v_cvt_f64_u32_e32 v[25:26], v13
	v_dual_mov_b32 v101, 0 :: v_dual_add_nc_u32 v12, 40, v29
	v_dual_mov_b32 v96, 0 :: v_dual_add_nc_u32 v13, 48, v29
	;; [unrolled: 1-line block ×3, first 2 shown]
	s_lshr_b32 s4, s11, 27
	v_cvt_f64_u32_e32 v[15:16], v29
	s_wait_alu 0xfffe
	s_add_co_i32 s4, s7, s4
	s_add_co_i32 s7, s6, -1
	v_cvt_f64_u32_e32 v[27:28], v9
	v_cvt_f64_i32_e32 v[19:20], s7
	v_cvt_f64_u32_e32 v[31:32], v13
	v_cvt_f64_u32_e32 v[33:34], v33
	v_bfe_u32 v45, v0, 3, 7
	scratch_store_b32 off, v29, off offset:124 ; 4-byte Folded Spill
	v_cvt_f64_u32_e32 v[29:30], v12
	v_dual_mov_b32 v83, 0 :: v_dual_add_nc_u32 v10, 64, v48
	v_dual_mov_b32 v86, 0 :: v_dual_add_nc_u32 v11, 0x48, v48
	;; [unrolled: 1-line block ×5, first 2 shown]
	v_min_i32_e32 v10, s5, v10
	v_min_i32_e32 v11, s5, v11
	v_min_i32_e32 v13, s5, v14
	v_min_i32_e32 v14, s5, v12
	v_dual_mov_b32 v93, 0 :: v_dual_add_nc_u32 v36, 0x68, v48
	v_min_i32_e32 v35, s5, v35
	v_mul_lo_u32 v122, v10, s15
	v_mad_co_u64_u32 v[9:10], null, 0x104, v10, v[17:18]
	v_mul_lo_u32 v125, v11, s15
	v_mad_co_u64_u32 v[10:11], null, 0x104, v11, v[17:18]
	v_mad_co_u64_u32 v[11:12], null, 0x104, v13, v[17:18]
	v_mul_lo_u32 v126, v13, s15
	v_mad_co_u64_u32 v[12:13], null, 0x104, v14, v[17:18]
	v_mul_lo_u32 v127, v14, s15
	v_min_i32_e32 v44, s5, v36
	v_mul_lo_u32 v129, v35, s15
	v_mad_co_u64_u32 v[13:14], null, 0x104, v35, v[17:18]
	v_min_num_f64_e32 v[35:36], v[15:16], v[19:20]
	v_min_num_f64_e32 v[21:22], v[21:22], v[19:20]
	v_min_num_f64_e32 v[23:24], v[23:24], v[19:20]
	v_min_num_f64_e32 v[25:26], v[25:26], v[19:20]
	v_min_num_f64_e32 v[27:28], v[27:28], v[19:20]
	v_min_num_f64_e32 v[29:30], v[29:30], v[19:20]
	v_min_num_f64_e32 v[31:32], v[31:32], v[19:20]
	v_min_num_f64_e32 v[19:20], v[33:34], v[19:20]
	scratch_store_b32 off, v45, off offset:60 ; 4-byte Folded Spill
	v_lshl_add_u32 v45, v48, 2, v45
	v_mad_co_u64_u32 v[14:15], null, 0x104, v44, v[17:18]
	v_mul_lo_u32 v130, v44, s15
	v_dual_mov_b32 v85, 0 :: v_dual_add_nc_u32 v44, 0x78, v48
	s_delay_alu instid0(VALU_DEP_4) | instskip(SKIP_1) | instid1(VALU_DEP_3)
	v_min_i32_e32 v47, s5, v45
	v_dual_mov_b32 v89, 0 :: v_dual_add_nc_u32 v46, 0x70, v48
	v_min_i32_e32 v33, s5, v44
	v_dual_mov_b32 v84, 0 :: v_dual_and_b32 v133, 7, v0
	s_delay_alu instid0(VALU_DEP_4) | instskip(SKIP_2) | instid1(VALU_DEP_4)
	v_ashrrev_i32_e32 v15, 31, v47
	v_dual_mov_b32 v123, 0 :: v_dual_add_nc_u32 v44, 32, v45
	v_min_i32_e32 v16, s5, v46
	v_lshlrev_b32_e32 v46, 2, v133
	s_delay_alu instid0(VALU_DEP_4) | instskip(NEXT) | instid1(VALU_DEP_4)
	v_lshrrev_b32_e32 v15, 30, v15
	v_min_i32_e32 v44, s5, v44
	v_mov_b32_e32 v81, 0
	v_mul_lo_u32 v132, v16, s15
	v_mul_lo_u32 v134, v33, s15
	v_add_nc_u32_e32 v34, v47, v15
	v_mad_co_u64_u32 v[15:16], null, 0x104, v16, v[17:18]
	v_mad_co_u64_u32 v[16:17], null, 0x104, v33, v[17:18]
	s_delay_alu instid0(VALU_DEP_3) | instskip(SKIP_2) | instid1(VALU_DEP_3)
	v_dual_mov_b32 v103, 0 :: v_dual_and_b32 v34, -4, v34
	v_dual_mov_b32 v80, 0 :: v_dual_add_nc_u32 v17, 64, v45
	v_cvt_i32_f64_e32 v21, v[21:22]
	v_add3_u32 v33, v34, v46, 0xa200
	v_ashrrev_i32_e32 v34, 31, v44
	v_bfe_u32 v105, v0, 2, 8
	v_min_i32_e32 v17, s5, v17
	v_cvt_i32_f64_e32 v19, v[19:20]
	v_cvt_i32_f64_e32 v35, v[35:36]
	v_lshrrev_b32_e32 v34, 30, v34
	v_cvt_i32_f64_e32 v23, v[23:24]
	v_ashrrev_i32_e32 v36, 31, v17
	v_cvt_i32_f64_e32 v25, v[25:26]
	v_cvt_i32_f64_e32 v27, v[27:28]
	v_add_nc_u32_e32 v22, v44, v34
	v_cvt_i32_f64_e32 v28, v[29:30]
	v_lshrrev_b32_e32 v26, 30, v36
	v_cvt_i32_f64_e32 v29, v[31:32]
	v_mul_lo_u32 v137, v17, s15
	v_and_b32_e32 v22, -4, v22
	v_lshlrev_b32_e32 v31, 5, v17
	v_add_nc_u32_e32 v26, v17, v26
	s_wait_alu 0xfffe
	s_ashr_i32 s4, s4, 5
	v_dual_mov_b32 v111, 0 :: v_dual_lshlrev_b32 v108, 2, v18
	v_add3_u32 v20, v22, v46, 0xa200
	v_lshl_add_u32 v22, v48, 3, v105
	v_and_b32_e32 v34, 31, v0
	s_load_b128 s[0:3], s[0:1], 0x0
	v_add_nc_u32_e32 v45, 0x60, v45
	v_mul_lo_u32 v136, v44, s15
	v_and_b32_e32 v22, 63, v22
	v_lshlrev_b32_e32 v30, 5, v44
	v_lshl_or_b32 v44, v34, 2, 0x8200
	v_min_i32_e32 v45, s5, v45
	v_lshlrev_b32_e32 v32, 2, v49
	v_or_b32_e32 v17, s13, v22
	v_lshl_or_b32 v22, v22, 4, v108
	v_and_b32_e32 v26, -4, v26
	v_ashrrev_i32_e32 v24, 31, v45
	v_and_b32_e32 v32, 28, v32
	v_min_i32_e32 v17, s7, v17
	v_mul_lo_u32 v135, v47, s15
	v_lshlrev_b32_e32 v47, 5, v47
	v_lshrrev_b32_e32 v24, 30, v24
	v_add3_u32 v26, v26, v46, 0xa200
	v_mad_co_u64_u32 v[17:18], null, v17, s4, v[18:19]
	v_lshlrev_b32_e32 v36, 5, v45
	s_delay_alu instid0(VALU_DEP_4)
	v_add_nc_u32_e32 v24, v45, v24
	v_lshlrev_b32_e32 v34, 7, v43
	s_mul_i32 s10, s15, s14
	v_mul_lo_u32 v138, v45, s15
	s_ashr_i32 s11, s10, 31
	scratch_store_b64 off, v[17:18], off offset:68 ; 8-byte Folded Spill
	v_mul_lo_u32 v18, s4, v21
	v_add_nc_u32_e32 v17, 0xb280, v22
	v_lshlrev_b32_e32 v22, 7, v38
	v_and_b32_e32 v38, 0xfc, v0
	v_lshlrev_b32_e32 v21, 7, v37
	v_and_b32_e32 v24, -4, v24
	scratch_store_b32 off, v17, off         ; 4-byte Folded Spill
	v_mul_lo_u32 v17, s4, v35
	scratch_store_b32 off, v18, off offset:8 ; 4-byte Folded Spill
	v_mul_lo_u32 v18, s4, v23
	v_lshlrev_b32_e32 v35, 5, v49
	v_lshlrev_b32_e32 v23, 7, v39
	v_add3_u32 v24, v24, v46, 0xa200
	v_add_nc_u32_e32 v161, v33, v47
	v_add_nc_u32_e32 v162, v20, v30
	scratch_store_b32 off, v17, off offset:4 ; 4-byte Folded Spill
	v_lshlrev_b32_e32 v17, 7, v48
	scratch_store_b32 off, v18, off offset:12 ; 4-byte Folded Spill
	v_mul_lo_u32 v18, s4, v25
	v_lshlrev_b32_e32 v25, 7, v40
	v_add_nc_u32_e32 v163, v26, v31
	v_add_nc_u32_e32 v164, v24, v36
	;; [unrolled: 1-line block ×3, first 2 shown]
	s_mul_u64 s[10:11], s[10:11], 22
	v_add_nc_u32_e32 v168, v44, v25
	s_mov_b32 s5, 0
	scratch_store_b32 off, v18, off offset:16 ; 4-byte Folded Spill
	v_mul_lo_u32 v18, s4, v27
	v_lshlrev_b32_e32 v27, 7, v41
	s_wait_kmcnt 0x0
	s_add_nc_u64 s[0:1], s[0:1], s[10:11]
	s_add_co_i32 s7, s15, 3
	s_delay_alu instid0(VALU_DEP_1) | instskip(SKIP_3) | instid1(VALU_DEP_1)
	v_add_nc_u32_e32 v169, v44, v27
	scratch_store_b32 off, v18, off offset:20 ; 4-byte Folded Spill
	v_mul_lo_u32 v18, s4, v28
	v_lshlrev_b32_e32 v28, 7, v42
	v_add_nc_u32_e32 v170, v44, v28
	scratch_store_b32 off, v18, off offset:24 ; 4-byte Folded Spill
	v_mul_lo_u32 v18, s4, v29
	v_add_nc_u32_e32 v29, 32, v49
	s_delay_alu instid0(VALU_DEP_1)
	v_lshrrev_b32_e32 v0, 3, v29
	v_and_b32_e32 v37, 0x1fc, v29
	scratch_store_b32 off, v18, off offset:28 ; 4-byte Folded Spill
	v_mul_lo_u32 v18, s4, v19
	v_add_nc_u32_e32 v19, 64, v49
	scratch_store_b32 off, v0, off offset:96 ; 4-byte Folded Spill
	v_add_nc_u32_e32 v37, v35, v37
	v_and_b32_e32 v19, 0x1fc, v19
	scratch_store_b32 off, v18, off offset:32 ; 4-byte Folded Spill
	v_add_nc_u32_e32 v18, 0x60, v49
	v_add_nc_u32_e32 v39, v35, v19
	s_delay_alu instid0(VALU_DEP_2) | instskip(NEXT) | instid1(VALU_DEP_1)
	v_and_b32_e32 v18, 0x1fc, v18
	v_add_nc_u32_e32 v29, v35, v18
	v_add_nc_u32_e32 v35, v35, v38
	v_add_co_u32 v18, s4, s2, v32
	s_wait_alu 0xf1ff
	v_add_co_ci_u32_e64 v19, null, s3, 0, s4
	v_add_nc_u32_e32 v0, 0xae00, v29
	s_movk_i32 s4, 0x80
	scratch_store_b32 off, v0, off offset:80 ; 4-byte Folded Spill
	v_add_nc_u32_e32 v0, 0xaa00, v39
	scratch_store_b32 off, v0, off offset:84 ; 4-byte Folded Spill
	v_add_nc_u32_e32 v0, 0xa600, v37
	;; [unrolled: 2-line block ×3, first 2 shown]
	s_clause 0x1
	scratch_store_b32 off, v0, off offset:92
	scratch_store_b32 off, v48, off offset:120
	v_lshl_add_u32 v0, v48, 4, 0xb280
	s_clause 0x1
	scratch_store_b32 off, v0, off offset:36
	scratch_store_b32 off, v17, off offset:76
	v_add_nc_u32_e32 v0, 0x8200, v17
	s_clause 0x1
	scratch_store_b32 off, v44, off offset:64
	scratch_store_b32 off, v0, off offset:40
	v_add_nc_u32_e32 v0, 0xae10, v29
	scratch_store_b32 off, v0, off offset:100 ; 4-byte Folded Spill
	v_add_nc_u32_e32 v0, 0xaa10, v39
	scratch_store_b32 off, v0, off offset:104 ; 4-byte Folded Spill
	;; [unrolled: 2-line block ×4, first 2 shown]
	s_wait_alu 0xfffe
	v_mad_u32_u24 v0, 0x104, v49, s4
	s_mov_b32 s4, s5
	scratch_store_b32 off, v0, off offset:116 ; 4-byte Folded Spill
	v_add_nc_u32_e32 v0, v44, v21
	scratch_store_b32 off, v0, off offset:44 ; 4-byte Folded Spill
	v_add_nc_u32_e32 v0, v44, v22
	;; [unrolled: 2-line block ×3, first 2 shown]
	scratch_store_b32 off, v0, off offset:52 ; 4-byte Folded Spill
	s_branch .LBB162_6
.LBB162_5:                              ;   in Loop: Header=BB162_6 Depth=1
	s_add_co_i32 s4, s4, 8
	s_add_co_i32 s7, s7, -8
	s_wait_alu 0xfffe
	s_cmp_ge_i32 s4, s15
	s_cbranch_scc1 .LBB162_13
.LBB162_6:                              ; =>This Loop Header: Depth=1
                                        ;     Child Loop BB162_8 Depth 2
                                        ;     Child Loop BB162_11 Depth 2
	s_wait_alu 0xfffe
	s_mul_u64 s[10:11], s[4:5], 22
	s_cmp_gt_u32 s7, 3
	s_wait_alu 0xfffe
	s_add_nc_u64 s[10:11], s[0:1], s[10:11]
	s_wait_alu 0xfffe
	v_mad_co_u64_u32 v[20:21], null, v105, 22, s[10:11]
	v_mad_co_u64_u32 v[38:39], null, v133, 22, s[10:11]
	s_delay_alu instid0(VALU_DEP_2) | instskip(SKIP_3) | instid1(VALU_DEP_4)
	v_mad_co_i64_i32 v[22:23], null, v109, 22, v[20:21]
	v_mad_co_i64_i32 v[24:25], null, v110, 22, v[20:21]
	;; [unrolled: 1-line block ×4, first 2 shown]
	v_add_co_u32 v34, vcc_lo, v22, v108
	s_wait_alu 0xfffd
	v_add_co_ci_u32_e64 v35, null, 0, v23, vcc_lo
	v_add_co_u32 v36, vcc_lo, v24, v108
	s_wait_alu 0xfffd
	v_add_co_ci_u32_e64 v37, null, 0, v25, vcc_lo
	;; [unrolled: 3-line block ×3, first 2 shown]
	v_add_co_u32 v30, vcc_lo, v32, v108
	s_clause 0x5
	global_load_b32 v49, v[34:35], off offset:6
	global_load_b32 v50, v[36:37], off offset:6
	;; [unrolled: 1-line block ×6, first 2 shown]
	v_mad_co_i64_i32 v[24:25], null, v135, 22, v[38:39]
	v_mad_co_i64_i32 v[26:27], null, v136, 22, v[38:39]
	s_wait_alu 0xfffd
	v_add_co_ci_u32_e64 v31, null, 0, v33, vcc_lo
	v_mad_co_i64_i32 v[32:33], null, v137, 22, v[38:39]
	v_mad_co_i64_i32 v[36:37], null, v115, 22, v[20:21]
	;; [unrolled: 1-line block ×5, first 2 shown]
	s_clause 0x3
	global_load_u16 v55, v[24:25], off
	global_load_u16 v56, v[26:27], off
	;; [unrolled: 1-line block ×4, first 2 shown]
	v_mad_co_i64_i32 v[24:25], null, v117, 22, v[20:21]
	s_clause 0x1
	global_load_b32 v59, v[36:37], off offset:2
	global_load_b32 v60, v[22:23], off offset:2
	v_add_co_u32 v26, vcc_lo, v22, v108
	s_wait_alu 0xfffd
	v_add_co_ci_u32_e64 v27, null, 0, v23, vcc_lo
	v_add_co_u32 v22, vcc_lo, v38, v108
	s_wait_alu 0xfffd
	v_add_co_ci_u32_e64 v23, null, 0, v39, vcc_lo
	;; [unrolled: 3-line block ×4, first 2 shown]
	s_clause 0x7
	global_load_b32 v61, v[28:29], off offset:6
	global_load_b32 v62, v[30:31], off offset:6
	;; [unrolled: 1-line block ×8, first 2 shown]
	v_mad_co_i64_i32 v[37:38], null, v122, 22, v[20:21]
	v_mad_co_i64_i32 v[39:40], null, v125, 22, v[20:21]
	v_mad_co_i64_i32 v[41:42], null, v126, 22, v[20:21]
	v_mad_co_i64_i32 v[43:44], null, v127, 22, v[20:21]
	s_delay_alu instid0(VALU_DEP_4)
	v_add_co_u32 v24, vcc_lo, v37, v108
	s_wait_alu 0xfffd
	v_add_co_ci_u32_e64 v25, null, 0, v38, vcc_lo
	v_add_co_u32 v26, vcc_lo, v39, v108
	s_wait_alu 0xfffd
	v_add_co_ci_u32_e64 v27, null, 0, v40, vcc_lo
	;; [unrolled: 3-line block ×4, first 2 shown]
	s_clause 0x7
	global_load_b32 v31, v[24:25], off offset:6
	global_load_b32 v29, v[26:27], off offset:6
	global_load_b32 v27, v[45:46], off offset:6
	global_load_b32 v25, v[47:48], off offset:6
	global_load_b32 v26, v[43:44], off offset:2
	global_load_b32 v28, v[41:42], off offset:2
	global_load_b32 v30, v[39:40], off offset:2
	global_load_b32 v32, v[37:38], off offset:2
	v_mad_co_i64_i32 v[22:23], null, v129, 22, v[20:21]
	s_wait_loadcnt 0x1b
	v_and_b32_e32 v43, 0xf0f0f0f, v49
	v_lshrrev_b32_e32 v44, 4, v49
	s_wait_loadcnt 0x1a
	v_and_b32_e32 v46, 0xf0f0f0f, v50
	s_wait_loadcnt 0x18
	v_ashrrev_i32_e32 v48, v108, v52
	s_wait_loadcnt 0x17
	v_ashrrev_i32_e32 v45, v108, v53
	s_wait_loadcnt 0x16
	v_ashrrev_i32_e32 v42, v108, v54
	v_lshrrev_b32_e32 v47, 4, v50
	v_ashrrev_i32_e32 v51, v108, v51
	v_lshlrev_b32_e32 v178, 4, v48
	v_lshlrev_b32_e32 v79, 4, v45
	v_lshrrev_b32_e32 v76, 12, v42
	v_lshrrev_b32_e32 v77, 5, v42
	v_lshlrev_b32_e32 v72, 4, v42
	v_lshlrev_b32_e32 v73, 11, v42
	;; [unrolled: 1-line block ×8, first 2 shown]
	s_wait_loadcnt 0x15
	v_cvt_f32_f16_e32 v37, v55
	s_wait_loadcnt 0x14
	v_cvt_f32_f16_e32 v38, v56
	;; [unrolled: 2-line block ×4, first 2 shown]
	v_lshlrev_b32_e32 v174, 25, v45
	s_wait_loadcnt 0x11
	v_ashrrev_i32_e32 v41, v108, v59
	s_wait_loadcnt 0x10
	v_ashrrev_i32_e32 v40, v108, v60
	v_lshrrev_b32_e32 v175, 12, v45
	v_lshrrev_b32_e32 v176, 5, v45
	v_lshlrev_b32_e32 v177, 2, v45
	v_lshlrev_b32_e32 v45, 9, v45
	;; [unrolled: 1-line block ×7, first 2 shown]
	s_wait_loadcnt 0xf
	v_and_b32_e32 v49, 0xf0f0f0f, v61
	v_lshrrev_b32_e32 v50, 4, v61
	v_lshlrev_b32_e32 v61, 25, v40
	s_wait_loadcnt 0xe
	v_and_b32_e32 v52, 0xf0f0f0f, v62
	v_lshrrev_b32_e32 v53, 4, v62
	s_wait_loadcnt 0xa
	v_lshrrev_b32_e32 v55, 4, v64
	v_and_b32_e32 v56, 0xf0f0f0f, v63
	v_lshrrev_b32_e32 v57, 4, v63
	v_lshrrev_b32_e32 v62, 12, v40
	;; [unrolled: 1-line block ×3, first 2 shown]
	v_and_b32_e32 v54, 0xf0f0f0f, v64
	v_lshlrev_b32_e32 v64, 2, v40
	v_lshlrev_b32_e32 v40, 9, v40
	;; [unrolled: 1-line block ×5, first 2 shown]
	v_and_b32_e32 v44, 0xf0f0f0f, v44
	v_lshlrev_b32_e32 v180, 18, v48
	v_lshlrev_b32_e32 v181, 25, v48
	v_lshrrev_b32_e32 v182, 12, v48
	v_lshrrev_b32_e32 v183, 5, v48
	v_lshlrev_b32_e32 v184, 2, v48
	v_lshlrev_b32_e32 v48, 9, v48
	;; [unrolled: 1-line block ×6, first 2 shown]
	v_lshrrev_b32_e32 v189, 12, v51
	v_lshrrev_b32_e32 v190, 5, v51
	v_lshlrev_b32_e32 v191, 2, v51
	v_lshlrev_b32_e32 v51, 9, v51
	v_and_b32_e32 v58, 16, v58
	v_and_b32_e32 v59, 0x1000, v59
	;; [unrolled: 1-line block ×38, first 2 shown]
	v_or3_b32 v58, v58, v54, v59
	v_or3_b32 v54, v54, v60, v61
	;; [unrolled: 1-line block ×3, first 2 shown]
	v_and_b32_e32 v72, 16, v72
	v_and_b32_e32 v73, 0x1000, v73
	v_or3_b32 v42, v44, v78, v42
	v_or3_b32 v44, v79, v46, v172
	v_and_b32_e32 v74, 0x100000, v74
	v_and_b32_e32 v75, 0x10000000, v75
	v_or3_b32 v59, v62, v55, v63
	v_or3_b32 v62, v175, v47, v176
	;; [unrolled: 1-line block ×12, first 2 shown]
	v_lshrrev_b32_e32 v53, 16, v54
	v_and_b32_e32 v54, 0x1f00, v58
	v_lshlrev_b16 v58, 8, v58
	v_and_b32_e32 v68, 0x1f00, v61
	v_lshlrev_b16 v61, 8, v61
	v_and_b32_e32 v173, 0x100000, v173
	v_and_b32_e32 v174, 0x10000000, v174
	v_or3_b32 v60, v72, v43, v73
	v_and_b32_e32 v72, 0x1f00, v44
	v_lshlrev_b16 v44, 8, v44
	v_and_b32_e32 v180, 0x100000, v180
	v_and_b32_e32 v181, 0x10000000, v181
	v_or3_b32 v43, v43, v74, v75
	v_and_b32_e32 v74, 0x1f00, v47
	v_lshlrev_b16 v47, 8, v47
	v_and_b32_e32 v187, 0x100000, v187
	v_and_b32_e32 v188, 0x10000000, v188
	;; [unrolled: 1-line block ×3, first 2 shown]
	v_lshlrev_b16 v50, 8, v50
	v_add_nc_u16 v58, 0xf000, v58
	v_add_nc_u16 v61, 0xf000, v61
	v_or3_b32 v46, v46, v173, v174
	v_add_nc_u16 v44, 0xf000, v44
	v_or3_b32 v49, v49, v180, v181
	;; [unrolled: 2-line block ×3, first 2 shown]
	v_lshrrev_b32_e32 v40, 16, v40
	v_and_b32_e32 v65, 0x1f00, v59
	v_lshlrev_b16 v59, 8, v59
	v_lshrrev_b32_e32 v43, 16, v43
	v_and_b32_e32 v67, 0x1f00, v60
	v_lshlrev_b16 v60, 8, v60
	v_lshrrev_b32_e32 v42, 16, v42
	v_add_nc_u16 v50, 0xf000, v50
	v_lshrrev_b16 v58, 8, v58
	v_lshrrev_b16 v61, 8, v61
	v_lshrrev_b32_e32 v46, 16, v46
	v_lshrrev_b32_e32 v45, 16, v45
	v_and_b32_e32 v73, 0x1f00, v62
	v_lshlrev_b16 v62, 8, v62
	v_lshrrev_b16 v44, 8, v44
	v_lshrrev_b32_e32 v49, 16, v49
	v_lshrrev_b32_e32 v48, 16, v48
	v_and_b32_e32 v75, 0x1f00, v63
	v_lshlrev_b16 v63, 8, v63
	;; [unrolled: 5-line block ×3, first 2 shown]
	v_add_nc_u16 v65, 0xf000, v65
	v_add_nc_u16 v59, 0xf000, v59
	v_and_b32_e32 v79, 0x1f00, v40
	v_add_nc_u16 v67, 0xf000, v67
	v_add_nc_u16 v60, 0xf000, v60
	v_and_b32_e32 v172, 0x1f00, v43
	v_lshlrev_b16 v43, 8, v43
	v_and_b32_e32 v173, 0x1f00, v42
	v_lshlrev_b16 v42, 8, v42
	v_lshrrev_b16 v50, 8, v50
	v_or_b32_e32 v54, v54, v58
	v_or_b32_e32 v58, v68, v61
	v_and_b32_e32 v174, 0x1f00, v46
	v_lshlrev_b16 v46, 8, v46
	v_add_nc_u16 v73, 0xf000, v73
	v_add_nc_u16 v62, 0xf000, v62
	v_and_b32_e32 v175, 0x1f00, v45
	v_lshlrev_b16 v45, 8, v45
	v_or_b32_e32 v44, v72, v44
	v_and_b32_e32 v176, 0x1f00, v49
	v_lshlrev_b16 v49, 8, v49
	v_add_nc_u16 v75, 0xf000, v75
	v_add_nc_u16 v63, 0xf000, v63
	v_and_b32_e32 v177, 0x1f00, v48
	v_lshlrev_b16 v48, 8, v48
	v_or_b32_e32 v47, v74, v47
	v_and_b32_e32 v78, 0x1f00, v53
	v_lshlrev_b16 v53, 8, v53
	v_lshlrev_b16 v40, 8, v40
	v_and_b32_e32 v178, 0x1f00, v52
	v_lshlrev_b16 v52, 8, v52
	v_add_nc_u16 v77, 0xf000, v77
	v_add_nc_u16 v64, 0xf000, v64
	v_and_b32_e32 v179, 0x1f00, v51
	v_lshlrev_b16 v51, 8, v51
	v_perm_b32 v59, v59, v65, 0xc0c0105
	v_add_nc_u16 v65, 0xf000, v79
	v_perm_b32 v60, v60, v67, 0xc0c0105
	v_add_nc_u16 v67, 0xf000, v172
	v_add_nc_u16 v43, 0xf000, v43
	v_add_nc_u16 v79, 0xf000, v173
	v_add_nc_u16 v42, 0xf000, v42
	v_or_b32_e32 v50, v76, v50
	v_add_nc_u16 v58, 0xf000, v58
	v_add_nc_u16 v172, 0xf000, v174
	;; [unrolled: 1-line block ×3, first 2 shown]
	v_perm_b32 v62, v62, v73, 0xc0c0105
	v_add_nc_u16 v73, 0xf000, v175
	v_add_nc_u16 v45, 0xf000, v45
	;; [unrolled: 1-line block ×5, first 2 shown]
	v_perm_b32 v63, v63, v75, 0xc0c0105
	v_add_nc_u16 v75, 0xf000, v177
	v_add_nc_u16 v48, 0xf000, v48
	;; [unrolled: 1-line block ×8, first 2 shown]
	v_perm_b32 v64, v64, v77, 0xc0c0105
	v_add_nc_u16 v77, 0xf000, v179
	v_add_nc_u16 v51, 0xf000, v51
	v_perm_b32 v43, v43, v67, 0xc0c0105
	v_perm_b32 v42, v42, v79, 0xc0c0105
	v_add_nc_u16 v54, 0xf000, v54
	v_add_nc_u16 v50, 0xf000, v50
	v_and_b32_e32 v58, 0xffff, v58
	v_lshrrev_b32_e32 v69, 12, v41
	v_lshrrev_b32_e32 v70, 5, v41
	v_lshlrev_b32_e32 v71, 2, v41
	v_lshlrev_b32_e32 v41, 9, v41
	v_perm_b32 v46, v46, v172, 0xc0c0105
	v_perm_b32 v45, v45, v73, 0xc0c0105
	v_and_b32_e32 v44, 0xffff, v44
	v_perm_b32 v49, v49, v173, 0xc0c0105
	v_perm_b32 v48, v48, v75, 0xc0c0105
	v_and_b32_e32 v47, 0xffff, v47
	v_perm_b32 v53, v53, v78, 0xc0c0105
	v_perm_b32 v40, v40, v65, 0xc0c0105
	;; [unrolled: 1-line block ×4, first 2 shown]
	v_lshl_or_b32 v43, v43, 16, v60
	v_and_b32_e32 v54, 0xffff, v54
	v_and_b32_e32 v50, 0xffff, v50
	v_lshl_or_b32 v42, v42, 16, v58
	v_and_b32_e32 v57, 0xf0f0f0f, v57
	v_and_b32_e32 v71, 0x100000, v71
	;; [unrolled: 1-line block ×3, first 2 shown]
	v_lshl_or_b32 v45, v45, 16, v62
	v_lshl_or_b32 v44, v46, 16, v44
	;; [unrolled: 1-line block ×8, first 2 shown]
	ds_store_2addr_b32 v1, v43, v42 offset1:1
	ds_store_b32 v161, v37
	ds_store_2addr_b32 v2, v44, v45 offset1:1
	ds_store_b32 v162, v38
	;; [unrolled: 2-line block ×3, first 2 shown]
	ds_store_2addr_b32 v4, v47, v51 offset1:1
	ds_store_2addr_b32 v5, v53, v40 offset1:1
	v_mad_co_i64_i32 v[37:38], null, v130, 22, v[20:21]
	v_or3_b32 v52, v57, v71, v41
	v_mad_co_i64_i32 v[41:42], null, v132, 22, v[20:21]
	v_mad_co_i64_i32 v[20:21], null, v134, 22, v[20:21]
	v_add_co_u32 v39, vcc_lo, v22, v108
	s_wait_alu 0xfffd
	v_add_co_ci_u32_e64 v40, null, 0, v23, vcc_lo
	v_add_co_u32 v43, vcc_lo, v37, v108
	s_wait_alu 0xfffd
	v_add_co_ci_u32_e64 v44, null, 0, v38, vcc_lo
	;; [unrolled: 3-line block ×4, first 2 shown]
	s_clause 0x7
	global_load_b32 v39, v[39:40], off offset:6
	global_load_b32 v40, v[43:44], off offset:6
	;; [unrolled: 1-line block ×8, first 2 shown]
	v_and_b32_e32 v69, 16, v69
	v_and_b32_e32 v70, 0x1000, v70
	v_lshrrev_b32_e32 v56, 16, v56
	v_lshrrev_b32_e32 v42, 16, v52
	v_and_b32_e32 v66, 0x1f00, v55
	v_lshlrev_b16 v55, 8, v55
	v_or3_b32 v51, v69, v57, v70
	v_and_b32_e32 v50, 0x1f00, v56
	v_lshlrev_b16 v38, 8, v56
	v_and_b32_e32 v47, 0x1f00, v42
	v_lshlrev_b16 v42, 8, v42
	v_lshlrev_b16 v53, 8, v51
	v_add_nc_u16 v41, 0xf000, v50
	v_add_nc_u16 v38, 0xf000, v38
	;; [unrolled: 1-line block ×5, first 2 shown]
	s_wait_loadcnt 0x10
	v_ashrrev_i32_e32 v36, v108, v36
	v_perm_b32 v38, v38, v41, 0xc0c0105
	v_add_nc_u16 v41, 0xf000, v47
	v_add_nc_u16 v42, 0xf000, v42
	v_and_b32_e32 v45, 0x1f00, v51
	v_lshrrev_b16 v23, 8, v23
	v_perm_b32 v46, v49, v66, 0xc0c0105
	v_lshrrev_b32_e32 v47, 12, v36
	v_perm_b32 v41, v42, v41, 0xc0c0105
	v_and_b32_e32 v42, 0xf0f0f0f, v35
	v_lshrrev_b32_e32 v35, 4, v35
	v_lshrrev_b32_e32 v48, 5, v36
	v_or_b32_e32 v23, v45, v23
	v_lshl_or_b32 v38, v38, 16, v46
	v_lshlrev_b32_e32 v45, 4, v36
	v_lshlrev_b32_e32 v46, 11, v36
	;; [unrolled: 1-line block ×4, first 2 shown]
	v_and_b32_e32 v35, 0xf0f0f0f, v35
	v_and_b32_e32 v47, 16, v47
	;; [unrolled: 1-line block ×6, first 2 shown]
	v_lshlrev_b32_e32 v51, 2, v36
	v_lshlrev_b32_e32 v36, 9, v36
	v_and_b32_e32 v50, 0x10000000, v50
	v_or3_b32 v47, v47, v35, v48
	v_or3_b32 v45, v45, v42, v46
	v_and_b32_e32 v46, 0x100000, v51
	v_and_b32_e32 v36, 0x10000000, v36
	v_or3_b32 v42, v42, v49, v50
	v_lshlrev_b16 v48, 8, v47
	v_and_b32_e32 v49, 0x1f00, v45
	v_and_b32_e32 v47, 0x1f00, v47
	v_or3_b32 v35, v35, v46, v36
	v_lshrrev_b32_e32 v36, 16, v42
	v_add_nc_u16 v42, 0xf000, v48
	v_lshlrev_b16 v45, 8, v45
	v_add_nc_u16 v46, 0xf000, v49
	v_lshrrev_b32_e32 v35, 16, v35
	v_and_b32_e32 v48, 0x1f00, v36
	v_lshrrev_b16 v42, 8, v42
	v_lshlrev_b16 v36, 8, v36
	v_add_nc_u16 v23, 0xf000, v23
	v_and_b32_e32 v49, 0x1f00, v35
	v_lshlrev_b16 v35, 8, v35
	v_or_b32_e32 v42, v47, v42
	v_add_nc_u16 v45, 0xf000, v45
	v_add_nc_u16 v47, 0xf000, v48
	;; [unrolled: 1-line block ×6, first 2 shown]
	v_and_b32_e32 v23, 0xffff, v23
	v_perm_b32 v45, v45, v46, 0xc0c0105
	v_ashrrev_i32_e32 v34, v108, v34
	v_perm_b32 v36, v36, v47, 0xc0c0105
	v_perm_b32 v35, v35, v48, 0xc0c0105
	v_and_b32_e32 v42, 0xffff, v42
	v_lshl_or_b32 v23, v41, 16, v23
	v_lshlrev_b32_e32 v41, 4, v34
	v_lshl_or_b32 v36, v36, 16, v45
	v_lshlrev_b32_e32 v45, 11, v34
	v_lshl_or_b32 v35, v35, 16, v42
	v_and_b32_e32 v42, 0xf0f0f0f, v33
	v_lshrrev_b32_e32 v33, 4, v33
	v_lshrrev_b32_e32 v47, 12, v34
	;; [unrolled: 1-line block ×3, first 2 shown]
	v_and_b32_e32 v41, 16, v41
	v_lshlrev_b32_e32 v46, 18, v34
	v_and_b32_e32 v45, 0x1000, v45
	v_lshlrev_b32_e32 v49, 25, v34
	v_and_b32_e32 v33, 0xf0f0f0f, v33
	v_and_b32_e32 v47, 16, v47
	;; [unrolled: 1-line block ×4, first 2 shown]
	v_lshlrev_b32_e32 v50, 2, v34
	v_lshlrev_b32_e32 v34, 9, v34
	v_and_b32_e32 v49, 0x10000000, v49
	v_or3_b32 v41, v41, v42, v45
	v_or3_b32 v45, v47, v33, v48
	v_and_b32_e32 v47, 0x100000, v50
	v_and_b32_e32 v34, 0x10000000, v34
	v_or3_b32 v42, v42, v46, v49
	v_and_b32_e32 v46, 0x1f00, v41
	v_lshlrev_b16 v48, 8, v45
	v_and_b32_e32 v45, 0x1f00, v45
	v_or3_b32 v33, v33, v47, v34
	v_lshrrev_b32_e32 v34, 16, v42
	v_add_nc_u16 v42, 0xf000, v46
	v_add_nc_u16 v46, 0xf000, v48
	v_lshlrev_b16 v41, 8, v41
	v_lshrrev_b32_e32 v33, 16, v33
	v_and_b32_e32 v47, 0x1f00, v34
	v_lshlrev_b16 v34, 8, v34
	v_lshrrev_b16 v46, 8, v46
	v_add_nc_u16 v41, 0xf000, v41
	v_and_b32_e32 v48, 0x1f00, v33
	v_lshlrev_b16 v33, 8, v33
	v_add_nc_u16 v47, 0xf000, v47
	v_or_b32_e32 v45, v45, v46
	v_add_nc_u16 v34, 0xf000, v34
	v_add_nc_u16 v46, 0xf000, v48
	v_add_nc_u16 v33, 0xf000, v33
	s_wait_loadcnt 0x8
	v_ashrrev_i32_e32 v32, v108, v32
	v_add_nc_u16 v45, 0xf000, v45
	v_perm_b32 v41, v41, v42, 0xc0c0105
	v_perm_b32 v34, v34, v47, 0xc0c0105
	;; [unrolled: 1-line block ×3, first 2 shown]
	v_lshlrev_b32_e32 v42, 4, v32
	v_and_b32_e32 v45, 0xffff, v45
	v_lshlrev_b32_e32 v46, 11, v32
	v_lshlrev_b32_e32 v48, 18, v32
	;; [unrolled: 1-line block ×3, first 2 shown]
	v_lshl_or_b32 v34, v34, 16, v41
	v_lshl_or_b32 v33, v33, 16, v45
	v_and_b32_e32 v47, 0xf0f0f0f, v31
	v_and_b32_e32 v42, 16, v42
	;; [unrolled: 1-line block ×5, first 2 shown]
	ds_store_2addr_b32 v6, v38, v23 offset1:1
	ds_store_2addr_b32 v7, v36, v35 offset1:1
	;; [unrolled: 1-line block ×3, first 2 shown]
	v_lshrrev_b32_e32 v31, 4, v31
	v_lshrrev_b32_e32 v34, 12, v32
	;; [unrolled: 1-line block ×3, first 2 shown]
	v_or3_b32 v42, v42, v47, v46
	v_or3_b32 v23, v47, v41, v45
	v_lshlrev_b32_e32 v36, 2, v32
	v_lshlrev_b32_e32 v32, 9, v32
	v_and_b32_e32 v31, 0xf0f0f0f, v31
	v_and_b32_e32 v34, 16, v34
	;; [unrolled: 1-line block ×6, first 2 shown]
	v_lshlrev_b16 v38, 8, v42
	v_lshrrev_b32_e32 v23, 16, v23
	v_or3_b32 v34, v34, v31, v35
	v_add_nc_u16 v33, 0xf000, v33
	v_or3_b32 v31, v31, v36, v32
	v_add_nc_u16 v32, 0xf000, v38
	v_and_b32_e32 v35, 0x1f00, v23
	v_lshlrev_b16 v36, 8, v34
	v_lshlrev_b16 v23, 8, v23
	v_lshrrev_b32_e32 v31, 16, v31
	v_perm_b32 v32, v32, v33, 0xc0c0105
	v_add_nc_u16 v33, 0xf000, v35
	v_add_nc_u16 v35, 0xf000, v36
	;; [unrolled: 1-line block ×3, first 2 shown]
	v_and_b32_e32 v36, 0x1f00, v31
	v_ashrrev_i32_e32 v30, v108, v30
	v_and_b32_e32 v34, 0x1f00, v34
	v_lshrrev_b16 v35, 8, v35
	v_perm_b32 v23, v23, v33, 0xc0c0105
	v_add_nc_u16 v33, 0xf000, v36
	v_lshlrev_b32_e32 v36, 4, v30
	v_lshlrev_b16 v31, 8, v31
	v_or_b32_e32 v34, v34, v35
	v_lshlrev_b32_e32 v35, 11, v30
	v_lshlrev_b32_e32 v41, 18, v30
	;; [unrolled: 1-line block ×3, first 2 shown]
	v_and_b32_e32 v38, 0xf0f0f0f, v29
	v_and_b32_e32 v36, 16, v36
	;; [unrolled: 1-line block ×3, first 2 shown]
	v_add_nc_u16 v31, 0xf000, v31
	v_and_b32_e32 v41, 0x100000, v41
	v_and_b32_e32 v42, 0x10000000, v42
	v_lshrrev_b32_e32 v29, 4, v29
	v_or3_b32 v35, v36, v38, v35
	v_perm_b32 v31, v31, v33, 0xc0c0105
	v_lshrrev_b32_e32 v36, 12, v30
	v_or3_b32 v33, v38, v41, v42
	v_lshrrev_b32_e32 v38, 5, v30
	v_lshlrev_b32_e32 v41, 2, v30
	v_lshlrev_b32_e32 v30, 9, v30
	v_add_nc_u16 v34, 0xf000, v34
	v_and_b32_e32 v29, 0xf0f0f0f, v29
	v_and_b32_e32 v36, 16, v36
	;; [unrolled: 1-line block ×5, first 2 shown]
	v_lshl_or_b32 v23, v23, 16, v32
	v_and_b32_e32 v32, 0xffff, v34
	v_and_b32_e32 v34, 0x1f00, v35
	v_lshlrev_b16 v35, 8, v35
	v_lshrrev_b32_e32 v33, 16, v33
	v_or3_b32 v36, v36, v29, v38
	v_or3_b32 v29, v29, v41, v30
	v_add_nc_u16 v34, 0xf000, v34
	v_add_nc_u16 v30, 0xf000, v35
	v_and_b32_e32 v35, 0x1f00, v33
	v_lshlrev_b16 v38, 8, v36
	v_lshrrev_b32_e32 v29, 16, v29
	v_lshl_or_b32 v31, v31, 16, v32
	v_perm_b32 v30, v30, v34, 0xc0c0105
	v_add_nc_u16 v32, 0xf000, v35
	v_add_nc_u16 v34, 0xf000, v38
	v_and_b32_e32 v35, 0x1f00, v29
	v_lshlrev_b16 v29, 8, v29
	v_lshlrev_b16 v33, 8, v33
	v_ashrrev_i32_e32 v28, v108, v28
	v_and_b32_e32 v36, 0x1f00, v36
	v_add_nc_u16 v35, 0xf000, v35
	v_add_nc_u16 v29, 0xf000, v29
	v_lshrrev_b16 v34, 8, v34
	v_add_nc_u16 v33, 0xf000, v33
	v_lshrrev_b32_e32 v38, 12, v28
	v_lshrrev_b32_e32 v41, 5, v28
	v_perm_b32 v29, v29, v35, 0xc0c0105
	v_and_b32_e32 v35, 0xf0f0f0f, v27
	v_lshrrev_b32_e32 v27, 4, v27
	v_or_b32_e32 v34, v36, v34
	v_perm_b32 v32, v33, v32, 0xc0c0105
	v_lshlrev_b32_e32 v33, 4, v28
	v_lshlrev_b32_e32 v36, 11, v28
	;; [unrolled: 1-line block ×4, first 2 shown]
	v_and_b32_e32 v27, 0xf0f0f0f, v27
	v_and_b32_e32 v38, 16, v38
	;; [unrolled: 1-line block ×6, first 2 shown]
	v_lshlrev_b32_e32 v46, 2, v28
	v_lshlrev_b32_e32 v28, 9, v28
	v_and_b32_e32 v45, 0x10000000, v45
	v_or3_b32 v38, v38, v27, v41
	v_or3_b32 v33, v33, v35, v36
	v_and_b32_e32 v36, 0x100000, v46
	v_and_b32_e32 v28, 0x10000000, v28
	v_or3_b32 v35, v35, v42, v45
	v_lshlrev_b16 v41, 8, v38
	v_and_b32_e32 v42, 0x1f00, v33
	v_and_b32_e32 v38, 0x1f00, v38
	v_or3_b32 v27, v27, v36, v28
	v_lshrrev_b32_e32 v28, 16, v35
	v_add_nc_u16 v35, 0xf000, v41
	v_lshlrev_b16 v33, 8, v33
	v_add_nc_u16 v36, 0xf000, v42
	v_lshrrev_b32_e32 v27, 16, v27
	v_and_b32_e32 v41, 0x1f00, v28
	v_lshrrev_b16 v35, 8, v35
	v_lshlrev_b16 v28, 8, v28
	v_add_nc_u16 v34, 0xf000, v34
	v_and_b32_e32 v42, 0x1f00, v27
	v_lshlrev_b16 v27, 8, v27
	v_or_b32_e32 v35, v38, v35
	v_add_nc_u16 v33, 0xf000, v33
	v_add_nc_u16 v38, 0xf000, v41
	;; [unrolled: 1-line block ×6, first 2 shown]
	v_and_b32_e32 v34, 0xffff, v34
	v_perm_b32 v33, v33, v36, 0xc0c0105
	v_perm_b32 v28, v28, v38, 0xc0c0105
	;; [unrolled: 1-line block ×3, first 2 shown]
	v_and_b32_e32 v35, 0xffff, v35
	v_lshl_or_b32 v30, v32, 16, v30
	v_ashrrev_i32_e32 v26, v108, v26
	v_lshl_or_b32 v29, v29, 16, v34
	v_lshl_or_b32 v28, v28, 16, v33
	;; [unrolled: 1-line block ×3, first 2 shown]
	ds_store_2addr_b32 v9, v23, v31 offset1:1
	v_lshlrev_b32_e32 v31, 11, v26
	ds_store_2addr_b32 v10, v30, v29 offset1:1
	ds_store_2addr_b32 v11, v28, v27 offset1:1
	v_and_b32_e32 v27, 0xf0f0f0f, v25
	v_lshrrev_b32_e32 v25, 4, v25
	v_lshrrev_b32_e32 v29, 12, v26
	v_lshrrev_b32_e32 v30, 5, v26
	v_lshlrev_b32_e32 v23, 4, v26
	v_and_b32_e32 v28, 0x1000, v31
	v_lshlrev_b32_e32 v31, 18, v26
	v_lshlrev_b32_e32 v32, 25, v26
	v_and_b32_e32 v25, 0xf0f0f0f, v25
	v_and_b32_e32 v29, 16, v29
	;; [unrolled: 1-line block ×5, first 2 shown]
	v_lshlrev_b32_e32 v33, 2, v26
	v_lshlrev_b32_e32 v26, 9, v26
	v_and_b32_e32 v32, 0x10000000, v32
	v_or3_b32 v29, v29, v25, v30
	v_or3_b32 v23, v23, v27, v28
	v_and_b32_e32 v28, 0x100000, v33
	v_and_b32_e32 v26, 0x10000000, v26
	v_or3_b32 v27, v27, v31, v32
	v_lshlrev_b16 v30, 8, v29
	v_and_b32_e32 v31, 0x1f00, v23
	v_lshlrev_b16 v23, 8, v23
	v_or3_b32 v25, v25, v28, v26
	v_lshrrev_b32_e32 v26, 16, v27
	v_add_nc_u16 v27, 0xf000, v30
	v_and_b32_e32 v29, 0x1f00, v29
	v_add_nc_u16 v28, 0xf000, v31
	v_lshrrev_b32_e32 v25, 16, v25
	v_and_b32_e32 v30, 0x1f00, v26
	v_lshrrev_b16 v27, 8, v27
	v_lshlrev_b16 v26, 8, v26
	v_add_nc_u16 v23, 0xf000, v23
	v_and_b32_e32 v31, 0x1f00, v25
	v_lshlrev_b16 v25, 8, v25
	v_or_b32_e32 v27, v29, v27
	v_add_nc_u16 v29, 0xf000, v30
	v_add_nc_u16 v26, 0xf000, v26
	s_wait_loadcnt 0x0
	v_ashrrev_i32_e32 v22, v108, v22
	v_add_nc_u16 v30, 0xf000, v31
	v_add_nc_u16 v25, 0xf000, v25
	;; [unrolled: 1-line block ×3, first 2 shown]
	v_perm_b32 v23, v23, v28, 0xc0c0105
	v_perm_b32 v26, v26, v29, 0xc0c0105
	v_lshlrev_b32_e32 v28, 18, v22
	v_lshlrev_b32_e32 v29, 25, v22
	v_perm_b32 v25, v25, v30, 0xc0c0105
	v_and_b32_e32 v27, 0xffff, v27
	v_and_b32_e32 v30, 0xf0f0f0f, v39
	v_lshlrev_b32_e32 v31, 4, v22
	v_lshlrev_b32_e32 v32, 11, v22
	v_and_b32_e32 v28, 0x100000, v28
	v_and_b32_e32 v29, 0x10000000, v29
	v_lshl_or_b32 v23, v26, 16, v23
	v_lshl_or_b32 v25, v25, 16, v27
	v_and_b32_e32 v26, 16, v31
	v_and_b32_e32 v27, 0x1000, v32
	v_or3_b32 v28, v30, v28, v29
	v_lshrrev_b32_e32 v29, 4, v39
	v_lshrrev_b32_e32 v31, 12, v22
	;; [unrolled: 1-line block ×3, first 2 shown]
	v_or3_b32 v26, v26, v30, v27
	v_lshrrev_b32_e32 v27, 16, v28
	v_and_b32_e32 v28, 0xf0f0f0f, v29
	v_and_b32_e32 v29, 16, v31
	;; [unrolled: 1-line block ×3, first 2 shown]
	v_lshlrev_b32_e32 v31, 2, v22
	v_lshlrev_b32_e32 v22, 9, v22
	v_and_b32_e32 v32, 0x1f00, v26
	v_lshlrev_b16 v26, 8, v26
	v_or3_b32 v29, v29, v28, v30
	v_and_b32_e32 v30, 0x100000, v31
	v_and_b32_e32 v22, 0x10000000, v22
	v_add_nc_u16 v31, 0xf000, v32
	v_add_nc_u16 v26, 0xf000, v26
	v_lshlrev_b16 v32, 8, v29
	ds_store_2addr_b32 v12, v23, v25 offset1:1
	v_or3_b32 v22, v28, v30, v22
	v_and_b32_e32 v23, 0x1f00, v27
	v_perm_b32 v25, v26, v31, 0xc0c0105
	v_add_nc_u16 v26, 0xf000, v32
	v_lshlrev_b16 v27, 8, v27
	v_lshrrev_b32_e32 v22, 16, v22
	v_and_b32_e32 v28, 0x1f00, v29
	v_add_nc_u16 v23, 0xf000, v23
	v_lshrrev_b16 v26, 8, v26
	v_add_nc_u16 v27, 0xf000, v27
	v_and_b32_e32 v29, 0x1f00, v22
	v_ashrrev_i32_e32 v30, v108, v37
	v_lshlrev_b16 v22, 8, v22
	v_or_b32_e32 v26, v28, v26
	v_perm_b32 v23, v27, v23, 0xc0c0105
	v_add_nc_u16 v27, 0xf000, v29
	v_lshlrev_b32_e32 v28, 4, v30
	v_add_nc_u16 v22, 0xf000, v22
	v_add_nc_u16 v26, 0xf000, v26
	v_lshlrev_b32_e32 v29, 11, v30
	v_lshlrev_b32_e32 v32, 18, v30
	;; [unrolled: 1-line block ×3, first 2 shown]
	v_and_b32_e32 v31, 0xf0f0f0f, v40
	v_and_b32_e32 v28, 16, v28
	;; [unrolled: 1-line block ×3, first 2 shown]
	v_perm_b32 v22, v22, v27, 0xc0c0105
	v_and_b32_e32 v26, 0xffff, v26
	v_and_b32_e32 v27, 0x100000, v32
	;; [unrolled: 1-line block ×3, first 2 shown]
	v_or3_b32 v28, v28, v31, v29
	v_lshl_or_b32 v23, v23, 16, v25
	v_lshl_or_b32 v22, v22, 16, v26
	v_lshrrev_b32_e32 v25, 4, v40
	v_or3_b32 v26, v31, v27, v32
	v_lshlrev_b32_e32 v29, 2, v30
	v_lshlrev_b32_e32 v31, 9, v30
	v_lshrrev_b32_e32 v32, 12, v30
	v_lshrrev_b32_e32 v30, 5, v30
	v_and_b32_e32 v25, 0xf0f0f0f, v25
	v_and_b32_e32 v29, 0x100000, v29
	;; [unrolled: 1-line block ×3, first 2 shown]
	v_lshrrev_b32_e32 v26, 16, v26
	v_and_b32_e32 v32, 16, v32
	v_and_b32_e32 v30, 0x1000, v30
	;; [unrolled: 1-line block ×3, first 2 shown]
	v_or3_b32 v29, v25, v29, v31
	v_lshlrev_b16 v28, 8, v28
	v_and_b32_e32 v31, 0x1f00, v26
	v_or3_b32 v25, v32, v25, v30
	v_add_nc_u16 v27, 0xf000, v27
	v_lshlrev_b16 v26, 8, v26
	v_lshrrev_b32_e32 v29, 16, v29
	v_add_nc_u16 v28, 0xf000, v28
	v_add_nc_u16 v30, 0xf000, v31
	v_lshlrev_b16 v31, 8, v25
	v_add_nc_u16 v26, 0xf000, v26
	v_and_b32_e32 v32, 0x1f00, v29
	v_perm_b32 v27, v28, v27, 0xc0c0105
	v_ashrrev_i32_e32 v21, v108, v21
	v_add_nc_u16 v28, 0xf000, v31
	v_perm_b32 v26, v26, v30, 0xc0c0105
	v_add_nc_u16 v30, 0xf000, v32
	v_lshlrev_b16 v29, 8, v29
	v_lshlrev_b32_e32 v31, 4, v21
	v_and_b32_e32 v25, 0x1f00, v25
	v_lshrrev_b16 v28, 8, v28
	v_lshlrev_b32_e32 v32, 11, v21
	v_lshlrev_b32_e32 v34, 18, v21
	;; [unrolled: 1-line block ×3, first 2 shown]
	v_and_b32_e32 v33, 0xf0f0f0f, v43
	v_and_b32_e32 v31, 16, v31
	;; [unrolled: 1-line block ×3, first 2 shown]
	v_add_nc_u16 v29, 0xf000, v29
	v_or_b32_e32 v25, v25, v28
	v_and_b32_e32 v28, 0x100000, v34
	v_and_b32_e32 v34, 0x10000000, v35
	v_or3_b32 v31, v31, v33, v32
	v_lshl_or_b32 v26, v26, 16, v27
	v_perm_b32 v27, v29, v30, 0xc0c0105
	v_lshrrev_b32_e32 v30, 4, v43
	v_or3_b32 v28, v33, v28, v34
	v_lshrrev_b32_e32 v32, 12, v21
	v_lshrrev_b32_e32 v33, 5, v21
	v_lshlrev_b32_e32 v34, 2, v21
	v_lshlrev_b32_e32 v21, 9, v21
	v_and_b32_e32 v30, 0xf0f0f0f, v30
	v_and_b32_e32 v32, 16, v32
	;; [unrolled: 1-line block ×6, first 2 shown]
	v_lshlrev_b16 v31, 8, v31
	v_lshrrev_b32_e32 v28, 16, v28
	v_or3_b32 v32, v32, v30, v33
	v_add_nc_u16 v29, 0xf000, v29
	v_or3_b32 v21, v30, v34, v21
	v_add_nc_u16 v30, 0xf000, v31
	v_and_b32_e32 v31, 0x1f00, v28
	v_lshlrev_b16 v33, 8, v32
	v_lshlrev_b16 v28, 8, v28
	v_lshrrev_b32_e32 v21, 16, v21
	v_perm_b32 v29, v30, v29, 0xc0c0105
	v_add_nc_u16 v30, 0xf000, v31
	v_add_nc_u16 v31, 0xf000, v33
	v_ashrrev_i32_e32 v20, v108, v20
	v_and_b32_e32 v33, 0x1f00, v21
	v_lshlrev_b16 v21, 8, v21
	v_and_b32_e32 v32, 0x1f00, v32
	v_lshrrev_b16 v31, 8, v31
	v_add_nc_u16 v28, 0xf000, v28
	v_lshrrev_b32_e32 v34, 4, v44
	v_lshrrev_b32_e32 v35, 12, v20
	;; [unrolled: 1-line block ×3, first 2 shown]
	v_add_nc_u16 v33, 0xf000, v33
	v_add_nc_u16 v21, 0xf000, v21
	v_or_b32_e32 v31, v32, v31
	v_perm_b32 v28, v28, v30, 0xc0c0105
	v_lshlrev_b32_e32 v30, 4, v20
	v_lshlrev_b32_e32 v32, 11, v20
	;; [unrolled: 1-line block ×4, first 2 shown]
	v_and_b32_e32 v34, 0xf0f0f0f, v34
	v_and_b32_e32 v35, 16, v35
	;; [unrolled: 1-line block ×3, first 2 shown]
	v_perm_b32 v21, v21, v33, 0xc0c0105
	v_and_b32_e32 v33, 0xf0f0f0f, v44
	v_and_b32_e32 v30, 16, v30
	;; [unrolled: 1-line block ×4, first 2 shown]
	v_lshlrev_b32_e32 v39, 2, v20
	v_lshlrev_b32_e32 v20, 9, v20
	v_and_b32_e32 v38, 0x10000000, v38
	v_or3_b32 v35, v35, v34, v36
	v_or3_b32 v30, v30, v33, v32
	v_and_b32_e32 v32, 0x100000, v39
	v_and_b32_e32 v20, 0x10000000, v20
	v_or3_b32 v33, v33, v37, v38
	v_lshlrev_b16 v36, 8, v35
	v_and_b32_e32 v37, 0x1f00, v30
	v_and_b32_e32 v35, 0x1f00, v35
	v_or3_b32 v20, v34, v32, v20
	v_lshrrev_b32_e32 v32, 16, v33
	v_add_nc_u16 v33, 0xf000, v36
	v_lshlrev_b16 v30, 8, v30
	v_add_nc_u16 v34, 0xf000, v37
	v_lshrrev_b32_e32 v20, 16, v20
	v_and_b32_e32 v36, 0x1f00, v32
	v_lshrrev_b16 v33, 8, v33
	v_lshlrev_b16 v32, 8, v32
	v_add_nc_u16 v25, 0xf000, v25
	v_and_b32_e32 v37, 0x1f00, v20
	v_lshlrev_b16 v20, 8, v20
	v_or_b32_e32 v33, v35, v33
	v_add_nc_u16 v30, 0xf000, v30
	v_add_nc_u16 v35, 0xf000, v36
	;; [unrolled: 1-line block ×7, first 2 shown]
	v_and_b32_e32 v25, 0xffff, v25
	v_perm_b32 v30, v30, v34, 0xc0c0105
	v_perm_b32 v32, v32, v35, 0xc0c0105
	;; [unrolled: 1-line block ×3, first 2 shown]
	v_and_b32_e32 v33, 0xffff, v33
	v_and_b32_e32 v31, 0xffff, v31
	v_lshl_or_b32 v25, v27, 16, v25
	v_lshl_or_b32 v27, v28, 16, v29
	;; [unrolled: 1-line block ×5, first 2 shown]
	ds_store_2addr_b32 v13, v23, v22 offset1:1
	ds_store_2addr_b32 v14, v26, v25 offset1:1
	;; [unrolled: 1-line block ×4, first 2 shown]
	ds_store_b32 v164, v24
	s_cbranch_scc0 .LBB162_5
; %bb.7:                                ;   in Loop: Header=BB162_6 Depth=1
	s_clause 0x1
	scratch_load_b32 v0, off, off offset:60
	scratch_load_b64 v[20:21], off, off offset:68
	s_mov_b32 s10, -4
	s_wait_loadcnt 0x1
	v_add_nc_u32_e32 v28, s4, v0
	scratch_load_b32 v0, off, off offset:4  ; 4-byte Folded Reload
	s_wait_loadcnt 0x1
	v_add_nc_u32_e32 v172, s4, v20
	s_wait_loadcnt 0x0
	v_add_nc_u32_e32 v20, v28, v0
	scratch_load_b32 v0, off, off offset:8  ; 4-byte Folded Reload
	v_mad_co_i64_i32 v[20:21], null, v20, 36, v[18:19]
	s_wait_loadcnt 0x0
	v_add_nc_u32_e32 v22, v28, v0
	scratch_load_b32 v0, off, off offset:12 ; 4-byte Folded Reload
	v_mad_co_i64_i32 v[22:23], null, v22, 36, v[18:19]
	s_wait_loadcnt 0x0
	v_add_nc_u32_e32 v24, v28, v0
	scratch_load_b32 v0, off, off offset:16 ; 4-byte Folded Reload
	;; [unrolled: 4-line block ×6, first 2 shown]
	v_mad_co_i64_i32 v[30:31], null, v30, 36, v[18:19]
	s_wait_loadcnt 0x0
	v_add_nc_u32_e32 v36, v28, v0
	v_mad_co_u64_u32 v[28:29], null, v172, 36, s[2:3]
	s_delay_alu instid0(VALU_DEP_2)
	v_mad_co_i64_i32 v[36:37], null, v36, 36, v[18:19]
	s_clause 0x8
	global_load_b32 v28, v[28:29], off
	global_load_b32 v29, v[30:31], off offset:4
	global_load_b32 v20, v[20:21], off offset:4
	;; [unrolled: 1-line block ×8, first 2 shown]
	s_clause 0x1
	scratch_load_b32 v0, off, off offset:64
	scratch_load_b32 v17, off, off offset:76
	s_wait_loadcnt 0xa
	v_cvt_f32_f16_e32 v27, v28
	s_wait_loadcnt 0x0
	v_add_nc_u32_e32 v173, v0, v17
	s_clause 0x6
	scratch_load_b32 v174, off, off offset:40
	scratch_load_b32 v0, off, off offset:56
	scratch_load_b32 v175, off, off offset:36
	scratch_load_b32 v176, off, off offset:92
	scratch_load_b32 v177, off, off offset:88
	scratch_load_b32 v178, off, off offset:84
	scratch_load_b32 v179, off, off offset:80
	ds_store_b32 v171, v29
	ds_store_b32 v173, v20
	s_wait_loadcnt 0x5
	v_mul_u32_u24_e32 v180, 0x104, v0
	scratch_load_b32 v0, off, off offset:44 ; 4-byte Folded Reload
	s_wait_loadcnt 0x0
	ds_store_b32 v0, v21
	scratch_load_b32 v0, off, off offset:48 ; 4-byte Folded Reload
	s_wait_loadcnt 0x0
	ds_store_b32 v0, v22
	;; [unrolled: 3-line block ×3, first 2 shown]
	ds_store_b32 v168, v24
	ds_store_b32 v169, v25
	;; [unrolled: 1-line block ×3, first 2 shown]
	scratch_load_b32 v0, off, off           ; 4-byte Folded Reload
	s_wait_loadcnt 0x0
	ds_store_b32 v0, v27
	s_wait_storecnt_dscnt 0x0
	s_barrier_signal -1
	s_barrier_wait -1
	global_inv scope:SCOPE_SE
.LBB162_8:                              ;   Parent Loop BB162_6 Depth=1
                                        ; =>  This Inner Loop Header: Depth=2
	ds_load_2addr_b32 v[20:21], v175 offset1:32
	ds_load_b32 v25, v176
	ds_load_b32 v24, v177
	;; [unrolled: 1-line block ×4, first 2 shown]
	v_add_nc_u32_e32 v38, 0x2098, v180
	v_add_nc_u32_e32 v74, 0x1814, v174
	;; [unrolled: 1-line block ×6, first 2 shown]
	s_wait_alu 0xfffe
	s_add_co_i32 s10, s10, 4
	s_wait_alu 0xfffe
	s_cmp_lt_u32 s10, 12
	s_wait_dscnt 0x3
	v_mul_f32_e32 v204, v20, v25
	s_wait_dscnt 0x1
	v_dual_mul_f32 v201, v20, v24 :: v_dual_mul_f32 v200, v23, v21
	v_mul_f32_e32 v203, v20, v23
	s_wait_dscnt 0x0
	v_dual_mul_f32 v202, v20, v22 :: v_dual_mul_f32 v199, v25, v21
	v_mul_f32_e32 v207, v24, v21
	v_mul_f32_e32 v197, v22, v21
	ds_load_2addr_b32 v[20:21], v175 offset0:64 offset1:96
	v_add_nc_u32_e32 v56, 0x80c, v174
	s_wait_dscnt 0x0
	v_mul_f32_e32 v198, v25, v20
	v_mul_f32_e32 v196, v24, v20
	;; [unrolled: 1-line block ×3, first 2 shown]
	v_dual_mul_f32 v194, v22, v20 :: v_dual_mul_f32 v193, v25, v21
	v_mul_f32_e32 v192, v24, v21
	v_mul_f32_e32 v191, v23, v21
	;; [unrolled: 1-line block ×3, first 2 shown]
	ds_load_2addr_b32 v[20:21], v175 offset0:128 offset1:160
	s_wait_dscnt 0x0
	v_dual_mul_f32 v190, v25, v20 :: v_dual_add_nc_u32 v41, 0x414, v174
	v_mul_f32_e32 v188, v24, v20
	v_mul_f32_e32 v187, v23, v20
	v_dual_mul_f32 v186, v22, v20 :: v_dual_mul_f32 v185, v25, v21
	v_mul_f32_e32 v184, v24, v21
	v_mul_f32_e32 v183, v23, v21
	;; [unrolled: 1-line block ×3, first 2 shown]
	ds_load_2addr_b32 v[20:21], v175 offset0:192 offset1:224
	s_wait_dscnt 0x0
	v_dual_mul_f32 v182, v25, v20 :: v_dual_add_nc_u32 v175, 4, v175
	v_dual_mul_f32 v205, v25, v21 :: v_dual_mul_f32 v212, v22, v20
	v_mul_f32_e32 v206, v24, v20
	v_dual_mul_f32 v209, v24, v21 :: v_dual_mul_f32 v210, v23, v20
	v_mul_f32_e32 v208, v23, v21
	v_mul_f32_e32 v211, v22, v21
	ds_load_2addr_b32 v[28:29], v174 offset1:7
	ds_load_2addr_b32 v[26:27], v180 offset1:1
	ds_load_2addr_b32 v[20:21], v180 offset0:2 offset1:3
	ds_load_2addr_b32 v[22:23], v180 offset0:4 offset1:5
	ds_load_2addr_b32 v[24:25], v180 offset0:6 offset1:7
	s_wait_dscnt 0x4
	v_lshlrev_b32_e32 v226, 8, v29
	s_wait_dscnt 0x3
	v_perm_b32 v30, v28, v27, 0xc0c0703
	s_wait_dscnt 0x2
	v_perm_b32 v31, v21, v20, 0x7030c0c
	v_lshlrev_b32_e32 v228, 16, v29
	s_wait_dscnt 0x0
	v_perm_b32 v33, v25, v24, 0x7030c0c
	s_delay_alu instid0(VALU_DEP_3)
	v_or_b32_e32 v30, v31, v30
	v_add_nc_u32_e32 v31, 0x1c14, v174
	ds_load_2addr_b32 v[42:43], v31 offset1:1
	ds_load_2addr_b32 v[36:37], v174 offset0:3 offset1:4
	ds_load_2addr_b32 v[46:47], v174 offset0:5 offset1:6
	;; [unrolled: 1-line block ×3, first 2 shown]
	s_wait_dscnt 0x2
	v_perm_b32 v31, v26, v37, 0xc0c0703
	v_perm_b32 v34, v29, v36, 0x7030c0c
	s_wait_dscnt 0x0
	v_perm_b32 v32, v46, v48, 0x7030c0c
	v_lshlrev_b32_e32 v142, 8, v48
	v_lshlrev_b32_e32 v0, 8, v46
	;; [unrolled: 1-line block ×4, first 2 shown]
	v_or_b32_e32 v31, v32, v31
	v_perm_b32 v32, v23, v22, 0xc0c0703
	v_lshlrev_b32_e32 v232, 8, v47
	v_perm_b32 v63, v26, v156, 0xc0c0603
	v_lshlrev_b32_e32 v227, 8, v36
	v_dot4_i32_iu8 v30, v31, v30, 0 neg_lo:[1,1,0]
	v_or_b32_e32 v32, v33, v32
	v_perm_b32 v33, v47, v49, 0xc0c0703
	v_add_nc_u32_e32 v31, 0x400, v174
	v_perm_b32 v66, v226, v227, 0x7030c0c
	v_lshlrev_b32_e32 v157, 16, v48
	v_lshlrev_b32_e32 v158, 16, v46
	v_or_b32_e32 v33, v34, v33
	v_lshlrev_b32_e32 v159, 16, v37
	v_lshlrev_b32_e32 v231, 16, v49
	;; [unrolled: 1-line block ×4, first 2 shown]
	v_dot4_i32_iu8 v213, v33, v32, v30 neg_lo:[1,1,0]
	v_add_nc_u32_e32 v30, 0x2080, v180
	v_add_nc_u32_e32 v32, 0x2088, v180
	;; [unrolled: 1-line block ×3, first 2 shown]
	ds_load_2addr_b32 v[34:35], v30 offset1:1
	ds_load_2addr_b32 v[30:31], v31 offset1:7
	;; [unrolled: 1-line block ×5, first 2 shown]
	s_wait_dscnt 0x4
	v_bfe_i32 v38, v34, 16, 8
	s_wait_dscnt 0x3
	v_bfe_i32 v39, v30, 16, 8
	v_bfe_i32 v40, v30, 0, 8
	v_perm_b32 v152, v35, v35, 0x2010003
	s_delay_alu instid0(VALU_DEP_3) | instskip(SKIP_1) | instid1(VALU_DEP_1)
	v_mul_i32_i24_e32 v38, v39, v38
	v_bfe_i32 v39, v34, 0, 8
	v_mad_i32_i24 v52, v40, v39, v38
	v_ashrrev_i32_e32 v38, 24, v34
	v_ashrrev_i32_e32 v39, 24, v30
	v_lshrrev_b16 v40, 8, v30
	s_delay_alu instid0(VALU_DEP_2) | instskip(SKIP_1) | instid1(VALU_DEP_3)
	v_mul_i32_i24_e32 v38, v39, v38
	v_lshrrev_b16 v39, 8, v34
	v_bfe_i32 v40, v40, 0, 8
	s_delay_alu instid0(VALU_DEP_2) | instskip(NEXT) | instid1(VALU_DEP_1)
	v_bfe_i32 v39, v39, 0, 8
	v_mad_i32_i24 v53, v40, v39, v38
	v_add_nc_u32_e32 v38, 0x40c, v174
	v_add_nc_u32_e32 v40, 0x404, v174
	ds_load_2addr_b32 v[38:39], v38 offset1:1
	ds_load_2addr_b32 v[54:55], v40 offset1:1
	;; [unrolled: 1-line block ×4, first 2 shown]
	v_bfe_i32 v56, v35, 8, 8
	s_wait_dscnt 0x3
	v_bfe_i32 v57, v39, 8, 8
	v_ashrrev_i32_e32 v58, 24, v39
	s_wait_dscnt 0x2
	v_bfe_i32 v59, v54, 16, 8
	s_wait_dscnt 0x1
	v_bfe_i32 v60, v51, 0, 8
	v_bfe_i32 v61, v38, 0, 8
	v_mul_i32_i24_e32 v56, v57, v56
	v_ashrrev_i32_e32 v57, 24, v35
	v_bfe_i32 v62, v38, 16, 8
	s_delay_alu instid0(VALU_DEP_2) | instskip(SKIP_3) | instid1(VALU_DEP_2)
	v_mad_i32_i24 v214, v58, v57, v56
	v_bfe_i32 v56, v64, 8, 8
	v_bfe_i32 v57, v54, 8, 8
	;; [unrolled: 1-line block ×3, first 2 shown]
	v_mul_i32_i24_e32 v56, v57, v56
	v_bfe_i32 v57, v64, 0, 8
	s_delay_alu instid0(VALU_DEP_1) | instskip(SKIP_2) | instid1(VALU_DEP_1)
	v_mad_i32_i24 v56, v58, v57, v56
	v_ashrrev_i32_e32 v57, 24, v65
	v_ashrrev_i32_e32 v58, 24, v50
	v_mul_i32_i24_e32 v57, v58, v57
	v_bfe_i32 v58, v64, 16, 8
	s_delay_alu instid0(VALU_DEP_1) | instskip(SKIP_3) | instid1(VALU_DEP_2)
	v_mad_i32_i24 v215, v59, v58, v57
	v_bfe_i32 v57, v65, 8, 8
	v_bfe_i32 v58, v50, 8, 8
	;; [unrolled: 1-line block ×3, first 2 shown]
	v_mul_i32_i24_e32 v57, v58, v57
	v_bfe_i32 v58, v65, 0, 8
	s_delay_alu instid0(VALU_DEP_1) | instskip(SKIP_3) | instid1(VALU_DEP_2)
	v_mad_i32_i24 v216, v59, v58, v57
	v_bfe_i32 v57, v44, 8, 8
	v_bfe_i32 v58, v55, 8, 8
	;; [unrolled: 1-line block ×3, first 2 shown]
	v_mul_i32_i24_e32 v57, v58, v57
	v_bfe_i32 v58, v44, 0, 8
	s_delay_alu instid0(VALU_DEP_1) | instskip(SKIP_2) | instid1(VALU_DEP_1)
	v_mad_i32_i24 v57, v59, v58, v57
	v_bfe_i32 v58, v45, 8, 8
	v_bfe_i32 v59, v51, 8, 8
	v_mul_i32_i24_e32 v58, v59, v58
	v_bfe_i32 v59, v45, 0, 8
	s_delay_alu instid0(VALU_DEP_1) | instskip(SKIP_2) | instid1(VALU_DEP_1)
	v_mad_i32_i24 v58, v60, v59, v58
	v_bfe_i32 v59, v32, 8, 8
	v_bfe_i32 v60, v38, 8, 8
	v_mul_i32_i24_e32 v59, v60, v59
	v_bfe_i32 v60, v32, 0, 8
	s_delay_alu instid0(VALU_DEP_1) | instskip(SKIP_2) | instid1(VALU_DEP_1)
	v_mad_i32_i24 v59, v61, v60, v59
	v_ashrrev_i32_e32 v60, 24, v33
	v_ashrrev_i32_e32 v61, 24, v31
	v_mul_i32_i24_e32 v60, v61, v60
	v_bfe_i32 v61, v32, 16, 8
	s_delay_alu instid0(VALU_DEP_1) | instskip(SKIP_3) | instid1(VALU_DEP_2)
	v_mad_i32_i24 v217, v62, v61, v60
	v_bfe_i32 v60, v33, 8, 8
	v_bfe_i32 v61, v31, 8, 8
	;; [unrolled: 1-line block ×3, first 2 shown]
	v_mul_i32_i24_e32 v60, v61, v60
	v_bfe_i32 v61, v33, 0, 8
	s_delay_alu instid0(VALU_DEP_1) | instskip(SKIP_3) | instid1(VALU_DEP_2)
	v_mad_i32_i24 v218, v62, v61, v60
	v_perm_b32 v60, v28, v27, 0xc0c0602
	v_perm_b32 v61, v21, v20, 0x6020c0c
	;; [unrolled: 1-line block ×3, first 2 shown]
	v_or_b32_e32 v60, v61, v60
	v_perm_b32 v61, v23, v22, 0xc0c0602
	s_delay_alu instid0(VALU_DEP_1) | instskip(SKIP_2) | instid1(VALU_DEP_2)
	v_or_b32_e32 v61, v62, v61
	v_perm_b32 v62, v0, v142, 0x7030c0c
	v_perm_b32 v0, v46, v0, 0x7030c0c
	v_or_b32_e32 v62, v62, v63
	v_perm_b32 v63, v232, v233, 0xc0c0703
	s_delay_alu instid0(VALU_DEP_2) | instskip(NEXT) | instid1(VALU_DEP_2)
	v_dot4_i32_iu8 v60, v62, v60, 0 neg_lo:[1,1,0]
	v_or_b32_e32 v63, v66, v63
	v_perm_b32 v62, v25, v24, 0x5010c0c
	v_perm_b32 v66, v228, v229, 0x7030c0c
	s_delay_alu instid0(VALU_DEP_3) | instskip(SKIP_3) | instid1(VALU_DEP_2)
	v_dot4_i32_iu8 v219, v63, v61, v60 neg_lo:[1,1,0]
	v_perm_b32 v60, v28, v27, 0xc0c0501
	v_perm_b32 v61, v21, v20, 0x5010c0c
	;; [unrolled: 1-line block ×3, first 2 shown]
	v_or_b32_e32 v60, v61, v60
	v_perm_b32 v61, v23, v22, 0xc0c0501
	s_delay_alu instid0(VALU_DEP_1) | instskip(SKIP_1) | instid1(VALU_DEP_1)
	v_or_b32_e32 v61, v62, v61
	v_perm_b32 v62, v158, v157, 0x7030c0c
	v_or_b32_e32 v62, v62, v63
	v_perm_b32 v63, v230, v231, 0xc0c0703
	s_delay_alu instid0(VALU_DEP_2) | instskip(NEXT) | instid1(VALU_DEP_2)
	v_dot4_i32_iu8 v60, v62, v60, 0 neg_lo:[1,1,0]
	v_or_b32_e32 v63, v66, v63
	s_delay_alu instid0(VALU_DEP_1) | instskip(SKIP_2) | instid1(VALU_DEP_1)
	v_dot4_i32_iu8 v220, v63, v61, v60 neg_lo:[1,1,0]
	v_bfe_i32 v60, v39, 0, 8
	v_bfe_i32 v61, v35, 0, 8
	v_mul_i32_i24_e32 v60, v60, v61
	v_add_nc_u32_e32 v61, 0x1414, v174
	s_delay_alu instid0(VALU_DEP_2) | instskip(SKIP_3) | instid1(VALU_DEP_2)
	v_add3_u32 v221, v52, v53, v60
	v_bfe_i32 v52, v39, 16, 8
	v_bfe_i32 v53, v35, 16, 8
	v_ashrrev_i32_e32 v60, 24, v64
	v_mul_i32_i24_e32 v52, v52, v53
	v_ashrrev_i32_e32 v53, 24, v54
	s_delay_alu instid0(VALU_DEP_1) | instskip(SKIP_1) | instid1(VALU_DEP_2)
	v_mul_i32_i24_e32 v53, v53, v60
	v_add_nc_u32_e32 v60, 0x1014, v174
	v_add3_u32 v222, v52, v53, v56
	v_bfe_i32 v52, v50, 16, 8
	v_bfe_i32 v53, v65, 16, 8
	v_ashrrev_i32_e32 v56, 24, v44
	s_delay_alu instid0(VALU_DEP_2) | instskip(SKIP_1) | instid1(VALU_DEP_1)
	v_mul_i32_i24_e32 v52, v52, v53
	v_ashrrev_i32_e32 v53, 24, v55
	v_mul_i32_i24_e32 v53, v53, v56
	v_ashrrev_i32_e32 v56, 24, v45
	s_delay_alu instid0(VALU_DEP_2) | instskip(SKIP_2) | instid1(VALU_DEP_1)
	v_add3_u32 v223, v52, v53, v57
	v_bfe_i32 v52, v55, 16, 8
	v_bfe_i32 v53, v44, 16, 8
	v_mul_i32_i24_e32 v52, v52, v53
	v_ashrrev_i32_e32 v53, 24, v51
	s_delay_alu instid0(VALU_DEP_1) | instskip(SKIP_1) | instid1(VALU_DEP_2)
	v_mul_i32_i24_e32 v53, v53, v56
	v_ashrrev_i32_e32 v56, 24, v32
	v_add3_u32 v224, v52, v53, v58
	v_bfe_i32 v52, v51, 16, 8
	v_bfe_i32 v53, v45, 16, 8
	v_add_nc_u32_e32 v58, 0x1004, v174
	s_delay_alu instid0(VALU_DEP_2) | instskip(SKIP_1) | instid1(VALU_DEP_1)
	v_mul_i32_i24_e32 v52, v52, v53
	v_ashrrev_i32_e32 v53, 24, v38
	v_mul_i32_i24_e32 v53, v53, v56
	v_add_nc_u32_e32 v56, 0x814, v174
	s_delay_alu instid0(VALU_DEP_2) | instskip(SKIP_4) | instid1(VALU_DEP_3)
	v_add3_u32 v225, v52, v53, v59
	v_lshlrev_b32_e32 v52, 16, v39
	v_lshlrev_b32_e32 v53, 8, v39
	v_add_nc_u32_e32 v59, 0xc14, v174
	v_perm_b32 v39, v39, v39, 0xc0c0003
	v_perm_b32 v242, v53, v52, 0x7030c0c
	v_lshlrev_b32_e32 v52, 16, v54
	v_lshlrev_b32_e32 v53, 8, v54
	v_perm_b32 v54, v54, v54, 0xc0c0003
	s_delay_alu instid0(VALU_DEP_4) | instskip(NEXT) | instid1(VALU_DEP_3)
	v_or_b32_e32 v39, v242, v39
	v_perm_b32 v243, v53, v52, 0x7030c0c
	s_wait_dscnt 0x0
	v_lshlrev_b32_e32 v52, 16, v41
	v_lshlrev_b32_e32 v53, 8, v41
	v_perm_b32 v41, v41, v41, 0xc0c0003
	v_or_b32_e32 v107, v243, v54
	s_delay_alu instid0(VALU_DEP_3)
	v_perm_b32 v244, v53, v52, 0x7030c0c
	v_add_nc_u32_e32 v52, 0x804, v174
	v_add_nc_u32_e32 v53, 0xc04, v174
	ds_load_2addr_b32 v[78:79], v52 offset1:1
	ds_load_2addr_b32 v[76:77], v53 offset1:1
	;; [unrolled: 1-line block ×3, first 2 shown]
	v_or_b32_e32 v41, v244, v41
	v_add_nc_u32_e32 v244, 0x4108, v180
	s_delay_alu instid0(VALU_DEP_2) | instskip(SKIP_4) | instid1(VALU_DEP_2)
	v_dot4_i32_iu8 v128, v41, v152, 0 neg_lo:[1,1,0]
	s_wait_dscnt 0x2
	v_lshlrev_b32_e32 v52, 16, v78
	v_lshlrev_b32_e32 v53, 8, v78
	v_perm_b32 v54, v78, v78, 0xc0c0003
	v_perm_b32 v245, v53, v52, 0x7030c0c
	v_add_nc_u32_e32 v52, 0xc0c, v174
	s_delay_alu instid0(VALU_DEP_2)
	v_or_b32_e32 v78, v245, v54
	ds_load_2addr_b32 v[52:53], v52 offset1:1
	s_wait_dscnt 0x0
	v_lshlrev_b32_e32 v56, 16, v53
	v_lshlrev_b32_e32 v57, 8, v53
	v_perm_b32 v53, v53, v53, 0xc0c0003
	s_delay_alu instid0(VALU_DEP_2) | instskip(SKIP_2) | instid1(VALU_DEP_3)
	v_perm_b32 v246, v57, v56, 0x7030c0c
	v_lshlrev_b32_e32 v56, 16, v76
	v_lshlrev_b32_e32 v57, 8, v76
	v_or_b32_e32 v154, v246, v53
	v_perm_b32 v53, v76, v76, 0xc0c0003
	s_delay_alu instid0(VALU_DEP_3)
	v_perm_b32 v247, v57, v56, 0x7030c0c
	v_add_nc_u32_e32 v56, 0x100c, v174
	ds_load_2addr_b32 v[56:57], v56 offset1:1
	ds_load_2addr_b32 v[234:235], v58 offset1:1
	;; [unrolled: 1-line block ×4, first 2 shown]
	v_add_nc_u32_e32 v60, 0x1404, v174
	v_or_b32_e32 v76, v247, v53
	v_add_nc_u32_e32 v246, 0x4110, v180
	v_dot4_i32_iu8 v140, v154, v152, 0 neg_lo:[1,1,0]
	s_wait_dscnt 0x3
	v_lshlrev_b32_e32 v58, 16, v57
	v_lshlrev_b32_e32 v59, 8, v57
	v_perm_b32 v53, v57, v57, 0xc0c0003
	s_delay_alu instid0(VALU_DEP_2) | instskip(SKIP_3) | instid1(VALU_DEP_3)
	v_perm_b32 v248, v59, v58, 0x7030c0c
	s_wait_dscnt 0x2
	v_lshlrev_b32_e32 v58, 16, v234
	v_lshlrev_b32_e32 v59, 8, v234
	v_or_b32_e32 v57, v248, v53
	v_perm_b32 v53, v234, v234, 0xc0c0003
	s_delay_alu instid0(VALU_DEP_3)
	v_perm_b32 v249, v59, v58, 0x7030c0c
	v_add_nc_u32_e32 v58, 0x140c, v174
	ds_load_2addr_b32 v[58:59], v58 offset1:1
	ds_load_2addr_b32 v[236:237], v60 offset1:1
	;; [unrolled: 1-line block ×3, first 2 shown]
	v_or_b32_e32 v234, v249, v53
	v_add_nc_u32_e32 v248, 0x4118, v180
	v_dot4_i32_iu8 v99, v57, v152, 0 neg_lo:[1,1,0]
	s_wait_dscnt 0x2
	v_lshlrev_b32_e32 v60, 16, v59
	v_lshlrev_b32_e32 v61, 8, v59
	v_perm_b32 v53, v59, v59, 0xc0c0003
	s_delay_alu instid0(VALU_DEP_2) | instskip(SKIP_3) | instid1(VALU_DEP_3)
	v_perm_b32 v250, v61, v60, 0x7030c0c
	s_wait_dscnt 0x1
	v_lshlrev_b32_e32 v60, 16, v236
	v_lshlrev_b32_e32 v61, 8, v236
	v_or_b32_e32 v59, v250, v53
	v_perm_b32 v53, v236, v236, 0xc0c0003
	s_delay_alu instid0(VALU_DEP_3) | instskip(SKIP_3) | instid1(VALU_DEP_4)
	v_perm_b32 v251, v61, v60, 0x7030c0c
	v_add_nc_u32_e32 v60, 0x180c, v174
	v_add_nc_u32_e32 v250, 0x6188, v180
	v_dot4_i32_iu8 v146, v59, v152, 0 neg_lo:[1,1,0]
	v_or_b32_e32 v236, v251, v53
	ds_load_2addr_b32 v[60:61], v60 offset1:1
	s_wait_dscnt 0x0
	v_lshlrev_b32_e32 v62, 16, v61
	v_lshlrev_b32_e32 v63, 8, v61
	v_perm_b32 v53, v61, v61, 0xc0c0003
	s_delay_alu instid0(VALU_DEP_2)
	v_perm_b32 v252, v63, v62, 0x7030c0c
	v_add_nc_u32_e32 v62, 0x1804, v174
	v_add_nc_u32_e32 v63, 0x1c04, v174
	ds_load_2addr_b32 v[238:239], v62 offset1:1
	ds_load_2addr_b32 v[240:241], v63 offset1:1
	;; [unrolled: 1-line block ×3, first 2 shown]
	v_or_b32_e32 v61, v252, v53
	v_add_nc_u32_e32 v252, 0x6190, v180
	s_delay_alu instid0(VALU_DEP_2)
	v_dot4_i32_iu8 v149, v61, v152, 0 neg_lo:[1,1,0]
	s_wait_dscnt 0x2
	v_lshlrev_b32_e32 v62, 16, v238
	v_lshlrev_b32_e32 v63, 8, v238
	v_perm_b32 v53, v238, v238, 0xc0c0003
	s_wait_dscnt 0x1
	v_lshlrev_b32_e32 v160, 8, v240
	s_delay_alu instid0(VALU_DEP_3) | instskip(SKIP_1) | instid1(VALU_DEP_2)
	v_perm_b32 v253, v63, v62, 0x7030c0c
	v_add_nc_u32_e32 v62, 0x1c0c, v174
	v_or_b32_e32 v238, v253, v53
	ds_load_2addr_b32 v[62:63], v62 offset1:1
	s_wait_dscnt 0x0
	v_lshlrev_b32_e32 v254, 16, v63
	v_lshlrev_b32_e32 v255, 8, v63
	v_perm_b32 v53, v63, v63, 0xc0c0003
	s_delay_alu instid0(VALU_DEP_2) | instskip(SKIP_1) | instid1(VALU_DEP_2)
	v_perm_b32 v254, v255, v254, 0x7030c0c
	v_lshlrev_b32_e32 v255, 16, v240
	v_or_b32_e32 v63, v254, v53
	s_delay_alu instid0(VALU_DEP_2) | instskip(SKIP_4) | instid1(VALU_DEP_4)
	v_perm_b32 v160, v160, v255, 0x7030c0c
	v_perm_b32 v53, v240, v240, 0xc0c0003
	v_add_nc_u32_e32 v240, 0x6180, v180
	v_add_nc_u32_e32 v254, 0x6198, v180
	v_dot4_i32_iu8 v152, v63, v152, 0 neg_lo:[1,1,0]
	v_or_b32_e32 v160, v160, v53
	v_add_nc_u32_e32 v53, 0x4100, v180
	ds_load_2addr_b32 v[53:54], v53 offset1:1
	ds_load_2addr_b32 v[242:243], v240 offset1:1
	;; [unrolled: 1-line block ×8, first 2 shown]
	v_perm_b32 v240, v27, v27, 0x2010003
	v_perm_b32 v27, v28, v27, 0xc0c0400
	v_add_nc_u32_e32 v180, 32, v180
	s_delay_alu instid0(VALU_DEP_3)
	v_dot4_i32_iu8 v150, v39, v240, 0 neg_lo:[1,1,0]
	v_dot4_i32_iu8 v153, v41, v240, 0 neg_lo:[1,1,0]
	;; [unrolled: 1-line block ×7, first 2 shown]
	s_wait_dscnt 0x7
	v_perm_b32 v155, v54, v54, 0x2010003
	s_wait_dscnt 0x6
	v_perm_b32 v17, v243, v243, 0x2010003
	;; [unrolled: 2-line block ×3, first 2 shown]
	v_dot4_i32_iu8 v151, v39, v155, 0 neg_lo:[1,1,0]
	s_delay_alu instid0(VALU_DEP_3)
	v_dot4_i32_iu8 v39, v39, v17, 0 neg_lo:[1,1,0]
	v_dot4_i32_iu8 v98, v41, v155, 0 neg_lo:[1,1,0]
	;; [unrolled: 1-line block ×13, first 2 shown]
	v_perm_b32 v63, v20, v20, 0x2010003
	s_wait_dscnt 0x2
	v_perm_b32 v167, v250, v250, 0x2010003
	v_dot4_i32_iu8 v151, v107, v166, v151 neg_lo:[1,1,0]
	v_dot4_i32_iu8 v98, v78, v166, v98 neg_lo:[1,1,0]
	v_perm_b32 v20, v21, v20, 0x4000c0c
	v_dot4_i32_iu8 v150, v107, v63, v150 neg_lo:[1,1,0]
	v_dot4_i32_iu8 v39, v107, v167, v39 neg_lo:[1,1,0]
	;; [unrolled: 1-line block ×3, first 2 shown]
	v_perm_b32 v153, v64, v64, 0x2010003
	v_dot4_i32_iu8 v41, v78, v167, v41 neg_lo:[1,1,0]
	v_dot4_i32_iu8 v17, v160, v167, v17 neg_lo:[1,1,0]
	;; [unrolled: 1-line block ×18, first 2 shown]
	v_lshlrev_b32_e32 v155, 24, v37
	v_dot4_i32_iu8 v76, v76, v167, v154 neg_lo:[1,1,0]
	v_perm_b32 v154, v37, v156, 0x7030c0c
	v_dot4_i32_iu8 v63, v160, v63, v240 neg_lo:[1,1,0]
	v_lshlrev_b32_e32 v160, 8, v74
	v_perm_b32 v37, v159, v155, 0xc0c0703
	v_lshlrev_b32_e32 v159, 8, v72
	v_dot4_i32_iu8 v149, v238, v166, v165 neg_lo:[1,1,0]
	v_lshlrev_b32_e32 v165, 8, v42
	v_dot4_i32_iu8 v61, v238, v167, v61 neg_lo:[1,1,0]
	v_or_b32_e32 v37, v154, v37
	v_lshlrev_b32_e32 v154, 24, v48
	v_perm_b32 v48, v48, v142, 0x7030c0c
	v_lshlrev_b32_e32 v142, 24, v46
	v_dot4_i32_iu8 v46, v28, v53, 0 neg_lo:[1,1,0]
	v_or_b32_e32 v20, v20, v27
	v_perm_b32 v156, v157, v154, 0xc0c0703
	v_perm_b32 v157, v251, v251, 0x2010003
	s_delay_alu instid0(VALU_DEP_4) | instskip(SKIP_1) | instid1(VALU_DEP_4)
	v_dot4_i32_iu8 v46, v37, v54, v46 neg_lo:[1,1,0]
	v_perm_b32 v54, v245, v245, 0x2010003
	v_or_b32_e32 v48, v48, v156
	v_perm_b32 v156, v158, v142, 0xc0c0703
	v_dot4_i32_iu8 v158, v34, v28, 0 neg_lo:[1,1,0]
	s_delay_alu instid0(VALU_DEP_3) | instskip(NEXT) | instid1(VALU_DEP_3)
	v_dot4_i32_iu8 v46, v48, v244, v46 neg_lo:[1,1,0]
	v_or_b32_e32 v0, v0, v156
	v_dot4_i32_iu8 v156, v28, v242, 0 neg_lo:[1,1,0]
	s_delay_alu instid0(VALU_DEP_4)
	v_dot4_i32_iu8 v35, v37, v35, v158 neg_lo:[1,1,0]
	v_lshlrev_b32_e32 v158, 8, v68
	v_perm_b32 v28, v26, v155, 0xc0c0403
	v_dot4_i32_iu8 v46, v0, v245, v46 neg_lo:[1,1,0]
	v_dot4_i32_iu8 v156, v37, v243, v156 neg_lo:[1,1,0]
	;; [unrolled: 1-line block ×3, first 2 shown]
	v_lshlrev_b32_e32 v37, 16, v50
	v_lshlrev_b32_e32 v64, 8, v66
	s_delay_alu instid0(VALU_DEP_4) | instskip(SKIP_2) | instid1(VALU_DEP_3)
	v_dot4_i32_iu8 v156, v48, v250, v156 neg_lo:[1,1,0]
	v_lshlrev_b32_e32 v48, 8, v50
	v_perm_b32 v50, v50, v50, 0xc0c0003
	v_dot4_i32_iu8 v156, v0, v251, v156 neg_lo:[1,1,0]
	s_delay_alu instid0(VALU_DEP_3)
	v_perm_b32 v37, v48, v37, 0x7030c0c
	v_lshlrev_b32_e32 v48, 16, v66
	v_dot4_i32_iu8 v0, v0, v65, v35 neg_lo:[1,1,0]
	v_perm_b32 v35, v65, v65, 0x2010003
	v_lshlrev_b32_e32 v65, 8, v70
	v_or_b32_e32 v37, v37, v50
	v_perm_b32 v48, v64, v48, 0x7030c0c
	v_lshlrev_b32_e32 v64, 16, v70
	v_perm_b32 v50, v66, v66, 0xc0c0003
	v_perm_b32 v66, v74, v74, 0xc0c0003
	s_delay_alu instid0(VALU_DEP_3) | instskip(SKIP_1) | instid1(VALU_DEP_4)
	v_perm_b32 v64, v65, v64, 0x7030c0c
	v_lshlrev_b32_e32 v65, 16, v68
	v_or_b32_e32 v48, v48, v50
	v_perm_b32 v50, v70, v70, 0xc0c0003
	s_delay_alu instid0(VALU_DEP_3) | instskip(SKIP_1) | instid1(VALU_DEP_3)
	v_perm_b32 v65, v158, v65, 0x7030c0c
	v_lshlrev_b32_e32 v158, 16, v72
	v_or_b32_e32 v50, v64, v50
	v_perm_b32 v64, v68, v68, 0xc0c0003
	v_perm_b32 v68, v21, v21, 0x2010003
	v_dot4_i32_iu8 v98, v48, v54, v98 neg_lo:[1,1,0]
	v_perm_b32 v158, v159, v158, 0x7030c0c
	v_lshlrev_b32_e32 v159, 16, v74
	v_or_b32_e32 v64, v65, v64
	v_perm_b32 v65, v72, v72, 0xc0c0003
	v_dot4_i32_iu8 v70, v37, v68, v150 neg_lo:[1,1,0]
	v_dot4_i32_iu8 v72, v37, v54, v151 neg_lo:[1,1,0]
	v_perm_b32 v159, v160, v159, 0x7030c0c
	v_lshlrev_b32_e32 v160, 16, v42
	v_perm_b32 v42, v42, v42, 0xc0c0003
	v_or_b32_e32 v65, v158, v65
	v_dot4_i32_iu8 v37, v37, v157, v39 neg_lo:[1,1,0]
	v_or_b32_e32 v66, v159, v66
	v_perm_b32 v160, v165, v160, 0x7030c0c
	v_dot4_i32_iu8 v39, v48, v68, v107 neg_lo:[1,1,0]
	v_dot4_i32_iu8 v74, v48, v35, v128 neg_lo:[1,1,0]
	;; [unrolled: 1-line block ×4, first 2 shown]
	v_or_b32_e32 v42, v160, v42
	v_dot4_i32_iu8 v78, v50, v35, v139 neg_lo:[1,1,0]
	v_dot4_i32_iu8 v107, v50, v54, v140 neg_lo:[1,1,0]
	;; [unrolled: 1-line block ×19, first 2 shown]
	v_lshlrev_b32_e32 v42, 16, v55
	v_lshlrev_b32_e32 v66, 8, v55
	v_lshlrev_b32_e32 v68, 16, v79
	v_lshlrev_b32_e32 v144, 8, v79
	v_lshlrev_b32_e32 v145, 16, v77
	v_lshlrev_b32_e32 v146, 8, v77
	v_lshlrev_b32_e32 v147, 16, v235
	v_lshlrev_b32_e32 v148, 8, v235
	v_lshlrev_b32_e32 v150, 16, v237
	v_lshlrev_b32_e32 v151, 8, v237
	v_lshlrev_b32_e32 v153, 16, v239
	v_lshlrev_b32_e32 v157, 8, v239
	v_lshlrev_b32_e32 v159, 16, v241
	v_lshlrev_b32_e32 v160, 8, v241
	v_perm_b32 v55, v55, v55, 0xc0c0003
	v_perm_b32 v79, v79, v79, 0xc0c0003
	;; [unrolled: 1-line block ×14, first 2 shown]
	v_or_b32_e32 v42, v42, v55
	v_or_b32_e32 v55, v66, v79
	;; [unrolled: 1-line block ×7, first 2 shown]
	v_perm_b32 v145, v22, v22, 0x2010003
	v_perm_b32 v146, v246, v246, 0x2010003
	s_wait_dscnt 0x1
	v_perm_b32 v147, v252, v252, 0x2010003
	v_lshlrev_b32_e32 v148, 16, v73
	v_lshlrev_b32_e32 v149, 8, v73
	v_dot4_i32_iu8 v70, v42, v145, v70 neg_lo:[1,1,0]
	v_dot4_i32_iu8 v72, v42, v146, v72 neg_lo:[1,1,0]
	;; [unrolled: 1-line block ×3, first 2 shown]
	v_perm_b32 v42, v44, v44, 0x2010003
	v_dot4_i32_iu8 v39, v55, v145, v39 neg_lo:[1,1,0]
	v_dot4_i32_iu8 v98, v55, v146, v98 neg_lo:[1,1,0]
	;; [unrolled: 1-line block ×19, first 2 shown]
	v_perm_b32 v54, v49, v233, 0x7030c0c
	v_lshlrev_b32_e32 v49, 24, v49
	v_dot4_i32_iu8 v65, v79, v145, v65 neg_lo:[1,1,0]
	v_dot4_i32_iu8 v128, v79, v146, v143 neg_lo:[1,1,0]
	v_dot4_i32_iu8 v61, v79, v147, v61 neg_lo:[1,1,0]
	v_perm_b32 v79, v47, v232, 0x7030c0c
	v_lshlrev_b32_e32 v47, 24, v47
	v_perm_b32 v157, v231, v49, 0xc0c0703
	v_dot4_i32_iu8 v63, v144, v145, v63 neg_lo:[1,1,0]
	v_dot4_i32_iu8 v17, v144, v147, v17 neg_lo:[1,1,0]
	v_lshlrev_b32_e32 v139, 16, v51
	v_lshlrev_b32_e32 v140, 8, v51
	v_or_b32_e32 v54, v54, v157
	v_perm_b32 v157, v230, v47, 0xc0c0703
	v_lshlrev_b32_e32 v141, 16, v67
	v_lshlrev_b32_e32 v143, 8, v67
	;; [unrolled: 1-line block ×10, first 2 shown]
	v_or_b32_e32 v79, v79, v157
	v_dot4_i32_iu8 v46, v54, v246, v46 neg_lo:[1,1,0]
	v_dot4_i32_iu8 v156, v54, v252, v156 neg_lo:[1,1,0]
	;; [unrolled: 1-line block ×3, first 2 shown]
	v_perm_b32 v51, v51, v51, 0xc0c0003
	v_perm_b32 v67, v67, v67, 0xc0c0003
	;; [unrolled: 1-line block ×7, first 2 shown]
	v_dot4_i32_iu8 v46, v79, v247, v46 neg_lo:[1,1,0]
	v_dot4_i32_iu8 v156, v79, v253, v156 neg_lo:[1,1,0]
	;; [unrolled: 1-line block ×3, first 2 shown]
	v_perm_b32 v44, v45, v45, 0x2010003
	v_perm_b32 v45, v140, v139, 0x7030c0c
	;; [unrolled: 1-line block ×10, first 2 shown]
	v_or_b32_e32 v45, v45, v51
	v_or_b32_e32 v51, v54, v67
	;; [unrolled: 1-line block ×7, first 2 shown]
	v_perm_b32 v73, v23, v23, 0x2010003
	v_dot4_i32_iu8 v72, v45, v157, v72 neg_lo:[1,1,0]
	v_dot4_i32_iu8 v37, v45, v158, v37 neg_lo:[1,1,0]
	;; [unrolled: 1-line block ×27, first 2 shown]
	v_lshlrev_b32_e32 v43, 16, v38
	v_lshlrev_b32_e32 v44, 8, v38
	;; [unrolled: 1-line block ×10, first 2 shown]
	v_perm_b32 v38, v38, v38, 0xc0c0003
	v_perm_b32 v40, v40, v40, 0xc0c0003
	;; [unrolled: 1-line block ×3, first 2 shown]
	v_lshlrev_b32_e32 v99, 16, v58
	v_lshlrev_b32_e32 v107, 8, v58
	v_perm_b32 v60, v60, v60, 0xc0c0003
	v_lshlrev_b32_e32 v140, 16, v62
	v_lshlrev_b32_e32 v141, 8, v62
	v_perm_b32 v43, v44, v43, 0x7030c0c
	v_perm_b32 v44, v73, v71, 0x7030c0c
	;; [unrolled: 1-line block ×10, first 2 shown]
	v_or_b32_e32 v38, v43, v38
	v_or_b32_e32 v40, v44, v40
	v_or_b32_e32 v44, v73, v56
	v_or_b32_e32 v56, v78, v60
	v_perm_b32 v60, v24, v24, 0x2010003
	v_or_b32_e32 v43, v71, v52
	v_or_b32_e32 v52, v77, v58
	;; [unrolled: 1-line block ×3, first 2 shown]
	v_perm_b32 v98, v249, v249, 0x2010003
	v_dot4_i32_iu8 v62, v38, v60, v70 neg_lo:[1,1,0]
	v_perm_b32 v70, v248, v248, 0x2010003
	v_dot4_i32_iu8 v77, v40, v60, v39 neg_lo:[1,1,0]
	v_dot4_i32_iu8 v48, v43, v60, v48 neg_lo:[1,1,0]
	;; [unrolled: 1-line block ×5, first 2 shown]
	s_wait_dscnt 0x0
	v_perm_b32 v72, v254, v254, 0x2010003
	v_dot4_i32_iu8 v68, v52, v70, v68 neg_lo:[1,1,0]
	v_dot4_i32_iu8 v74, v40, v70, v74 neg_lo:[1,1,0]
	;; [unrolled: 1-line block ×5, first 2 shown]
	v_perm_b32 v37, v32, v32, 0x2010003
	v_dot4_i32_iu8 v17, v58, v72, v17 neg_lo:[1,1,0]
	v_dot4_i32_iu8 v79, v40, v72, v41 neg_lo:[1,1,0]
	;; [unrolled: 1-line block ×13, first 2 shown]
	v_lshlrev_b32_e32 v58, 24, v36
	v_perm_b32 v35, v36, v227, 0x7030c0c
	v_lshlrev_b32_e32 v72, 24, v29
	v_perm_b32 v29, v29, v226, 0x7030c0c
	v_dot4_i32_iu8 v78, v40, v37, v45 neg_lo:[1,1,0]
	v_perm_b32 v36, v229, v58, 0xc0c0703
	v_dot4_i32_iu8 v51, v43, v37, v51 neg_lo:[1,1,0]
	v_dot4_i32_iu8 v66, v44, v37, v66 neg_lo:[1,1,0]
	v_perm_b32 v107, v255, v255, 0x2010003
	v_perm_b32 v21, v23, v22, 0xc0c0400
	v_or_b32_e32 v70, v35, v36
	v_perm_b32 v35, v228, v72, 0xc0c0703
	v_lshlrev_b32_e32 v36, 8, v31
	v_perm_b32 v22, v25, v24, 0x4000c0c
	v_perm_b32 v23, v142, v154, 0x7030c0c
	v_dot4_i32_iu8 v0, v70, v32, v0 neg_lo:[1,1,0]
	v_or_b32_e32 v29, v29, v35
	v_dot4_i32_iu8 v35, v70, v248, v46 neg_lo:[1,1,0]
	v_or_b32_e32 v21, v22, v21
	v_perm_b32 v22, v47, v49, 0xc0c0703
	v_perm_b32 v24, v72, v58, 0x7030c0c
	v_dot4_i32_iu8 v0, v29, v33, v0 neg_lo:[1,1,0]
	v_dot4_i32_iu8 v76, v29, v249, v35 neg_lo:[1,1,0]
	;; [unrolled: 1-line block ×3, first 2 shown]
	v_or_b32_e32 v23, v23, v28
	v_or_b32_e32 v22, v24, v22
	v_cvt_f32_i32_e32 v0, v0
	v_add_nc_u32_e32 v24, v220, v213
	v_dot4_i32_iu8 v99, v29, v255, v35 neg_lo:[1,1,0]
	v_lshlrev_b32_e32 v35, 16, v31
	v_bfe_i32 v29, v33, 16, 8
	v_fmac_f32_e32 v131, v201, v0
	v_dot4_i32_iu8 v20, v23, v20, 0 neg_lo:[1,1,0]
	s_delay_alu instid0(VALU_DEP_4) | instskip(SKIP_1) | instid1(VALU_DEP_3)
	v_perm_b32 v128, v36, v35, 0x7030c0c
	v_add_nc_u32_e32 v35, 0x800, v174
	v_dot4_i32_iu8 v20, v22, v21, v20 neg_lo:[1,1,0]
	v_add3_u32 v21, v221, v214, v222
	v_add3_u32 v22, v215, v216, v223
	ds_load_2addr_b32 v[35:36], v35 offset1:7
	v_add3_u32 v20, v20, v219, v24
	s_delay_alu instid0(VALU_DEP_1) | instskip(NEXT) | instid1(VALU_DEP_1)
	v_cvt_f32_i32_e32 v20, v20
	v_fmac_f32_e32 v100, v204, v20
	s_wait_dscnt 0x0
	v_lshlrev_b32_e32 v37, 16, v36
	v_lshlrev_b32_e32 v38, 8, v36
	v_perm_b32 v36, v36, v36, 0xc0c0003
	s_delay_alu instid0(VALU_DEP_2) | instskip(SKIP_1) | instid1(VALU_DEP_2)
	v_perm_b32 v139, v38, v37, 0x7030c0c
	v_add_nc_u32_e32 v37, 0xc00, v174
	v_or_b32_e32 v36, v139, v36
	ds_load_2addr_b32 v[37:38], v37 offset1:7
	v_perm_b32 v139, v25, v25, 0x2010003
	v_dot4_i32_iu8 v74, v36, v98, v74 neg_lo:[1,1,0]
	s_delay_alu instid0(VALU_DEP_2) | instskip(SKIP_4) | instid1(VALU_DEP_2)
	v_dot4_i32_iu8 v77, v36, v139, v77 neg_lo:[1,1,0]
	s_wait_dscnt 0x0
	v_lshlrev_b32_e32 v39, 16, v38
	v_lshlrev_b32_e32 v40, 8, v38
	v_perm_b32 v38, v38, v38, 0xc0c0003
	v_perm_b32 v140, v40, v39, 0x7030c0c
	v_add_nc_u32_e32 v39, 0x1000, v174
	s_delay_alu instid0(VALU_DEP_2)
	v_or_b32_e32 v38, v140, v38
	ds_load_2addr_b32 v[39:40], v39 offset1:7
	v_dot4_i32_iu8 v48, v38, v139, v48 neg_lo:[1,1,0]
	v_dot4_i32_iu8 v55, v38, v98, v55 neg_lo:[1,1,0]
	s_wait_dscnt 0x0
	v_lshlrev_b32_e32 v41, 16, v40
	v_lshlrev_b32_e32 v42, 8, v40
	v_perm_b32 v40, v40, v40, 0xc0c0003
	s_delay_alu instid0(VALU_DEP_2) | instskip(SKIP_1) | instid1(VALU_DEP_2)
	v_perm_b32 v141, v42, v41, 0x7030c0c
	v_add_nc_u32_e32 v41, 0x1400, v174
	v_or_b32_e32 v40, v141, v40
	ds_load_2addr_b32 v[41:42], v41 offset1:7
	s_wait_dscnt 0x0
	v_lshlrev_b32_e32 v43, 16, v42
	v_lshlrev_b32_e32 v44, 8, v42
	v_perm_b32 v42, v42, v42, 0xc0c0003
	s_delay_alu instid0(VALU_DEP_2) | instskip(SKIP_1) | instid1(VALU_DEP_2)
	v_perm_b32 v143, v44, v43, 0x7030c0c
	v_add_nc_u32_e32 v43, 0x1800, v174
	v_or_b32_e32 v42, v143, v42
	ds_load_2addr_b32 v[43:44], v43 offset1:7
	s_wait_dscnt 0x0
	v_lshlrev_b32_e32 v45, 16, v44
	v_lshlrev_b32_e32 v46, 8, v44
	v_perm_b32 v44, v44, v44, 0xc0c0003
	s_delay_alu instid0(VALU_DEP_2) | instskip(SKIP_2) | instid1(VALU_DEP_3)
	v_perm_b32 v144, v46, v45, 0x7030c0c
	v_add_nc_u32_e32 v45, 0x1c00, v174
	v_add_nc_u32_e32 v174, 32, v174
	v_or_b32_e32 v44, v144, v44
	ds_load_2addr_b32 v[45:46], v45 offset1:7
	s_wait_dscnt 0x0
	v_lshlrev_b32_e32 v145, 16, v46
	v_lshlrev_b32_e32 v146, 8, v46
	v_perm_b32 v46, v46, v46, 0xc0c0003
	s_delay_alu instid0(VALU_DEP_2) | instskip(SKIP_2) | instid1(VALU_DEP_3)
	v_perm_b32 v145, v146, v145, 0x7030c0c
	v_perm_b32 v146, v31, v31, 0xc0c0003
	v_bfe_i32 v31, v31, 16, 8
	v_or_b32_e32 v46, v145, v46
	s_delay_alu instid0(VALU_DEP_3) | instskip(NEXT) | instid1(VALU_DEP_3)
	v_or_b32_e32 v128, v128, v146
	v_mul_i32_i24_e32 v29, v31, v29
	s_delay_alu instid0(VALU_DEP_3) | instskip(NEXT) | instid1(VALU_DEP_3)
	v_dot4_i32_iu8 v17, v46, v107, v17 neg_lo:[1,1,0]
	v_dot4_i32_iu8 v62, v128, v139, v62 neg_lo:[1,1,0]
	;; [unrolled: 1-line block ×4, first 2 shown]
	v_perm_b32 v128, v33, v33, 0x2010003
	v_add3_u32 v29, v217, v218, v29
	v_dot4_i32_iu8 v17, v45, v242, v17 neg_lo:[1,1,0]
	s_delay_alu instid0(VALU_DEP_3)
	v_dot4_i32_iu8 v78, v36, v128, v78 neg_lo:[1,1,0]
	v_dot4_i32_iu8 v36, v36, v107, v79 neg_lo:[1,1,0]
	;; [unrolled: 1-line block ×43, first 2 shown]
	v_add3_u32 v23, v224, v225, v29
	v_cvt_f32_i32_e32 v0, v44
	v_dot4_i32_iu8 v34, v34, v45, v60 neg_lo:[1,1,0]
	v_dot4_i32_iu8 v53, v45, v53, v61 neg_lo:[1,1,0]
	v_cvt_f32_i32_e32 v17, v17
	v_add3_u32 v21, v21, v22, v23
	v_fmac_f32_e32 v121, v199, v0
	v_cvt_f32_i32_e32 v0, v56
	s_delay_alu instid0(VALU_DEP_4) | instskip(NEXT) | instid1(VALU_DEP_4)
	v_fmac_f32_e32 v80, v211, v17
	v_cvt_f32_i32_e32 v20, v21
	s_delay_alu instid0(VALU_DEP_3) | instskip(SKIP_1) | instid1(VALU_DEP_3)
	v_fmac_f32_e32 v119, v200, v0
	v_cvt_f32_i32_e32 v0, v30
	v_fmac_f32_e32 v120, v207, v20
	v_cvt_f32_i32_e32 v20, v76
	s_delay_alu instid0(VALU_DEP_3) | instskip(SKIP_1) | instid1(VALU_DEP_3)
	v_fmac_f32_e32 v118, v197, v0
	v_cvt_f32_i32_e32 v0, v46
	;; [unrolled: 5-line block ×3, first 2 shown]
	v_fmac_f32_e32 v123, v202, v20
	s_delay_alu instid0(VALU_DEP_2) | instskip(SKIP_1) | instid1(VALU_DEP_1)
	v_fmac_f32_e32 v106, v196, v0
	v_cvt_f32_i32_e32 v0, v68
	v_fmac_f32_e32 v104, v195, v0
	v_cvt_f32_i32_e32 v0, v35
	s_delay_alu instid0(VALU_DEP_1) | instskip(SKIP_1) | instid1(VALU_DEP_1)
	v_fmac_f32_e32 v103, v194, v0
	v_cvt_f32_i32_e32 v0, v36
	v_fmac_f32_e32 v102, v193, v0
	v_cvt_f32_i32_e32 v0, v48
	s_delay_alu instid0(VALU_DEP_1) | instskip(SKIP_1) | instid1(VALU_DEP_1)
	;; [unrolled: 5-line block ×10, first 2 shown]
	v_fmac_f32_e32 v82, v209, v0
	v_cvt_f32_i32_e32 v0, v53
	v_fmac_f32_e32 v81, v208, v0
	s_cbranch_scc1 .LBB162_8
; %bb.9:                                ;   in Loop: Header=BB162_6 Depth=1
	s_and_b32 s10, s7, -4
	s_wait_loadcnt 0x0
	s_wait_alu 0xfffe
	s_cmp_eq_u32 s10, 4
	s_barrier_signal -1
	s_barrier_wait -1
	global_inv scope:SCOPE_SE
	s_cbranch_scc1 .LBB162_5
; %bb.10:                               ;   in Loop: Header=BB162_6 Depth=1
	s_clause 0x3
	scratch_load_b32 v0, off, off offset:96
	scratch_load_b32 v17, off, off offset:4
	;; [unrolled: 1-line block ×4, first 2 shown]
	v_add_nc_u32_e32 v28, 4, v172
	s_mov_b32 s10, 12
	s_wait_loadcnt 0x3
	v_add_nc_u32_e32 v0, s4, v0
	s_wait_loadcnt 0x1
	s_delay_alu instid0(VALU_DEP_1)
	v_add_nc_u32_e32 v22, v0, v20
	scratch_load_b32 v20, off, off offset:12 ; 4-byte Folded Reload
	s_wait_loadcnt 0x1
	v_add_nc_u32_e32 v34, v0, v29
	scratch_load_b32 v29, off, off offset:32 ; 4-byte Folded Reload
	v_add_nc_u32_e32 v17, v0, v17
	v_mad_co_i64_i32 v[22:23], null, v22, 36, v[18:19]
	v_mad_co_i64_i32 v[34:35], null, v34, 36, v[18:19]
	s_wait_loadcnt 0x0
	v_add_nc_u32_e32 v30, v0, v29
	scratch_load_b32 v29, off, off offset:28 ; 4-byte Folded Reload
	v_add_nc_u32_e32 v24, v0, v20
	scratch_load_b32 v20, off, off offset:16 ; 4-byte Folded Reload
	v_mad_co_i64_i32 v[30:31], null, v30, 36, v[18:19]
	v_mad_co_i64_i32 v[24:25], null, v24, 36, v[18:19]
	s_wait_loadcnt 0x0
	v_add_nc_u32_e32 v26, v0, v20
	v_mad_co_i64_i32 v[20:21], null, v17, 36, v[18:19]
	scratch_load_b32 v17, off, off offset:20 ; 4-byte Folded Reload
	v_mad_co_i64_i32 v[26:27], null, v26, 36, v[18:19]
	s_wait_loadcnt 0x0
	v_add_nc_u32_e32 v17, v0, v17
	v_add_nc_u32_e32 v0, v0, v29
	v_mad_co_u64_u32 v[28:29], null, v28, 36, s[2:3]
	s_delay_alu instid0(VALU_DEP_3) | instskip(NEXT) | instid1(VALU_DEP_3)
	v_mad_co_i64_i32 v[32:33], null, v17, 36, v[18:19]
	v_mad_co_i64_i32 v[36:37], null, v0, 36, v[18:19]
	s_clause 0x8
	global_load_b32 v0, v[28:29], off
	global_load_b32 v17, v[30:31], off offset:4
	global_load_b32 v20, v[20:21], off offset:4
	;; [unrolled: 1-line block ×8, first 2 shown]
	s_clause 0x6
	scratch_load_b32 v172, off, off offset:36
	scratch_load_b32 v174, off, off offset:40
	;; [unrolled: 1-line block ×7, first 2 shown]
	s_wait_loadcnt 0xe
	ds_store_b32 v171, v17
	s_wait_loadcnt 0xd
	ds_store_b32 v173, v20
	scratch_load_b32 v17, off, off offset:44 ; 4-byte Folded Reload
	v_cvt_f32_f16_e32 v0, v0
	s_wait_loadcnt 0x0
	ds_store_b32 v17, v21
	scratch_load_b32 v17, off, off offset:48 ; 4-byte Folded Reload
	s_wait_loadcnt 0x0
	ds_store_b32 v17, v22
	scratch_load_b32 v17, off, off offset:52 ; 4-byte Folded Reload
	s_wait_loadcnt 0x0
	ds_store_b32 v17, v23
	ds_store_b32 v168, v24
	;; [unrolled: 1-line block ×4, first 2 shown]
	scratch_load_b32 v17, off, off          ; 4-byte Folded Reload
	s_wait_loadcnt 0x0
	ds_store_b32 v17, v0
	s_wait_dscnt 0x0
	s_barrier_signal -1
	s_barrier_wait -1
	global_inv scope:SCOPE_SE
.LBB162_11:                             ;   Parent Loop BB162_6 Depth=1
                                        ; =>  This Inner Loop Header: Depth=2
	ds_load_2addr_b32 v[20:21], v172 offset1:32
	ds_load_b32 v25, v176
	ds_load_b32 v24, v177
	;; [unrolled: 1-line block ×4, first 2 shown]
	v_add_nc_u32_e32 v74, 0x1814, v174
	v_add_nc_u32_e32 v179, 4, v179
	;; [unrolled: 1-line block ×5, first 2 shown]
	s_wait_alu 0xfffe
	s_add_co_i32 s10, s10, 4
	v_add_nc_u32_e32 v33, 0x2090, v175
	s_wait_alu 0xfffe
	s_cmp_lt_u32 s10, 28
	s_wait_dscnt 0x3
	v_mul_f32_e32 v202, v20, v25
	s_wait_dscnt 0x1
	v_dual_mul_f32 v199, v20, v24 :: v_dual_mul_f32 v198, v23, v21
	v_mul_f32_e32 v201, v20, v23
	s_wait_dscnt 0x0
	v_dual_mul_f32 v200, v20, v22 :: v_dual_mul_f32 v197, v25, v21
	v_mul_f32_e32 v205, v24, v21
	v_mul_f32_e32 v195, v22, v21
	ds_load_2addr_b32 v[20:21], v172 offset0:64 offset1:96
	v_add_nc_u32_e32 v38, 0x2098, v175
	v_add_nc_u32_e32 v40, 0x404, v174
	s_wait_dscnt 0x0
	v_mul_f32_e32 v196, v25, v20
	v_mul_f32_e32 v194, v24, v20
	;; [unrolled: 1-line block ×3, first 2 shown]
	v_dual_mul_f32 v192, v22, v20 :: v_dual_mul_f32 v191, v25, v21
	v_mul_f32_e32 v190, v24, v21
	v_mul_f32_e32 v189, v23, v21
	v_mul_f32_e32 v187, v22, v21
	ds_load_2addr_b32 v[20:21], v172 offset0:128 offset1:160
	v_add_nc_u32_e32 v41, 0x414, v174
	v_add_nc_u32_e32 v52, 0x80c, v174
	s_wait_dscnt 0x0
	v_mul_f32_e32 v188, v25, v20
	v_mul_f32_e32 v186, v24, v20
	;; [unrolled: 1-line block ×3, first 2 shown]
	v_dual_mul_f32 v184, v22, v20 :: v_dual_mul_f32 v183, v25, v21
	v_mul_f32_e32 v182, v24, v21
	v_mul_f32_e32 v181, v23, v21
	;; [unrolled: 1-line block ×3, first 2 shown]
	ds_load_2addr_b32 v[20:21], v172 offset0:192 offset1:224
	v_add_nc_u32_e32 v172, 4, v172
	s_wait_dscnt 0x0
	v_mul_f32_e32 v180, v25, v20
	v_dual_mul_f32 v203, v25, v21 :: v_dual_mul_f32 v210, v22, v20
	v_mul_f32_e32 v204, v24, v20
	v_dual_mul_f32 v207, v24, v21 :: v_dual_mul_f32 v208, v23, v20
	v_mul_f32_e32 v206, v23, v21
	v_mul_f32_e32 v209, v22, v21
	ds_load_2addr_b32 v[28:29], v174 offset1:7
	ds_load_2addr_b32 v[26:27], v175 offset1:1
	ds_load_2addr_b32 v[20:21], v175 offset0:2 offset1:3
	ds_load_2addr_b32 v[22:23], v175 offset0:4 offset1:5
	;; [unrolled: 1-line block ×3, first 2 shown]
	s_wait_dscnt 0x4
	v_lshlrev_b32_e32 v224, 8, v29
	s_wait_dscnt 0x3
	v_perm_b32 v0, v28, v27, 0xc0c0703
	s_wait_dscnt 0x2
	v_perm_b32 v17, v21, v20, 0x7030c0c
	v_lshlrev_b32_e32 v226, 16, v29
	s_wait_dscnt 0x0
	v_perm_b32 v31, v25, v24, 0x7030c0c
	s_delay_alu instid0(VALU_DEP_3)
	v_or_b32_e32 v30, v17, v0
	v_add_nc_u32_e32 v0, 0x1c14, v174
	ds_load_2addr_b32 v[42:43], v0 offset1:1
	ds_load_2addr_b32 v[36:37], v174 offset0:3 offset1:4
	ds_load_2addr_b32 v[46:47], v174 offset0:5 offset1:6
	;; [unrolled: 1-line block ×3, first 2 shown]
	s_wait_dscnt 0x2
	v_perm_b32 v0, v26, v37, 0xc0c0703
	v_perm_b32 v32, v29, v36, 0x7030c0c
	s_wait_dscnt 0x0
	v_perm_b32 v17, v46, v48, 0x7030c0c
	v_lshlrev_b32_e32 v98, 8, v48
	v_lshlrev_b32_e32 v99, 8, v46
	;; [unrolled: 1-line block ×4, first 2 shown]
	v_or_b32_e32 v0, v17, v0
	v_perm_b32 v17, v23, v22, 0xc0c0703
	v_lshlrev_b32_e32 v230, 8, v47
	v_perm_b32 v61, v26, v107, 0xc0c0603
	v_lshlrev_b32_e32 v128, 16, v48
	v_dot4_i32_iu8 v0, v0, v30, 0 neg_lo:[1,1,0]
	v_or_b32_e32 v17, v31, v17
	v_perm_b32 v31, v47, v49, 0xc0c0703
	v_lshlrev_b32_e32 v139, 16, v46
	v_lshlrev_b32_e32 v140, 16, v37
	;; [unrolled: 1-line block ×4, first 2 shown]
	v_or_b32_e32 v31, v32, v31
	v_add_nc_u32_e32 v32, 0x2088, v175
	v_lshlrev_b32_e32 v227, 16, v36
	v_perm_b32 v107, v37, v107, 0x7030c0c
	s_delay_alu instid0(VALU_DEP_4)
	v_dot4_i32_iu8 v211, v31, v17, v0 neg_lo:[1,1,0]
	v_add_nc_u32_e32 v0, 0x2080, v175
	v_add_nc_u32_e32 v17, 0x400, v174
	ds_load_2addr_b32 v[34:35], v0 offset1:1
	ds_load_2addr_b32 v[30:31], v17 offset1:7
	;; [unrolled: 1-line block ×5, first 2 shown]
	v_lshlrev_b32_e32 v225, 8, v36
	s_delay_alu instid0(VALU_DEP_1)
	v_perm_b32 v62, v224, v225, 0x7030c0c
	s_wait_dscnt 0x4
	v_bfe_i32 v0, v34, 16, 8
	s_wait_dscnt 0x3
	v_bfe_i32 v17, v30, 16, 8
	v_bfe_i32 v38, v30, 0, 8
	v_lshrrev_b16 v39, 8, v30
	s_delay_alu instid0(VALU_DEP_3) | instskip(SKIP_1) | instid1(VALU_DEP_3)
	v_mul_i32_i24_e32 v0, v17, v0
	v_bfe_i32 v17, v34, 0, 8
	v_bfe_i32 v39, v39, 0, 8
	s_delay_alu instid0(VALU_DEP_2) | instskip(SKIP_2) | instid1(VALU_DEP_1)
	v_mad_i32_i24 v0, v38, v17, v0
	v_ashrrev_i32_e32 v17, 24, v34
	v_ashrrev_i32_e32 v38, 24, v30
	v_mul_i32_i24_e32 v17, v38, v17
	v_lshrrev_b16 v38, 8, v34
	s_delay_alu instid0(VALU_DEP_1) | instskip(NEXT) | instid1(VALU_DEP_1)
	v_bfe_i32 v38, v38, 0, 8
	v_mad_i32_i24 v17, v39, v38, v17
	v_add_nc_u32_e32 v38, 0x40c, v174
	ds_load_2addr_b32 v[38:39], v38 offset1:1
	ds_load_2addr_b32 v[54:55], v40 offset1:1
	;; [unrolled: 1-line block ×4, first 2 shown]
	v_bfe_i32 v52, v35, 8, 8
	s_wait_dscnt 0x3
	v_bfe_i32 v53, v39, 8, 8
	v_ashrrev_i32_e32 v56, 24, v39
	s_wait_dscnt 0x2
	v_bfe_i32 v57, v54, 16, 8
	s_wait_dscnt 0x1
	v_bfe_i32 v58, v51, 0, 8
	v_bfe_i32 v59, v38, 0, 8
	v_mul_i32_i24_e32 v52, v53, v52
	v_ashrrev_i32_e32 v53, 24, v35
	v_bfe_i32 v60, v38, 16, 8
	s_delay_alu instid0(VALU_DEP_2) | instskip(SKIP_3) | instid1(VALU_DEP_2)
	v_mad_i32_i24 v212, v56, v53, v52
	v_bfe_i32 v52, v64, 8, 8
	v_bfe_i32 v53, v54, 8, 8
	;; [unrolled: 1-line block ×3, first 2 shown]
	v_mul_i32_i24_e32 v52, v53, v52
	v_bfe_i32 v53, v64, 0, 8
	s_delay_alu instid0(VALU_DEP_1) | instskip(SKIP_2) | instid1(VALU_DEP_1)
	v_mad_i32_i24 v52, v56, v53, v52
	v_ashrrev_i32_e32 v53, 24, v65
	v_ashrrev_i32_e32 v56, 24, v50
	v_mul_i32_i24_e32 v53, v56, v53
	v_bfe_i32 v56, v64, 16, 8
	s_delay_alu instid0(VALU_DEP_1) | instskip(SKIP_3) | instid1(VALU_DEP_2)
	v_mad_i32_i24 v213, v57, v56, v53
	v_bfe_i32 v53, v65, 8, 8
	v_bfe_i32 v56, v50, 8, 8
	;; [unrolled: 1-line block ×3, first 2 shown]
	v_mul_i32_i24_e32 v53, v56, v53
	v_bfe_i32 v56, v65, 0, 8
	s_delay_alu instid0(VALU_DEP_1) | instskip(SKIP_3) | instid1(VALU_DEP_2)
	v_mad_i32_i24 v214, v57, v56, v53
	v_bfe_i32 v53, v44, 8, 8
	v_bfe_i32 v56, v55, 8, 8
	;; [unrolled: 1-line block ×3, first 2 shown]
	v_mul_i32_i24_e32 v53, v56, v53
	v_bfe_i32 v56, v44, 0, 8
	s_delay_alu instid0(VALU_DEP_1) | instskip(SKIP_2) | instid1(VALU_DEP_1)
	v_mad_i32_i24 v53, v57, v56, v53
	v_bfe_i32 v56, v45, 8, 8
	v_bfe_i32 v57, v51, 8, 8
	v_mul_i32_i24_e32 v56, v57, v56
	v_bfe_i32 v57, v45, 0, 8
	s_delay_alu instid0(VALU_DEP_1) | instskip(SKIP_2) | instid1(VALU_DEP_1)
	v_mad_i32_i24 v56, v58, v57, v56
	v_bfe_i32 v57, v32, 8, 8
	v_bfe_i32 v58, v38, 8, 8
	v_mul_i32_i24_e32 v57, v58, v57
	v_bfe_i32 v58, v32, 0, 8
	s_delay_alu instid0(VALU_DEP_1) | instskip(SKIP_2) | instid1(VALU_DEP_1)
	v_mad_i32_i24 v57, v59, v58, v57
	v_ashrrev_i32_e32 v58, 24, v33
	v_ashrrev_i32_e32 v59, 24, v31
	v_mul_i32_i24_e32 v58, v59, v58
	v_bfe_i32 v59, v32, 16, 8
	s_delay_alu instid0(VALU_DEP_1) | instskip(SKIP_3) | instid1(VALU_DEP_2)
	v_mad_i32_i24 v215, v60, v59, v58
	v_bfe_i32 v58, v33, 8, 8
	v_bfe_i32 v59, v31, 8, 8
	;; [unrolled: 1-line block ×3, first 2 shown]
	v_mul_i32_i24_e32 v58, v59, v58
	v_bfe_i32 v59, v33, 0, 8
	s_delay_alu instid0(VALU_DEP_1) | instskip(SKIP_3) | instid1(VALU_DEP_2)
	v_mad_i32_i24 v216, v60, v59, v58
	v_perm_b32 v58, v28, v27, 0xc0c0602
	v_perm_b32 v59, v21, v20, 0x6020c0c
	;; [unrolled: 1-line block ×3, first 2 shown]
	v_or_b32_e32 v58, v59, v58
	v_perm_b32 v59, v23, v22, 0xc0c0602
	s_delay_alu instid0(VALU_DEP_1) | instskip(SKIP_1) | instid1(VALU_DEP_1)
	v_or_b32_e32 v59, v60, v59
	v_perm_b32 v60, v99, v98, 0x7030c0c
	v_or_b32_e32 v60, v60, v61
	v_perm_b32 v61, v230, v231, 0xc0c0703
	s_delay_alu instid0(VALU_DEP_2) | instskip(NEXT) | instid1(VALU_DEP_2)
	v_dot4_i32_iu8 v58, v60, v58, 0 neg_lo:[1,1,0]
	v_or_b32_e32 v61, v62, v61
	v_perm_b32 v60, v25, v24, 0x5010c0c
	v_perm_b32 v62, v226, v227, 0x7030c0c
	s_delay_alu instid0(VALU_DEP_3) | instskip(SKIP_3) | instid1(VALU_DEP_2)
	v_dot4_i32_iu8 v217, v61, v59, v58 neg_lo:[1,1,0]
	v_perm_b32 v58, v28, v27, 0xc0c0501
	v_perm_b32 v59, v21, v20, 0x5010c0c
	v_perm_b32 v61, v26, v140, 0xc0c0503
	v_or_b32_e32 v58, v59, v58
	v_perm_b32 v59, v23, v22, 0xc0c0501
	s_delay_alu instid0(VALU_DEP_1) | instskip(SKIP_1) | instid1(VALU_DEP_1)
	v_or_b32_e32 v59, v60, v59
	v_perm_b32 v60, v139, v128, 0x7030c0c
	v_or_b32_e32 v60, v60, v61
	v_perm_b32 v61, v228, v229, 0xc0c0703
	s_delay_alu instid0(VALU_DEP_2) | instskip(NEXT) | instid1(VALU_DEP_2)
	v_dot4_i32_iu8 v58, v60, v58, 0 neg_lo:[1,1,0]
	v_or_b32_e32 v61, v62, v61
	v_add_nc_u32_e32 v60, 0x1014, v174
	s_delay_alu instid0(VALU_DEP_2) | instskip(SKIP_3) | instid1(VALU_DEP_2)
	v_dot4_i32_iu8 v218, v61, v59, v58 neg_lo:[1,1,0]
	v_bfe_i32 v58, v39, 0, 8
	v_bfe_i32 v59, v35, 0, 8
	v_add_nc_u32_e32 v61, 0x1414, v174
	v_mul_i32_i24_e32 v58, v58, v59
	v_add_nc_u32_e32 v59, 0xc14, v174
	s_delay_alu instid0(VALU_DEP_2) | instskip(SKIP_3) | instid1(VALU_DEP_2)
	v_add3_u32 v219, v0, v17, v58
	v_bfe_i32 v0, v39, 16, 8
	v_bfe_i32 v17, v35, 16, 8
	v_ashrrev_i32_e32 v58, 24, v64
	v_mul_i32_i24_e32 v0, v0, v17
	v_ashrrev_i32_e32 v17, 24, v54
	s_delay_alu instid0(VALU_DEP_1) | instskip(SKIP_1) | instid1(VALU_DEP_2)
	v_mul_i32_i24_e32 v17, v17, v58
	v_add_nc_u32_e32 v58, 0x1004, v174
	v_add3_u32 v220, v0, v17, v52
	v_bfe_i32 v0, v50, 16, 8
	v_bfe_i32 v17, v65, 16, 8
	v_ashrrev_i32_e32 v52, 24, v44
	s_delay_alu instid0(VALU_DEP_2) | instskip(SKIP_1) | instid1(VALU_DEP_1)
	v_mul_i32_i24_e32 v0, v0, v17
	v_ashrrev_i32_e32 v17, 24, v55
	v_mul_i32_i24_e32 v17, v17, v52
	v_ashrrev_i32_e32 v52, 24, v45
	s_delay_alu instid0(VALU_DEP_2) | instskip(SKIP_4) | instid1(VALU_DEP_2)
	v_add3_u32 v221, v0, v17, v53
	v_bfe_i32 v0, v55, 16, 8
	v_bfe_i32 v17, v44, 16, 8
	s_wait_dscnt 0x0
	v_lshlrev_b32_e32 v53, 8, v41
	v_mul_i32_i24_e32 v0, v0, v17
	v_ashrrev_i32_e32 v17, 24, v51
	s_delay_alu instid0(VALU_DEP_1) | instskip(SKIP_1) | instid1(VALU_DEP_2)
	v_mul_i32_i24_e32 v17, v17, v52
	v_ashrrev_i32_e32 v52, 24, v32
	v_add3_u32 v222, v0, v17, v56
	v_bfe_i32 v0, v51, 16, 8
	v_bfe_i32 v17, v45, 16, 8
	v_add_nc_u32_e32 v56, 0x814, v174
	s_delay_alu instid0(VALU_DEP_2) | instskip(SKIP_1) | instid1(VALU_DEP_1)
	v_mul_i32_i24_e32 v0, v0, v17
	v_ashrrev_i32_e32 v17, 24, v38
	v_mul_i32_i24_e32 v17, v17, v52
	v_lshlrev_b32_e32 v52, 8, v54
	s_delay_alu instid0(VALU_DEP_2) | instskip(SKIP_3) | instid1(VALU_DEP_2)
	v_add3_u32 v223, v0, v17, v57
	v_lshlrev_b32_e32 v0, 16, v39
	v_lshlrev_b32_e32 v17, 8, v39
	v_perm_b32 v39, v39, v39, 0xc0c0003
	v_perm_b32 v0, v17, v0, 0x7030c0c
	v_lshlrev_b32_e32 v17, 16, v54
	s_delay_alu instid0(VALU_DEP_2) | instskip(NEXT) | instid1(VALU_DEP_2)
	v_or_b32_e32 v0, v0, v39
	v_perm_b32 v17, v52, v17, 0x7030c0c
	v_lshlrev_b32_e32 v52, 16, v41
	v_perm_b32 v39, v54, v54, 0xc0c0003
	s_delay_alu instid0(VALU_DEP_2)
	v_perm_b32 v141, v53, v52, 0x7030c0c
	v_add_nc_u32_e32 v52, 0x804, v174
	v_add_nc_u32_e32 v53, 0xc04, v174
	ds_load_2addr_b32 v[78:79], v52 offset1:1
	ds_load_2addr_b32 v[76:77], v53 offset1:1
	;; [unrolled: 1-line block ×3, first 2 shown]
	v_or_b32_e32 v17, v17, v39
	v_perm_b32 v39, v41, v41, 0xc0c0003
	s_delay_alu instid0(VALU_DEP_1) | instskip(SKIP_4) | instid1(VALU_DEP_2)
	v_or_b32_e32 v39, v141, v39
	s_wait_dscnt 0x2
	v_lshlrev_b32_e32 v52, 16, v78
	v_lshlrev_b32_e32 v53, 8, v78
	v_perm_b32 v41, v78, v78, 0xc0c0003
	v_perm_b32 v142, v53, v52, 0x7030c0c
	v_add_nc_u32_e32 v52, 0xc0c, v174
	s_delay_alu instid0(VALU_DEP_2)
	v_or_b32_e32 v41, v142, v41
	ds_load_2addr_b32 v[52:53], v52 offset1:1
	s_wait_dscnt 0x0
	v_lshlrev_b32_e32 v56, 16, v53
	v_lshlrev_b32_e32 v57, 8, v53
	v_perm_b32 v53, v53, v53, 0xc0c0003
	s_delay_alu instid0(VALU_DEP_2) | instskip(SKIP_2) | instid1(VALU_DEP_3)
	v_perm_b32 v143, v57, v56, 0x7030c0c
	v_lshlrev_b32_e32 v56, 16, v76
	v_lshlrev_b32_e32 v57, 8, v76
	v_or_b32_e32 v78, v143, v53
	v_perm_b32 v53, v76, v76, 0xc0c0003
	s_delay_alu instid0(VALU_DEP_3)
	v_perm_b32 v144, v57, v56, 0x7030c0c
	v_add_nc_u32_e32 v56, 0x100c, v174
	ds_load_2addr_b32 v[56:57], v56 offset1:1
	ds_load_2addr_b32 v[232:233], v58 offset1:1
	;; [unrolled: 1-line block ×4, first 2 shown]
	v_add_nc_u32_e32 v60, 0x1404, v174
	v_or_b32_e32 v76, v144, v53
	s_wait_dscnt 0x3
	v_lshlrev_b32_e32 v58, 16, v57
	v_lshlrev_b32_e32 v59, 8, v57
	v_perm_b32 v53, v57, v57, 0xc0c0003
	s_delay_alu instid0(VALU_DEP_2) | instskip(SKIP_3) | instid1(VALU_DEP_3)
	v_perm_b32 v145, v59, v58, 0x7030c0c
	s_wait_dscnt 0x2
	v_lshlrev_b32_e32 v58, 16, v232
	v_lshlrev_b32_e32 v59, 8, v232
	v_or_b32_e32 v57, v145, v53
	v_perm_b32 v53, v232, v232, 0xc0c0003
	s_delay_alu instid0(VALU_DEP_3)
	v_perm_b32 v146, v59, v58, 0x7030c0c
	v_add_nc_u32_e32 v58, 0x140c, v174
	ds_load_2addr_b32 v[58:59], v58 offset1:1
	ds_load_2addr_b32 v[234:235], v60 offset1:1
	ds_load_2addr_b32 v[72:73], v61 offset1:1
	v_or_b32_e32 v141, v146, v53
	v_add_nc_u32_e32 v145, 0x6180, v175
	v_add_nc_u32_e32 v146, 0x4108, v175
	s_wait_dscnt 0x2
	v_lshlrev_b32_e32 v60, 16, v59
	v_lshlrev_b32_e32 v61, 8, v59
	v_perm_b32 v53, v59, v59, 0xc0c0003
	s_delay_alu instid0(VALU_DEP_2) | instskip(SKIP_3) | instid1(VALU_DEP_3)
	v_perm_b32 v147, v61, v60, 0x7030c0c
	s_wait_dscnt 0x1
	v_lshlrev_b32_e32 v60, 16, v234
	v_lshlrev_b32_e32 v61, 8, v234
	v_or_b32_e32 v59, v147, v53
	v_perm_b32 v53, v234, v234, 0xc0c0003
	s_delay_alu instid0(VALU_DEP_3) | instskip(SKIP_2) | instid1(VALU_DEP_3)
	v_perm_b32 v148, v61, v60, 0x7030c0c
	v_add_nc_u32_e32 v60, 0x180c, v174
	v_add_nc_u32_e32 v147, 0x6188, v175
	v_or_b32_e32 v142, v148, v53
	ds_load_2addr_b32 v[60:61], v60 offset1:1
	v_add_nc_u32_e32 v148, 0x4110, v175
	s_wait_dscnt 0x0
	v_lshlrev_b32_e32 v62, 16, v61
	v_lshlrev_b32_e32 v63, 8, v61
	v_perm_b32 v53, v61, v61, 0xc0c0003
	s_delay_alu instid0(VALU_DEP_2)
	v_perm_b32 v149, v63, v62, 0x7030c0c
	v_add_nc_u32_e32 v62, 0x1804, v174
	v_add_nc_u32_e32 v63, 0x1c04, v174
	ds_load_2addr_b32 v[236:237], v62 offset1:1
	ds_load_2addr_b32 v[238:239], v63 offset1:1
	;; [unrolled: 1-line block ×3, first 2 shown]
	v_or_b32_e32 v61, v149, v53
	v_add_nc_u32_e32 v149, 0x6190, v175
	s_wait_dscnt 0x2
	v_lshlrev_b32_e32 v62, 16, v236
	v_lshlrev_b32_e32 v63, 8, v236
	v_perm_b32 v53, v236, v236, 0xc0c0003
	s_wait_dscnt 0x1
	v_lshlrev_b32_e32 v153, 8, v238
	s_delay_alu instid0(VALU_DEP_3) | instskip(SKIP_1) | instid1(VALU_DEP_2)
	v_perm_b32 v150, v63, v62, 0x7030c0c
	v_add_nc_u32_e32 v62, 0x1c0c, v174
	v_or_b32_e32 v143, v150, v53
	ds_load_2addr_b32 v[62:63], v62 offset1:1
	v_add_nc_u32_e32 v150, 0x4118, v175
	s_wait_dscnt 0x0
	v_lshlrev_b32_e32 v151, 16, v63
	v_lshlrev_b32_e32 v152, 8, v63
	v_perm_b32 v53, v63, v63, 0xc0c0003
	s_delay_alu instid0(VALU_DEP_2) | instskip(SKIP_1) | instid1(VALU_DEP_2)
	v_perm_b32 v151, v152, v151, 0x7030c0c
	v_lshlrev_b32_e32 v152, 16, v238
	v_or_b32_e32 v63, v151, v53
	s_delay_alu instid0(VALU_DEP_2) | instskip(SKIP_2) | instid1(VALU_DEP_2)
	v_perm_b32 v152, v153, v152, 0x7030c0c
	v_perm_b32 v53, v238, v238, 0xc0c0003
	v_add_nc_u32_e32 v151, 0x6198, v175
	v_or_b32_e32 v144, v152, v53
	v_add_nc_u32_e32 v53, 0x4100, v175
	ds_load_2addr_b32 v[53:54], v53 offset1:1
	ds_load_2addr_b32 v[240:241], v145 offset1:1
	;; [unrolled: 1-line block ×8, first 2 shown]
	v_perm_b32 v145, v27, v27, 0x2010003
	v_perm_b32 v150, v35, v35, 0x2010003
	;; [unrolled: 1-line block ×3, first 2 shown]
	v_add_nc_u32_e32 v175, 32, v175
	s_delay_alu instid0(VALU_DEP_4)
	v_dot4_i32_iu8 v148, v0, v145, 0 neg_lo:[1,1,0]
	v_dot4_i32_iu8 v151, v39, v145, 0 neg_lo:[1,1,0]
	;; [unrolled: 1-line block ×7, first 2 shown]
	s_wait_dscnt 0x7
	v_perm_b32 v146, v54, v54, 0x2010003
	s_wait_dscnt 0x6
	v_perm_b32 v147, v241, v241, 0x2010003
	v_dot4_i32_iu8 v160, v59, v145, 0 neg_lo:[1,1,0]
	v_dot4_i32_iu8 v165, v59, v150, 0 neg_lo:[1,1,0]
	;; [unrolled: 1-line block ×20, first 2 shown]
	v_perm_b32 v147, v20, v20, 0x2010003
	s_wait_dscnt 0x5
	v_perm_b32 v236, v242, v242, 0x2010003
	s_wait_dscnt 0x2
	v_perm_b32 v238, v248, v248, 0x2010003
	v_perm_b32 v20, v21, v20, 0x4000c0c
	v_dot4_i32_iu8 v148, v17, v147, v148 neg_lo:[1,1,0]
	v_dot4_i32_iu8 v149, v17, v236, v149 neg_lo:[1,1,0]
	s_delay_alu instid0(VALU_DEP_4)
	v_dot4_i32_iu8 v0, v17, v238, v0 neg_lo:[1,1,0]
	v_dot4_i32_iu8 v17, v41, v147, v151 neg_lo:[1,1,0]
	v_perm_b32 v151, v64, v64, 0x2010003
	v_dot4_i32_iu8 v153, v41, v236, v153 neg_lo:[1,1,0]
	v_dot4_i32_iu8 v39, v41, v238, v39 neg_lo:[1,1,0]
	;; [unrolled: 1-line block ×23, first 2 shown]
	v_lshlrev_b32_e32 v144, 24, v37
	v_lshlrev_b32_e32 v147, 8, v72
	;; [unrolled: 1-line block ×4, first 2 shown]
	v_or_b32_e32 v20, v20, v27
	v_perm_b32 v37, v140, v144, 0xc0c0703
	v_dot4_i32_iu8 v140, v34, v28, 0 neg_lo:[1,1,0]
	s_delay_alu instid0(VALU_DEP_2)
	v_or_b32_e32 v37, v107, v37
	v_lshlrev_b32_e32 v107, 24, v48
	v_perm_b32 v48, v48, v98, 0x7030c0c
	v_lshlrev_b32_e32 v98, 24, v46
	v_perm_b32 v46, v46, v99, 0x7030c0c
	v_dot4_i32_iu8 v99, v28, v53, 0 neg_lo:[1,1,0]
	v_perm_b32 v128, v128, v107, 0xc0c0703
	v_dot4_i32_iu8 v35, v37, v35, v140 neg_lo:[1,1,0]
	v_lshlrev_b32_e32 v140, 8, v68
	s_delay_alu instid0(VALU_DEP_4) | instskip(NEXT) | instid1(VALU_DEP_4)
	v_dot4_i32_iu8 v54, v37, v54, v99 neg_lo:[1,1,0]
	v_or_b32_e32 v48, v48, v128
	v_perm_b32 v128, v139, v98, 0xc0c0703
	v_perm_b32 v99, v243, v243, 0x2010003
	;; [unrolled: 1-line block ×3, first 2 shown]
	s_delay_alu instid0(VALU_DEP_4) | instskip(NEXT) | instid1(VALU_DEP_4)
	v_dot4_i32_iu8 v54, v48, v242, v54 neg_lo:[1,1,0]
	v_or_b32_e32 v46, v46, v128
	v_dot4_i32_iu8 v128, v28, v240, 0 neg_lo:[1,1,0]
	v_dot4_i32_iu8 v35, v48, v64, v35 neg_lo:[1,1,0]
	v_lshlrev_b32_e32 v64, 8, v66
	v_perm_b32 v28, v26, v144, 0xc0c0403
	v_dot4_i32_iu8 v54, v46, v243, v54 neg_lo:[1,1,0]
	v_dot4_i32_iu8 v128, v37, v241, v128 neg_lo:[1,1,0]
	;; [unrolled: 1-line block ×3, first 2 shown]
	v_perm_b32 v37, v65, v65, 0x2010003
	v_lshlrev_b32_e32 v65, 8, v70
	s_delay_alu instid0(VALU_DEP_4) | instskip(SKIP_1) | instid1(VALU_DEP_2)
	v_dot4_i32_iu8 v128, v48, v248, v128 neg_lo:[1,1,0]
	v_lshlrev_b32_e32 v48, 8, v50
	v_dot4_i32_iu8 v128, v46, v249, v128 neg_lo:[1,1,0]
	v_lshlrev_b32_e32 v46, 16, v50
	v_perm_b32 v50, v50, v50, 0xc0c0003
	s_delay_alu instid0(VALU_DEP_2) | instskip(SKIP_1) | instid1(VALU_DEP_2)
	v_perm_b32 v46, v48, v46, 0x7030c0c
	v_lshlrev_b32_e32 v48, 16, v66
	v_or_b32_e32 v46, v46, v50
	s_delay_alu instid0(VALU_DEP_2) | instskip(SKIP_4) | instid1(VALU_DEP_4)
	v_perm_b32 v48, v64, v48, 0x7030c0c
	v_lshlrev_b32_e32 v64, 16, v70
	v_perm_b32 v50, v66, v66, 0xc0c0003
	v_perm_b32 v66, v74, v74, 0xc0c0003
	v_dot4_i32_iu8 v0, v46, v139, v0 neg_lo:[1,1,0]
	v_perm_b32 v64, v65, v64, 0x7030c0c
	v_lshlrev_b32_e32 v65, 16, v68
	v_or_b32_e32 v48, v48, v50
	v_perm_b32 v50, v70, v70, 0xc0c0003
	s_delay_alu instid0(VALU_DEP_3) | instskip(SKIP_1) | instid1(VALU_DEP_3)
	v_perm_b32 v65, v140, v65, 0x7030c0c
	v_lshlrev_b32_e32 v140, 16, v72
	v_or_b32_e32 v50, v64, v50
	v_perm_b32 v64, v68, v68, 0xc0c0003
	v_perm_b32 v68, v21, v21, 0x2010003
	v_dot4_i32_iu8 v39, v48, v139, v39 neg_lo:[1,1,0]
	v_perm_b32 v140, v147, v140, 0x7030c0c
	v_lshlrev_b32_e32 v147, 16, v74
	v_or_b32_e32 v64, v65, v64
	v_perm_b32 v65, v72, v72, 0xc0c0003
	v_dot4_i32_iu8 v70, v46, v68, v148 neg_lo:[1,1,0]
	v_dot4_i32_iu8 v72, v46, v99, v149 neg_lo:[1,1,0]
	v_perm_b32 v147, v150, v147, 0x7030c0c
	v_lshlrev_b32_e32 v150, 16, v42
	v_perm_b32 v42, v42, v42, 0xc0c0003
	v_or_b32_e32 v65, v140, v65
	v_dot4_i32_iu8 v17, v48, v68, v17 neg_lo:[1,1,0]
	v_or_b32_e32 v66, v147, v66
	v_perm_b32 v150, v151, v150, 0x7030c0c
	v_dot4_i32_iu8 v46, v48, v37, v152 neg_lo:[1,1,0]
	v_dot4_i32_iu8 v74, v48, v99, v153 neg_lo:[1,1,0]
	;; [unrolled: 1-line block ×4, first 2 shown]
	v_or_b32_e32 v42, v150, v42
	v_dot4_i32_iu8 v140, v50, v99, v155 neg_lo:[1,1,0]
	v_dot4_i32_iu8 v50, v50, v139, v76 neg_lo:[1,1,0]
	;; [unrolled: 1-line block ×18, first 2 shown]
	v_lshlrev_b32_e32 v63, 16, v55
	v_lshlrev_b32_e32 v99, 8, v55
	;; [unrolled: 1-line block ×14, first 2 shown]
	v_perm_b32 v55, v55, v55, 0xc0c0003
	v_perm_b32 v79, v79, v79, 0xc0c0003
	;; [unrolled: 1-line block ×14, first 2 shown]
	v_or_b32_e32 v55, v63, v55
	v_or_b32_e32 v63, v99, v79
	;; [unrolled: 1-line block ×7, first 2 shown]
	v_perm_b32 v145, v22, v22, 0x2010003
	v_perm_b32 v146, v244, v244, 0x2010003
	s_wait_dscnt 0x1
	v_perm_b32 v150, v250, v250, 0x2010003
	v_lshlrev_b32_e32 v151, 16, v73
	v_lshlrev_b32_e32 v152, 8, v73
	v_dot4_i32_iu8 v70, v55, v145, v70 neg_lo:[1,1,0]
	v_dot4_i32_iu8 v72, v55, v146, v72 neg_lo:[1,1,0]
	;; [unrolled: 1-line block ×3, first 2 shown]
	v_perm_b32 v55, v44, v44, 0x2010003
	v_dot4_i32_iu8 v17, v63, v145, v17 neg_lo:[1,1,0]
	v_dot4_i32_iu8 v74, v63, v146, v74 neg_lo:[1,1,0]
	;; [unrolled: 1-line block ×19, first 2 shown]
	v_perm_b32 v68, v49, v231, 0x7030c0c
	v_lshlrev_b32_e32 v49, 24, v49
	v_dot4_i32_iu8 v65, v139, v145, v65 neg_lo:[1,1,0]
	v_dot4_i32_iu8 v141, v139, v146, v149 neg_lo:[1,1,0]
	;; [unrolled: 1-line block ×3, first 2 shown]
	v_perm_b32 v139, v47, v230, 0x7030c0c
	v_lshlrev_b32_e32 v47, 24, v47
	v_perm_b32 v157, v229, v49, 0xc0c0703
	v_dot4_i32_iu8 v66, v143, v145, v66 neg_lo:[1,1,0]
	v_dot4_i32_iu8 v42, v143, v150, v42 neg_lo:[1,1,0]
	v_lshlrev_b32_e32 v142, 16, v51
	v_lshlrev_b32_e32 v143, 8, v51
	v_or_b32_e32 v68, v68, v157
	v_perm_b32 v157, v228, v47, 0xc0c0703
	v_lshlrev_b32_e32 v145, 16, v67
	v_lshlrev_b32_e32 v146, 8, v67
	;; [unrolled: 1-line block ×10, first 2 shown]
	v_or_b32_e32 v139, v139, v157
	v_dot4_i32_iu8 v54, v68, v244, v54 neg_lo:[1,1,0]
	v_dot4_i32_iu8 v128, v68, v250, v128 neg_lo:[1,1,0]
	;; [unrolled: 1-line block ×3, first 2 shown]
	v_perm_b32 v51, v51, v51, 0xc0c0003
	v_perm_b32 v67, v67, v67, 0xc0c0003
	;; [unrolled: 1-line block ×7, first 2 shown]
	v_dot4_i32_iu8 v54, v139, v245, v54 neg_lo:[1,1,0]
	v_dot4_i32_iu8 v128, v139, v251, v128 neg_lo:[1,1,0]
	;; [unrolled: 1-line block ×3, first 2 shown]
	v_perm_b32 v35, v45, v45, 0x2010003
	v_perm_b32 v44, v143, v142, 0x7030c0c
	;; [unrolled: 1-line block ×10, first 2 shown]
	v_or_b32_e32 v44, v44, v51
	v_or_b32_e32 v45, v45, v67
	;; [unrolled: 1-line block ×7, first 2 shown]
	v_perm_b32 v73, v23, v23, 0x2010003
	v_dot4_i32_iu8 v72, v44, v157, v72 neg_lo:[1,1,0]
	v_dot4_i32_iu8 v0, v44, v158, v0 neg_lo:[1,1,0]
	;; [unrolled: 1-line block ×27, first 2 shown]
	v_lshlrev_b32_e32 v43, 16, v38
	v_lshlrev_b32_e32 v55, 8, v38
	;; [unrolled: 1-line block ×10, first 2 shown]
	v_perm_b32 v38, v38, v38, 0xc0c0003
	v_perm_b32 v52, v52, v52, 0xc0c0003
	;; [unrolled: 1-line block ×3, first 2 shown]
	v_lshlrev_b32_e32 v139, 16, v58
	v_lshlrev_b32_e32 v140, 8, v58
	v_perm_b32 v60, v60, v60, 0xc0c0003
	v_lshlrev_b32_e32 v143, 16, v62
	v_lshlrev_b32_e32 v145, 8, v62
	v_perm_b32 v43, v55, v43, 0x7030c0c
	v_perm_b32 v55, v73, v71, 0x7030c0c
	;; [unrolled: 1-line block ×10, first 2 shown]
	v_or_b32_e32 v38, v43, v38
	v_or_b32_e32 v43, v71, v52
	;; [unrolled: 1-line block ×4, first 2 shown]
	v_perm_b32 v60, v24, v24, 0x2010003
	v_or_b32_e32 v40, v55, v40
	v_or_b32_e32 v55, v77, v58
	;; [unrolled: 1-line block ×3, first 2 shown]
	s_wait_dscnt 0x0
	v_perm_b32 v139, v253, v253, 0x2010003
	v_dot4_i32_iu8 v62, v38, v60, v70 neg_lo:[1,1,0]
	v_perm_b32 v70, v246, v246, 0x2010003
	v_dot4_i32_iu8 v17, v40, v60, v17 neg_lo:[1,1,0]
	v_dot4_i32_iu8 v79, v43, v60, v41 neg_lo:[1,1,0]
	;; [unrolled: 1-line block ×3, first 2 shown]
	v_perm_b32 v21, v23, v22, 0xc0c0400
	v_dot4_i32_iu8 v71, v38, v70, v72 neg_lo:[1,1,0]
	v_perm_b32 v72, v252, v252, 0x2010003
	v_dot4_i32_iu8 v77, v40, v70, v46 neg_lo:[1,1,0]
	v_dot4_i32_iu8 v48, v43, v70, v48 neg_lo:[1,1,0]
	;; [unrolled: 1-line block ×3, first 2 shown]
	v_perm_b32 v22, v25, v24, 0x4000c0c
	v_dot4_i32_iu8 v0, v38, v72, v0 neg_lo:[1,1,0]
	v_perm_b32 v38, v32, v32, 0x2010003
	v_dot4_i32_iu8 v78, v40, v72, v39 neg_lo:[1,1,0]
	v_dot4_i32_iu8 v50, v43, v72, v50 neg_lo:[1,1,0]
	v_perm_b32 v23, v98, v107, 0x7030c0c
	v_or_b32_e32 v21, v22, v21
	v_dot4_i32_iu8 v63, v52, v38, v63 neg_lo:[1,1,0]
	v_dot4_i32_iu8 v52, v52, v72, v57 neg_lo:[1,1,0]
	;; [unrolled: 1-line block ×11, first 2 shown]
	v_lshlrev_b32_e32 v70, 24, v36
	v_dot4_i32_iu8 v56, v56, v72, v61 neg_lo:[1,1,0]
	v_dot4_i32_iu8 v61, v58, v38, v35 neg_lo:[1,1,0]
	v_perm_b32 v35, v36, v225, 0x7030c0c
	v_lshlrev_b32_e32 v75, 24, v29
	v_perm_b32 v36, v227, v70, 0xc0c0703
	v_dot4_i32_iu8 v58, v58, v72, v42 neg_lo:[1,1,0]
	v_perm_b32 v29, v29, v224, 0x7030c0c
	v_dot4_i32_iu8 v73, v40, v38, v44 neg_lo:[1,1,0]
	v_dot4_i32_iu8 v99, v43, v38, v45 neg_lo:[1,1,0]
	v_or_b32_e32 v72, v35, v36
	v_perm_b32 v35, v226, v75, 0xc0c0703
	v_lshlrev_b32_e32 v36, 8, v31
	v_perm_b32 v76, v247, v247, 0x2010003
	v_perm_b32 v22, v47, v49, 0xc0c0703
	;; [unrolled: 1-line block ×3, first 2 shown]
	v_or_b32_e32 v29, v29, v35
	v_dot4_i32_iu8 v35, v72, v246, v54 neg_lo:[1,1,0]
	v_or_b32_e32 v23, v23, v28
	s_delay_alu instid0(VALU_DEP_4) | instskip(SKIP_1) | instid1(VALU_DEP_4)
	v_or_b32_e32 v22, v24, v22
	v_add_nc_u32_e32 v24, v218, v211
	v_dot4_i32_iu8 v54, v29, v247, v35 neg_lo:[1,1,0]
	v_dot4_i32_iu8 v35, v72, v252, v128 neg_lo:[1,1,0]
	;; [unrolled: 1-line block ×3, first 2 shown]
	s_delay_alu instid0(VALU_DEP_2) | instskip(SKIP_1) | instid1(VALU_DEP_3)
	v_dot4_i32_iu8 v128, v29, v253, v35 neg_lo:[1,1,0]
	v_lshlrev_b32_e32 v35, 16, v31
	v_dot4_i32_iu8 v20, v22, v21, v20 neg_lo:[1,1,0]
	v_add3_u32 v21, v219, v212, v220
	v_add3_u32 v22, v213, v214, v221
	s_delay_alu instid0(VALU_DEP_4) | instskip(SKIP_4) | instid1(VALU_DEP_1)
	v_perm_b32 v140, v36, v35, 0x7030c0c
	v_add_nc_u32_e32 v35, 0x800, v174
	v_add3_u32 v20, v20, v217, v24
	ds_load_2addr_b32 v[35:36], v35 offset1:7
	v_cvt_f32_i32_e32 v20, v20
	v_fmac_f32_e32 v100, v202, v20
	s_wait_dscnt 0x0
	v_lshlrev_b32_e32 v37, 16, v36
	v_lshlrev_b32_e32 v38, 8, v36
	v_perm_b32 v36, v36, v36, 0xc0c0003
	s_delay_alu instid0(VALU_DEP_2) | instskip(SKIP_1) | instid1(VALU_DEP_2)
	v_perm_b32 v141, v38, v37, 0x7030c0c
	v_add_nc_u32_e32 v37, 0xc00, v174
	v_or_b32_e32 v36, v141, v36
	ds_load_2addr_b32 v[37:38], v37 offset1:7
	v_perm_b32 v141, v25, v25, 0x2010003
	v_dot4_i32_iu8 v77, v36, v76, v77 neg_lo:[1,1,0]
	s_delay_alu instid0(VALU_DEP_2) | instskip(NEXT) | instid1(VALU_DEP_1)
	v_dot4_i32_iu8 v17, v36, v141, v17 neg_lo:[1,1,0]
	v_dot4_i32_iu8 v17, v26, v35, v17 neg_lo:[1,1,0]
	s_wait_dscnt 0x0
	v_lshlrev_b32_e32 v39, 16, v38
	v_lshlrev_b32_e32 v40, 8, v38
	v_perm_b32 v38, v38, v38, 0xc0c0003
	s_delay_alu instid0(VALU_DEP_2) | instskip(SKIP_1) | instid1(VALU_DEP_2)
	v_perm_b32 v142, v40, v39, 0x7030c0c
	v_add_nc_u32_e32 v39, 0x1000, v174
	v_or_b32_e32 v38, v142, v38
	ds_load_2addr_b32 v[39:40], v39 offset1:7
	v_dot4_i32_iu8 v48, v38, v76, v48 neg_lo:[1,1,0]
	s_delay_alu instid0(VALU_DEP_1) | instskip(SKIP_4) | instid1(VALU_DEP_2)
	v_dot4_i32_iu8 v48, v37, v53, v48 neg_lo:[1,1,0]
	s_wait_dscnt 0x0
	v_lshlrev_b32_e32 v41, 16, v40
	v_lshlrev_b32_e32 v42, 8, v40
	v_perm_b32 v40, v40, v40, 0xc0c0003
	v_perm_b32 v143, v42, v41, 0x7030c0c
	v_add_nc_u32_e32 v41, 0x1400, v174
	s_delay_alu instid0(VALU_DEP_2)
	v_or_b32_e32 v40, v143, v40
	ds_load_2addr_b32 v[41:42], v41 offset1:7
	s_wait_dscnt 0x0
	v_lshlrev_b32_e32 v43, 16, v42
	v_lshlrev_b32_e32 v44, 8, v42
	v_perm_b32 v42, v42, v42, 0xc0c0003
	s_delay_alu instid0(VALU_DEP_2) | instskip(SKIP_1) | instid1(VALU_DEP_2)
	v_perm_b32 v145, v44, v43, 0x7030c0c
	v_add_nc_u32_e32 v43, 0x1800, v174
	v_or_b32_e32 v42, v145, v42
	ds_load_2addr_b32 v[43:44], v43 offset1:7
	s_wait_dscnt 0x0
	v_lshlrev_b32_e32 v45, 16, v44
	v_lshlrev_b32_e32 v46, 8, v44
	v_perm_b32 v44, v44, v44, 0xc0c0003
	s_delay_alu instid0(VALU_DEP_2) | instskip(SKIP_2) | instid1(VALU_DEP_3)
	v_perm_b32 v146, v46, v45, 0x7030c0c
	v_add_nc_u32_e32 v45, 0x1c00, v174
	v_add_nc_u32_e32 v174, 32, v174
	v_or_b32_e32 v44, v146, v44
	ds_load_2addr_b32 v[45:46], v45 offset1:7
	s_wait_dscnt 0x0
	v_lshlrev_b32_e32 v147, 16, v46
	v_lshlrev_b32_e32 v148, 8, v46
	v_perm_b32 v46, v46, v46, 0xc0c0003
	s_delay_alu instid0(VALU_DEP_2) | instskip(SKIP_2) | instid1(VALU_DEP_3)
	v_perm_b32 v147, v148, v147, 0x7030c0c
	v_perm_b32 v148, v31, v31, 0xc0c0003
	v_bfe_i32 v31, v31, 16, 8
	v_or_b32_e32 v46, v147, v46
	s_delay_alu instid0(VALU_DEP_3) | instskip(NEXT) | instid1(VALU_DEP_1)
	v_or_b32_e32 v140, v140, v148
	v_dot4_i32_iu8 v0, v140, v139, v0 neg_lo:[1,1,0]
	v_dot4_i32_iu8 v62, v140, v141, v62 neg_lo:[1,1,0]
	;; [unrolled: 1-line block ×3, first 2 shown]
	v_perm_b32 v140, v33, v33, 0x2010003
	s_delay_alu instid0(VALU_DEP_4) | instskip(NEXT) | instid1(VALU_DEP_2)
	v_dot4_i32_iu8 v0, v30, v240, v0 neg_lo:[1,1,0]
	v_dot4_i32_iu8 v73, v36, v140, v73 neg_lo:[1,1,0]
	;; [unrolled: 1-line block ×3, first 2 shown]
	s_delay_alu instid0(VALU_DEP_3)
	v_cvt_f32_i32_e32 v0, v0
	v_dot4_i32_iu8 v78, v38, v141, v79 neg_lo:[1,1,0]
	v_dot4_i32_iu8 v79, v38, v140, v99 neg_lo:[1,1,0]
	;; [unrolled: 1-line block ×20, first 2 shown]
	v_fmac_f32_e32 v118, v195, v0
	v_cvt_f32_i32_e32 v0, v17
	v_dot4_i32_iu8 v66, v35, v53, v77 neg_lo:[1,1,0]
	v_dot4_i32_iu8 v35, v35, v240, v36 neg_lo:[1,1,0]
	v_dot4_i32_iu8 v36, v26, v37, v78 neg_lo:[1,1,0]
	v_dot4_i32_iu8 v67, v34, v37, v79 neg_lo:[1,1,0]
	v_fmac_f32_e32 v111, v196, v0
	v_cvt_f32_i32_e32 v0, v58
	v_dot4_i32_iu8 v37, v37, v240, v38 neg_lo:[1,1,0]
	v_dot4_i32_iu8 v38, v26, v39, v50 neg_lo:[1,1,0]
	v_dot4_i32_iu8 v50, v34, v39, v51 neg_lo:[1,1,0]
	v_dot4_i32_iu8 v51, v39, v53, v63 neg_lo:[1,1,0]
	v_fmac_f32_e32 v106, v194, v0
	v_cvt_f32_i32_e32 v0, v66
	v_dot4_i32_iu8 v39, v39, v240, v40 neg_lo:[1,1,0]
	v_dot4_i32_iu8 v40, v26, v41, v52 neg_lo:[1,1,0]
	v_dot4_i32_iu8 v52, v34, v41, v57 neg_lo:[1,1,0]
	v_dot4_i32_iu8 v57, v41, v53, v64 neg_lo:[1,1,0]
	v_fmac_f32_e32 v104, v193, v0
	v_cvt_f32_i32_e32 v0, v35
	v_dot4_i32_iu8 v41, v41, v240, v42 neg_lo:[1,1,0]
	v_dot4_i32_iu8 v42, v26, v43, v55 neg_lo:[1,1,0]
	v_dot4_i32_iu8 v55, v34, v43, v59 neg_lo:[1,1,0]
	v_dot4_i32_iu8 v59, v43, v53, v65 neg_lo:[1,1,0]
	v_fmac_f32_e32 v103, v192, v0
	v_cvt_f32_i32_e32 v0, v36
	v_dot4_i32_iu8 v43, v43, v240, v44 neg_lo:[1,1,0]
	v_dot4_i32_iu8 v44, v30, v26, v62 neg_lo:[1,1,0]
	v_dot4_i32_iu8 v26, v26, v45, v56 neg_lo:[1,1,0]
	v_dot4_i32_iu8 v56, v30, v53, v71 neg_lo:[1,1,0]
	v_fmac_f32_e32 v102, v191, v0
	v_cvt_f32_i32_e32 v0, v67
	v_dot4_i32_iu8 v30, v72, v32, v68 neg_lo:[1,1,0]
	v_dot4_i32_iu8 v34, v34, v45, v60 neg_lo:[1,1,0]
	v_dot4_i32_iu8 v53, v45, v53, v61 neg_lo:[1,1,0]
	v_dot4_i32_iu8 v45, v45, v240, v46 neg_lo:[1,1,0]
	v_fmac_f32_e32 v101, v190, v0
	v_cvt_f32_i32_e32 v0, v48
	v_dot4_i32_iu8 v29, v29, v33, v30 neg_lo:[1,1,0]
	v_bfe_i32 v30, v33, 16, 8
	v_cvt_f32_i32_e32 v17, v45
	s_delay_alu instid0(VALU_DEP_4) | instskip(SKIP_1) | instid1(VALU_DEP_4)
	v_fmac_f32_e32 v97, v189, v0
	v_cvt_f32_i32_e32 v0, v37
	v_mul_i32_i24_e32 v30, v31, v30
	s_delay_alu instid0(VALU_DEP_4) | instskip(NEXT) | instid1(VALU_DEP_3)
	v_fmac_f32_e32 v80, v209, v17
	v_fmac_f32_e32 v96, v187, v0
	v_cvt_f32_i32_e32 v0, v38
	s_delay_alu instid0(VALU_DEP_4) | instskip(NEXT) | instid1(VALU_DEP_2)
	v_add3_u32 v30, v215, v216, v30
	v_fmac_f32_e32 v95, v188, v0
	v_cvt_f32_i32_e32 v0, v50
	s_delay_alu instid0(VALU_DEP_3) | instskip(NEXT) | instid1(VALU_DEP_2)
	v_add3_u32 v23, v222, v223, v30
	v_fmac_f32_e32 v94, v186, v0
	v_cvt_f32_i32_e32 v0, v51
	s_delay_alu instid0(VALU_DEP_3) | instskip(NEXT) | instid1(VALU_DEP_2)
	;; [unrolled: 4-line block ×3, first 2 shown]
	v_cvt_f32_i32_e32 v20, v21
	v_fmac_f32_e32 v92, v184, v0
	v_cvt_f32_i32_e32 v0, v40
	s_delay_alu instid0(VALU_DEP_3) | instskip(SKIP_1) | instid1(VALU_DEP_3)
	v_fmac_f32_e32 v120, v205, v20
	v_cvt_f32_i32_e32 v20, v54
	v_fmac_f32_e32 v91, v183, v0
	v_cvt_f32_i32_e32 v0, v52
	s_delay_alu instid0(VALU_DEP_3) | instskip(SKIP_1) | instid1(VALU_DEP_3)
	v_fmac_f32_e32 v124, v201, v20
	;; [unrolled: 5-line block ×5, first 2 shown]
	v_cvt_f32_i32_e32 v20, v56
	v_fmac_f32_e32 v87, v180, v0
	v_cvt_f32_i32_e32 v0, v55
	s_delay_alu instid0(VALU_DEP_3) | instskip(NEXT) | instid1(VALU_DEP_2)
	v_fmac_f32_e32 v119, v198, v20
	v_fmac_f32_e32 v86, v204, v0
	v_cvt_f32_i32_e32 v0, v59
	s_delay_alu instid0(VALU_DEP_1) | instskip(SKIP_1) | instid1(VALU_DEP_1)
	v_fmac_f32_e32 v85, v208, v0
	v_cvt_f32_i32_e32 v0, v43
	v_fmac_f32_e32 v84, v210, v0
	v_cvt_f32_i32_e32 v0, v26
	s_delay_alu instid0(VALU_DEP_1) | instskip(SKIP_1) | instid1(VALU_DEP_1)
	v_fmac_f32_e32 v83, v203, v0
	v_cvt_f32_i32_e32 v0, v34
	v_fmac_f32_e32 v82, v207, v0
	v_cvt_f32_i32_e32 v0, v53
	s_delay_alu instid0(VALU_DEP_1)
	v_fmac_f32_e32 v81, v206, v0
	s_cbranch_scc1 .LBB162_11
; %bb.12:                               ;   in Loop: Header=BB162_6 Depth=1
	s_wait_loadcnt 0x0
	s_barrier_signal -1
	s_barrier_wait -1
	global_inv scope:SCOPE_SE
	s_branch .LBB162_5
.LBB162_13:
	s_clause 0x2
	scratch_load_b32 v1, off, off offset:120 th:TH_LOAD_LU
	scratch_load_b32 v2, off, off offset:56 th:TH_LOAD_LU
	scratch_load_b32 v3, off, off offset:124
.LBB162_14:
	s_mov_b32 s0, exec_lo
	s_wait_loadcnt 0x0
	v_cmpx_gt_u32_e64 s6, v3
	s_cbranch_execz .LBB162_65
; %bb.15:
	v_add_nc_u32_e32 v0, s14, v2
	v_mul_lo_u32 v5, v3, s12
	s_delay_alu instid0(VALU_DEP_2)
	v_cmp_gt_u32_e32 vcc_lo, s12, v0
	s_and_saveexec_b32 s1, vcc_lo
	s_cbranch_execz .LBB162_17
; %bb.16:
	v_bfe_u32 v3, v100, 16, 1
	s_delay_alu instid0(VALU_DEP_3) | instskip(SKIP_1) | instid1(VALU_DEP_3)
	v_add_nc_u32_e32 v2, v0, v5
	v_cmp_o_f32_e64 s0, v100, v100
	v_add3_u32 v4, v100, v3, 0x7fff
	v_mov_b32_e32 v3, 0
	s_delay_alu instid0(VALU_DEP_2) | instskip(NEXT) | instid1(VALU_DEP_2)
	v_lshrrev_b32_e32 v4, 16, v4
	v_lshlrev_b64_e32 v[2:3], 1, v[2:3]
	s_delay_alu instid0(VALU_DEP_2) | instskip(SKIP_1) | instid1(VALU_DEP_2)
	v_cndmask_b32_e64 v4, 0x7fc0, v4, s0
	s_wait_kmcnt 0x0
	v_add_co_u32 v2, s0, s8, v2
	s_wait_alu 0xf1ff
	s_delay_alu instid0(VALU_DEP_3)
	v_add_co_ci_u32_e64 v3, null, s9, v3, s0
	global_store_b16 v[2:3], v4, off
.LBB162_17:
	s_or_b32 exec_lo, exec_lo, s1
	v_add_nc_u32_e32 v2, 32, v0
	s_delay_alu instid0(VALU_DEP_1)
	v_cmp_gt_u32_e64 s0, s12, v2
	s_and_saveexec_b32 s2, s0
	s_cbranch_execz .LBB162_19
; %bb.18:
	v_bfe_u32 v4, v131, 16, 1
	v_add_nc_u32_e32 v3, v2, v5
	v_cmp_o_f32_e64 s1, v131, v131
	s_delay_alu instid0(VALU_DEP_3) | instskip(SKIP_1) | instid1(VALU_DEP_2)
	v_add3_u32 v6, v131, v4, 0x7fff
	v_mov_b32_e32 v4, 0
	v_lshrrev_b32_e32 v6, 16, v6
	s_delay_alu instid0(VALU_DEP_2) | instskip(SKIP_1) | instid1(VALU_DEP_2)
	v_lshlrev_b64_e32 v[3:4], 1, v[3:4]
	s_wait_alu 0xf1ff
	v_cndmask_b32_e64 v6, 0x7fc0, v6, s1
	s_wait_kmcnt 0x0
	s_delay_alu instid0(VALU_DEP_2)
	v_add_co_u32 v3, s1, s8, v3
	s_wait_alu 0xf1ff
	v_add_co_ci_u32_e64 v4, null, s9, v4, s1
	global_store_b16 v[3:4], v6, off
.LBB162_19:
	s_wait_alu 0xfffe
	s_or_b32 exec_lo, exec_lo, s2
	v_add_nc_u32_e32 v3, 64, v0
	s_delay_alu instid0(VALU_DEP_1)
	v_cmp_gt_u32_e64 s1, s12, v3
	s_and_saveexec_b32 s3, s1
	s_cbranch_execz .LBB162_21
; %bb.20:
	v_bfe_u32 v4, v124, 16, 1
	v_dual_mov_b32 v7, 0 :: v_dual_add_nc_u32 v6, v3, v5
	v_cmp_o_f32_e64 s2, v124, v124
	s_delay_alu instid0(VALU_DEP_3) | instskip(NEXT) | instid1(VALU_DEP_3)
	v_add3_u32 v4, v124, v4, 0x7fff
	v_lshlrev_b64_e32 v[6:7], 1, v[6:7]
	s_delay_alu instid0(VALU_DEP_2) | instskip(SKIP_1) | instid1(VALU_DEP_1)
	v_lshrrev_b32_e32 v4, 16, v4
	s_wait_alu 0xf1ff
	v_cndmask_b32_e64 v4, 0x7fc0, v4, s2
	s_wait_kmcnt 0x0
	s_delay_alu instid0(VALU_DEP_3)
	v_add_co_u32 v6, s2, s8, v6
	s_wait_alu 0xf1ff
	v_add_co_ci_u32_e64 v7, null, s9, v7, s2
	global_store_b16 v[6:7], v4, off
.LBB162_21:
	s_wait_alu 0xfffe
	s_or_b32 exec_lo, exec_lo, s3
	v_add_nc_u32_e32 v4, 0x60, v0
	s_delay_alu instid0(VALU_DEP_1)
	v_cmp_gt_u32_e64 s2, s12, v4
	s_and_saveexec_b32 s4, s2
	s_cbranch_execz .LBB162_23
; %bb.22:
	v_bfe_u32 v6, v123, 16, 1
	v_add_nc_u32_e32 v5, v4, v5
	v_cmp_o_f32_e64 s3, v123, v123
	s_delay_alu instid0(VALU_DEP_3) | instskip(SKIP_1) | instid1(VALU_DEP_2)
	v_add3_u32 v7, v123, v6, 0x7fff
	v_mov_b32_e32 v6, 0
	v_lshrrev_b32_e32 v7, 16, v7
	s_delay_alu instid0(VALU_DEP_2) | instskip(SKIP_1) | instid1(VALU_DEP_2)
	v_lshlrev_b64_e32 v[5:6], 1, v[5:6]
	s_wait_alu 0xf1ff
	v_cndmask_b32_e64 v7, 0x7fc0, v7, s3
	s_wait_kmcnt 0x0
	s_delay_alu instid0(VALU_DEP_2)
	v_add_co_u32 v5, s3, s8, v5
	s_wait_alu 0xf1ff
	v_add_co_ci_u32_e64 v6, null, s9, v6, s3
	global_store_b16 v[5:6], v7, off
.LBB162_23:
	s_wait_alu 0xfffe
	s_or_b32 exec_lo, exec_lo, s4
	v_add3_u32 v5, v1, s13, 8
	s_delay_alu instid0(VALU_DEP_1)
	v_cmp_gt_u32_e64 s3, s6, v5
	s_and_b32 exec_lo, exec_lo, s3
	s_cbranch_execz .LBB162_65
; %bb.24:
	v_mul_lo_u32 v5, v5, s12
	s_and_saveexec_b32 s4, vcc_lo
	s_cbranch_execnz .LBB162_66
; %bb.25:
	s_wait_alu 0xfffe
	s_or_b32 exec_lo, exec_lo, s4
	s_and_saveexec_b32 s4, s0
	s_cbranch_execnz .LBB162_67
.LBB162_26:
	s_wait_alu 0xfffe
	s_or_b32 exec_lo, exec_lo, s4
	s_and_saveexec_b32 s4, s1
	s_cbranch_execnz .LBB162_68
.LBB162_27:
	s_wait_alu 0xfffe
	s_or_b32 exec_lo, exec_lo, s4
	s_and_saveexec_b32 s4, s2
	s_cbranch_execz .LBB162_29
.LBB162_28:
	v_bfe_u32 v6, v118, 16, 1
	v_add_nc_u32_e32 v5, v5, v4
	v_cmp_o_f32_e64 s3, v118, v118
	s_delay_alu instid0(VALU_DEP_3) | instskip(SKIP_1) | instid1(VALU_DEP_2)
	v_add3_u32 v7, v118, v6, 0x7fff
	v_mov_b32_e32 v6, 0
	v_lshrrev_b32_e32 v7, 16, v7
	s_delay_alu instid0(VALU_DEP_2) | instskip(SKIP_1) | instid1(VALU_DEP_2)
	v_lshlrev_b64_e32 v[5:6], 1, v[5:6]
	s_wait_alu 0xf1ff
	v_cndmask_b32_e64 v7, 0x7fc0, v7, s3
	s_wait_kmcnt 0x0
	s_delay_alu instid0(VALU_DEP_2)
	v_add_co_u32 v5, s3, s8, v5
	s_wait_alu 0xf1ff
	v_add_co_ci_u32_e64 v6, null, s9, v6, s3
	global_store_b16 v[5:6], v7, off
.LBB162_29:
	s_wait_alu 0xfffe
	s_or_b32 exec_lo, exec_lo, s4
	v_add3_u32 v5, v1, s13, 16
	s_delay_alu instid0(VALU_DEP_1)
	v_cmp_gt_u32_e64 s3, s6, v5
	s_and_b32 exec_lo, exec_lo, s3
	s_cbranch_execz .LBB162_65
; %bb.30:
	v_mul_lo_u32 v5, v5, s12
	s_and_saveexec_b32 s4, vcc_lo
	s_cbranch_execnz .LBB162_69
; %bb.31:
	s_wait_alu 0xfffe
	s_or_b32 exec_lo, exec_lo, s4
	s_and_saveexec_b32 s4, s0
	s_cbranch_execnz .LBB162_70
.LBB162_32:
	s_wait_alu 0xfffe
	s_or_b32 exec_lo, exec_lo, s4
	s_and_saveexec_b32 s4, s1
	s_cbranch_execnz .LBB162_71
.LBB162_33:
	s_wait_alu 0xfffe
	s_or_b32 exec_lo, exec_lo, s4
	s_and_saveexec_b32 s4, s2
	s_cbranch_execz .LBB162_35
.LBB162_34:
	v_bfe_u32 v6, v103, 16, 1
	v_add_nc_u32_e32 v5, v5, v4
	v_cmp_o_f32_e64 s3, v103, v103
	s_delay_alu instid0(VALU_DEP_3) | instskip(SKIP_1) | instid1(VALU_DEP_2)
	v_add3_u32 v7, v103, v6, 0x7fff
	v_mov_b32_e32 v6, 0
	v_lshrrev_b32_e32 v7, 16, v7
	s_delay_alu instid0(VALU_DEP_2) | instskip(SKIP_1) | instid1(VALU_DEP_2)
	v_lshlrev_b64_e32 v[5:6], 1, v[5:6]
	s_wait_alu 0xf1ff
	v_cndmask_b32_e64 v7, 0x7fc0, v7, s3
	s_wait_kmcnt 0x0
	s_delay_alu instid0(VALU_DEP_2)
	v_add_co_u32 v5, s3, s8, v5
	s_wait_alu 0xf1ff
	v_add_co_ci_u32_e64 v6, null, s9, v6, s3
	global_store_b16 v[5:6], v7, off
.LBB162_35:
	s_wait_alu 0xfffe
	s_or_b32 exec_lo, exec_lo, s4
	v_add3_u32 v5, v1, s13, 24
	s_delay_alu instid0(VALU_DEP_1)
	v_cmp_gt_u32_e64 s3, s6, v5
	s_and_b32 exec_lo, exec_lo, s3
	s_cbranch_execz .LBB162_65
; %bb.36:
	v_mul_lo_u32 v5, v5, s12
	s_and_saveexec_b32 s4, vcc_lo
	s_cbranch_execnz .LBB162_72
; %bb.37:
	s_wait_alu 0xfffe
	s_or_b32 exec_lo, exec_lo, s4
	s_and_saveexec_b32 s4, s0
	s_cbranch_execnz .LBB162_73
.LBB162_38:
	s_wait_alu 0xfffe
	s_or_b32 exec_lo, exec_lo, s4
	s_and_saveexec_b32 s4, s1
	s_cbranch_execnz .LBB162_74
.LBB162_39:
	s_wait_alu 0xfffe
	s_or_b32 exec_lo, exec_lo, s4
	s_and_saveexec_b32 s4, s2
	s_cbranch_execz .LBB162_41
.LBB162_40:
	v_bfe_u32 v6, v96, 16, 1
	v_add_nc_u32_e32 v5, v5, v4
	v_cmp_o_f32_e64 s3, v96, v96
	s_delay_alu instid0(VALU_DEP_3) | instskip(SKIP_1) | instid1(VALU_DEP_2)
	v_add3_u32 v7, v96, v6, 0x7fff
	v_mov_b32_e32 v6, 0
	v_lshrrev_b32_e32 v7, 16, v7
	s_delay_alu instid0(VALU_DEP_2) | instskip(SKIP_1) | instid1(VALU_DEP_2)
	v_lshlrev_b64_e32 v[5:6], 1, v[5:6]
	s_wait_alu 0xf1ff
	v_cndmask_b32_e64 v7, 0x7fc0, v7, s3
	s_wait_kmcnt 0x0
	s_delay_alu instid0(VALU_DEP_2)
	v_add_co_u32 v5, s3, s8, v5
	s_wait_alu 0xf1ff
	v_add_co_ci_u32_e64 v6, null, s9, v6, s3
	global_store_b16 v[5:6], v7, off
.LBB162_41:
	s_wait_alu 0xfffe
	s_or_b32 exec_lo, exec_lo, s4
	v_add3_u32 v5, v1, s13, 32
	s_delay_alu instid0(VALU_DEP_1)
	v_cmp_gt_u32_e64 s3, s6, v5
	s_and_b32 exec_lo, exec_lo, s3
	s_cbranch_execz .LBB162_65
; %bb.42:
	v_mul_lo_u32 v5, v5, s12
	s_and_saveexec_b32 s4, vcc_lo
	s_cbranch_execnz .LBB162_75
; %bb.43:
	s_wait_alu 0xfffe
	s_or_b32 exec_lo, exec_lo, s4
	s_and_saveexec_b32 s4, s0
	s_cbranch_execnz .LBB162_76
.LBB162_44:
	s_wait_alu 0xfffe
	s_or_b32 exec_lo, exec_lo, s4
	s_and_saveexec_b32 s4, s1
	s_cbranch_execnz .LBB162_77
.LBB162_45:
	s_wait_alu 0xfffe
	s_or_b32 exec_lo, exec_lo, s4
	s_and_saveexec_b32 s4, s2
	s_cbranch_execz .LBB162_47
.LBB162_46:
	v_bfe_u32 v6, v92, 16, 1
	v_add_nc_u32_e32 v5, v5, v4
	v_cmp_o_f32_e64 s3, v92, v92
	s_delay_alu instid0(VALU_DEP_3) | instskip(SKIP_1) | instid1(VALU_DEP_2)
	v_add3_u32 v7, v92, v6, 0x7fff
	v_mov_b32_e32 v6, 0
	v_lshrrev_b32_e32 v7, 16, v7
	s_delay_alu instid0(VALU_DEP_2) | instskip(SKIP_1) | instid1(VALU_DEP_2)
	v_lshlrev_b64_e32 v[5:6], 1, v[5:6]
	s_wait_alu 0xf1ff
	v_cndmask_b32_e64 v7, 0x7fc0, v7, s3
	s_wait_kmcnt 0x0
	s_delay_alu instid0(VALU_DEP_2)
	v_add_co_u32 v5, s3, s8, v5
	s_wait_alu 0xf1ff
	v_add_co_ci_u32_e64 v6, null, s9, v6, s3
	global_store_b16 v[5:6], v7, off
.LBB162_47:
	s_wait_alu 0xfffe
	s_or_b32 exec_lo, exec_lo, s4
	v_add3_u32 v5, v1, s13, 40
	s_delay_alu instid0(VALU_DEP_1)
	v_cmp_gt_u32_e64 s3, s6, v5
	s_and_b32 exec_lo, exec_lo, s3
	s_cbranch_execz .LBB162_65
; %bb.48:
	v_mul_lo_u32 v5, v5, s12
	s_and_saveexec_b32 s4, vcc_lo
	s_cbranch_execnz .LBB162_78
; %bb.49:
	s_wait_alu 0xfffe
	s_or_b32 exec_lo, exec_lo, s4
	s_and_saveexec_b32 s4, s0
	s_cbranch_execnz .LBB162_79
.LBB162_50:
	s_wait_alu 0xfffe
	s_or_b32 exec_lo, exec_lo, s4
	s_and_saveexec_b32 s4, s1
	s_cbranch_execnz .LBB162_80
.LBB162_51:
	s_wait_alu 0xfffe
	s_or_b32 exec_lo, exec_lo, s4
	s_and_saveexec_b32 s4, s2
	s_cbranch_execz .LBB162_53
.LBB162_52:
	v_bfe_u32 v6, v88, 16, 1
	v_add_nc_u32_e32 v5, v5, v4
	v_cmp_o_f32_e64 s3, v88, v88
	s_delay_alu instid0(VALU_DEP_3) | instskip(SKIP_1) | instid1(VALU_DEP_2)
	v_add3_u32 v7, v88, v6, 0x7fff
	v_mov_b32_e32 v6, 0
	v_lshrrev_b32_e32 v7, 16, v7
	s_delay_alu instid0(VALU_DEP_2) | instskip(SKIP_1) | instid1(VALU_DEP_2)
	v_lshlrev_b64_e32 v[5:6], 1, v[5:6]
	s_wait_alu 0xf1ff
	v_cndmask_b32_e64 v7, 0x7fc0, v7, s3
	s_wait_kmcnt 0x0
	s_delay_alu instid0(VALU_DEP_2)
	v_add_co_u32 v5, s3, s8, v5
	s_wait_alu 0xf1ff
	v_add_co_ci_u32_e64 v6, null, s9, v6, s3
	global_store_b16 v[5:6], v7, off
.LBB162_53:
	s_wait_alu 0xfffe
	s_or_b32 exec_lo, exec_lo, s4
	v_add3_u32 v5, v1, s13, 48
	s_delay_alu instid0(VALU_DEP_1)
	v_cmp_gt_u32_e64 s3, s6, v5
	s_and_b32 exec_lo, exec_lo, s3
	s_cbranch_execz .LBB162_65
; %bb.54:
	v_mul_lo_u32 v5, v5, s12
	s_and_saveexec_b32 s4, vcc_lo
	s_cbranch_execnz .LBB162_81
; %bb.55:
	s_wait_alu 0xfffe
	s_or_b32 exec_lo, exec_lo, s4
	s_and_saveexec_b32 s4, s0
	s_cbranch_execnz .LBB162_82
.LBB162_56:
	s_wait_alu 0xfffe
	s_or_b32 exec_lo, exec_lo, s4
	s_and_saveexec_b32 s4, s1
	s_cbranch_execnz .LBB162_83
.LBB162_57:
	s_wait_alu 0xfffe
	s_or_b32 exec_lo, exec_lo, s4
	s_and_saveexec_b32 s4, s2
	s_cbranch_execz .LBB162_59
.LBB162_58:
	v_bfe_u32 v6, v84, 16, 1
	v_add_nc_u32_e32 v5, v5, v4
	v_cmp_o_f32_e64 s3, v84, v84
	s_delay_alu instid0(VALU_DEP_3) | instskip(SKIP_1) | instid1(VALU_DEP_2)
	v_add3_u32 v7, v84, v6, 0x7fff
	v_mov_b32_e32 v6, 0
	v_lshrrev_b32_e32 v7, 16, v7
	s_delay_alu instid0(VALU_DEP_2) | instskip(SKIP_1) | instid1(VALU_DEP_2)
	v_lshlrev_b64_e32 v[5:6], 1, v[5:6]
	s_wait_alu 0xf1ff
	v_cndmask_b32_e64 v7, 0x7fc0, v7, s3
	s_wait_kmcnt 0x0
	s_delay_alu instid0(VALU_DEP_2)
	v_add_co_u32 v5, s3, s8, v5
	s_wait_alu 0xf1ff
	v_add_co_ci_u32_e64 v6, null, s9, v6, s3
	global_store_b16 v[5:6], v7, off
.LBB162_59:
	s_wait_alu 0xfffe
	s_or_b32 exec_lo, exec_lo, s4
	v_add3_u32 v1, v1, s13, 56
	s_delay_alu instid0(VALU_DEP_1)
	v_cmp_gt_u32_e64 s3, s6, v1
	s_and_b32 exec_lo, exec_lo, s3
	s_cbranch_execz .LBB162_65
; %bb.60:
	v_mul_lo_u32 v1, v1, s12
	s_and_saveexec_b32 s3, vcc_lo
	s_cbranch_execnz .LBB162_84
; %bb.61:
	s_wait_alu 0xfffe
	s_or_b32 exec_lo, exec_lo, s3
	s_and_saveexec_b32 s3, s0
	s_cbranch_execnz .LBB162_85
.LBB162_62:
	s_wait_alu 0xfffe
	s_or_b32 exec_lo, exec_lo, s3
	s_and_saveexec_b32 s0, s1
	s_cbranch_execnz .LBB162_86
.LBB162_63:
	s_wait_alu 0xfffe
	s_or_b32 exec_lo, exec_lo, s0
	s_delay_alu instid0(SALU_CYCLE_1)
	s_and_b32 exec_lo, exec_lo, s2
	s_cbranch_execz .LBB162_65
.LBB162_64:
	v_bfe_u32 v2, v80, 16, 1
	v_dual_mov_b32 v1, 0 :: v_dual_add_nc_u32 v0, v1, v4
	v_cmp_o_f32_e32 vcc_lo, v80, v80
	s_delay_alu instid0(VALU_DEP_3) | instskip(NEXT) | instid1(VALU_DEP_3)
	v_add3_u32 v2, v80, v2, 0x7fff
	v_lshlrev_b64_e32 v[0:1], 1, v[0:1]
	s_delay_alu instid0(VALU_DEP_2) | instskip(SKIP_1) | instid1(VALU_DEP_1)
	v_lshrrev_b32_e32 v2, 16, v2
	s_wait_alu 0xfffd
	v_cndmask_b32_e32 v2, 0x7fc0, v2, vcc_lo
	s_wait_kmcnt 0x0
	s_delay_alu instid0(VALU_DEP_3)
	v_add_co_u32 v0, vcc_lo, s8, v0
	s_wait_alu 0xfffd
	v_add_co_ci_u32_e64 v1, null, s9, v1, vcc_lo
	global_store_b16 v[0:1], v2, off
.LBB162_65:
	s_nop 0
	s_sendmsg sendmsg(MSG_DEALLOC_VGPRS)
	s_endpgm
.LBB162_66:
	v_bfe_u32 v7, v121, 16, 1
	s_delay_alu instid0(VALU_DEP_2) | instskip(SKIP_1) | instid1(VALU_DEP_3)
	v_add_nc_u32_e32 v6, v5, v0
	v_cmp_o_f32_e64 s3, v121, v121
	v_add3_u32 v8, v121, v7, 0x7fff
	v_mov_b32_e32 v7, 0
	s_delay_alu instid0(VALU_DEP_2) | instskip(NEXT) | instid1(VALU_DEP_2)
	v_lshrrev_b32_e32 v8, 16, v8
	v_lshlrev_b64_e32 v[6:7], 1, v[6:7]
	s_wait_alu 0xf1ff
	s_delay_alu instid0(VALU_DEP_2) | instskip(SKIP_1) | instid1(VALU_DEP_2)
	v_cndmask_b32_e64 v8, 0x7fc0, v8, s3
	s_wait_kmcnt 0x0
	v_add_co_u32 v6, s3, s8, v6
	s_wait_alu 0xf1ff
	v_add_co_ci_u32_e64 v7, null, s9, v7, s3
	global_store_b16 v[6:7], v8, off
	s_wait_alu 0xfffe
	s_or_b32 exec_lo, exec_lo, s4
	s_and_saveexec_b32 s4, s0
	s_cbranch_execz .LBB162_26
.LBB162_67:
	v_bfe_u32 v7, v120, 16, 1
	v_add_nc_u32_e32 v6, v5, v2
	v_cmp_o_f32_e64 s3, v120, v120
	s_delay_alu instid0(VALU_DEP_3) | instskip(SKIP_1) | instid1(VALU_DEP_2)
	v_add3_u32 v8, v120, v7, 0x7fff
	v_mov_b32_e32 v7, 0
	v_lshrrev_b32_e32 v8, 16, v8
	s_delay_alu instid0(VALU_DEP_2) | instskip(SKIP_1) | instid1(VALU_DEP_2)
	v_lshlrev_b64_e32 v[6:7], 1, v[6:7]
	s_wait_alu 0xf1ff
	v_cndmask_b32_e64 v8, 0x7fc0, v8, s3
	s_wait_kmcnt 0x0
	s_delay_alu instid0(VALU_DEP_2)
	v_add_co_u32 v6, s3, s8, v6
	s_wait_alu 0xf1ff
	v_add_co_ci_u32_e64 v7, null, s9, v7, s3
	global_store_b16 v[6:7], v8, off
	s_wait_alu 0xfffe
	s_or_b32 exec_lo, exec_lo, s4
	s_and_saveexec_b32 s4, s1
	s_cbranch_execz .LBB162_27
.LBB162_68:
	v_bfe_u32 v7, v119, 16, 1
	v_add_nc_u32_e32 v6, v5, v3
	v_cmp_o_f32_e64 s3, v119, v119
	s_delay_alu instid0(VALU_DEP_3) | instskip(SKIP_1) | instid1(VALU_DEP_2)
	v_add3_u32 v8, v119, v7, 0x7fff
	v_mov_b32_e32 v7, 0
	v_lshrrev_b32_e32 v8, 16, v8
	s_delay_alu instid0(VALU_DEP_2) | instskip(SKIP_1) | instid1(VALU_DEP_2)
	v_lshlrev_b64_e32 v[6:7], 1, v[6:7]
	s_wait_alu 0xf1ff
	v_cndmask_b32_e64 v8, 0x7fc0, v8, s3
	s_wait_kmcnt 0x0
	s_delay_alu instid0(VALU_DEP_2)
	v_add_co_u32 v6, s3, s8, v6
	s_wait_alu 0xf1ff
	v_add_co_ci_u32_e64 v7, null, s9, v7, s3
	global_store_b16 v[6:7], v8, off
	s_wait_alu 0xfffe
	s_or_b32 exec_lo, exec_lo, s4
	s_and_saveexec_b32 s4, s2
	s_cbranch_execnz .LBB162_28
	s_branch .LBB162_29
.LBB162_69:
	v_bfe_u32 v7, v111, 16, 1
	s_delay_alu instid0(VALU_DEP_2) | instskip(SKIP_1) | instid1(VALU_DEP_3)
	v_add_nc_u32_e32 v6, v5, v0
	v_cmp_o_f32_e64 s3, v111, v111
	v_add3_u32 v8, v111, v7, 0x7fff
	v_mov_b32_e32 v7, 0
	s_delay_alu instid0(VALU_DEP_2) | instskip(NEXT) | instid1(VALU_DEP_2)
	v_lshrrev_b32_e32 v8, 16, v8
	v_lshlrev_b64_e32 v[6:7], 1, v[6:7]
	s_wait_alu 0xf1ff
	s_delay_alu instid0(VALU_DEP_2) | instskip(SKIP_1) | instid1(VALU_DEP_2)
	v_cndmask_b32_e64 v8, 0x7fc0, v8, s3
	s_wait_kmcnt 0x0
	v_add_co_u32 v6, s3, s8, v6
	s_wait_alu 0xf1ff
	v_add_co_ci_u32_e64 v7, null, s9, v7, s3
	global_store_b16 v[6:7], v8, off
	s_wait_alu 0xfffe
	s_or_b32 exec_lo, exec_lo, s4
	s_and_saveexec_b32 s4, s0
	s_cbranch_execz .LBB162_32
.LBB162_70:
	v_bfe_u32 v7, v106, 16, 1
	v_add_nc_u32_e32 v6, v5, v2
	v_cmp_o_f32_e64 s3, v106, v106
	s_delay_alu instid0(VALU_DEP_3) | instskip(SKIP_1) | instid1(VALU_DEP_2)
	v_add3_u32 v8, v106, v7, 0x7fff
	v_mov_b32_e32 v7, 0
	v_lshrrev_b32_e32 v8, 16, v8
	s_delay_alu instid0(VALU_DEP_2) | instskip(SKIP_1) | instid1(VALU_DEP_2)
	v_lshlrev_b64_e32 v[6:7], 1, v[6:7]
	s_wait_alu 0xf1ff
	v_cndmask_b32_e64 v8, 0x7fc0, v8, s3
	s_wait_kmcnt 0x0
	s_delay_alu instid0(VALU_DEP_2)
	v_add_co_u32 v6, s3, s8, v6
	s_wait_alu 0xf1ff
	v_add_co_ci_u32_e64 v7, null, s9, v7, s3
	global_store_b16 v[6:7], v8, off
	s_wait_alu 0xfffe
	s_or_b32 exec_lo, exec_lo, s4
	s_and_saveexec_b32 s4, s1
	s_cbranch_execz .LBB162_33
.LBB162_71:
	v_bfe_u32 v7, v104, 16, 1
	v_add_nc_u32_e32 v6, v5, v3
	v_cmp_o_f32_e64 s3, v104, v104
	s_delay_alu instid0(VALU_DEP_3) | instskip(SKIP_1) | instid1(VALU_DEP_2)
	v_add3_u32 v8, v104, v7, 0x7fff
	v_mov_b32_e32 v7, 0
	v_lshrrev_b32_e32 v8, 16, v8
	s_delay_alu instid0(VALU_DEP_2) | instskip(SKIP_1) | instid1(VALU_DEP_2)
	v_lshlrev_b64_e32 v[6:7], 1, v[6:7]
	s_wait_alu 0xf1ff
	v_cndmask_b32_e64 v8, 0x7fc0, v8, s3
	s_wait_kmcnt 0x0
	s_delay_alu instid0(VALU_DEP_2)
	v_add_co_u32 v6, s3, s8, v6
	s_wait_alu 0xf1ff
	v_add_co_ci_u32_e64 v7, null, s9, v7, s3
	global_store_b16 v[6:7], v8, off
	s_wait_alu 0xfffe
	s_or_b32 exec_lo, exec_lo, s4
	s_and_saveexec_b32 s4, s2
	s_cbranch_execnz .LBB162_34
	s_branch .LBB162_35
.LBB162_72:
	v_bfe_u32 v7, v102, 16, 1
	s_delay_alu instid0(VALU_DEP_2) | instskip(SKIP_1) | instid1(VALU_DEP_3)
	v_add_nc_u32_e32 v6, v5, v0
	v_cmp_o_f32_e64 s3, v102, v102
	v_add3_u32 v8, v102, v7, 0x7fff
	v_mov_b32_e32 v7, 0
	s_delay_alu instid0(VALU_DEP_2) | instskip(NEXT) | instid1(VALU_DEP_2)
	v_lshrrev_b32_e32 v8, 16, v8
	v_lshlrev_b64_e32 v[6:7], 1, v[6:7]
	s_wait_alu 0xf1ff
	s_delay_alu instid0(VALU_DEP_2) | instskip(SKIP_1) | instid1(VALU_DEP_2)
	v_cndmask_b32_e64 v8, 0x7fc0, v8, s3
	s_wait_kmcnt 0x0
	v_add_co_u32 v6, s3, s8, v6
	s_wait_alu 0xf1ff
	v_add_co_ci_u32_e64 v7, null, s9, v7, s3
	global_store_b16 v[6:7], v8, off
	s_wait_alu 0xfffe
	s_or_b32 exec_lo, exec_lo, s4
	s_and_saveexec_b32 s4, s0
	s_cbranch_execz .LBB162_38
.LBB162_73:
	v_bfe_u32 v7, v101, 16, 1
	v_add_nc_u32_e32 v6, v5, v2
	v_cmp_o_f32_e64 s3, v101, v101
	s_delay_alu instid0(VALU_DEP_3) | instskip(SKIP_1) | instid1(VALU_DEP_2)
	v_add3_u32 v8, v101, v7, 0x7fff
	v_mov_b32_e32 v7, 0
	v_lshrrev_b32_e32 v8, 16, v8
	s_delay_alu instid0(VALU_DEP_2) | instskip(SKIP_1) | instid1(VALU_DEP_2)
	v_lshlrev_b64_e32 v[6:7], 1, v[6:7]
	s_wait_alu 0xf1ff
	v_cndmask_b32_e64 v8, 0x7fc0, v8, s3
	s_wait_kmcnt 0x0
	s_delay_alu instid0(VALU_DEP_2)
	v_add_co_u32 v6, s3, s8, v6
	s_wait_alu 0xf1ff
	v_add_co_ci_u32_e64 v7, null, s9, v7, s3
	global_store_b16 v[6:7], v8, off
	s_wait_alu 0xfffe
	s_or_b32 exec_lo, exec_lo, s4
	s_and_saveexec_b32 s4, s1
	s_cbranch_execz .LBB162_39
.LBB162_74:
	v_bfe_u32 v7, v97, 16, 1
	v_add_nc_u32_e32 v6, v5, v3
	v_cmp_o_f32_e64 s3, v97, v97
	s_delay_alu instid0(VALU_DEP_3) | instskip(SKIP_1) | instid1(VALU_DEP_2)
	v_add3_u32 v8, v97, v7, 0x7fff
	v_mov_b32_e32 v7, 0
	v_lshrrev_b32_e32 v8, 16, v8
	s_delay_alu instid0(VALU_DEP_2) | instskip(SKIP_1) | instid1(VALU_DEP_2)
	v_lshlrev_b64_e32 v[6:7], 1, v[6:7]
	s_wait_alu 0xf1ff
	v_cndmask_b32_e64 v8, 0x7fc0, v8, s3
	s_wait_kmcnt 0x0
	s_delay_alu instid0(VALU_DEP_2)
	v_add_co_u32 v6, s3, s8, v6
	s_wait_alu 0xf1ff
	v_add_co_ci_u32_e64 v7, null, s9, v7, s3
	global_store_b16 v[6:7], v8, off
	s_wait_alu 0xfffe
	s_or_b32 exec_lo, exec_lo, s4
	s_and_saveexec_b32 s4, s2
	s_cbranch_execnz .LBB162_40
	s_branch .LBB162_41
.LBB162_75:
	v_bfe_u32 v7, v95, 16, 1
	s_delay_alu instid0(VALU_DEP_2) | instskip(SKIP_1) | instid1(VALU_DEP_3)
	v_add_nc_u32_e32 v6, v5, v0
	v_cmp_o_f32_e64 s3, v95, v95
	v_add3_u32 v8, v95, v7, 0x7fff
	v_mov_b32_e32 v7, 0
	s_delay_alu instid0(VALU_DEP_2) | instskip(NEXT) | instid1(VALU_DEP_2)
	v_lshrrev_b32_e32 v8, 16, v8
	v_lshlrev_b64_e32 v[6:7], 1, v[6:7]
	s_wait_alu 0xf1ff
	s_delay_alu instid0(VALU_DEP_2) | instskip(SKIP_1) | instid1(VALU_DEP_2)
	v_cndmask_b32_e64 v8, 0x7fc0, v8, s3
	s_wait_kmcnt 0x0
	v_add_co_u32 v6, s3, s8, v6
	s_wait_alu 0xf1ff
	v_add_co_ci_u32_e64 v7, null, s9, v7, s3
	global_store_b16 v[6:7], v8, off
	s_wait_alu 0xfffe
	s_or_b32 exec_lo, exec_lo, s4
	s_and_saveexec_b32 s4, s0
	s_cbranch_execz .LBB162_44
.LBB162_76:
	v_bfe_u32 v7, v94, 16, 1
	v_add_nc_u32_e32 v6, v5, v2
	v_cmp_o_f32_e64 s3, v94, v94
	s_delay_alu instid0(VALU_DEP_3) | instskip(SKIP_1) | instid1(VALU_DEP_2)
	v_add3_u32 v8, v94, v7, 0x7fff
	v_mov_b32_e32 v7, 0
	v_lshrrev_b32_e32 v8, 16, v8
	s_delay_alu instid0(VALU_DEP_2) | instskip(SKIP_1) | instid1(VALU_DEP_2)
	v_lshlrev_b64_e32 v[6:7], 1, v[6:7]
	s_wait_alu 0xf1ff
	v_cndmask_b32_e64 v8, 0x7fc0, v8, s3
	s_wait_kmcnt 0x0
	s_delay_alu instid0(VALU_DEP_2)
	v_add_co_u32 v6, s3, s8, v6
	s_wait_alu 0xf1ff
	v_add_co_ci_u32_e64 v7, null, s9, v7, s3
	global_store_b16 v[6:7], v8, off
	s_wait_alu 0xfffe
	s_or_b32 exec_lo, exec_lo, s4
	s_and_saveexec_b32 s4, s1
	s_cbranch_execz .LBB162_45
.LBB162_77:
	v_bfe_u32 v7, v93, 16, 1
	v_add_nc_u32_e32 v6, v5, v3
	v_cmp_o_f32_e64 s3, v93, v93
	s_delay_alu instid0(VALU_DEP_3) | instskip(SKIP_1) | instid1(VALU_DEP_2)
	v_add3_u32 v8, v93, v7, 0x7fff
	v_mov_b32_e32 v7, 0
	v_lshrrev_b32_e32 v8, 16, v8
	s_delay_alu instid0(VALU_DEP_2) | instskip(SKIP_1) | instid1(VALU_DEP_2)
	v_lshlrev_b64_e32 v[6:7], 1, v[6:7]
	s_wait_alu 0xf1ff
	v_cndmask_b32_e64 v8, 0x7fc0, v8, s3
	s_wait_kmcnt 0x0
	s_delay_alu instid0(VALU_DEP_2)
	v_add_co_u32 v6, s3, s8, v6
	s_wait_alu 0xf1ff
	v_add_co_ci_u32_e64 v7, null, s9, v7, s3
	global_store_b16 v[6:7], v8, off
	s_wait_alu 0xfffe
	s_or_b32 exec_lo, exec_lo, s4
	s_and_saveexec_b32 s4, s2
	s_cbranch_execnz .LBB162_46
	s_branch .LBB162_47
.LBB162_78:
	v_bfe_u32 v7, v91, 16, 1
	s_delay_alu instid0(VALU_DEP_2) | instskip(SKIP_1) | instid1(VALU_DEP_3)
	v_add_nc_u32_e32 v6, v5, v0
	v_cmp_o_f32_e64 s3, v91, v91
	v_add3_u32 v8, v91, v7, 0x7fff
	v_mov_b32_e32 v7, 0
	s_delay_alu instid0(VALU_DEP_2) | instskip(NEXT) | instid1(VALU_DEP_2)
	v_lshrrev_b32_e32 v8, 16, v8
	v_lshlrev_b64_e32 v[6:7], 1, v[6:7]
	s_wait_alu 0xf1ff
	s_delay_alu instid0(VALU_DEP_2) | instskip(SKIP_1) | instid1(VALU_DEP_2)
	v_cndmask_b32_e64 v8, 0x7fc0, v8, s3
	s_wait_kmcnt 0x0
	v_add_co_u32 v6, s3, s8, v6
	s_wait_alu 0xf1ff
	v_add_co_ci_u32_e64 v7, null, s9, v7, s3
	global_store_b16 v[6:7], v8, off
	s_wait_alu 0xfffe
	s_or_b32 exec_lo, exec_lo, s4
	s_and_saveexec_b32 s4, s0
	s_cbranch_execz .LBB162_50
.LBB162_79:
	v_bfe_u32 v7, v90, 16, 1
	v_add_nc_u32_e32 v6, v5, v2
	v_cmp_o_f32_e64 s3, v90, v90
	s_delay_alu instid0(VALU_DEP_3) | instskip(SKIP_1) | instid1(VALU_DEP_2)
	v_add3_u32 v8, v90, v7, 0x7fff
	v_mov_b32_e32 v7, 0
	v_lshrrev_b32_e32 v8, 16, v8
	s_delay_alu instid0(VALU_DEP_2) | instskip(SKIP_1) | instid1(VALU_DEP_2)
	v_lshlrev_b64_e32 v[6:7], 1, v[6:7]
	s_wait_alu 0xf1ff
	v_cndmask_b32_e64 v8, 0x7fc0, v8, s3
	s_wait_kmcnt 0x0
	s_delay_alu instid0(VALU_DEP_2)
	v_add_co_u32 v6, s3, s8, v6
	s_wait_alu 0xf1ff
	v_add_co_ci_u32_e64 v7, null, s9, v7, s3
	global_store_b16 v[6:7], v8, off
	s_wait_alu 0xfffe
	s_or_b32 exec_lo, exec_lo, s4
	s_and_saveexec_b32 s4, s1
	s_cbranch_execz .LBB162_51
.LBB162_80:
	v_bfe_u32 v7, v89, 16, 1
	v_add_nc_u32_e32 v6, v5, v3
	v_cmp_o_f32_e64 s3, v89, v89
	s_delay_alu instid0(VALU_DEP_3) | instskip(SKIP_1) | instid1(VALU_DEP_2)
	v_add3_u32 v8, v89, v7, 0x7fff
	v_mov_b32_e32 v7, 0
	v_lshrrev_b32_e32 v8, 16, v8
	s_delay_alu instid0(VALU_DEP_2) | instskip(SKIP_1) | instid1(VALU_DEP_2)
	v_lshlrev_b64_e32 v[6:7], 1, v[6:7]
	s_wait_alu 0xf1ff
	v_cndmask_b32_e64 v8, 0x7fc0, v8, s3
	s_wait_kmcnt 0x0
	s_delay_alu instid0(VALU_DEP_2)
	v_add_co_u32 v6, s3, s8, v6
	s_wait_alu 0xf1ff
	v_add_co_ci_u32_e64 v7, null, s9, v7, s3
	global_store_b16 v[6:7], v8, off
	s_wait_alu 0xfffe
	s_or_b32 exec_lo, exec_lo, s4
	s_and_saveexec_b32 s4, s2
	s_cbranch_execnz .LBB162_52
	s_branch .LBB162_53
.LBB162_81:
	v_bfe_u32 v7, v87, 16, 1
	s_delay_alu instid0(VALU_DEP_2) | instskip(SKIP_1) | instid1(VALU_DEP_3)
	v_add_nc_u32_e32 v6, v5, v0
	v_cmp_o_f32_e64 s3, v87, v87
	v_add3_u32 v8, v87, v7, 0x7fff
	v_mov_b32_e32 v7, 0
	s_delay_alu instid0(VALU_DEP_2) | instskip(NEXT) | instid1(VALU_DEP_2)
	v_lshrrev_b32_e32 v8, 16, v8
	v_lshlrev_b64_e32 v[6:7], 1, v[6:7]
	s_wait_alu 0xf1ff
	s_delay_alu instid0(VALU_DEP_2) | instskip(SKIP_1) | instid1(VALU_DEP_2)
	v_cndmask_b32_e64 v8, 0x7fc0, v8, s3
	s_wait_kmcnt 0x0
	v_add_co_u32 v6, s3, s8, v6
	s_wait_alu 0xf1ff
	v_add_co_ci_u32_e64 v7, null, s9, v7, s3
	global_store_b16 v[6:7], v8, off
	s_wait_alu 0xfffe
	s_or_b32 exec_lo, exec_lo, s4
	s_and_saveexec_b32 s4, s0
	s_cbranch_execz .LBB162_56
.LBB162_82:
	v_bfe_u32 v7, v86, 16, 1
	v_add_nc_u32_e32 v6, v5, v2
	v_cmp_o_f32_e64 s3, v86, v86
	s_delay_alu instid0(VALU_DEP_3) | instskip(SKIP_1) | instid1(VALU_DEP_2)
	v_add3_u32 v8, v86, v7, 0x7fff
	v_mov_b32_e32 v7, 0
	v_lshrrev_b32_e32 v8, 16, v8
	s_delay_alu instid0(VALU_DEP_2) | instskip(SKIP_1) | instid1(VALU_DEP_2)
	v_lshlrev_b64_e32 v[6:7], 1, v[6:7]
	s_wait_alu 0xf1ff
	v_cndmask_b32_e64 v8, 0x7fc0, v8, s3
	s_wait_kmcnt 0x0
	s_delay_alu instid0(VALU_DEP_2)
	v_add_co_u32 v6, s3, s8, v6
	s_wait_alu 0xf1ff
	v_add_co_ci_u32_e64 v7, null, s9, v7, s3
	global_store_b16 v[6:7], v8, off
	s_wait_alu 0xfffe
	s_or_b32 exec_lo, exec_lo, s4
	s_and_saveexec_b32 s4, s1
	s_cbranch_execz .LBB162_57
.LBB162_83:
	v_bfe_u32 v7, v85, 16, 1
	v_add_nc_u32_e32 v6, v5, v3
	v_cmp_o_f32_e64 s3, v85, v85
	s_delay_alu instid0(VALU_DEP_3) | instskip(SKIP_1) | instid1(VALU_DEP_2)
	v_add3_u32 v8, v85, v7, 0x7fff
	v_mov_b32_e32 v7, 0
	v_lshrrev_b32_e32 v8, 16, v8
	s_delay_alu instid0(VALU_DEP_2) | instskip(SKIP_1) | instid1(VALU_DEP_2)
	v_lshlrev_b64_e32 v[6:7], 1, v[6:7]
	s_wait_alu 0xf1ff
	v_cndmask_b32_e64 v8, 0x7fc0, v8, s3
	s_wait_kmcnt 0x0
	s_delay_alu instid0(VALU_DEP_2)
	v_add_co_u32 v6, s3, s8, v6
	s_wait_alu 0xf1ff
	v_add_co_ci_u32_e64 v7, null, s9, v7, s3
	global_store_b16 v[6:7], v8, off
	s_wait_alu 0xfffe
	s_or_b32 exec_lo, exec_lo, s4
	s_and_saveexec_b32 s4, s2
	s_cbranch_execnz .LBB162_58
	s_branch .LBB162_59
.LBB162_84:
	v_bfe_u32 v6, v83, 16, 1
	s_delay_alu instid0(VALU_DEP_2) | instskip(SKIP_1) | instid1(VALU_DEP_3)
	v_add_nc_u32_e32 v5, v1, v0
	v_cmp_o_f32_e32 vcc_lo, v83, v83
	v_add3_u32 v0, v83, v6, 0x7fff
	v_mov_b32_e32 v6, 0
	s_delay_alu instid0(VALU_DEP_2) | instskip(NEXT) | instid1(VALU_DEP_2)
	v_lshrrev_b32_e32 v0, 16, v0
	v_lshlrev_b64_e32 v[5:6], 1, v[5:6]
	s_wait_alu 0xfffd
	s_delay_alu instid0(VALU_DEP_2) | instskip(SKIP_1) | instid1(VALU_DEP_2)
	v_cndmask_b32_e32 v0, 0x7fc0, v0, vcc_lo
	s_wait_kmcnt 0x0
	v_add_co_u32 v5, vcc_lo, s8, v5
	s_wait_alu 0xfffd
	v_add_co_ci_u32_e64 v6, null, s9, v6, vcc_lo
	global_store_b16 v[5:6], v0, off
	s_wait_alu 0xfffe
	s_or_b32 exec_lo, exec_lo, s3
	s_and_saveexec_b32 s3, s0
	s_cbranch_execz .LBB162_62
.LBB162_85:
	v_bfe_u32 v0, v82, 16, 1
	v_dual_mov_b32 v6, 0 :: v_dual_add_nc_u32 v5, v1, v2
	v_cmp_o_f32_e32 vcc_lo, v82, v82
	s_delay_alu instid0(VALU_DEP_3) | instskip(NEXT) | instid1(VALU_DEP_3)
	v_add3_u32 v0, v82, v0, 0x7fff
	v_lshlrev_b64_e32 v[5:6], 1, v[5:6]
	s_delay_alu instid0(VALU_DEP_2) | instskip(SKIP_1) | instid1(VALU_DEP_1)
	v_lshrrev_b32_e32 v0, 16, v0
	s_wait_alu 0xfffd
	v_cndmask_b32_e32 v0, 0x7fc0, v0, vcc_lo
	s_wait_kmcnt 0x0
	s_delay_alu instid0(VALU_DEP_3)
	v_add_co_u32 v5, vcc_lo, s8, v5
	s_wait_alu 0xfffd
	v_add_co_ci_u32_e64 v6, null, s9, v6, vcc_lo
	global_store_b16 v[5:6], v0, off
	s_wait_alu 0xfffe
	s_or_b32 exec_lo, exec_lo, s3
	s_and_saveexec_b32 s0, s1
	s_cbranch_execz .LBB162_63
.LBB162_86:
	v_bfe_u32 v0, v81, 16, 1
	v_dual_mov_b32 v3, 0 :: v_dual_add_nc_u32 v2, v1, v3
	v_cmp_o_f32_e32 vcc_lo, v81, v81
	s_delay_alu instid0(VALU_DEP_3) | instskip(NEXT) | instid1(VALU_DEP_3)
	v_add3_u32 v0, v81, v0, 0x7fff
	v_lshlrev_b64_e32 v[2:3], 1, v[2:3]
	s_delay_alu instid0(VALU_DEP_2) | instskip(SKIP_1) | instid1(VALU_DEP_1)
	v_lshrrev_b32_e32 v0, 16, v0
	s_wait_alu 0xfffd
	v_cndmask_b32_e32 v0, 0x7fc0, v0, vcc_lo
	s_wait_kmcnt 0x0
	s_delay_alu instid0(VALU_DEP_3)
	v_add_co_u32 v2, vcc_lo, s8, v2
	s_wait_alu 0xfffd
	v_add_co_ci_u32_e64 v3, null, s9, v3, vcc_lo
	global_store_b16 v[2:3], v0, off
	s_wait_alu 0xfffe
	s_or_b32 exec_lo, exec_lo, s0
	s_delay_alu instid0(SALU_CYCLE_1)
	s_and_b32 exec_lo, exec_lo, s2
	s_cbranch_execnz .LBB162_64
	s_branch .LBB162_65
	.section	.rodata,"a",@progbits
	.p2align	6, 0x0
	.amdhsa_kernel _ZL12mul_mat_q5_0IN3c108BFloat16ELb1EEvPKvS3_PT_iiiii
		.amdhsa_group_segment_fixed_size 46720
		.amdhsa_private_segment_fixed_size 132
		.amdhsa_kernarg_size 44
		.amdhsa_user_sgpr_count 2
		.amdhsa_user_sgpr_dispatch_ptr 0
		.amdhsa_user_sgpr_queue_ptr 0
		.amdhsa_user_sgpr_kernarg_segment_ptr 1
		.amdhsa_user_sgpr_dispatch_id 0
		.amdhsa_user_sgpr_private_segment_size 0
		.amdhsa_wavefront_size32 1
		.amdhsa_uses_dynamic_stack 0
		.amdhsa_enable_private_segment 1
		.amdhsa_system_sgpr_workgroup_id_x 1
		.amdhsa_system_sgpr_workgroup_id_y 1
		.amdhsa_system_sgpr_workgroup_id_z 0
		.amdhsa_system_sgpr_workgroup_info 0
		.amdhsa_system_vgpr_workitem_id 1
		.amdhsa_next_free_vgpr 256
		.amdhsa_next_free_sgpr 17
		.amdhsa_reserve_vcc 1
		.amdhsa_float_round_mode_32 0
		.amdhsa_float_round_mode_16_64 0
		.amdhsa_float_denorm_mode_32 3
		.amdhsa_float_denorm_mode_16_64 3
		.amdhsa_fp16_overflow 0
		.amdhsa_workgroup_processor_mode 1
		.amdhsa_memory_ordered 1
		.amdhsa_forward_progress 1
		.amdhsa_inst_pref_size 235
		.amdhsa_round_robin_scheduling 0
		.amdhsa_exception_fp_ieee_invalid_op 0
		.amdhsa_exception_fp_denorm_src 0
		.amdhsa_exception_fp_ieee_div_zero 0
		.amdhsa_exception_fp_ieee_overflow 0
		.amdhsa_exception_fp_ieee_underflow 0
		.amdhsa_exception_fp_ieee_inexact 0
		.amdhsa_exception_int_div_zero 0
	.end_amdhsa_kernel
	.section	.text._ZL12mul_mat_q5_0IN3c108BFloat16ELb1EEvPKvS3_PT_iiiii,"axG",@progbits,_ZL12mul_mat_q5_0IN3c108BFloat16ELb1EEvPKvS3_PT_iiiii,comdat
.Lfunc_end162:
	.size	_ZL12mul_mat_q5_0IN3c108BFloat16ELb1EEvPKvS3_PT_iiiii, .Lfunc_end162-_ZL12mul_mat_q5_0IN3c108BFloat16ELb1EEvPKvS3_PT_iiiii
                                        ; -- End function
	.set _ZL12mul_mat_q5_0IN3c108BFloat16ELb1EEvPKvS3_PT_iiiii.num_vgpr, 256
	.set _ZL12mul_mat_q5_0IN3c108BFloat16ELb1EEvPKvS3_PT_iiiii.num_agpr, 0
	.set _ZL12mul_mat_q5_0IN3c108BFloat16ELb1EEvPKvS3_PT_iiiii.numbered_sgpr, 17
	.set _ZL12mul_mat_q5_0IN3c108BFloat16ELb1EEvPKvS3_PT_iiiii.num_named_barrier, 0
	.set _ZL12mul_mat_q5_0IN3c108BFloat16ELb1EEvPKvS3_PT_iiiii.private_seg_size, 132
	.set _ZL12mul_mat_q5_0IN3c108BFloat16ELb1EEvPKvS3_PT_iiiii.uses_vcc, 1
	.set _ZL12mul_mat_q5_0IN3c108BFloat16ELb1EEvPKvS3_PT_iiiii.uses_flat_scratch, 1
	.set _ZL12mul_mat_q5_0IN3c108BFloat16ELb1EEvPKvS3_PT_iiiii.has_dyn_sized_stack, 0
	.set _ZL12mul_mat_q5_0IN3c108BFloat16ELb1EEvPKvS3_PT_iiiii.has_recursion, 0
	.set _ZL12mul_mat_q5_0IN3c108BFloat16ELb1EEvPKvS3_PT_iiiii.has_indirect_call, 0
	.section	.AMDGPU.csdata,"",@progbits
; Kernel info:
; codeLenInByte = 30052
; TotalNumSgprs: 19
; NumVgprs: 256
; ScratchSize: 132
; MemoryBound: 0
; FloatMode: 240
; IeeeMode: 1
; LDSByteSize: 46720 bytes/workgroup (compile time only)
; SGPRBlocks: 0
; VGPRBlocks: 31
; NumSGPRsForWavesPerEU: 19
; NumVGPRsForWavesPerEU: 256
; Occupancy: 4
; WaveLimiterHint : 0
; COMPUTE_PGM_RSRC2:SCRATCH_EN: 1
; COMPUTE_PGM_RSRC2:USER_SGPR: 2
; COMPUTE_PGM_RSRC2:TRAP_HANDLER: 0
; COMPUTE_PGM_RSRC2:TGID_X_EN: 1
; COMPUTE_PGM_RSRC2:TGID_Y_EN: 1
; COMPUTE_PGM_RSRC2:TGID_Z_EN: 0
; COMPUTE_PGM_RSRC2:TIDIG_COMP_CNT: 1
	.section	.text._ZL12mul_mat_q5_1IN3c108BFloat16ELb0EEvPKvS3_PT_iiiii,"axG",@progbits,_ZL12mul_mat_q5_1IN3c108BFloat16ELb0EEvPKvS3_PT_iiiii,comdat
	.globl	_ZL12mul_mat_q5_1IN3c108BFloat16ELb0EEvPKvS3_PT_iiiii ; -- Begin function _ZL12mul_mat_q5_1IN3c108BFloat16ELb0EEvPKvS3_PT_iiiii
	.p2align	8
	.type	_ZL12mul_mat_q5_1IN3c108BFloat16ELb0EEvPKvS3_PT_iiiii,@function
_ZL12mul_mat_q5_1IN3c108BFloat16ELb0EEvPKvS3_PT_iiiii: ; @_ZL12mul_mat_q5_1IN3c108BFloat16ELb0EEvPKvS3_PT_iiiii
; %bb.0:
	s_clause 0x1
	s_load_b32 s2, s[0:1], 0x18
	s_load_b96 s[4:6], s[0:1], 0x20
	v_bfe_u32 v34, v0, 10, 10
	v_and_b32_e32 v35, 0x3ff, v0
	s_lshl_b32 s7, ttmp7, 6
	s_wait_kmcnt 0x0
	s_cmp_gt_i32 s2, 31
	s_cbranch_scc1 .LBB163_2
; %bb.1:
	v_bfe_u32 v1, v0, 10, 10
	v_and_b32_e32 v2, 0x3ff, v0
	s_mov_b32 s3, 0
	s_delay_alu instid0(VALU_DEP_2)
	v_add_nc_u32_e32 v3, s7, v1
	s_branch .LBB163_3
.LBB163_2:
	s_mov_b32 s3, -1
                                        ; implicit-def: $vgpr1
                                        ; implicit-def: $vgpr2
                                        ; implicit-def: $vgpr3
.LBB163_3:
	s_load_b64 s[8:9], s[0:1], 0x10
	v_dual_mov_b32 v64, 0 :: v_dual_mov_b32 v87, 0
	v_dual_mov_b32 v68, 0 :: v_dual_mov_b32 v105, 0
	v_dual_mov_b32 v72, 0 :: v_dual_mov_b32 v65, 0
	v_dual_mov_b32 v76, 0 :: v_dual_mov_b32 v69, 0
	v_dual_mov_b32 v80, 0 :: v_dual_mov_b32 v73, 0
	v_dual_mov_b32 v92, 0 :: v_dual_mov_b32 v77, 0
	v_dual_mov_b32 v83, 0 :: v_dual_mov_b32 v88, 0
	v_dual_mov_b32 v93, 0 :: v_dual_mov_b32 v66, 0
	v_dual_mov_b32 v107, 0 :: v_dual_mov_b32 v70, 0
	v_dual_mov_b32 v74, 0 :: v_dual_mov_b32 v89, 0
	v_dual_mov_b32 v78, 0 :: v_dual_mov_b32 v67, 0
	v_dual_mov_b32 v84, 0 :: v_dual_mov_b32 v71, 0
	v_dual_mov_b32 v94, 0 :: v_dual_mov_b32 v75, 0
	v_dual_mov_b32 v108, 0 :: v_dual_mov_b32 v79, 0
	v_dual_mov_b32 v86, 0 :: v_dual_mov_b32 v97, 0
	v_dual_mov_b32 v90, 0 :: v_dual_mov_b32 v91, 0
	s_and_not1_b32 vcc_lo, exec_lo, s3
	s_lshl_b32 s14, ttmp9, 7
	s_cbranch_vccnz .LBB163_14
; %bb.4:
	v_dual_mov_b32 v91, 0 :: v_dual_add_nc_u32 v10, s7, v34
	s_add_co_i32 s10, s4, -1
	v_bfe_u32 v96, v0, 2, 8
	v_cvt_f64_i32_e32 v[1:2], s10
	s_delay_alu instid0(VALU_DEP_3) | instskip(SKIP_3) | instid1(VALU_DEP_4)
	v_dual_mov_b32 v90, 0 :: v_dual_add_nc_u32 v5, 8, v10
	v_dual_mov_b32 v86, 0 :: v_dual_add_nc_u32 v7, 16, v10
	v_cvt_f64_u32_e32 v[3:4], v10
	v_dual_mov_b32 v94, 0 :: v_dual_add_nc_u32 v11, 32, v10
	v_cvt_f64_u32_e32 v[5:6], v5
	s_delay_alu instid0(VALU_DEP_4) | instskip(SKIP_1) | instid1(VALU_DEP_4)
	v_cvt_f64_u32_e32 v[7:8], v7
	v_dual_mov_b32 v108, 0 :: v_dual_add_nc_u32 v9, 24, v10
	v_cvt_f64_u32_e32 v[11:12], v11
	v_dual_mov_b32 v84, 0 :: v_dual_add_nc_u32 v13, 40, v10
	v_dual_mov_b32 v78, 0 :: v_dual_add_nc_u32 v15, 48, v10
	scratch_store_b32 off, v10, off offset:72 ; 4-byte Folded Spill
	v_dual_mov_b32 v74, 0 :: v_dual_add_nc_u32 v17, 56, v10
	v_cvt_f64_u32_e32 v[9:10], v9
	v_cvt_f64_u32_e32 v[13:14], v13
	;; [unrolled: 1-line block ×3, first 2 shown]
	s_delay_alu instid0(VALU_DEP_4) | instskip(SKIP_4) | instid1(VALU_DEP_4)
	v_cvt_f64_u32_e32 v[17:18], v17
	v_dual_mov_b32 v97, 0 :: v_dual_lshlrev_b32 v20, 3, v35
	v_bfe_u32 v24, v0, 3, 7
	v_dual_mov_b32 v75, 0 :: v_dual_lshlrev_b32 v22, 2, v35
	v_dual_mov_b32 v70, 0 :: v_dual_and_b32 v19, 3, v0
	v_mad_u32_u24 v104, 0x104, v34, v20
	s_delay_alu instid0(VALU_DEP_3)
	v_dual_mov_b32 v89, 0 :: v_dual_and_b32 v20, 28, v22
	v_lshl_add_u32 v22, v34, 3, v96
	s_ashr_i32 s3, s2, 31
	v_dual_mov_b32 v66, 0 :: v_dual_and_b32 v99, 7, v0
	s_lshr_b32 s3, s3, 27
	v_dual_mov_b32 v71, 0 :: v_dual_lshlrev_b32 v102, 2, v19
	s_add_co_i32 s11, s2, s3
	s_ashr_i32 s12, s5, 31
	v_min_num_f64_e32 v[3:4], v[3:4], v[1:2]
	s_wait_alu 0xfffe
	s_ashr_i32 s15, s11, 5
	s_lshr_b32 s12, s12, 27
	v_min_num_f64_e32 v[5:6], v[5:6], v[1:2]
	v_min_num_f64_e32 v[7:8], v[7:8], v[1:2]
	v_mul_lo_u32 v95, s15, v34
	s_add_co_i32 s5, s5, s12
	v_min_num_f64_e32 v[11:12], v[11:12], v[1:2]
	s_ashr_i32 s5, s5, 5
	v_mov_b32_e32 v67, 0
	s_lshl_b32 s16, s15, 3
	v_dual_mov_b32 v88, 0 :: v_dual_and_b32 v21, 31, v0
	s_delay_alu instid0(VALU_DEP_4)
	v_dual_mov_b32 v79, 0 :: v_dual_add_nc_u32 v98, s16, v95
	v_min_num_f64_e32 v[9:10], v[9:10], v[1:2]
	v_min_num_f64_e32 v[13:14], v[13:14], v[1:2]
	;; [unrolled: 1-line block ×4, first 2 shown]
	v_lshl_add_u32 v17, v34, 2, v24
	v_lshlrev_b32_e32 v18, 2, v99
	v_dual_mov_b32 v92, 0 :: v_dual_add_nc_u32 v101, s16, v98
	s_delay_alu instid0(VALU_DEP_3)
	v_dual_mov_b32 v76, 0 :: v_dual_add_nc_u32 v33, 32, v17
	v_mul_lo_u32 v116, s15, v17
	v_and_b32_e32 v31, 0x7fc, v17
	v_dual_mov_b32 v87, 0 :: v_dual_lshlrev_b32 v32, 5, v17
	v_add_nc_u32_e32 v103, s16, v101
	v_dual_mov_b32 v107, 0 :: v_dual_mov_b32 v68, 0
	v_mov_b32_e32 v73, 0
	s_load_b128 s[0:3], s[0:1], 0x0
	s_delay_alu instid0(VALU_DEP_3) | instskip(SKIP_3) | instid1(VALU_DEP_3)
	v_add_nc_u32_e32 v106, s16, v103
	s_and_not1_b32 s11, s11, 31
	v_dual_mov_b32 v80, 0 :: v_dual_lshlrev_b32 v23, 7, v34
	v_cvt_i32_f64_e32 v3, v[3:4]
	v_add_nc_u32_e32 v109, s16, v106
	s_wait_alu 0xfffe
	v_add_nc_u32_e32 v121, s11, v116
	v_cvt_i32_f64_e32 v4, v[5:6]
	v_cvt_i32_f64_e32 v5, v[7:8]
	v_lshl_or_b32 v21, v21, 2, 0x8200
	v_add_nc_u32_e32 v110, s16, v109
	v_cvt_i32_f64_e32 v7, v[11:12]
	v_and_b32_e32 v11, 63, v22
	v_add3_u32 v12, v31, v18, 0xa200
	v_dual_mov_b32 v72, 0 :: v_dual_add_nc_u32 v25, 0x800, v23
	v_add_nc_u32_e32 v111, s16, v110
	v_dual_mov_b32 v83, 0 :: v_dual_add_nc_u32 v26, 0xc00, v23
	v_cvt_i32_f64_e32 v6, v[9:10]
	v_cvt_i32_f64_e32 v8, v[13:14]
	;; [unrolled: 1-line block ×4, first 2 shown]
	v_add_nc_u32_e32 v1, 64, v17
	v_add_nc_u32_e32 v2, 0x60, v17
	v_and_b32_e32 v13, 0xffc, v33
	v_add_nc_u32_e32 v115, s16, v111
	v_dual_mov_b32 v64, 0 :: v_dual_add_nc_u32 v27, 0x1000, v23
	v_and_b32_e32 v15, 0xffc, v1
	v_lshlrev_b32_e32 v16, 5, v1
	v_and_b32_e32 v1, 0xffc, v2
	v_lshlrev_b32_e32 v17, 5, v2
	v_or_b32_e32 v2, s7, v11
	v_lshl_or_b32 v11, v11, 4, v102
	v_add3_u32 v13, v13, v18, 0xa200
	v_add3_u32 v15, v15, v18, 0xa200
	;; [unrolled: 1-line block ×3, first 2 shown]
	v_min_i32_e32 v1, s10, v2
	v_add_nc_u32_e32 v2, 0xb280, v11
	v_add_nc_u32_e32 v117, s16, v115
	v_dual_mov_b32 v77, 0 :: v_dual_add_nc_u32 v28, 0x1400, v23
	v_mul_lo_u32 v128, s5, v3
	v_add_nc_u32_e32 v3, 64, v35
	v_mul_lo_u32 v129, s5, v4
	v_add_nc_u32_e32 v4, 32, v35
	v_mul_lo_u32 v130, s5, v5
	scratch_store_b32 off, v2, off          ; 4-byte Folded Spill
	v_mad_co_u64_u32 v[1:2], null, v1, s5, v[19:20]
	v_mul_lo_u32 v132, s5, v7
	v_and_b32_e32 v7, 0xfc, v0
	v_lshrrev_b32_e32 v0, 3, v4
	scratch_store_b32 off, v24, off offset:8 ; 4-byte Folded Spill
	v_lshlrev_b32_e32 v5, 5, v35
	v_and_b32_e32 v3, 0x1fc, v3
	scratch_store_b64 off, v[1:2], off offset:12 ; 8-byte Folded Spill
	v_add_nc_u32_e32 v2, 0x60, v35
	v_mul_lo_u32 v131, s5, v6
	v_and_b32_e32 v6, 0x1fc, v4
	v_mul_lo_u32 v133, s5, v8
	v_mul_u32_u24_e32 v1, 0x104, v35
	v_and_b32_e32 v2, 0x1fc, v2
	scratch_store_b32 off, v0, off offset:40 ; 4-byte Folded Spill
	v_add_nc_u32_e32 v8, v5, v3
	v_add_nc_u32_e32 v6, v5, v6
	;; [unrolled: 1-line block ×5, first 2 shown]
	v_dual_mov_b32 v93, 0 :: v_dual_add_nc_u32 v24, 0x400, v23
	s_delay_alu instid0(VALU_DEP_4) | instskip(NEXT) | instid1(VALU_DEP_4)
	v_add_nc_u32_e32 v119, s16, v118
	v_add_nc_u32_e32 v0, 0xae00, v4
	scratch_store_b32 off, v1, off offset:20 ; 4-byte Folded Spill
	v_add_nc_u32_e32 v29, 0x1800, v23
	v_dual_mov_b32 v69, 0 :: v_dual_add_nc_u32 v30, 0x1c00, v23
	scratch_store_b32 off, v0, off offset:24 ; 4-byte Folded Spill
	v_add_nc_u32_e32 v0, 0xaa00, v8
	v_add_nc_u32_e32 v120, s16, v119
	v_lshlrev_b32_e32 v14, 5, v33
	v_add_nc_u32_e32 v123, s11, v121
	v_mul_lo_u32 v134, s5, v9
	scratch_store_b32 off, v0, off offset:28 ; 4-byte Folded Spill
	v_add_nc_u32_e32 v0, 0xa600, v6
	v_add_nc_u32_e32 v122, s16, v120
	v_mul_lo_u32 v135, s5, v10
	s_wait_kmcnt 0x0
	v_add_co_u32 v2, s5, s2, v20
	scratch_store_b32 off, v0, off offset:32 ; 4-byte Folded Spill
	v_add_nc_u32_e32 v0, 0xa200, v5
	s_clause 0x1
	scratch_store_b32 off, v0, off offset:36
	scratch_store_b32 off, v34, off offset:64
	v_lshl_add_u32 v0, v34, 4, 0xb280
	v_add_nc_u32_e32 v124, s16, v122
	s_mul_i32 s12, s15, s14
	v_add_co_ci_u32_e64 v3, null, s3, 0, s5
	scratch_store_b32 off, v0, off offset:4 ; 4-byte Folded Spill
	v_add_nc_u32_e32 v0, 0xae10, v4
	s_movk_i32 s5, 0x80
	s_ashr_i32 s13, s12, 31
	v_dual_mov_b32 v65, 0 :: v_dual_add_nc_u32 v140, 0x69a0, v104
	scratch_store_b32 off, v0, off offset:44 ; 4-byte Folded Spill
	v_add_nc_u32_e32 v0, 0xaa10, v8
	v_dual_mov_b32 v105, 0 :: v_dual_add_nc_u32 v100, 0x71c0, v104
	v_add_nc_u32_e32 v125, 0x79e0, v104
	v_add_nc_u32_e32 v126, s11, v123
	scratch_store_b32 off, v0, off offset:48 ; 4-byte Folded Spill
	v_add_nc_u32_e32 v0, 0xa610, v6
	v_add_nc_u32_e32 v127, s16, v124
	;; [unrolled: 1-line block ×5, first 2 shown]
	scratch_store_b32 off, v0, off offset:52 ; 4-byte Folded Spill
	v_add_nc_u32_e32 v0, 0xa210, v5
	s_clause 0x1
	scratch_store_b32 off, v0, off offset:56
	scratch_store_b32 off, v35, off offset:68
	s_wait_alu 0xfffe
	v_mad_u32_u24 v0, 0x104, v35, s5
	v_add_nc_u32_e32 v150, v15, v16
	v_add_nc_u32_e32 v151, v18, v17
	;; [unrolled: 1-line block ×10, first 2 shown]
	s_mul_u64 s[12:13], s[12:13], 24
	s_mov_b32 s11, 0
	s_add_nc_u64 s[0:1], s[0:1], s[12:13]
	s_add_co_i32 s5, s15, 3
	s_wait_alu 0xfffe
	s_mov_b32 s10, s11
	scratch_store_b32 off, v0, off offset:60 ; 4-byte Folded Spill
	s_branch .LBB163_6
.LBB163_5:                              ;   in Loop: Header=BB163_6 Depth=1
	s_add_co_i32 s10, s10, 8
	s_add_co_i32 s5, s5, -8
	s_wait_alu 0xfffe
	s_cmp_ge_i32 s10, s15
	s_cbranch_scc1 .LBB163_13
.LBB163_6:                              ; =>This Loop Header: Depth=1
                                        ;     Child Loop BB163_8 Depth 2
                                        ;     Child Loop BB163_11 Depth 2
	s_wait_alu 0xfffe
	s_mul_u64 s[12:13], s[10:11], 24
	v_add_nc_u32_e32 v44, 0x820, v104
	s_wait_alu 0xfffe
	s_add_nc_u64 s[12:13], s[0:1], s[12:13]
	v_add_nc_u32_e32 v45, 0x1040, v104
	s_wait_alu 0xfffe
	v_mad_co_u64_u32 v[4:5], null, v96, 24, s[12:13]
	v_add_nc_u32_e32 v48, 0x28a0, v104
	v_add_nc_u32_e32 v49, 0x30c0, v104
	;; [unrolled: 1-line block ×3, first 2 shown]
	s_cmp_gt_u32 s5, 3
	s_delay_alu instid0(VALU_DEP_4) | instskip(SKIP_3) | instid1(VALU_DEP_4)
	v_mad_co_u64_u32 v[6:7], null, v95, 24, v[4:5]
	v_mad_co_u64_u32 v[8:9], null, v98, 24, v[4:5]
	;; [unrolled: 1-line block ×4, first 2 shown]
	v_add_co_u32 v10, vcc_lo, v6, v102
	v_mad_co_u64_u32 v[24:25], null, v106, 24, v[4:5]
	s_wait_alu 0xfffd
	v_add_co_ci_u32_e64 v11, null, 0, v7, vcc_lo
	v_add_co_u32 v12, vcc_lo, v8, v102
	v_mad_co_u64_u32 v[26:27], null, v109, 24, v[4:5]
	s_wait_alu 0xfffd
	v_add_co_ci_u32_e64 v13, null, 0, v9, vcc_lo
	v_add_co_u32 v20, vcc_lo, v16, v102
	s_wait_alu 0xfffd
	v_add_co_ci_u32_e64 v21, null, 0, v17, vcc_lo
	v_add_co_u32 v22, vcc_lo, v18, v102
	;; [unrolled: 3-line block ×3, first 2 shown]
	s_wait_alu 0xfffd
	v_add_co_ci_u32_e64 v29, null, 0, v25, vcc_lo
	v_mad_co_u64_u32 v[30:31], null, v110, 24, v[4:5]
	v_mad_co_u64_u32 v[32:33], null, v111, 24, v[4:5]
	v_add_co_u32 v34, vcc_lo, v26, v102
	s_wait_alu 0xfffd
	v_add_co_ci_u32_e64 v35, null, 0, v27, vcc_lo
	s_clause 0x7
	global_load_b32 v15, v[10:11], off offset:8
	global_load_b32 v14, v[12:13], off offset:8
	;; [unrolled: 1-line block ×8, first 2 shown]
	v_mad_co_u64_u32 v[6:7], null, v117, 24, v[4:5]
	v_mad_co_u64_u32 v[8:9], null, v115, 24, v[4:5]
	s_clause 0x7
	global_load_b32 v22, v[28:29], off offset:8
	global_load_b32 v20, v[34:35], off offset:8
	;; [unrolled: 1-line block ×8, first 2 shown]
	v_mad_co_u64_u32 v[25:26], null, v118, 24, v[4:5]
	v_add_co_u32 v36, vcc_lo, v30, v102
	v_mad_co_u64_u32 v[27:28], null, v119, 24, v[4:5]
	s_wait_alu 0xfffd
	v_add_co_ci_u32_e64 v37, null, 0, v31, vcc_lo
	v_add_co_u32 v38, vcc_lo, v32, v102
	s_wait_alu 0xfffd
	v_add_co_ci_u32_e64 v39, null, 0, v33, vcc_lo
	v_add_co_u32 v29, vcc_lo, v8, v102
	;; [unrolled: 3-line block ×5, first 2 shown]
	s_wait_alu 0xfffd
	v_add_co_ci_u32_e64 v34, null, 0, v7, vcc_lo
	s_clause 0x7
	global_load_b32 v42, v[36:37], off offset:8
	global_load_b32 v39, v[38:39], off offset:8
	;; [unrolled: 1-line block ×8, first 2 shown]
	v_mad_co_u64_u32 v[27:28], null, v120, 24, v[4:5]
	v_mad_co_u64_u32 v[29:30], null, v122, 24, v[4:5]
	;; [unrolled: 1-line block ×4, first 2 shown]
	global_load_b32 v46, v[27:28], off offset:4
	v_add_co_u32 v33, vcc_lo, v27, v102
	s_wait_alu 0xfffd
	v_add_co_ci_u32_e64 v34, null, 0, v28, vcc_lo
	v_add_co_u32 v27, vcc_lo, v29, v102
	s_wait_alu 0xfffd
	v_add_co_ci_u32_e64 v28, null, 0, v30, vcc_lo
	;; [unrolled: 3-line block ×4, first 2 shown]
	s_clause 0x6
	global_load_b32 v31, v[31:32], off offset:4
	global_load_b32 v32, v[4:5], off offset:4
	;; [unrolled: 1-line block ×7, first 2 shown]
	v_mad_co_u64_u32 v[25:26], null, v99, 24, s[12:13]
	v_add_nc_u32_e32 v34, 0x1860, v104
	v_add_nc_u32_e32 v38, 0x2080, v104
	s_delay_alu instid0(VALU_DEP_3)
	v_mad_co_u64_u32 v[4:5], null, v116, 24, v[25:26]
	v_mad_co_u64_u32 v[27:28], null, v121, 24, v[25:26]
	;; [unrolled: 1-line block ×4, first 2 shown]
	s_clause 0x3
	global_load_b32 v4, v[4:5], off
	global_load_b32 v5, v[27:28], off
	;; [unrolled: 1-line block ×4, first 2 shown]
	s_wait_loadcnt 0x23
	v_and_b32_e32 v29, 0xf0f0f0f, v15
	v_lshrrev_b32_e32 v15, 4, v15
	s_wait_loadcnt 0x22
	v_and_b32_e32 v30, 0xf0f0f0f, v14
	v_lshrrev_b32_e32 v14, 4, v14
	s_wait_loadcnt 0x1f
	v_ashrrev_i32_e32 v13, v102, v13
	s_wait_loadcnt 0x1e
	v_ashrrev_i32_e32 v16, v102, v16
	;; [unrolled: 2-line block ×7, first 2 shown]
	v_ashrrev_i32_e32 v19, v102, v19
	v_lshlrev_b32_e32 v162, 4, v18
	v_lshlrev_b32_e32 v163, 11, v18
	v_lshrrev_b32_e32 v166, 12, v18
	v_lshrrev_b32_e32 v167, 5, v18
	v_lshlrev_b32_e32 v169, 4, v17
	v_lshlrev_b32_e32 v170, 11, v17
	v_lshrrev_b32_e32 v173, 12, v17
	v_lshrrev_b32_e32 v174, 5, v17
	s_wait_loadcnt 0x15
	v_ashrrev_i32_e32 v28, v102, v40
	v_and_b32_e32 v40, 0xf0f0f0f, v12
	v_lshrrev_b32_e32 v12, 4, v12
	v_lshlrev_b32_e32 v176, 4, v16
	v_lshlrev_b32_e32 v177, 11, v16
	v_lshrrev_b32_e32 v180, 12, v16
	v_lshrrev_b32_e32 v181, 5, v16
	s_wait_loadcnt 0x14
	v_ashrrev_i32_e32 v26, v102, v41
	v_and_b32_e32 v41, 0xf0f0f0f, v11
	v_lshrrev_b32_e32 v11, 4, v11
	v_lshlrev_b32_e32 v183, 4, v13
	v_lshlrev_b32_e32 v184, 11, v13
	v_lshrrev_b32_e32 v187, 12, v13
	v_lshrrev_b32_e32 v188, 5, v13
	v_and_b32_e32 v51, 0xf0f0f0f, v22
	v_lshrrev_b32_e32 v22, 4, v22
	v_lshlrev_b32_e32 v190, 4, v24
	v_lshlrev_b32_e32 v191, 11, v24
	v_lshrrev_b32_e32 v194, 12, v24
	v_lshrrev_b32_e32 v195, 5, v24
	v_and_b32_e32 v52, 0xf0f0f0f, v20
	v_lshrrev_b32_e32 v20, 4, v20
	s_wait_loadcnt 0x13
	v_and_b32_e32 v53, 0xf0f0f0f, v42
	v_lshrrev_b32_e32 v42, 4, v42
	s_wait_loadcnt 0x12
	v_and_b32_e32 v54, 0xf0f0f0f, v39
	v_lshrrev_b32_e32 v39, 4, v39
	v_lshlrev_b32_e32 v164, 18, v18
	v_lshlrev_b32_e32 v165, 25, v18
	v_and_b32_e32 v15, 0xf0f0f0f, v15
	v_lshlrev_b32_e32 v168, 2, v18
	v_lshlrev_b32_e32 v18, 9, v18
	;; [unrolled: 1-line block ×4, first 2 shown]
	v_lshrrev_b32_e32 v201, 12, v23
	v_lshrrev_b32_e32 v202, 5, v23
	v_lshlrev_b32_e32 v204, 4, v21
	v_lshlrev_b32_e32 v205, 11, v21
	v_lshrrev_b32_e32 v208, 12, v21
	v_lshrrev_b32_e32 v209, 5, v21
	v_lshlrev_b32_e32 v211, 4, v19
	v_lshlrev_b32_e32 v212, 11, v19
	v_lshrrev_b32_e32 v215, 12, v19
	v_lshrrev_b32_e32 v216, 5, v19
	v_and_b32_e32 v162, 16, v162
	v_and_b32_e32 v163, 0x1000, v163
	v_and_b32_e32 v166, 16, v166
	v_and_b32_e32 v167, 0x1000, v167
	v_lshlrev_b32_e32 v171, 18, v17
	v_lshlrev_b32_e32 v172, 25, v17
	v_and_b32_e32 v14, 0xf0f0f0f, v14
	v_lshlrev_b32_e32 v175, 2, v17
	v_lshlrev_b32_e32 v17, 9, v17
	v_and_b32_e32 v169, 16, v169
	v_and_b32_e32 v170, 0x1000, v170
	v_and_b32_e32 v173, 16, v173
	v_and_b32_e32 v174, 0x1000, v174
	v_lshlrev_b32_e32 v178, 18, v16
	v_lshlrev_b32_e32 v179, 25, v16
	v_and_b32_e32 v12, 0xf0f0f0f, v12
	v_lshlrev_b32_e32 v182, 2, v16
	v_lshlrev_b32_e32 v16, 9, v16
	;; [unrolled: 9-line block ×5, first 2 shown]
	v_lshlrev_b32_e32 v206, 18, v21
	v_lshlrev_b32_e32 v207, 25, v21
	v_and_b32_e32 v42, 0xf0f0f0f, v42
	v_lshlrev_b32_e32 v210, 2, v21
	v_lshlrev_b32_e32 v21, 9, v21
	;; [unrolled: 1-line block ×4, first 2 shown]
	v_and_b32_e32 v39, 0xf0f0f0f, v39
	v_lshlrev_b32_e32 v217, 2, v19
	v_lshlrev_b32_e32 v19, 9, v19
	v_and_b32_e32 v164, 0x100000, v164
	v_and_b32_e32 v165, 0x10000000, v165
	;; [unrolled: 1-line block ×16, first 2 shown]
	v_or3_b32 v29, v162, v29, v163
	v_or3_b32 v15, v166, v15, v167
	v_and_b32_e32 v171, 0x100000, v171
	v_and_b32_e32 v172, 0x10000000, v172
	v_and_b32_e32 v175, 0x100000, v175
	v_and_b32_e32 v17, 0x10000000, v17
	v_or3_b32 v30, v169, v30, v170
	v_or3_b32 v14, v173, v14, v174
	v_and_b32_e32 v178, 0x100000, v178
	v_and_b32_e32 v179, 0x10000000, v179
	v_and_b32_e32 v182, 0x100000, v182
	v_and_b32_e32 v16, 0x10000000, v16
	;; [unrolled: 6-line block ×5, first 2 shown]
	v_and_b32_e32 v206, 0x100000, v206
	v_and_b32_e32 v207, 0x10000000, v207
	;; [unrolled: 1-line block ×8, first 2 shown]
	v_or3_b32 v52, v197, v52, v198
	v_or3_b32 v20, v201, v20, v202
	;; [unrolled: 1-line block ×16, first 2 shown]
	s_wait_loadcnt 0xe
	v_and_b32_e32 v55, 0xf0f0f0f, v43
	v_lshrrev_b32_e32 v43, 4, v43
	v_and_b32_e32 v56, 0xf0f0f0f, v10
	v_lshlrev_b32_e32 v57, 4, v26
	v_lshlrev_b32_e32 v58, 11, v26
	v_lshrrev_b32_e32 v61, 12, v26
	v_lshrrev_b32_e32 v62, 5, v26
	v_or3_b32 v24, v52, v199, v200
	v_or3_b32 v20, v20, v203, v23
	;; [unrolled: 1-line block ×6, first 2 shown]
	ds_store_2addr_b32 v104, v29, v15 offset1:1
	ds_store_2addr_b32 v44, v18, v14 offset1:1
	;; [unrolled: 1-line block ×8, first 2 shown]
	v_lshrrev_b32_e32 v10, 4, v10
	v_lshrrev_b32_e32 v15, 12, v28
	;; [unrolled: 1-line block ×3, first 2 shown]
	v_lshlrev_b32_e32 v59, 18, v26
	v_lshlrev_b32_e32 v60, 25, v26
	;; [unrolled: 1-line block ×6, first 2 shown]
	v_and_b32_e32 v43, 0xf0f0f0f, v43
	v_and_b32_e32 v57, 16, v57
	;; [unrolled: 1-line block ×8, first 2 shown]
	s_wait_loadcnt 0xd
	v_ashrrev_i32_e32 v9, v102, v9
	v_and_b32_e32 v59, 0x100000, v59
	v_and_b32_e32 v60, 0x10000000, v60
	v_and_b32_e32 v63, 0x100000, v63
	v_and_b32_e32 v26, 0x10000000, v26
	v_and_b32_e32 v160, 16, v160
	v_and_b32_e32 v161, 0x1000, v161
	v_or3_b32 v55, v57, v55, v58
	v_or3_b32 v43, v61, v43, v62
	v_lshlrev_b32_e32 v13, 18, v28
	v_lshlrev_b32_e32 v17, 25, v28
	v_or3_b32 v10, v15, v10, v16
	v_lshlrev_b32_e32 v15, 4, v9
	v_lshlrev_b32_e32 v16, 11, v9
	v_or3_b32 v11, v55, v59, v60
	v_or3_b32 v12, v43, v63, v26
	v_or3_b32 v14, v160, v56, v161
	v_and_b32_e32 v13, 0x100000, v13
	v_and_b32_e32 v17, 0x10000000, v17
	v_add_nc_u32_e32 v20, 0x4100, v104
	v_and_b32_e32 v21, 0xf0f0f0f, v8
	v_and_b32_e32 v15, 16, v15
	v_and_b32_e32 v16, 0x1000, v16
	v_lshlrev_b32_e32 v18, 2, v28
	v_lshlrev_b32_e32 v19, 9, v28
	ds_store_2addr_b32 v20, v11, v12 offset1:1
	v_or3_b32 v11, v14, v13, v17
	v_or3_b32 v13, v15, v21, v16
	v_lshrrev_b32_e32 v8, 4, v8
	v_lshrrev_b32_e32 v14, 12, v9
	;; [unrolled: 1-line block ×3, first 2 shown]
	v_and_b32_e32 v18, 0x100000, v18
	v_and_b32_e32 v19, 0x10000000, v19
	v_lshlrev_b32_e32 v12, 18, v9
	v_lshlrev_b32_e32 v16, 25, v9
	v_and_b32_e32 v8, 0xf0f0f0f, v8
	v_and_b32_e32 v14, 16, v14
	;; [unrolled: 1-line block ×3, first 2 shown]
	s_wait_loadcnt 0xc
	v_ashrrev_i32_e32 v7, v102, v7
	v_or3_b32 v10, v10, v18, v19
	v_and_b32_e32 v12, 0x100000, v12
	v_and_b32_e32 v16, 0x10000000, v16
	v_or3_b32 v8, v14, v8, v15
	v_lshlrev_b32_e32 v14, 4, v7
	v_lshlrev_b32_e32 v15, 11, v7
	v_add_nc_u32_e32 v18, 0x4920, v104
	v_lshlrev_b32_e32 v17, 2, v9
	v_lshlrev_b32_e32 v9, 9, v9
	v_and_b32_e32 v19, 0xf0f0f0f, v6
	v_and_b32_e32 v14, 16, v14
	;; [unrolled: 1-line block ×3, first 2 shown]
	ds_store_2addr_b32 v18, v11, v10 offset1:1
	v_or3_b32 v10, v13, v12, v16
	v_lshrrev_b32_e32 v6, 4, v6
	v_lshrrev_b32_e32 v12, 12, v7
	;; [unrolled: 1-line block ×3, first 2 shown]
	v_and_b32_e32 v17, 0x100000, v17
	v_and_b32_e32 v9, 0x10000000, v9
	v_or3_b32 v11, v14, v19, v15
	v_and_b32_e32 v6, 0xf0f0f0f, v6
	v_and_b32_e32 v12, 16, v12
	;; [unrolled: 1-line block ×3, first 2 shown]
	s_wait_loadcnt 0xb
	v_ashrrev_i32_e32 v15, v102, v46
	v_or3_b32 v8, v8, v17, v9
	v_lshlrev_b32_e32 v9, 18, v7
	v_lshlrev_b32_e32 v14, 25, v7
	v_or3_b32 v6, v12, v6, v13
	v_lshlrev_b32_e32 v12, 4, v15
	v_lshlrev_b32_e32 v13, 11, v15
	v_and_b32_e32 v9, 0x100000, v9
	v_and_b32_e32 v14, 0x10000000, v14
	v_add_nc_u32_e32 v17, 0x5140, v104
	s_wait_loadcnt 0x4
	v_and_b32_e32 v18, 0xf0f0f0f, v33
	v_and_b32_e32 v12, 16, v12
	;; [unrolled: 1-line block ×3, first 2 shown]
	v_lshlrev_b32_e32 v16, 2, v7
	v_lshlrev_b32_e32 v7, 9, v7
	ds_store_2addr_b32 v17, v10, v8 offset1:1
	v_or3_b32 v8, v11, v9, v14
	v_or3_b32 v9, v12, v18, v13
	v_lshrrev_b32_e32 v10, 4, v33
	v_lshrrev_b32_e32 v11, 12, v15
	;; [unrolled: 1-line block ×3, first 2 shown]
	v_and_b32_e32 v16, 0x100000, v16
	v_and_b32_e32 v7, 0x10000000, v7
	;; [unrolled: 1-line block ×5, first 2 shown]
	v_ashrrev_i32_e32 v14, v102, v47
	v_or3_b32 v6, v6, v16, v7
	v_lshlrev_b32_e32 v7, 18, v15
	v_lshlrev_b32_e32 v13, 25, v15
	;; [unrolled: 1-line block ×4, first 2 shown]
	v_or3_b32 v10, v11, v10, v12
	v_lshlrev_b32_e32 v11, 4, v14
	v_lshlrev_b32_e32 v12, 11, v14
	v_and_b32_e32 v7, 0x100000, v7
	v_and_b32_e32 v13, 0x10000000, v13
	;; [unrolled: 1-line block ×7, first 2 shown]
	v_lshlrev_b32_e32 v18, 18, v14
	v_lshlrev_b32_e32 v19, 25, v14
	v_or3_b32 v7, v9, v7, v13
	v_or3_b32 v9, v10, v16, v15
	;; [unrolled: 1-line block ×3, first 2 shown]
	v_and_b32_e32 v11, 0x100000, v18
	v_and_b32_e32 v12, 0x10000000, v19
	v_lshrrev_b32_e32 v13, 4, v37
	v_lshrrev_b32_e32 v15, 12, v14
	;; [unrolled: 1-line block ×3, first 2 shown]
	v_ashrrev_i32_e32 v17, v102, v32
	v_or3_b32 v10, v10, v11, v12
	v_and_b32_e32 v11, 0xf0f0f0f, v13
	v_and_b32_e32 v12, 16, v15
	;; [unrolled: 1-line block ×3, first 2 shown]
	v_lshlrev_b32_e32 v15, 4, v17
	v_lshlrev_b32_e32 v16, 11, v17
	;; [unrolled: 1-line block ×4, first 2 shown]
	v_and_b32_e32 v19, 0xf0f0f0f, v36
	v_and_b32_e32 v15, 16, v15
	;; [unrolled: 1-line block ×3, first 2 shown]
	v_lshlrev_b32_e32 v20, 18, v17
	v_or3_b32 v11, v12, v11, v13
	v_and_b32_e32 v13, 0x10000000, v14
	v_and_b32_e32 v12, 0x100000, v18
	v_or3_b32 v14, v15, v19, v16
	v_and_b32_e32 v15, 0x100000, v20
	v_ashrrev_i32_e32 v20, v102, v31
	v_lshrrev_b32_e32 v16, 4, v36
	v_lshrrev_b32_e32 v18, 12, v17
	;; [unrolled: 1-line block ×3, first 2 shown]
	v_lshlrev_b32_e32 v24, 2, v17
	v_lshlrev_b32_e32 v22, 4, v20
	;; [unrolled: 1-line block ×3, first 2 shown]
	v_and_b32_e32 v16, 0xf0f0f0f, v16
	v_and_b32_e32 v18, 16, v18
	;; [unrolled: 1-line block ×6, first 2 shown]
	v_lshlrev_b32_e32 v21, 25, v17
	v_or3_b32 v16, v18, v16, v19
	v_and_b32_e32 v18, 0x100000, v24
	v_lshrrev_b32_e32 v24, 5, v20
	v_or3_b32 v19, v22, v26, v23
	v_lshrrev_b32_e32 v22, 4, v35
	v_lshrrev_b32_e32 v23, 12, v20
	v_lshlrev_b32_e32 v17, 9, v17
	v_lshlrev_b32_e32 v26, 18, v20
	;; [unrolled: 1-line block ×3, first 2 shown]
	v_and_b32_e32 v22, 0xf0f0f0f, v22
	v_and_b32_e32 v23, 16, v23
	;; [unrolled: 1-line block ×3, first 2 shown]
	v_lshlrev_b32_e32 v29, 2, v20
	v_lshlrev_b32_e32 v20, 9, v20
	v_and_b32_e32 v21, 0x10000000, v21
	v_and_b32_e32 v17, 0x10000000, v17
	v_and_b32_e32 v26, 0x100000, v26
	v_and_b32_e32 v28, 0x10000000, v28
	v_or3_b32 v22, v23, v22, v24
	v_and_b32_e32 v23, 0x100000, v29
	v_and_b32_e32 v20, 0x10000000, v20
	v_or3_b32 v11, v11, v12, v13
	v_add_nc_u32_e32 v13, 0x5960, v104
	v_or3_b32 v12, v14, v15, v21
	v_add_nc_u32_e32 v14, 0x6180, v104
	v_or3_b32 v15, v16, v18, v17
	v_or3_b32 v16, v19, v26, v28
	;; [unrolled: 1-line block ×3, first 2 shown]
	ds_store_2addr_b32 v13, v8, v6 offset1:1
	ds_store_2addr_b32 v14, v7, v9 offset1:1
	;; [unrolled: 1-line block ×5, first 2 shown]
	s_wait_loadcnt 0x3
	ds_store_b32 v148, v4
	s_wait_loadcnt 0x2
	ds_store_b32 v149, v5
	;; [unrolled: 2-line block ×4, first 2 shown]
	s_cbranch_scc0 .LBB163_5
; %bb.7:                                ;   in Loop: Header=BB163_6 Depth=1
	scratch_load_b32 v0, off, off offset:8  ; 4-byte Folded Reload
	s_mov_b32 s12, -4
	s_wait_loadcnt 0x0
	v_dual_mov_b32 v161, v142 :: v_dual_add_nc_u32 v12, s10, v0
	scratch_load_b64 v[0:1], off, off offset:12 ; 8-byte Folded Reload
	v_add_nc_u32_e32 v13, v12, v135
	v_add_nc_u32_e32 v4, v12, v128
	;; [unrolled: 1-line block ×8, first 2 shown]
	v_mad_co_i64_i32 v[12:13], null, v13, 36, v[2:3]
	v_mad_co_i64_i32 v[4:5], null, v4, 36, v[2:3]
	;; [unrolled: 1-line block ×8, first 2 shown]
	s_wait_loadcnt 0x0
	v_add_nc_u32_e32 v160, s10, v0
	s_delay_alu instid0(VALU_DEP_1)
	v_mad_co_u64_u32 v[20:21], null, v160, 36, s[2:3]
	s_clause 0x8
	global_load_b32 v12, v[12:13], off offset:4
	global_load_b32 v4, v[4:5], off offset:4
	;; [unrolled: 1-line block ×8, first 2 shown]
	global_load_b32 v11, v[20:21], off
	s_clause 0x5
	scratch_load_b32 v162, off, off offset:20
	scratch_load_b32 v163, off, off offset:4
	;; [unrolled: 1-line block ×6, first 2 shown]
	s_wait_loadcnt 0xe
	ds_store_b32 v159, v12
	s_wait_loadcnt 0xd
	ds_store_b32 v152, v4
	;; [unrolled: 2-line block ×8, first 2 shown]
	scratch_load_b32 v0, off, off           ; 4-byte Folded Reload
	s_wait_loadcnt 0x0
	ds_store_b32 v0, v11
	s_wait_storecnt_dscnt 0x0
	s_barrier_signal -1
	s_barrier_wait -1
	global_inv scope:SCOPE_SE
.LBB163_8:                              ;   Parent Loop BB163_6 Depth=1
                                        ; =>  This Inner Loop Header: Depth=2
	ds_load_2addr_b32 v[4:5], v163 offset1:32
	ds_load_b32 v9, v164
	ds_load_b32 v8, v165
	;; [unrolled: 1-line block ×4, first 2 shown]
	v_add_nc_u32_e32 v22, 0x2098, v162
	v_add_nc_u32_e32 v25, 0x414, v161
	;; [unrolled: 1-line block ×8, first 2 shown]
	s_wait_alu 0xfffe
	s_add_co_i32 s12, s12, 4
	s_wait_alu 0xfffe
	s_cmp_lt_u32 s12, 12
	s_wait_dscnt 0x3
	v_pk_mul_f16 v192, v4, v9
	s_wait_dscnt 0x2
	v_pk_mul_f16 v188, v4, v8
	;; [unrolled: 2-line block ×4, first 2 shown]
	v_pk_mul_f16 v186, v9, v5
	v_pk_mul_f16 v195, v8, v5
	;; [unrolled: 1-line block ×4, first 2 shown]
	ds_load_2addr_b32 v[4:5], v163 offset0:64 offset1:96
	s_wait_dscnt 0x0
	v_pk_mul_f16 v185, v9, v4
	v_pk_mul_f16 v183, v8, v4
	;; [unrolled: 1-line block ×8, first 2 shown]
	ds_load_2addr_b32 v[4:5], v163 offset0:128 offset1:160
	s_wait_dscnt 0x0
	v_pk_mul_f16 v177, v9, v4
	v_pk_mul_f16 v175, v8, v4
	;; [unrolled: 1-line block ×8, first 2 shown]
	ds_load_2addr_b32 v[4:5], v163 offset0:192 offset1:224
	v_add_nc_u32_e32 v163, 4, v163
	s_wait_dscnt 0x0
	v_pk_mul_f16 v169, v9, v4
	v_pk_mul_f16 v190, v9, v5
	;; [unrolled: 1-line block ×8, first 2 shown]
	ds_load_2addr_b32 v[12:13], v161 offset1:7
	ds_load_2addr_b32 v[10:11], v162 offset1:1
	ds_load_2addr_b32 v[4:5], v162 offset0:2 offset1:3
	ds_load_2addr_b32 v[6:7], v162 offset0:4 offset1:5
	;; [unrolled: 1-line block ×3, first 2 shown]
	s_wait_dscnt 0x4
	v_lshlrev_b32_e32 v213, 8, v13
	s_wait_dscnt 0x3
	v_perm_b32 v14, v12, v11, 0xc0c0703
	s_wait_dscnt 0x2
	v_perm_b32 v15, v5, v4, 0x7030c0c
	v_lshlrev_b32_e32 v215, 16, v13
	s_wait_dscnt 0x0
	v_perm_b32 v17, v9, v8, 0x7030c0c
	v_perm_b32 v251, v11, v11, 0x2010003
	v_or_b32_e32 v14, v15, v14
	v_add_nc_u32_e32 v15, 0x1c14, v161
	ds_load_2addr_b32 v[26:27], v15 offset1:1
	ds_load_2addr_b32 v[20:21], v161 offset0:3 offset1:4
	ds_load_2addr_b32 v[30:31], v161 offset0:5 offset1:6
	;; [unrolled: 1-line block ×3, first 2 shown]
	s_wait_dscnt 0x2
	v_perm_b32 v15, v10, v21, 0xc0c0703
	v_perm_b32 v18, v13, v20, 0x7030c0c
	s_wait_dscnt 0x0
	v_perm_b32 v16, v30, v32, 0x7030c0c
	v_lshlrev_b32_e32 v243, 8, v32
	v_lshlrev_b32_e32 v244, 8, v30
	;; [unrolled: 1-line block ×4, first 2 shown]
	v_or_b32_e32 v15, v16, v15
	v_perm_b32 v16, v7, v6, 0xc0c0703
	v_lshlrev_b32_e32 v219, 8, v31
	v_perm_b32 v47, v10, v245, 0xc0c0603
	v_lshlrev_b32_e32 v214, 8, v20
	v_dot4_i32_iu8 v14, v15, v14, 0 neg_lo:[1,1,0]
	v_or_b32_e32 v16, v17, v16
	v_perm_b32 v17, v31, v33, 0xc0c0703
	v_add_nc_u32_e32 v15, 0x400, v161
	v_perm_b32 v50, v213, v214, 0x7030c0c
	v_lshlrev_b32_e32 v246, 16, v32
	v_lshlrev_b32_e32 v247, 16, v30
	v_or_b32_e32 v17, v18, v17
	v_lshlrev_b32_e32 v248, 16, v21
	v_lshlrev_b32_e32 v218, 16, v33
	;; [unrolled: 1-line block ×4, first 2 shown]
	v_dot4_i32_iu8 v200, v17, v16, v14 neg_lo:[1,1,0]
	v_add_nc_u32_e32 v14, 0x2080, v162
	v_add_nc_u32_e32 v16, 0x2088, v162
	v_add_nc_u32_e32 v17, 0x2090, v162
	ds_load_2addr_b32 v[18:19], v14 offset1:1
	ds_load_2addr_b32 v[14:15], v15 offset1:7
	;; [unrolled: 1-line block ×5, first 2 shown]
	s_wait_dscnt 0x4
	v_bfe_i32 v22, v18, 16, 8
	s_wait_dscnt 0x3
	v_bfe_i32 v23, v14, 16, 8
	v_bfe_i32 v24, v14, 0, 8
	v_perm_b32 v136, v19, v19, 0x2010003
	s_delay_alu instid0(VALU_DEP_3) | instskip(SKIP_1) | instid1(VALU_DEP_1)
	v_mul_i32_i24_e32 v22, v23, v22
	v_bfe_i32 v23, v18, 0, 8
	v_mad_i32_i24 v36, v24, v23, v22
	v_ashrrev_i32_e32 v22, 24, v18
	v_ashrrev_i32_e32 v23, 24, v14
	v_lshrrev_b16 v24, 8, v14
	s_delay_alu instid0(VALU_DEP_2) | instskip(SKIP_1) | instid1(VALU_DEP_3)
	v_mul_i32_i24_e32 v22, v23, v22
	v_lshrrev_b16 v23, 8, v18
	v_bfe_i32 v24, v24, 0, 8
	s_delay_alu instid0(VALU_DEP_2) | instskip(NEXT) | instid1(VALU_DEP_1)
	v_bfe_i32 v23, v23, 0, 8
	v_mad_i32_i24 v37, v24, v23, v22
	v_add_nc_u32_e32 v22, 0x40c, v161
	v_add_nc_u32_e32 v24, 0x404, v161
	ds_load_2addr_b32 v[22:23], v22 offset1:1
	ds_load_2addr_b32 v[38:39], v24 offset1:1
	;; [unrolled: 1-line block ×4, first 2 shown]
	v_bfe_i32 v40, v19, 8, 8
	s_wait_dscnt 0x3
	v_bfe_i32 v41, v23, 8, 8
	v_ashrrev_i32_e32 v42, 24, v23
	s_wait_dscnt 0x2
	v_bfe_i32 v43, v38, 16, 8
	s_wait_dscnt 0x1
	v_bfe_i32 v44, v35, 0, 8
	v_bfe_i32 v45, v22, 0, 8
	v_mul_i32_i24_e32 v40, v41, v40
	v_ashrrev_i32_e32 v41, 24, v19
	v_bfe_i32 v46, v22, 16, 8
	s_delay_alu instid0(VALU_DEP_2) | instskip(SKIP_3) | instid1(VALU_DEP_2)
	v_mad_i32_i24 v201, v42, v41, v40
	v_bfe_i32 v40, v48, 8, 8
	v_bfe_i32 v41, v38, 8, 8
	;; [unrolled: 1-line block ×3, first 2 shown]
	v_mul_i32_i24_e32 v40, v41, v40
	v_bfe_i32 v41, v48, 0, 8
	s_delay_alu instid0(VALU_DEP_1) | instskip(SKIP_2) | instid1(VALU_DEP_1)
	v_mad_i32_i24 v40, v42, v41, v40
	v_ashrrev_i32_e32 v41, 24, v49
	v_ashrrev_i32_e32 v42, 24, v34
	v_mul_i32_i24_e32 v41, v42, v41
	v_bfe_i32 v42, v48, 16, 8
	s_delay_alu instid0(VALU_DEP_1) | instskip(SKIP_3) | instid1(VALU_DEP_2)
	v_mad_i32_i24 v202, v43, v42, v41
	v_bfe_i32 v41, v49, 8, 8
	v_bfe_i32 v42, v34, 8, 8
	;; [unrolled: 1-line block ×3, first 2 shown]
	v_mul_i32_i24_e32 v41, v42, v41
	v_bfe_i32 v42, v49, 0, 8
	s_delay_alu instid0(VALU_DEP_1) | instskip(SKIP_3) | instid1(VALU_DEP_2)
	v_mad_i32_i24 v203, v43, v42, v41
	v_bfe_i32 v41, v28, 8, 8
	v_bfe_i32 v42, v39, 8, 8
	;; [unrolled: 1-line block ×3, first 2 shown]
	v_mul_i32_i24_e32 v41, v42, v41
	v_bfe_i32 v42, v28, 0, 8
	s_delay_alu instid0(VALU_DEP_1) | instskip(SKIP_2) | instid1(VALU_DEP_1)
	v_mad_i32_i24 v41, v43, v42, v41
	v_bfe_i32 v42, v29, 8, 8
	v_bfe_i32 v43, v35, 8, 8
	v_mul_i32_i24_e32 v42, v43, v42
	v_bfe_i32 v43, v29, 0, 8
	s_delay_alu instid0(VALU_DEP_1) | instskip(SKIP_2) | instid1(VALU_DEP_1)
	v_mad_i32_i24 v42, v44, v43, v42
	v_bfe_i32 v43, v16, 8, 8
	v_bfe_i32 v44, v22, 8, 8
	v_mul_i32_i24_e32 v43, v44, v43
	v_bfe_i32 v44, v16, 0, 8
	s_delay_alu instid0(VALU_DEP_1) | instskip(SKIP_2) | instid1(VALU_DEP_1)
	v_mad_i32_i24 v43, v45, v44, v43
	v_ashrrev_i32_e32 v44, 24, v17
	v_ashrrev_i32_e32 v45, 24, v15
	v_mul_i32_i24_e32 v44, v45, v44
	v_bfe_i32 v45, v16, 16, 8
	s_delay_alu instid0(VALU_DEP_1) | instskip(SKIP_3) | instid1(VALU_DEP_2)
	v_mad_i32_i24 v204, v46, v45, v44
	v_bfe_i32 v44, v17, 8, 8
	v_bfe_i32 v45, v15, 8, 8
	;; [unrolled: 1-line block ×3, first 2 shown]
	v_mul_i32_i24_e32 v44, v45, v44
	v_bfe_i32 v45, v17, 0, 8
	s_delay_alu instid0(VALU_DEP_1) | instskip(SKIP_3) | instid1(VALU_DEP_2)
	v_mad_i32_i24 v205, v46, v45, v44
	v_perm_b32 v44, v12, v11, 0xc0c0602
	v_perm_b32 v45, v5, v4, 0x6020c0c
	;; [unrolled: 1-line block ×3, first 2 shown]
	v_or_b32_e32 v44, v45, v44
	v_perm_b32 v45, v7, v6, 0xc0c0602
	s_delay_alu instid0(VALU_DEP_1) | instskip(SKIP_1) | instid1(VALU_DEP_1)
	v_or_b32_e32 v45, v46, v45
	v_perm_b32 v46, v244, v243, 0x7030c0c
	v_or_b32_e32 v46, v46, v47
	v_perm_b32 v47, v219, v220, 0xc0c0703
	s_delay_alu instid0(VALU_DEP_2) | instskip(NEXT) | instid1(VALU_DEP_2)
	v_dot4_i32_iu8 v44, v46, v44, 0 neg_lo:[1,1,0]
	v_or_b32_e32 v47, v50, v47
	v_perm_b32 v46, v9, v8, 0x5010c0c
	v_perm_b32 v50, v215, v216, 0x7030c0c
	s_delay_alu instid0(VALU_DEP_3) | instskip(SKIP_4) | instid1(VALU_DEP_3)
	v_dot4_i32_iu8 v206, v47, v45, v44 neg_lo:[1,1,0]
	v_perm_b32 v44, v12, v11, 0xc0c0501
	v_perm_b32 v45, v5, v4, 0x5010c0c
	v_perm_b32 v47, v10, v248, 0xc0c0503
	v_perm_b32 v11, v12, v11, 0xc0c0400
	v_or_b32_e32 v44, v45, v44
	v_perm_b32 v45, v7, v6, 0xc0c0501
	s_delay_alu instid0(VALU_DEP_1) | instskip(SKIP_1) | instid1(VALU_DEP_1)
	v_or_b32_e32 v45, v46, v45
	v_perm_b32 v46, v247, v246, 0x7030c0c
	v_or_b32_e32 v46, v46, v47
	v_perm_b32 v47, v217, v218, 0xc0c0703
	s_delay_alu instid0(VALU_DEP_2) | instskip(NEXT) | instid1(VALU_DEP_2)
	v_dot4_i32_iu8 v44, v46, v44, 0 neg_lo:[1,1,0]
	v_or_b32_e32 v47, v50, v47
	s_delay_alu instid0(VALU_DEP_1) | instskip(SKIP_2) | instid1(VALU_DEP_1)
	v_dot4_i32_iu8 v207, v47, v45, v44 neg_lo:[1,1,0]
	v_bfe_i32 v44, v23, 0, 8
	v_bfe_i32 v45, v19, 0, 8
	v_mul_i32_i24_e32 v44, v44, v45
	v_add_nc_u32_e32 v45, 0x1414, v161
	s_delay_alu instid0(VALU_DEP_2) | instskip(SKIP_3) | instid1(VALU_DEP_2)
	v_add3_u32 v208, v36, v37, v44
	v_bfe_i32 v36, v23, 16, 8
	v_bfe_i32 v37, v19, 16, 8
	v_ashrrev_i32_e32 v44, 24, v48
	v_mul_i32_i24_e32 v36, v36, v37
	v_ashrrev_i32_e32 v37, 24, v38
	s_delay_alu instid0(VALU_DEP_1) | instskip(SKIP_1) | instid1(VALU_DEP_2)
	v_mul_i32_i24_e32 v37, v37, v44
	v_add_nc_u32_e32 v44, 0x1014, v161
	v_add3_u32 v209, v36, v37, v40
	v_bfe_i32 v36, v34, 16, 8
	v_bfe_i32 v37, v49, 16, 8
	v_ashrrev_i32_e32 v40, 24, v28
	s_delay_alu instid0(VALU_DEP_2) | instskip(SKIP_1) | instid1(VALU_DEP_1)
	v_mul_i32_i24_e32 v36, v36, v37
	v_ashrrev_i32_e32 v37, 24, v39
	v_mul_i32_i24_e32 v37, v37, v40
	v_ashrrev_i32_e32 v40, 24, v29
	s_delay_alu instid0(VALU_DEP_2) | instskip(SKIP_2) | instid1(VALU_DEP_1)
	v_add3_u32 v210, v36, v37, v41
	v_bfe_i32 v36, v39, 16, 8
	v_bfe_i32 v37, v28, 16, 8
	v_mul_i32_i24_e32 v36, v36, v37
	v_ashrrev_i32_e32 v37, 24, v35
	s_delay_alu instid0(VALU_DEP_1) | instskip(SKIP_1) | instid1(VALU_DEP_2)
	v_mul_i32_i24_e32 v37, v37, v40
	v_ashrrev_i32_e32 v40, 24, v16
	v_add3_u32 v211, v36, v37, v42
	v_bfe_i32 v36, v35, 16, 8
	v_bfe_i32 v37, v29, 16, 8
	v_add_nc_u32_e32 v42, 0x1004, v161
	s_delay_alu instid0(VALU_DEP_2) | instskip(SKIP_1) | instid1(VALU_DEP_1)
	v_mul_i32_i24_e32 v36, v36, v37
	v_ashrrev_i32_e32 v37, 24, v22
	v_mul_i32_i24_e32 v37, v37, v40
	v_add_nc_u32_e32 v40, 0x814, v161
	s_delay_alu instid0(VALU_DEP_2) | instskip(SKIP_4) | instid1(VALU_DEP_3)
	v_add3_u32 v212, v36, v37, v43
	v_lshlrev_b32_e32 v36, 16, v23
	v_lshlrev_b32_e32 v37, 8, v23
	v_add_nc_u32_e32 v43, 0xc14, v161
	v_perm_b32 v23, v23, v23, 0xc0c0003
	v_perm_b32 v229, v37, v36, 0x7030c0c
	v_lshlrev_b32_e32 v36, 16, v38
	v_lshlrev_b32_e32 v37, 8, v38
	v_perm_b32 v38, v38, v38, 0xc0c0003
	s_delay_alu instid0(VALU_DEP_4) | instskip(SKIP_1) | instid1(VALU_DEP_4)
	v_or_b32_e32 v23, v229, v23
	v_add_nc_u32_e32 v229, 0x6180, v162
	v_perm_b32 v230, v37, v36, 0x7030c0c
	s_wait_dscnt 0x0
	v_lshlrev_b32_e32 v36, 16, v25
	v_lshlrev_b32_e32 v37, 8, v25
	v_perm_b32 v25, v25, v25, 0xc0c0003
	v_dot4_i32_iu8 v254, v23, v251, 0 neg_lo:[1,1,0]
	s_delay_alu instid0(VALU_DEP_3)
	v_perm_b32 v231, v37, v36, 0x7030c0c
	v_add_nc_u32_e32 v36, 0x804, v161
	v_add_nc_u32_e32 v37, 0xc04, v161
	ds_load_2addr_b32 v[62:63], v36 offset1:1
	ds_load_2addr_b32 v[60:61], v37 offset1:1
	;; [unrolled: 1-line block ×3, first 2 shown]
	v_or_b32_e32 v25, v231, v25
	v_add_nc_u32_e32 v231, 0x4108, v162
	s_delay_alu instid0(VALU_DEP_2) | instskip(SKIP_4) | instid1(VALU_DEP_1)
	v_dot4_i32_iu8 v0, v25, v251, 0 neg_lo:[1,1,0]
	v_dot4_i32_iu8 v143, v25, v136, 0 neg_lo:[1,1,0]
	s_wait_dscnt 0x2
	v_lshlrev_b32_e32 v36, 16, v62
	v_lshlrev_b32_e32 v37, 8, v62
	v_perm_b32 v232, v37, v36, 0x7030c0c
	v_add_nc_u32_e32 v36, 0xc0c, v161
	ds_load_2addr_b32 v[36:37], v36 offset1:1
	s_wait_dscnt 0x0
	v_lshlrev_b32_e32 v40, 16, v37
	v_lshlrev_b32_e32 v41, 8, v37
	v_perm_b32 v37, v37, v37, 0xc0c0003
	s_delay_alu instid0(VALU_DEP_2) | instskip(SKIP_2) | instid1(VALU_DEP_3)
	v_perm_b32 v233, v41, v40, 0x7030c0c
	v_lshlrev_b32_e32 v40, 16, v60
	v_lshlrev_b32_e32 v41, 8, v60
	v_or_b32_e32 v250, v233, v37
	v_perm_b32 v37, v60, v60, 0xc0c0003
	s_delay_alu instid0(VALU_DEP_3)
	v_perm_b32 v234, v41, v40, 0x7030c0c
	v_add_nc_u32_e32 v40, 0x100c, v161
	ds_load_2addr_b32 v[40:41], v40 offset1:1
	ds_load_2addr_b32 v[221:222], v42 offset1:1
	;; [unrolled: 1-line block ×4, first 2 shown]
	v_add_nc_u32_e32 v44, 0x1404, v161
	v_or_b32_e32 v60, v234, v37
	v_add_nc_u32_e32 v233, 0x4110, v162
	v_dot4_i32_iu8 v145, v250, v251, 0 neg_lo:[1,1,0]
	v_dot4_i32_iu8 v146, v250, v136, 0 neg_lo:[1,1,0]
	s_wait_dscnt 0x3
	v_lshlrev_b32_e32 v42, 16, v41
	v_lshlrev_b32_e32 v43, 8, v41
	v_perm_b32 v37, v41, v41, 0xc0c0003
	s_delay_alu instid0(VALU_DEP_2) | instskip(SKIP_3) | instid1(VALU_DEP_3)
	v_perm_b32 v235, v43, v42, 0x7030c0c
	s_wait_dscnt 0x2
	v_lshlrev_b32_e32 v42, 16, v221
	v_lshlrev_b32_e32 v43, 8, v221
	v_or_b32_e32 v41, v235, v37
	v_perm_b32 v37, v221, v221, 0xc0c0003
	s_delay_alu instid0(VALU_DEP_3)
	v_perm_b32 v236, v43, v42, 0x7030c0c
	v_add_nc_u32_e32 v42, 0x140c, v161
	ds_load_2addr_b32 v[42:43], v42 offset1:1
	ds_load_2addr_b32 v[223:224], v44 offset1:1
	;; [unrolled: 1-line block ×3, first 2 shown]
	v_or_b32_e32 v221, v236, v37
	v_add_nc_u32_e32 v235, 0x4118, v162
	v_dot4_i32_iu8 v81, v41, v251, 0 neg_lo:[1,1,0]
	v_dot4_i32_iu8 v82, v41, v136, 0 neg_lo:[1,1,0]
	s_wait_dscnt 0x2
	v_lshlrev_b32_e32 v44, 16, v43
	v_lshlrev_b32_e32 v45, 8, v43
	v_perm_b32 v37, v43, v43, 0xc0c0003
	s_delay_alu instid0(VALU_DEP_2) | instskip(SKIP_3) | instid1(VALU_DEP_3)
	v_perm_b32 v237, v45, v44, 0x7030c0c
	s_wait_dscnt 0x1
	v_lshlrev_b32_e32 v44, 16, v223
	v_lshlrev_b32_e32 v45, 8, v223
	v_or_b32_e32 v43, v237, v37
	v_perm_b32 v37, v223, v223, 0xc0c0003
	s_delay_alu instid0(VALU_DEP_3)
	v_perm_b32 v238, v45, v44, 0x7030c0c
	v_add_nc_u32_e32 v44, 0x180c, v161
	v_add_nc_u32_e32 v237, 0x6188, v162
	v_dot4_i32_iu8 v141, v43, v251, 0 neg_lo:[1,1,0]
	v_dot4_i32_iu8 v112, v43, v136, 0 neg_lo:[1,1,0]
	v_or_b32_e32 v223, v238, v37
	ds_load_2addr_b32 v[44:45], v44 offset1:1
	s_wait_dscnt 0x0
	v_lshlrev_b32_e32 v46, 16, v45
	v_lshlrev_b32_e32 v47, 8, v45
	v_perm_b32 v37, v45, v45, 0xc0c0003
	s_delay_alu instid0(VALU_DEP_2)
	v_perm_b32 v239, v47, v46, 0x7030c0c
	v_add_nc_u32_e32 v46, 0x1804, v161
	v_add_nc_u32_e32 v47, 0x1c04, v161
	ds_load_2addr_b32 v[225:226], v46 offset1:1
	ds_load_2addr_b32 v[227:228], v47 offset1:1
	;; [unrolled: 1-line block ×3, first 2 shown]
	v_or_b32_e32 v45, v239, v37
	v_add_nc_u32_e32 v239, 0x6190, v162
	s_delay_alu instid0(VALU_DEP_2)
	v_dot4_i32_iu8 v114, v45, v251, 0 neg_lo:[1,1,0]
	v_dot4_i32_iu8 v1, v45, v136, 0 neg_lo:[1,1,0]
	s_wait_dscnt 0x2
	v_lshlrev_b32_e32 v46, 16, v225
	v_lshlrev_b32_e32 v47, 8, v225
	v_perm_b32 v37, v225, v225, 0xc0c0003
	s_wait_dscnt 0x1
	v_lshlrev_b32_e32 v249, 8, v227
	s_delay_alu instid0(VALU_DEP_3) | instskip(SKIP_1) | instid1(VALU_DEP_2)
	v_perm_b32 v240, v47, v46, 0x7030c0c
	v_add_nc_u32_e32 v46, 0x1c0c, v161
	v_or_b32_e32 v225, v240, v37
	ds_load_2addr_b32 v[46:47], v46 offset1:1
	s_wait_dscnt 0x0
	v_lshlrev_b32_e32 v241, 16, v47
	v_lshlrev_b32_e32 v242, 8, v47
	v_perm_b32 v37, v47, v47, 0xc0c0003
	s_delay_alu instid0(VALU_DEP_2) | instskip(SKIP_1) | instid1(VALU_DEP_2)
	v_perm_b32 v241, v242, v241, 0x7030c0c
	v_lshlrev_b32_e32 v242, 16, v227
	v_or_b32_e32 v47, v241, v37
	s_delay_alu instid0(VALU_DEP_2)
	v_perm_b32 v242, v249, v242, 0x7030c0c
	v_perm_b32 v37, v227, v227, 0xc0c0003
	v_or_b32_e32 v249, v230, v38
	v_perm_b32 v38, v62, v62, 0xc0c0003
	v_add_nc_u32_e32 v241, 0x6198, v162
	v_dot4_i32_iu8 v251, v47, v251, 0 neg_lo:[1,1,0]
	v_or_b32_e32 v227, v242, v37
	v_add_nc_u32_e32 v37, 0x4100, v162
	v_or_b32_e32 v62, v232, v38
	ds_load_2addr_b32 v[37:38], v37 offset1:1
	ds_load_2addr_b32 v[229:230], v229 offset1:1
	;; [unrolled: 1-line block ×8, first 2 shown]
	v_dot4_i32_iu8 v136, v47, v136, 0 neg_lo:[1,1,0]
	v_add_nc_u32_e32 v162, 32, v162
	s_wait_dscnt 0x7
	v_perm_b32 v252, v38, v38, 0x2010003
	s_wait_dscnt 0x6
	v_perm_b32 v253, v230, v230, 0x2010003
	;; [unrolled: 2-line block ×3, first 2 shown]
	v_dot4_i32_iu8 v255, v23, v252, 0 neg_lo:[1,1,0]
	s_delay_alu instid0(VALU_DEP_3)
	v_dot4_i32_iu8 v23, v23, v253, 0 neg_lo:[1,1,0]
	v_dot4_i32_iu8 v144, v25, v252, 0 neg_lo:[1,1,0]
	;; [unrolled: 1-line block ×13, first 2 shown]
	v_perm_b32 v253, v4, v4, 0x2010003
	s_wait_dscnt 0x2
	v_perm_b32 v139, v237, v237, 0x2010003
	v_dot4_i32_iu8 v255, v249, v138, v255 neg_lo:[1,1,0]
	v_dot4_i32_iu8 v85, v221, v138, v85 neg_lo:[1,1,0]
	v_dot4_i32_iu8 v144, v62, v138, v144 neg_lo:[1,1,0]
	v_dot4_i32_iu8 v254, v249, v253, v254 neg_lo:[1,1,0]
	v_dot4_i32_iu8 v23, v249, v139, v23 neg_lo:[1,1,0]
	v_perm_b32 v249, v48, v48, 0x2010003
	v_dot4_i32_iu8 v81, v221, v253, v81 neg_lo:[1,1,0]
	v_dot4_i32_iu8 v41, v221, v139, v41 neg_lo:[1,1,0]
	;; [unrolled: 1-line block ×5, first 2 shown]
	v_lshlrev_b32_e32 v221, 24, v21
	v_dot4_i32_iu8 v143, v62, v249, v143 neg_lo:[1,1,0]
	v_dot4_i32_iu8 v62, v60, v253, v145 neg_lo:[1,1,0]
	;; [unrolled: 1-line block ×8, first 2 shown]
	v_perm_b32 v139, v21, v245, 0x7030c0c
	v_perm_b32 v21, v248, v221, 0xc0c0703
	v_dot4_i32_iu8 v141, v223, v253, v141 neg_lo:[1,1,0]
	v_dot4_i32_iu8 v112, v223, v249, v112 neg_lo:[1,1,0]
	;; [unrolled: 1-line block ×4, first 2 shown]
	v_or_b32_e32 v21, v139, v21
	v_lshlrev_b32_e32 v139, 24, v32
	v_perm_b32 v32, v32, v243, 0x7030c0c
	v_dot4_i32_iu8 v1, v225, v249, v1 neg_lo:[1,1,0]
	v_dot4_i32_iu8 v137, v225, v138, v137 neg_lo:[1,1,0]
	;; [unrolled: 1-line block ×3, first 2 shown]
	v_perm_b32 v223, v246, v139, 0xc0c0703
	v_dot4_i32_iu8 v136, v227, v249, v136 neg_lo:[1,1,0]
	v_dot4_i32_iu8 v138, v227, v138, v252 neg_lo:[1,1,0]
	v_dot4_i32_iu8 v227, v12, v229, 0 neg_lo:[1,1,0]
	v_perm_b32 v4, v5, v4, 0x4000c0c
	v_or_b32_e32 v32, v32, v223
	v_lshlrev_b32_e32 v223, 24, v30
	v_perm_b32 v30, v30, v244, 0x7030c0c
	v_dot4_i32_iu8 v227, v21, v230, v227 neg_lo:[1,1,0]
	v_perm_b32 v230, v238, v238, 0x2010003
	v_or_b32_e32 v4, v4, v11
	v_perm_b32 v225, v247, v223, 0xc0c0703
	s_delay_alu instid0(VALU_DEP_4) | instskip(SKIP_1) | instid1(VALU_DEP_3)
	v_dot4_i32_iu8 v227, v32, v237, v227 neg_lo:[1,1,0]
	v_lshlrev_b32_e32 v237, 8, v58
	v_or_b32_e32 v30, v30, v225
	v_dot4_i32_iu8 v225, v12, v37, 0 neg_lo:[1,1,0]
	s_delay_alu instid0(VALU_DEP_2) | instskip(NEXT) | instid1(VALU_DEP_2)
	v_dot4_i32_iu8 v227, v30, v238, v227 neg_lo:[1,1,0]
	v_dot4_i32_iu8 v38, v21, v38, v225 neg_lo:[1,1,0]
	v_perm_b32 v225, v232, v232, 0x2010003
	v_lshlrev_b32_e32 v238, 8, v26
	s_delay_alu instid0(VALU_DEP_3) | instskip(SKIP_2) | instid1(VALU_DEP_3)
	v_dot4_i32_iu8 v38, v32, v231, v38 neg_lo:[1,1,0]
	v_dot4_i32_iu8 v231, v18, v12, 0 neg_lo:[1,1,0]
	v_perm_b32 v12, v10, v221, 0xc0c0403
	v_dot4_i32_iu8 v38, v30, v232, v38 neg_lo:[1,1,0]
	s_delay_alu instid0(VALU_DEP_3) | instskip(SKIP_3) | instid1(VALU_DEP_4)
	v_dot4_i32_iu8 v19, v21, v19, v231 neg_lo:[1,1,0]
	v_perm_b32 v21, v49, v49, 0x2010003
	v_lshlrev_b32_e32 v231, 8, v52
	v_lshlrev_b32_e32 v232, 8, v56
	v_dot4_i32_iu8 v19, v32, v48, v19 neg_lo:[1,1,0]
	v_lshlrev_b32_e32 v32, 8, v34
	v_lshlrev_b32_e32 v48, 8, v50
	s_delay_alu instid0(VALU_DEP_3) | instskip(SKIP_3) | instid1(VALU_DEP_3)
	v_dot4_i32_iu8 v19, v30, v49, v19 neg_lo:[1,1,0]
	v_lshlrev_b32_e32 v30, 16, v34
	v_lshlrev_b32_e32 v49, 8, v54
	v_perm_b32 v34, v34, v34, 0xc0c0003
	v_perm_b32 v30, v32, v30, 0x7030c0c
	v_lshlrev_b32_e32 v32, 16, v50
	s_delay_alu instid0(VALU_DEP_2) | instskip(NEXT) | instid1(VALU_DEP_2)
	v_or_b32_e32 v30, v30, v34
	v_perm_b32 v32, v48, v32, 0x7030c0c
	v_lshlrev_b32_e32 v48, 16, v54
	v_perm_b32 v34, v50, v50, 0xc0c0003
	v_perm_b32 v50, v58, v58, 0xc0c0003
	v_dot4_i32_iu8 v23, v30, v230, v23 neg_lo:[1,1,0]
	s_delay_alu instid0(VALU_DEP_4) | instskip(SKIP_3) | instid1(VALU_DEP_3)
	v_perm_b32 v48, v49, v48, 0x7030c0c
	v_lshlrev_b32_e32 v49, 16, v52
	v_or_b32_e32 v32, v32, v34
	v_perm_b32 v34, v54, v54, 0xc0c0003
	v_perm_b32 v49, v231, v49, 0x7030c0c
	v_lshlrev_b32_e32 v231, 16, v56
	s_delay_alu instid0(VALU_DEP_3)
	v_or_b32_e32 v34, v48, v34
	v_perm_b32 v48, v52, v52, 0xc0c0003
	v_perm_b32 v52, v5, v5, 0x2010003
	v_dot4_i32_iu8 v25, v32, v230, v25 neg_lo:[1,1,0]
	v_perm_b32 v231, v232, v231, 0x7030c0c
	v_lshlrev_b32_e32 v232, 16, v58
	v_or_b32_e32 v48, v49, v48
	v_perm_b32 v49, v56, v56, 0xc0c0003
	v_dot4_i32_iu8 v54, v30, v52, v254 neg_lo:[1,1,0]
	v_dot4_i32_iu8 v56, v30, v225, v255 neg_lo:[1,1,0]
	v_perm_b32 v232, v237, v232, 0x7030c0c
	v_lshlrev_b32_e32 v237, 16, v26
	v_perm_b32 v26, v26, v26, 0xc0c0003
	v_or_b32_e32 v49, v231, v49
	v_dot4_i32_iu8 v0, v32, v52, v0 neg_lo:[1,1,0]
	v_or_b32_e32 v50, v232, v50
	v_perm_b32 v237, v238, v237, 0x7030c0c
	v_dot4_i32_iu8 v30, v32, v21, v143 neg_lo:[1,1,0]
	v_dot4_i32_iu8 v58, v32, v225, v144 neg_lo:[1,1,0]
	;; [unrolled: 1-line block ×4, first 2 shown]
	v_or_b32_e32 v26, v237, v26
	v_dot4_i32_iu8 v143, v34, v225, v146 neg_lo:[1,1,0]
	v_dot4_i32_iu8 v34, v34, v230, v60 neg_lo:[1,1,0]
	;; [unrolled: 1-line block ×18, first 2 shown]
	v_lshlrev_b32_e32 v47, 16, v39
	v_lshlrev_b32_e32 v114, 8, v39
	;; [unrolled: 1-line block ×8, first 2 shown]
	v_perm_b32 v146, v222, v222, 0xc0c0003
	v_lshlrev_b32_e32 v147, 16, v224
	v_lshlrev_b32_e32 v222, 8, v224
	;; [unrolled: 1-line block ×6, first 2 shown]
	v_perm_b32 v39, v39, v39, 0xc0c0003
	v_perm_b32 v63, v63, v63, 0xc0c0003
	;; [unrolled: 1-line block ×13, first 2 shown]
	v_or_b32_e32 v39, v47, v39
	v_or_b32_e32 v47, v114, v63
	;; [unrolled: 1-line block ×7, first 2 shown]
	v_perm_b32 v138, v6, v6, 0x2010003
	v_perm_b32 v141, v233, v233, 0x2010003
	s_wait_dscnt 0x1
	v_perm_b32 v144, v239, v239, 0x2010003
	v_lshlrev_b32_e32 v145, 16, v57
	v_lshlrev_b32_e32 v146, 8, v57
	v_dot4_i32_iu8 v54, v39, v138, v54 neg_lo:[1,1,0]
	v_dot4_i32_iu8 v56, v39, v141, v56 neg_lo:[1,1,0]
	v_dot4_i32_iu8 v23, v39, v144, v23 neg_lo:[1,1,0]
	v_perm_b32 v39, v28, v28, 0x2010003
	v_dot4_i32_iu8 v0, v47, v138, v0 neg_lo:[1,1,0]
	v_dot4_i32_iu8 v58, v47, v141, v58 neg_lo:[1,1,0]
	;; [unrolled: 1-line block ×16, first 2 shown]
	v_perm_b32 v52, v33, v220, 0x7030c0c
	v_lshlrev_b32_e32 v33, 24, v33
	v_dot4_i32_iu8 v82, v114, v141, v112 neg_lo:[1,1,0]
	v_perm_b32 v112, v31, v219, 0x7030c0c
	v_lshlrev_b32_e32 v31, 24, v31
	v_dot4_i32_iu8 v48, v114, v138, v48 neg_lo:[1,1,0]
	v_perm_b32 v218, v218, v33, 0xc0c0703
	v_dot4_i32_iu8 v43, v114, v144, v43 neg_lo:[1,1,0]
	v_dot4_i32_iu8 v49, v136, v138, v49 neg_lo:[1,1,0]
	v_perm_b32 v217, v217, v31, 0xc0c0703
	v_dot4_i32_iu8 v85, v136, v141, v113 neg_lo:[1,1,0]
	v_or_b32_e32 v52, v52, v218
	v_dot4_i32_iu8 v45, v136, v144, v45 neg_lo:[1,1,0]
	v_dot4_i32_iu8 v50, v137, v138, v50 neg_lo:[1,1,0]
	;; [unrolled: 1-line block ×3, first 2 shown]
	v_lshlrev_b32_e32 v113, 16, v35
	v_lshlrev_b32_e32 v114, 8, v35
	;; [unrolled: 1-line block ×12, first 2 shown]
	v_or_b32_e32 v112, v112, v217
	v_dot4_i32_iu8 v38, v52, v233, v38 neg_lo:[1,1,0]
	v_dot4_i32_iu8 v218, v52, v239, v227 neg_lo:[1,1,0]
	;; [unrolled: 1-line block ×3, first 2 shown]
	v_perm_b32 v35, v35, v35, 0xc0c0003
	v_perm_b32 v51, v51, v51, 0xc0c0003
	;; [unrolled: 1-line block ×7, first 2 shown]
	v_dot4_i32_iu8 v38, v112, v234, v38 neg_lo:[1,1,0]
	v_dot4_i32_iu8 v218, v112, v240, v218 neg_lo:[1,1,0]
	;; [unrolled: 1-line block ×3, first 2 shown]
	v_perm_b32 v19, v29, v29, 0x2010003
	v_perm_b32 v28, v114, v113, 0x7030c0c
	;; [unrolled: 1-line block ×10, first 2 shown]
	v_or_b32_e32 v28, v28, v35
	v_or_b32_e32 v29, v29, v51
	;; [unrolled: 1-line block ×7, first 2 shown]
	v_perm_b32 v57, v7, v7, 0x2010003
	v_dot4_i32_iu8 v56, v28, v217, v56 neg_lo:[1,1,0]
	v_dot4_i32_iu8 v23, v28, v224, v23 neg_lo:[1,1,0]
	;; [unrolled: 1-line block ×27, first 2 shown]
	v_lshlrev_b32_e32 v27, 16, v22
	v_lshlrev_b32_e32 v39, 8, v22
	v_lshlrev_b32_e32 v55, 16, v24
	v_lshlrev_b32_e32 v57, 8, v24
	v_lshlrev_b32_e32 v61, 16, v36
	v_lshlrev_b32_e32 v62, 8, v36
	v_lshlrev_b32_e32 v63, 16, v40
	v_lshlrev_b32_e32 v81, 8, v40
	v_lshlrev_b32_e32 v112, 16, v44
	v_lshlrev_b32_e32 v113, 8, v44
	v_perm_b32 v22, v22, v22, 0xc0c0003
	v_perm_b32 v36, v36, v36, 0xc0c0003
	;; [unrolled: 1-line block ×3, first 2 shown]
	v_lshlrev_b32_e32 v82, 16, v42
	v_lshlrev_b32_e32 v85, 8, v42
	v_perm_b32 v44, v44, v44, 0xc0c0003
	v_lshlrev_b32_e32 v114, 16, v46
	v_lshlrev_b32_e32 v136, 8, v46
	v_perm_b32 v27, v39, v27, 0x7030c0c
	v_perm_b32 v39, v57, v55, 0x7030c0c
	;; [unrolled: 1-line block ×10, first 2 shown]
	v_or_b32_e32 v22, v27, v22
	v_or_b32_e32 v27, v55, v36
	;; [unrolled: 1-line block ×4, first 2 shown]
	v_perm_b32 v44, v8, v8, 0x2010003
	v_or_b32_e32 v24, v39, v24
	v_or_b32_e32 v39, v61, v42
	v_or_b32_e32 v42, v63, v46
	v_perm_b32 v5, v7, v6, 0xc0c0400
	v_dot4_i32_iu8 v46, v22, v44, v54 neg_lo:[1,1,0]
	v_perm_b32 v54, v235, v235, 0x2010003
	v_dot4_i32_iu8 v35, v36, v44, v35 neg_lo:[1,1,0]
	v_dot4_i32_iu8 v0, v24, v44, v0 neg_lo:[1,1,0]
	;; [unrolled: 1-line block ×3, first 2 shown]
	v_perm_b32 v6, v9, v8, 0x4000c0c
	v_dot4_i32_iu8 v55, v22, v54, v56 neg_lo:[1,1,0]
	s_wait_dscnt 0x0
	v_perm_b32 v56, v241, v241, 0x2010003
	v_dot4_i32_iu8 v59, v36, v54, v59 neg_lo:[1,1,0]
	v_dot4_i32_iu8 v62, v24, v54, v30 neg_lo:[1,1,0]
	v_dot4_i32_iu8 v47, v27, v54, v47 neg_lo:[1,1,0]
	v_perm_b32 v7, v223, v139, 0x7030c0c
	v_dot4_i32_iu8 v57, v22, v56, v23 neg_lo:[1,1,0]
	v_perm_b32 v22, v16, v16, 0x2010003
	v_dot4_i32_iu8 v63, v24, v56, v25 neg_lo:[1,1,0]
	v_dot4_i32_iu8 v34, v27, v56, v34 neg_lo:[1,1,0]
	v_or_b32_e32 v5, v6, v5
	v_perm_b32 v6, v31, v33, 0xc0c0703
	v_dot4_i32_iu8 v58, v36, v22, v58 neg_lo:[1,1,0]
	v_dot4_i32_iu8 v36, v36, v56, v41 neg_lo:[1,1,0]
	;; [unrolled: 1-line block ×8, first 2 shown]
	v_lshlrev_b32_e32 v53, 24, v20
	v_dot4_i32_iu8 v1, v40, v22, v1 neg_lo:[1,1,0]
	v_dot4_i32_iu8 v40, v40, v56, v45 neg_lo:[1,1,0]
	;; [unrolled: 1-line block ×6, first 2 shown]
	v_perm_b32 v19, v20, v214, 0x7030c0c
	v_perm_b32 v20, v216, v53, 0xc0c0703
	v_lshlrev_b32_e32 v56, 24, v13
	v_perm_b32 v13, v13, v213, 0x7030c0c
	v_dot4_i32_iu8 v61, v24, v22, v28 neg_lo:[1,1,0]
	v_dot4_i32_iu8 v32, v27, v22, v32 neg_lo:[1,1,0]
	v_or_b32_e32 v54, v19, v20
	v_perm_b32 v19, v215, v56, 0xc0c0703
	v_lshlrev_b32_e32 v20, 8, v15
	v_perm_b32 v8, v56, v53, 0x7030c0c
	v_or_b32_e32 v7, v7, v12
	v_dot4_i32_iu8 v16, v54, v16, v52 neg_lo:[1,1,0]
	v_or_b32_e32 v13, v13, v19
	v_dot4_i32_iu8 v19, v54, v235, v38 neg_lo:[1,1,0]
	;; [unrolled: 2-line block ×3, first 2 shown]
	v_add_nc_u32_e32 v8, v207, v200
	v_perm_b32 v60, v236, v236, 0x2010003
	v_dot4_i32_iu8 v38, v13, v236, v19 neg_lo:[1,1,0]
	v_dot4_i32_iu8 v19, v54, v241, v218 neg_lo:[1,1,0]
	;; [unrolled: 1-line block ×3, first 2 shown]
	v_add3_u32 v5, v208, v201, v209
	v_add3_u32 v6, v202, v203, v210
	v_perm_b32 v85, v242, v242, 0x2010003
	v_dot4_i32_iu8 v82, v13, v242, v19 neg_lo:[1,1,0]
	v_lshlrev_b32_e32 v19, 16, v15
	v_dot4_i32_iu8 v13, v13, v17, v16 neg_lo:[1,1,0]
	v_bfe_i32 v16, v17, 16, 8
	v_add3_u32 v4, v4, v206, v8
	s_delay_alu instid0(VALU_DEP_4) | instskip(SKIP_1) | instid1(VALU_DEP_3)
	v_perm_b32 v112, v20, v19, 0x7030c0c
	v_add_nc_u32_e32 v19, 0x800, v161
	v_cvt_f32_i32_e32 v4, v4
	ds_load_2addr_b32 v[19:20], v19 offset1:7
	v_fma_mix_f32 v4, v192, v4, v192 op_sel:[0,0,1] op_sel_hi:[1,0,1]
	s_delay_alu instid0(VALU_DEP_1) | instskip(SKIP_1) | instid1(VALU_DEP_1)
	v_add_f32_e32 v91, v91, v4
	v_cvt_f32_i32_e32 v4, v38
	v_fma_mix_f32 v4, v191, v4, v191 op_sel:[0,0,1] op_sel_hi:[1,0,1]
	s_delay_alu instid0(VALU_DEP_1) | instskip(SKIP_4) | instid1(VALU_DEP_2)
	v_add_f32_e32 v107, v107, v4
	s_wait_dscnt 0x0
	v_lshlrev_b32_e32 v21, 16, v20
	v_lshlrev_b32_e32 v22, 8, v20
	v_perm_b32 v20, v20, v20, 0xc0c0003
	v_perm_b32 v113, v22, v21, 0x7030c0c
	v_add_nc_u32_e32 v21, 0xc00, v161
	s_delay_alu instid0(VALU_DEP_2) | instskip(SKIP_3) | instid1(VALU_DEP_2)
	v_or_b32_e32 v20, v113, v20
	ds_load_2addr_b32 v[21:22], v21 offset1:7
	v_perm_b32 v113, v9, v9, 0x2010003
	v_dot4_i32_iu8 v62, v20, v60, v62 neg_lo:[1,1,0]
	v_dot4_i32_iu8 v0, v20, v113, v0 neg_lo:[1,1,0]
	s_delay_alu instid0(VALU_DEP_1) | instskip(NEXT) | instid1(VALU_DEP_1)
	v_dot4_i32_iu8 v0, v10, v19, v0 neg_lo:[1,1,0]
	v_cvt_f32_i32_e32 v0, v0
	s_wait_dscnt 0x0
	v_lshlrev_b32_e32 v23, 16, v22
	v_lshlrev_b32_e32 v24, 8, v22
	v_perm_b32 v22, v22, v22, 0xc0c0003
	v_fma_mix_f32 v0, v185, v0, v185 op_sel:[0,0,1] op_sel_hi:[1,0,1]
	s_delay_alu instid0(VALU_DEP_3) | instskip(NEXT) | instid1(VALU_DEP_2)
	v_perm_b32 v114, v24, v23, 0x7030c0c
	v_dual_add_f32 v90, v90, v0 :: v_dual_add_nc_u32 v23, 0x1000, v161
	s_delay_alu instid0(VALU_DEP_2) | instskip(SKIP_2) | instid1(VALU_DEP_1)
	v_or_b32_e32 v22, v114, v22
	ds_load_2addr_b32 v[23:24], v23 offset1:7
	v_dot4_i32_iu8 v47, v22, v60, v47 neg_lo:[1,1,0]
	v_dot4_i32_iu8 v47, v21, v37, v47 neg_lo:[1,1,0]
	s_wait_dscnt 0x0
	v_lshlrev_b32_e32 v25, 16, v24
	v_lshlrev_b32_e32 v26, 8, v24
	v_perm_b32 v24, v24, v24, 0xc0c0003
	s_delay_alu instid0(VALU_DEP_2) | instskip(SKIP_1) | instid1(VALU_DEP_2)
	v_perm_b32 v136, v26, v25, 0x7030c0c
	v_add_nc_u32_e32 v25, 0x1400, v161
	v_or_b32_e32 v24, v136, v24
	ds_load_2addr_b32 v[25:26], v25 offset1:7
	s_wait_dscnt 0x0
	v_lshlrev_b32_e32 v27, 16, v26
	v_lshlrev_b32_e32 v28, 8, v26
	v_perm_b32 v26, v26, v26, 0xc0c0003
	s_delay_alu instid0(VALU_DEP_2) | instskip(SKIP_1) | instid1(VALU_DEP_2)
	v_perm_b32 v137, v28, v27, 0x7030c0c
	v_add_nc_u32_e32 v27, 0x1800, v161
	v_or_b32_e32 v26, v137, v26
	ds_load_2addr_b32 v[27:28], v27 offset1:7
	s_wait_dscnt 0x0
	v_lshlrev_b32_e32 v29, 16, v28
	v_lshlrev_b32_e32 v30, 8, v28
	v_perm_b32 v28, v28, v28, 0xc0c0003
	s_delay_alu instid0(VALU_DEP_2) | instskip(SKIP_2) | instid1(VALU_DEP_3)
	v_perm_b32 v138, v30, v29, 0x7030c0c
	v_add_nc_u32_e32 v29, 0x1c00, v161
	v_add_nc_u32_e32 v161, 32, v161
	v_or_b32_e32 v28, v138, v28
	ds_load_2addr_b32 v[29:30], v29 offset1:7
	s_wait_dscnt 0x0
	v_lshlrev_b32_e32 v141, 16, v30
	v_lshlrev_b32_e32 v143, 8, v30
	v_perm_b32 v30, v30, v30, 0xc0c0003
	s_delay_alu instid0(VALU_DEP_2) | instskip(SKIP_2) | instid1(VALU_DEP_3)
	v_perm_b32 v141, v143, v141, 0x7030c0c
	v_perm_b32 v143, v15, v15, 0xc0c0003
	v_bfe_i32 v15, v15, 16, 8
	v_or_b32_e32 v30, v141, v30
	s_delay_alu instid0(VALU_DEP_3) | instskip(NEXT) | instid1(VALU_DEP_3)
	v_or_b32_e32 v112, v112, v143
	v_mul_i32_i24_e32 v15, v15, v16
	s_delay_alu instid0(VALU_DEP_2) | instskip(NEXT) | instid1(VALU_DEP_2)
	v_dot4_i32_iu8 v46, v112, v113, v46 neg_lo:[1,1,0]
	v_add3_u32 v15, v204, v205, v15
	v_dot4_i32_iu8 v55, v112, v60, v55 neg_lo:[1,1,0]
	v_dot4_i32_iu8 v57, v112, v85, v57 neg_lo:[1,1,0]
	v_perm_b32 v112, v17, v17, 0x2010003
	s_delay_alu instid0(VALU_DEP_4) | instskip(NEXT) | instid1(VALU_DEP_2)
	v_add3_u32 v7, v211, v212, v15
	v_dot4_i32_iu8 v61, v20, v112, v61 neg_lo:[1,1,0]
	v_dot4_i32_iu8 v20, v20, v85, v63 neg_lo:[1,1,0]
	s_delay_alu instid0(VALU_DEP_3)
	v_add3_u32 v5, v5, v6, v7
	v_dot4_i32_iu8 v63, v22, v113, v81 neg_lo:[1,1,0]
	v_dot4_i32_iu8 v32, v22, v112, v32 neg_lo:[1,1,0]
	;; [unrolled: 1-line block ×4, first 2 shown]
	v_cvt_f32_i32_e32 v5, v5
	v_dot4_i32_iu8 v35, v24, v112, v58 neg_lo:[1,1,0]
	v_dot4_i32_iu8 v58, v24, v60, v59 neg_lo:[1,1,0]
	;; [unrolled: 1-line block ×4, first 2 shown]
	v_fma_mix_f32 v5, v195, v5, v195 op_sel:[0,0,1] op_sel_hi:[1,0,1]
	v_dot4_i32_iu8 v41, v26, v112, v48 neg_lo:[1,1,0]
	v_dot4_i32_iu8 v48, v26, v60, v51 neg_lo:[1,1,0]
	;; [unrolled: 1-line block ×11, first 2 shown]
	v_add_f32_e32 v94, v94, v5
	v_cvt_f32_i32_e32 v5, v82
	v_cvt_f32_i32_e32 v6, v13
	v_dot4_i32_iu8 v42, v18, v19, v61 neg_lo:[1,1,0]
	v_dot4_i32_iu8 v49, v19, v37, v62 neg_lo:[1,1,0]
	;; [unrolled: 1-line block ×25, first 2 shown]
	v_fma_mix_f32 v5, v189, v5, v189 op_sel:[0,0,1] op_sel_hi:[1,0,1]
	v_fma_mix_f32 v6, v188, v6, v188 op_sel:[0,0,1] op_sel_hi:[1,0,1]
	v_cvt_f32_i32_e32 v4, v28
	v_cvt_f32_i32_e32 v7, v42
	;; [unrolled: 1-line block ×3, first 2 shown]
	s_delay_alu instid0(VALU_DEP_4)
	v_dual_add_f32 v105, v105, v5 :: v_dual_add_f32 v108, v108, v6
	v_cvt_f32_i32_e32 v5, v40
	v_cvt_f32_i32_e32 v6, v14
	;; [unrolled: 1-line block ×23, first 2 shown]
	v_fma_mix_f32 v4, v186, v4, v186 op_sel:[0,0,1] op_sel_hi:[1,0,1]
	v_fma_mix_f32 v5, v187, v5, v187 op_sel:[0,0,1] op_sel_hi:[1,0,1]
	;; [unrolled: 1-line block ×26, first 2 shown]
	v_add_f32_e32 v97, v97, v4
	v_dual_add_f32 v93, v93, v5 :: v_dual_add_f32 v92, v92, v6
	v_dual_add_f32 v89, v89, v7 :: v_dual_add_f32 v88, v88, v8
	;; [unrolled: 1-line block ×9, first 2 shown]
	v_add_f32_e32 v70, v70, v1
	v_dual_add_f32 v69, v69, v25 :: v_dual_add_f32 v68, v68, v26
	v_add_f32_e32 v67, v67, v10
	v_dual_add_f32 v66, v66, v18 :: v_dual_add_f32 v65, v65, v27
	v_add_f32_e32 v64, v64, v28
	s_cbranch_scc1 .LBB163_8
; %bb.9:                                ;   in Loop: Header=BB163_6 Depth=1
	s_and_b32 s12, s5, -4
	s_wait_loadcnt 0x0
	s_wait_alu 0xfffe
	s_cmp_eq_u32 s12, 4
	s_barrier_signal -1
	s_barrier_wait -1
	global_inv scope:SCOPE_SE
	s_cbranch_scc1 .LBB163_5
; %bb.10:                               ;   in Loop: Header=BB163_6 Depth=1
	scratch_load_b32 v0, off, off offset:40 ; 4-byte Folded Reload
	v_add_nc_u32_e32 v20, 4, v160
	s_mov_b32 s12, 12
	v_mov_b32_e32 v161, v142
	s_delay_alu instid0(VALU_DEP_2) | instskip(SKIP_2) | instid1(VALU_DEP_1)
	v_mad_co_u64_u32 v[20:21], null, v20, 36, s[2:3]
	s_wait_loadcnt 0x0
	v_add_nc_u32_e32 v0, s10, v0
	v_add_nc_u32_e32 v1, v0, v128
	;; [unrolled: 1-line block ×6, first 2 shown]
	v_mad_co_i64_i32 v[4:5], null, v1, 36, v[2:3]
	v_add_nc_u32_e32 v1, v0, v132
	v_mad_co_i64_i32 v[14:15], null, v14, 36, v[2:3]
	v_mad_co_i64_i32 v[6:7], null, v6, 36, v[2:3]
	s_delay_alu instid0(VALU_DEP_3) | instskip(SKIP_4) | instid1(VALU_DEP_4)
	v_mad_co_i64_i32 v[12:13], null, v1, 36, v[2:3]
	v_add_nc_u32_e32 v1, v0, v133
	v_add_nc_u32_e32 v0, v0, v134
	v_mad_co_i64_i32 v[8:9], null, v8, 36, v[2:3]
	v_mad_co_i64_i32 v[10:11], null, v10, 36, v[2:3]
	;; [unrolled: 1-line block ×3, first 2 shown]
	s_delay_alu instid0(VALU_DEP_4)
	v_mad_co_i64_i32 v[18:19], null, v0, 36, v[2:3]
	s_clause 0x8
	global_load_b32 v0, v[14:15], off offset:4
	global_load_b32 v1, v[4:5], off offset:4
	;; [unrolled: 1-line block ×8, first 2 shown]
	global_load_b32 v10, v[20:21], off
	s_clause 0x5
	scratch_load_b32 v160, off, off offset:4
	scratch_load_b32 v162, off, off offset:60
	scratch_load_b32 v163, off, off offset:56
	scratch_load_b32 v164, off, off offset:52
	scratch_load_b32 v165, off, off offset:48
	scratch_load_b32 v166, off, off offset:44
	s_wait_loadcnt 0xe
	ds_store_b32 v159, v0
	s_wait_loadcnt 0xd
	ds_store_b32 v152, v1
	s_wait_loadcnt 0xc
	ds_store_b32 v153, v4
	s_wait_loadcnt 0xb
	ds_store_b32 v154, v5
	s_wait_loadcnt 0xa
	ds_store_b32 v155, v6
	s_wait_loadcnt 0x9
	ds_store_b32 v156, v7
	s_wait_loadcnt 0x8
	ds_store_b32 v157, v8
	s_wait_loadcnt 0x7
	ds_store_b32 v158, v9
	scratch_load_b32 v0, off, off           ; 4-byte Folded Reload
	s_wait_loadcnt 0x0
	ds_store_b32 v0, v10
	s_wait_dscnt 0x0
	s_barrier_signal -1
	s_barrier_wait -1
	global_inv scope:SCOPE_SE
.LBB163_11:                             ;   Parent Loop BB163_6 Depth=1
                                        ; =>  This Inner Loop Header: Depth=2
	ds_load_2addr_b32 v[4:5], v160 offset1:32
	ds_load_b32 v9, v163
	ds_load_b32 v8, v164
	ds_load_b32 v7, v165
	ds_load_b32 v6, v166
	v_add_nc_u32_e32 v17, 0x2090, v162
	v_add_nc_u32_e32 v22, 0x2098, v162
	;; [unrolled: 1-line block ×10, first 2 shown]
	s_wait_alu 0xfffe
	s_add_co_i32 s12, s12, 4
	s_wait_alu 0xfffe
	s_cmp_lt_u32 s12, 28
	s_wait_dscnt 0x3
	v_pk_mul_f16 v191, v4, v9
	s_wait_dscnt 0x2
	v_pk_mul_f16 v187, v4, v8
	;; [unrolled: 2-line block ×4, first 2 shown]
	v_pk_mul_f16 v185, v9, v5
	v_pk_mul_f16 v194, v8, v5
	;; [unrolled: 1-line block ×4, first 2 shown]
	ds_load_2addr_b32 v[4:5], v160 offset0:64 offset1:96
	s_wait_dscnt 0x0
	v_pk_mul_f16 v184, v9, v4
	v_pk_mul_f16 v182, v8, v4
	;; [unrolled: 1-line block ×8, first 2 shown]
	ds_load_2addr_b32 v[4:5], v160 offset0:128 offset1:160
	s_wait_dscnt 0x0
	v_pk_mul_f16 v176, v9, v4
	v_pk_mul_f16 v174, v8, v4
	;; [unrolled: 1-line block ×8, first 2 shown]
	ds_load_2addr_b32 v[4:5], v160 offset0:192 offset1:224
	v_add_nc_u32_e32 v160, 4, v160
	s_wait_dscnt 0x0
	v_pk_mul_f16 v168, v9, v4
	v_pk_mul_f16 v189, v9, v5
	;; [unrolled: 1-line block ×8, first 2 shown]
	ds_load_2addr_b32 v[12:13], v161 offset1:7
	ds_load_2addr_b32 v[10:11], v162 offset1:1
	ds_load_2addr_b32 v[4:5], v162 offset0:2 offset1:3
	ds_load_2addr_b32 v[6:7], v162 offset0:4 offset1:5
	;; [unrolled: 1-line block ×3, first 2 shown]
	s_wait_dscnt 0x4
	v_lshlrev_b32_e32 v212, 8, v13
	s_wait_dscnt 0x3
	v_perm_b32 v0, v12, v11, 0xc0c0703
	s_wait_dscnt 0x2
	v_perm_b32 v1, v5, v4, 0x7030c0c
	v_lshlrev_b32_e32 v214, 16, v13
	s_wait_dscnt 0x0
	v_perm_b32 v15, v9, v8, 0x7030c0c
	s_delay_alu instid0(VALU_DEP_3)
	v_or_b32_e32 v14, v1, v0
	v_add_nc_u32_e32 v0, 0x1c14, v161
	ds_load_2addr_b32 v[26:27], v0 offset1:1
	ds_load_2addr_b32 v[20:21], v161 offset0:3 offset1:4
	ds_load_2addr_b32 v[30:31], v161 offset0:5 offset1:6
	;; [unrolled: 1-line block ×3, first 2 shown]
	s_wait_dscnt 0x2
	v_perm_b32 v0, v10, v21, 0xc0c0703
	v_perm_b32 v16, v13, v20, 0x7030c0c
	s_wait_dscnt 0x0
	v_perm_b32 v1, v30, v32, 0x7030c0c
	v_lshlrev_b32_e32 v81, 8, v32
	v_lshlrev_b32_e32 v82, 8, v30
	;; [unrolled: 1-line block ×4, first 2 shown]
	v_or_b32_e32 v0, v1, v0
	v_perm_b32 v1, v7, v6, 0xc0c0703
	v_lshlrev_b32_e32 v218, 8, v31
	v_perm_b32 v45, v10, v85, 0xc0c0603
	v_lshlrev_b32_e32 v213, 8, v20
	v_dot4_i32_iu8 v0, v0, v14, 0 neg_lo:[1,1,0]
	v_or_b32_e32 v1, v15, v1
	v_perm_b32 v15, v31, v33, 0xc0c0703
	v_lshlrev_b32_e32 v112, 16, v32
	v_perm_b32 v46, v212, v213, 0x7030c0c
	v_lshlrev_b32_e32 v113, 16, v30
	v_lshlrev_b32_e32 v114, 16, v21
	v_or_b32_e32 v15, v16, v15
	v_add_nc_u32_e32 v16, 0x2088, v162
	v_lshlrev_b32_e32 v217, 16, v33
	v_lshlrev_b32_e32 v216, 16, v31
	v_lshlrev_b32_e32 v215, 16, v20
	v_dot4_i32_iu8 v199, v15, v1, v0 neg_lo:[1,1,0]
	v_add_nc_u32_e32 v0, 0x2080, v162
	v_add_nc_u32_e32 v1, 0x400, v161
	ds_load_2addr_b32 v[18:19], v0 offset1:1
	ds_load_2addr_b32 v[14:15], v1 offset1:7
	;; [unrolled: 1-line block ×5, first 2 shown]
	v_perm_b32 v85, v21, v85, 0x7030c0c
	s_wait_dscnt 0x4
	v_bfe_i32 v0, v18, 16, 8
	s_wait_dscnt 0x3
	v_bfe_i32 v1, v14, 16, 8
	v_bfe_i32 v22, v14, 0, 8
	v_lshrrev_b16 v23, 8, v14
	s_delay_alu instid0(VALU_DEP_3) | instskip(SKIP_1) | instid1(VALU_DEP_3)
	v_mul_i32_i24_e32 v0, v1, v0
	v_bfe_i32 v1, v18, 0, 8
	v_bfe_i32 v23, v23, 0, 8
	s_delay_alu instid0(VALU_DEP_2) | instskip(SKIP_2) | instid1(VALU_DEP_1)
	v_mad_i32_i24 v0, v22, v1, v0
	v_ashrrev_i32_e32 v1, 24, v18
	v_ashrrev_i32_e32 v22, 24, v14
	v_mul_i32_i24_e32 v1, v22, v1
	v_lshrrev_b16 v22, 8, v18
	s_delay_alu instid0(VALU_DEP_1) | instskip(NEXT) | instid1(VALU_DEP_1)
	v_bfe_i32 v22, v22, 0, 8
	v_mad_i32_i24 v1, v23, v22, v1
	v_add_nc_u32_e32 v22, 0x40c, v161
	ds_load_2addr_b32 v[22:23], v22 offset1:1
	ds_load_2addr_b32 v[38:39], v24 offset1:1
	;; [unrolled: 1-line block ×4, first 2 shown]
	v_bfe_i32 v36, v19, 8, 8
	s_wait_dscnt 0x3
	v_bfe_i32 v37, v23, 8, 8
	v_ashrrev_i32_e32 v40, 24, v23
	s_wait_dscnt 0x2
	v_bfe_i32 v41, v38, 16, 8
	s_wait_dscnt 0x1
	v_bfe_i32 v42, v35, 0, 8
	v_bfe_i32 v43, v22, 0, 8
	v_mul_i32_i24_e32 v36, v37, v36
	v_ashrrev_i32_e32 v37, 24, v19
	v_bfe_i32 v44, v22, 16, 8
	s_delay_alu instid0(VALU_DEP_2) | instskip(SKIP_3) | instid1(VALU_DEP_2)
	v_mad_i32_i24 v200, v40, v37, v36
	v_bfe_i32 v36, v48, 8, 8
	v_bfe_i32 v37, v38, 8, 8
	;; [unrolled: 1-line block ×3, first 2 shown]
	v_mul_i32_i24_e32 v36, v37, v36
	v_bfe_i32 v37, v48, 0, 8
	s_delay_alu instid0(VALU_DEP_1) | instskip(SKIP_2) | instid1(VALU_DEP_1)
	v_mad_i32_i24 v36, v40, v37, v36
	v_ashrrev_i32_e32 v37, 24, v49
	v_ashrrev_i32_e32 v40, 24, v34
	v_mul_i32_i24_e32 v37, v40, v37
	v_bfe_i32 v40, v48, 16, 8
	s_delay_alu instid0(VALU_DEP_1) | instskip(SKIP_3) | instid1(VALU_DEP_2)
	v_mad_i32_i24 v201, v41, v40, v37
	v_bfe_i32 v37, v49, 8, 8
	v_bfe_i32 v40, v34, 8, 8
	;; [unrolled: 1-line block ×3, first 2 shown]
	v_mul_i32_i24_e32 v37, v40, v37
	v_bfe_i32 v40, v49, 0, 8
	s_delay_alu instid0(VALU_DEP_1) | instskip(SKIP_3) | instid1(VALU_DEP_2)
	v_mad_i32_i24 v202, v41, v40, v37
	v_bfe_i32 v37, v28, 8, 8
	v_bfe_i32 v40, v39, 8, 8
	;; [unrolled: 1-line block ×3, first 2 shown]
	v_mul_i32_i24_e32 v37, v40, v37
	v_bfe_i32 v40, v28, 0, 8
	s_delay_alu instid0(VALU_DEP_1) | instskip(SKIP_2) | instid1(VALU_DEP_1)
	v_mad_i32_i24 v37, v41, v40, v37
	v_bfe_i32 v40, v29, 8, 8
	v_bfe_i32 v41, v35, 8, 8
	v_mul_i32_i24_e32 v40, v41, v40
	v_bfe_i32 v41, v29, 0, 8
	s_delay_alu instid0(VALU_DEP_1) | instskip(SKIP_2) | instid1(VALU_DEP_1)
	v_mad_i32_i24 v40, v42, v41, v40
	v_bfe_i32 v41, v16, 8, 8
	v_bfe_i32 v42, v22, 8, 8
	v_mul_i32_i24_e32 v41, v42, v41
	v_bfe_i32 v42, v16, 0, 8
	s_delay_alu instid0(VALU_DEP_1) | instskip(SKIP_2) | instid1(VALU_DEP_1)
	v_mad_i32_i24 v41, v43, v42, v41
	v_ashrrev_i32_e32 v42, 24, v17
	v_ashrrev_i32_e32 v43, 24, v15
	v_mul_i32_i24_e32 v42, v43, v42
	v_bfe_i32 v43, v16, 16, 8
	s_delay_alu instid0(VALU_DEP_1) | instskip(SKIP_3) | instid1(VALU_DEP_2)
	v_mad_i32_i24 v203, v44, v43, v42
	v_bfe_i32 v42, v17, 8, 8
	v_bfe_i32 v43, v15, 8, 8
	;; [unrolled: 1-line block ×3, first 2 shown]
	v_mul_i32_i24_e32 v42, v43, v42
	v_bfe_i32 v43, v17, 0, 8
	s_delay_alu instid0(VALU_DEP_1) | instskip(SKIP_3) | instid1(VALU_DEP_2)
	v_mad_i32_i24 v204, v44, v43, v42
	v_perm_b32 v42, v12, v11, 0xc0c0602
	v_perm_b32 v43, v5, v4, 0x6020c0c
	;; [unrolled: 1-line block ×3, first 2 shown]
	v_or_b32_e32 v42, v43, v42
	v_perm_b32 v43, v7, v6, 0xc0c0602
	s_delay_alu instid0(VALU_DEP_1) | instskip(SKIP_1) | instid1(VALU_DEP_1)
	v_or_b32_e32 v43, v44, v43
	v_perm_b32 v44, v82, v81, 0x7030c0c
	v_or_b32_e32 v44, v44, v45
	v_perm_b32 v45, v218, v219, 0xc0c0703
	s_delay_alu instid0(VALU_DEP_2) | instskip(NEXT) | instid1(VALU_DEP_2)
	v_dot4_i32_iu8 v42, v44, v42, 0 neg_lo:[1,1,0]
	v_or_b32_e32 v45, v46, v45
	v_perm_b32 v44, v9, v8, 0x5010c0c
	v_perm_b32 v46, v214, v215, 0x7030c0c
	s_delay_alu instid0(VALU_DEP_3) | instskip(SKIP_3) | instid1(VALU_DEP_2)
	v_dot4_i32_iu8 v205, v45, v43, v42 neg_lo:[1,1,0]
	v_perm_b32 v42, v12, v11, 0xc0c0501
	v_perm_b32 v43, v5, v4, 0x5010c0c
	;; [unrolled: 1-line block ×3, first 2 shown]
	v_or_b32_e32 v42, v43, v42
	v_perm_b32 v43, v7, v6, 0xc0c0501
	s_delay_alu instid0(VALU_DEP_1) | instskip(SKIP_1) | instid1(VALU_DEP_1)
	v_or_b32_e32 v43, v44, v43
	v_perm_b32 v44, v113, v112, 0x7030c0c
	v_or_b32_e32 v44, v44, v45
	v_perm_b32 v45, v216, v217, 0xc0c0703
	s_delay_alu instid0(VALU_DEP_2) | instskip(NEXT) | instid1(VALU_DEP_2)
	v_dot4_i32_iu8 v42, v44, v42, 0 neg_lo:[1,1,0]
	v_or_b32_e32 v45, v46, v45
	v_add_nc_u32_e32 v44, 0x1014, v161
	s_delay_alu instid0(VALU_DEP_2) | instskip(SKIP_3) | instid1(VALU_DEP_2)
	v_dot4_i32_iu8 v206, v45, v43, v42 neg_lo:[1,1,0]
	v_bfe_i32 v42, v23, 0, 8
	v_bfe_i32 v43, v19, 0, 8
	v_add_nc_u32_e32 v45, 0x1414, v161
	v_mul_i32_i24_e32 v42, v42, v43
	v_add_nc_u32_e32 v43, 0xc14, v161
	s_delay_alu instid0(VALU_DEP_2) | instskip(SKIP_3) | instid1(VALU_DEP_2)
	v_add3_u32 v207, v0, v1, v42
	v_bfe_i32 v0, v23, 16, 8
	v_bfe_i32 v1, v19, 16, 8
	v_ashrrev_i32_e32 v42, 24, v48
	v_mul_i32_i24_e32 v0, v0, v1
	v_ashrrev_i32_e32 v1, 24, v38
	s_delay_alu instid0(VALU_DEP_1) | instskip(SKIP_1) | instid1(VALU_DEP_2)
	v_mul_i32_i24_e32 v1, v1, v42
	v_add_nc_u32_e32 v42, 0x1004, v161
	v_add3_u32 v208, v0, v1, v36
	v_bfe_i32 v0, v34, 16, 8
	v_bfe_i32 v1, v49, 16, 8
	v_ashrrev_i32_e32 v36, 24, v28
	s_delay_alu instid0(VALU_DEP_2) | instskip(SKIP_1) | instid1(VALU_DEP_1)
	v_mul_i32_i24_e32 v0, v0, v1
	v_ashrrev_i32_e32 v1, 24, v39
	v_mul_i32_i24_e32 v1, v1, v36
	v_ashrrev_i32_e32 v36, 24, v29
	s_delay_alu instid0(VALU_DEP_2) | instskip(SKIP_4) | instid1(VALU_DEP_2)
	v_add3_u32 v209, v0, v1, v37
	v_bfe_i32 v0, v39, 16, 8
	v_bfe_i32 v1, v28, 16, 8
	s_wait_dscnt 0x0
	v_lshlrev_b32_e32 v37, 8, v25
	v_mul_i32_i24_e32 v0, v0, v1
	v_ashrrev_i32_e32 v1, 24, v35
	s_delay_alu instid0(VALU_DEP_1) | instskip(SKIP_1) | instid1(VALU_DEP_2)
	v_mul_i32_i24_e32 v1, v1, v36
	v_ashrrev_i32_e32 v36, 24, v16
	v_add3_u32 v210, v0, v1, v40
	v_bfe_i32 v0, v35, 16, 8
	v_bfe_i32 v1, v29, 16, 8
	v_add_nc_u32_e32 v40, 0x814, v161
	s_delay_alu instid0(VALU_DEP_2) | instskip(SKIP_1) | instid1(VALU_DEP_1)
	v_mul_i32_i24_e32 v0, v0, v1
	v_ashrrev_i32_e32 v1, 24, v22
	v_mul_i32_i24_e32 v1, v1, v36
	v_lshlrev_b32_e32 v36, 8, v38
	s_delay_alu instid0(VALU_DEP_2) | instskip(SKIP_3) | instid1(VALU_DEP_2)
	v_add3_u32 v211, v0, v1, v41
	v_lshlrev_b32_e32 v0, 16, v23
	v_lshlrev_b32_e32 v1, 8, v23
	v_perm_b32 v23, v23, v23, 0xc0c0003
	v_perm_b32 v0, v1, v0, 0x7030c0c
	v_lshlrev_b32_e32 v1, 16, v38
	s_delay_alu instid0(VALU_DEP_2) | instskip(NEXT) | instid1(VALU_DEP_2)
	v_or_b32_e32 v0, v0, v23
	v_perm_b32 v1, v36, v1, 0x7030c0c
	v_lshlrev_b32_e32 v36, 16, v25
	v_perm_b32 v23, v38, v38, 0xc0c0003
	s_delay_alu instid0(VALU_DEP_2)
	v_perm_b32 v136, v37, v36, 0x7030c0c
	v_add_nc_u32_e32 v36, 0x804, v161
	v_add_nc_u32_e32 v37, 0xc04, v161
	ds_load_2addr_b32 v[62:63], v36 offset1:1
	ds_load_2addr_b32 v[60:61], v37 offset1:1
	;; [unrolled: 1-line block ×3, first 2 shown]
	v_or_b32_e32 v1, v1, v23
	v_perm_b32 v23, v25, v25, 0xc0c0003
	s_delay_alu instid0(VALU_DEP_1) | instskip(SKIP_4) | instid1(VALU_DEP_2)
	v_or_b32_e32 v23, v136, v23
	s_wait_dscnt 0x2
	v_lshlrev_b32_e32 v36, 16, v62
	v_lshlrev_b32_e32 v37, 8, v62
	v_perm_b32 v25, v62, v62, 0xc0c0003
	v_perm_b32 v137, v37, v36, 0x7030c0c
	v_add_nc_u32_e32 v36, 0xc0c, v161
	s_delay_alu instid0(VALU_DEP_2)
	v_or_b32_e32 v25, v137, v25
	ds_load_2addr_b32 v[36:37], v36 offset1:1
	s_wait_dscnt 0x0
	v_lshlrev_b32_e32 v40, 16, v37
	v_lshlrev_b32_e32 v41, 8, v37
	v_perm_b32 v37, v37, v37, 0xc0c0003
	s_delay_alu instid0(VALU_DEP_2) | instskip(SKIP_2) | instid1(VALU_DEP_3)
	v_perm_b32 v138, v41, v40, 0x7030c0c
	v_lshlrev_b32_e32 v40, 16, v60
	v_lshlrev_b32_e32 v41, 8, v60
	v_or_b32_e32 v62, v138, v37
	v_perm_b32 v37, v60, v60, 0xc0c0003
	s_delay_alu instid0(VALU_DEP_3)
	v_perm_b32 v139, v41, v40, 0x7030c0c
	v_add_nc_u32_e32 v40, 0x100c, v161
	ds_load_2addr_b32 v[40:41], v40 offset1:1
	ds_load_2addr_b32 v[220:221], v42 offset1:1
	;; [unrolled: 1-line block ×4, first 2 shown]
	v_add_nc_u32_e32 v44, 0x1404, v161
	v_or_b32_e32 v60, v139, v37
	s_wait_dscnt 0x3
	v_lshlrev_b32_e32 v42, 16, v41
	v_lshlrev_b32_e32 v43, 8, v41
	v_perm_b32 v37, v41, v41, 0xc0c0003
	s_delay_alu instid0(VALU_DEP_2) | instskip(SKIP_3) | instid1(VALU_DEP_3)
	v_perm_b32 v141, v43, v42, 0x7030c0c
	s_wait_dscnt 0x2
	v_lshlrev_b32_e32 v42, 16, v220
	v_lshlrev_b32_e32 v43, 8, v220
	v_or_b32_e32 v41, v141, v37
	v_perm_b32 v37, v220, v220, 0xc0c0003
	s_delay_alu instid0(VALU_DEP_3)
	v_perm_b32 v143, v43, v42, 0x7030c0c
	v_add_nc_u32_e32 v42, 0x140c, v161
	ds_load_2addr_b32 v[42:43], v42 offset1:1
	ds_load_2addr_b32 v[222:223], v44 offset1:1
	;; [unrolled: 1-line block ×3, first 2 shown]
	v_or_b32_e32 v136, v143, v37
	v_add_nc_u32_e32 v141, 0x6180, v162
	v_add_nc_u32_e32 v143, 0x4108, v162
	v_add_nc_u32_e32 v220, 0x6198, v162
	s_wait_dscnt 0x2
	v_lshlrev_b32_e32 v44, 16, v43
	v_lshlrev_b32_e32 v45, 8, v43
	v_perm_b32 v37, v43, v43, 0xc0c0003
	s_delay_alu instid0(VALU_DEP_2) | instskip(SKIP_3) | instid1(VALU_DEP_3)
	v_perm_b32 v144, v45, v44, 0x7030c0c
	s_wait_dscnt 0x1
	v_lshlrev_b32_e32 v44, 16, v222
	v_lshlrev_b32_e32 v45, 8, v222
	v_or_b32_e32 v43, v144, v37
	v_perm_b32 v37, v222, v222, 0xc0c0003
	s_delay_alu instid0(VALU_DEP_3) | instskip(SKIP_2) | instid1(VALU_DEP_3)
	v_perm_b32 v145, v45, v44, 0x7030c0c
	v_add_nc_u32_e32 v44, 0x180c, v161
	v_add_nc_u32_e32 v144, 0x6188, v162
	v_or_b32_e32 v137, v145, v37
	ds_load_2addr_b32 v[44:45], v44 offset1:1
	v_add_nc_u32_e32 v145, 0x4110, v162
	s_wait_dscnt 0x0
	v_lshlrev_b32_e32 v46, 16, v45
	v_lshlrev_b32_e32 v47, 8, v45
	v_perm_b32 v37, v45, v45, 0xc0c0003
	s_delay_alu instid0(VALU_DEP_2)
	v_perm_b32 v146, v47, v46, 0x7030c0c
	v_add_nc_u32_e32 v46, 0x1804, v161
	v_add_nc_u32_e32 v47, 0x1c04, v161
	ds_load_2addr_b32 v[224:225], v46 offset1:1
	ds_load_2addr_b32 v[226:227], v47 offset1:1
	;; [unrolled: 1-line block ×3, first 2 shown]
	v_or_b32_e32 v45, v146, v37
	v_add_nc_u32_e32 v146, 0x6190, v162
	s_wait_dscnt 0x2
	v_lshlrev_b32_e32 v46, 16, v224
	v_lshlrev_b32_e32 v47, 8, v224
	v_perm_b32 v37, v224, v224, 0xc0c0003
	s_wait_dscnt 0x1
	v_lshlrev_b32_e32 v230, 8, v226
	s_delay_alu instid0(VALU_DEP_3) | instskip(SKIP_1) | instid1(VALU_DEP_2)
	v_perm_b32 v147, v47, v46, 0x7030c0c
	v_add_nc_u32_e32 v46, 0x1c0c, v161
	v_or_b32_e32 v138, v147, v37
	ds_load_2addr_b32 v[46:47], v46 offset1:1
	v_add_nc_u32_e32 v147, 0x4118, v162
	s_wait_dscnt 0x0
	v_lshlrev_b32_e32 v228, 16, v47
	v_lshlrev_b32_e32 v229, 8, v47
	v_perm_b32 v37, v47, v47, 0xc0c0003
	s_delay_alu instid0(VALU_DEP_2) | instskip(SKIP_1) | instid1(VALU_DEP_2)
	v_perm_b32 v228, v229, v228, 0x7030c0c
	v_lshlrev_b32_e32 v229, 16, v226
	v_or_b32_e32 v47, v228, v37
	s_delay_alu instid0(VALU_DEP_2) | instskip(SKIP_1) | instid1(VALU_DEP_1)
	v_perm_b32 v229, v230, v229, 0x7030c0c
	v_perm_b32 v37, v226, v226, 0xc0c0003
	v_or_b32_e32 v139, v229, v37
	v_add_nc_u32_e32 v37, 0x4100, v162
	ds_load_2addr_b32 v[37:38], v37 offset1:1
	ds_load_2addr_b32 v[228:229], v141 offset1:1
	;; [unrolled: 1-line block ×8, first 2 shown]
	v_perm_b32 v141, v11, v11, 0x2010003
	v_perm_b32 v147, v19, v19, 0x2010003
	;; [unrolled: 1-line block ×3, first 2 shown]
	v_add_nc_u32_e32 v162, 32, v162
	s_delay_alu instid0(VALU_DEP_4)
	v_dot4_i32_iu8 v145, v0, v141, 0 neg_lo:[1,1,0]
	v_dot4_i32_iu8 v220, v23, v141, 0 neg_lo:[1,1,0]
	;; [unrolled: 1-line block ×7, first 2 shown]
	s_wait_dscnt 0x7
	v_perm_b32 v143, v38, v38, 0x2010003
	s_wait_dscnt 0x6
	v_perm_b32 v144, v229, v229, 0x2010003
	v_dot4_i32_iu8 v247, v43, v141, 0 neg_lo:[1,1,0]
	v_dot4_i32_iu8 v248, v43, v147, 0 neg_lo:[1,1,0]
	;; [unrolled: 1-line block ×20, first 2 shown]
	v_perm_b32 v144, v4, v4, 0x2010003
	s_wait_dscnt 0x5
	v_perm_b32 v253, v230, v230, 0x2010003
	s_wait_dscnt 0x2
	v_perm_b32 v254, v236, v236, 0x2010003
	v_perm_b32 v4, v5, v4, 0x4000c0c
	v_dot4_i32_iu8 v145, v1, v144, v145 neg_lo:[1,1,0]
	v_dot4_i32_iu8 v146, v1, v253, v146 neg_lo:[1,1,0]
	s_delay_alu instid0(VALU_DEP_4)
	v_dot4_i32_iu8 v0, v1, v254, v0 neg_lo:[1,1,0]
	v_dot4_i32_iu8 v1, v25, v144, v220 neg_lo:[1,1,0]
	v_perm_b32 v220, v48, v48, 0x2010003
	v_dot4_i32_iu8 v224, v25, v253, v224 neg_lo:[1,1,0]
	v_dot4_i32_iu8 v23, v25, v254, v23 neg_lo:[1,1,0]
	;; [unrolled: 1-line block ×23, first 2 shown]
	v_lshlrev_b32_e32 v139, 24, v21
	v_lshlrev_b32_e32 v144, 8, v56
	;; [unrolled: 1-line block ×4, first 2 shown]
	v_or_b32_e32 v4, v4, v11
	v_perm_b32 v21, v114, v139, 0xc0c0703
	v_dot4_i32_iu8 v114, v18, v12, 0 neg_lo:[1,1,0]
	s_delay_alu instid0(VALU_DEP_2)
	v_or_b32_e32 v21, v85, v21
	v_lshlrev_b32_e32 v85, 24, v32
	v_perm_b32 v32, v32, v81, 0x7030c0c
	v_lshlrev_b32_e32 v81, 24, v30
	v_perm_b32 v30, v30, v82, 0x7030c0c
	v_dot4_i32_iu8 v82, v12, v37, 0 neg_lo:[1,1,0]
	v_perm_b32 v112, v112, v85, 0xc0c0703
	v_dot4_i32_iu8 v19, v21, v19, v114 neg_lo:[1,1,0]
	v_lshlrev_b32_e32 v114, 8, v52
	s_delay_alu instid0(VALU_DEP_4) | instskip(NEXT) | instid1(VALU_DEP_4)
	v_dot4_i32_iu8 v38, v21, v38, v82 neg_lo:[1,1,0]
	v_or_b32_e32 v32, v32, v112
	v_perm_b32 v112, v113, v81, 0xc0c0703
	v_perm_b32 v82, v231, v231, 0x2010003
	;; [unrolled: 1-line block ×3, first 2 shown]
	s_delay_alu instid0(VALU_DEP_4) | instskip(NEXT) | instid1(VALU_DEP_4)
	v_dot4_i32_iu8 v38, v32, v230, v38 neg_lo:[1,1,0]
	v_or_b32_e32 v30, v30, v112
	v_dot4_i32_iu8 v112, v12, v228, 0 neg_lo:[1,1,0]
	v_dot4_i32_iu8 v19, v32, v48, v19 neg_lo:[1,1,0]
	v_lshlrev_b32_e32 v48, 8, v50
	v_lshlrev_b32_e32 v230, 16, v227
	v_dot4_i32_iu8 v38, v30, v231, v38 neg_lo:[1,1,0]
	v_dot4_i32_iu8 v112, v21, v229, v112 neg_lo:[1,1,0]
	v_dot4_i32_iu8 v19, v30, v49, v19 neg_lo:[1,1,0]
	v_perm_b32 v21, v49, v49, 0x2010003
	v_lshlrev_b32_e32 v49, 8, v54
	v_lshlrev_b32_e32 v229, 8, v225
	v_dot4_i32_iu8 v112, v32, v236, v112 neg_lo:[1,1,0]
	v_lshlrev_b32_e32 v32, 8, v34
	v_lshlrev_b32_e32 v231, 8, v227
	v_perm_b32 v227, v227, v227, 0xc0c0003
	v_perm_b32 v12, v10, v139, 0xc0c0403
	v_dot4_i32_iu8 v112, v30, v237, v112 neg_lo:[1,1,0]
	v_lshlrev_b32_e32 v30, 16, v34
	v_perm_b32 v34, v34, v34, 0xc0c0003
	s_delay_alu instid0(VALU_DEP_2) | instskip(SKIP_1) | instid1(VALU_DEP_2)
	v_perm_b32 v30, v32, v30, 0x7030c0c
	v_lshlrev_b32_e32 v32, 16, v50
	v_or_b32_e32 v30, v30, v34
	s_delay_alu instid0(VALU_DEP_2) | instskip(SKIP_4) | instid1(VALU_DEP_4)
	v_perm_b32 v32, v48, v32, 0x7030c0c
	v_lshlrev_b32_e32 v48, 16, v54
	v_perm_b32 v34, v50, v50, 0xc0c0003
	v_perm_b32 v50, v58, v58, 0xc0c0003
	v_dot4_i32_iu8 v0, v30, v113, v0 neg_lo:[1,1,0]
	v_perm_b32 v48, v49, v48, 0x7030c0c
	v_lshlrev_b32_e32 v49, 16, v52
	v_or_b32_e32 v32, v32, v34
	v_perm_b32 v34, v54, v54, 0xc0c0003
	s_delay_alu instid0(VALU_DEP_3) | instskip(SKIP_1) | instid1(VALU_DEP_3)
	v_perm_b32 v49, v114, v49, 0x7030c0c
	v_lshlrev_b32_e32 v114, 16, v56
	v_or_b32_e32 v34, v48, v34
	v_perm_b32 v48, v52, v52, 0xc0c0003
	v_perm_b32 v52, v5, v5, 0x2010003
	v_dot4_i32_iu8 v23, v32, v113, v23 neg_lo:[1,1,0]
	v_perm_b32 v114, v144, v114, 0x7030c0c
	v_lshlrev_b32_e32 v144, 16, v58
	v_or_b32_e32 v48, v49, v48
	v_perm_b32 v49, v56, v56, 0xc0c0003
	v_dot4_i32_iu8 v54, v30, v52, v145 neg_lo:[1,1,0]
	v_dot4_i32_iu8 v56, v30, v82, v146 neg_lo:[1,1,0]
	v_perm_b32 v144, v147, v144, 0x7030c0c
	v_lshlrev_b32_e32 v147, 16, v26
	v_perm_b32 v26, v26, v26, 0xc0c0003
	v_or_b32_e32 v49, v114, v49
	v_dot4_i32_iu8 v1, v32, v52, v1 neg_lo:[1,1,0]
	v_or_b32_e32 v50, v144, v50
	v_perm_b32 v147, v220, v147, 0x7030c0c
	v_dot4_i32_iu8 v30, v32, v21, v222 neg_lo:[1,1,0]
	v_dot4_i32_iu8 v58, v32, v82, v224 neg_lo:[1,1,0]
	;; [unrolled: 1-line block ×4, first 2 shown]
	v_or_b32_e32 v26, v147, v26
	v_dot4_i32_iu8 v114, v34, v82, v242 neg_lo:[1,1,0]
	v_dot4_i32_iu8 v34, v34, v113, v60 neg_lo:[1,1,0]
	;; [unrolled: 1-line block ×18, first 2 shown]
	v_lshlrev_b32_e32 v47, 16, v39
	v_lshlrev_b32_e32 v82, 8, v39
	;; [unrolled: 1-line block ×11, first 2 shown]
	v_perm_b32 v39, v39, v39, 0xc0c0003
	v_perm_b32 v63, v63, v63, 0xc0c0003
	;; [unrolled: 1-line block ×13, first 2 shown]
	v_or_b32_e32 v39, v47, v39
	v_or_b32_e32 v47, v82, v63
	;; [unrolled: 1-line block ×7, first 2 shown]
	v_perm_b32 v141, v6, v6, 0x2010003
	v_perm_b32 v143, v232, v232, 0x2010003
	s_wait_dscnt 0x1
	v_perm_b32 v147, v238, v238, 0x2010003
	v_lshlrev_b32_e32 v220, 16, v59
	v_lshlrev_b32_e32 v221, 8, v59
	v_dot4_i32_iu8 v54, v39, v141, v54 neg_lo:[1,1,0]
	v_dot4_i32_iu8 v56, v39, v143, v56 neg_lo:[1,1,0]
	v_dot4_i32_iu8 v0, v39, v147, v0 neg_lo:[1,1,0]
	v_perm_b32 v39, v28, v28, 0x2010003
	v_dot4_i32_iu8 v1, v47, v141, v1 neg_lo:[1,1,0]
	v_dot4_i32_iu8 v58, v47, v143, v58 neg_lo:[1,1,0]
	;; [unrolled: 1-line block ×19, first 2 shown]
	v_perm_b32 v52, v33, v219, 0x7030c0c
	v_lshlrev_b32_e32 v33, 24, v33
	v_dot4_i32_iu8 v49, v113, v141, v49 neg_lo:[1,1,0]
	v_dot4_i32_iu8 v136, v113, v143, v146 neg_lo:[1,1,0]
	;; [unrolled: 1-line block ×3, first 2 shown]
	v_perm_b32 v113, v31, v218, 0x7030c0c
	v_lshlrev_b32_e32 v31, 24, v31
	v_perm_b32 v217, v217, v33, 0xc0c0703
	v_dot4_i32_iu8 v50, v138, v141, v50 neg_lo:[1,1,0]
	v_dot4_i32_iu8 v26, v138, v147, v26 neg_lo:[1,1,0]
	v_lshlrev_b32_e32 v137, 16, v35
	v_perm_b32 v216, v216, v31, 0xc0c0703
	v_or_b32_e32 v52, v52, v217
	v_lshlrev_b32_e32 v138, 8, v35
	v_lshlrev_b32_e32 v141, 16, v51
	;; [unrolled: 1-line block ×11, first 2 shown]
	v_or_b32_e32 v113, v113, v216
	v_dot4_i32_iu8 v38, v52, v232, v38 neg_lo:[1,1,0]
	v_dot4_i32_iu8 v112, v52, v238, v112 neg_lo:[1,1,0]
	;; [unrolled: 1-line block ×3, first 2 shown]
	v_perm_b32 v35, v35, v35, 0xc0c0003
	v_perm_b32 v51, v51, v51, 0xc0c0003
	;; [unrolled: 1-line block ×7, first 2 shown]
	v_dot4_i32_iu8 v38, v113, v233, v38 neg_lo:[1,1,0]
	v_dot4_i32_iu8 v112, v113, v239, v112 neg_lo:[1,1,0]
	;; [unrolled: 1-line block ×3, first 2 shown]
	v_perm_b32 v19, v29, v29, 0x2010003
	v_perm_b32 v28, v138, v137, 0x7030c0c
	;; [unrolled: 1-line block ×10, first 2 shown]
	v_or_b32_e32 v28, v28, v35
	v_or_b32_e32 v29, v29, v51
	;; [unrolled: 1-line block ×7, first 2 shown]
	v_perm_b32 v57, v7, v7, 0x2010003
	v_dot4_i32_iu8 v56, v28, v216, v56 neg_lo:[1,1,0]
	v_dot4_i32_iu8 v0, v28, v217, v0 neg_lo:[1,1,0]
	;; [unrolled: 1-line block ×27, first 2 shown]
	v_lshlrev_b32_e32 v27, 16, v22
	v_lshlrev_b32_e32 v39, 8, v22
	;; [unrolled: 1-line block ×10, first 2 shown]
	v_perm_b32 v22, v22, v22, 0xc0c0003
	v_perm_b32 v36, v36, v36, 0xc0c0003
	;; [unrolled: 1-line block ×3, first 2 shown]
	v_lshlrev_b32_e32 v113, 16, v42
	v_lshlrev_b32_e32 v114, 8, v42
	v_perm_b32 v44, v44, v44, 0xc0c0003
	v_lshlrev_b32_e32 v138, 16, v46
	v_lshlrev_b32_e32 v141, 8, v46
	v_perm_b32 v27, v39, v27, 0x7030c0c
	v_perm_b32 v39, v57, v55, 0x7030c0c
	;; [unrolled: 1-line block ×10, first 2 shown]
	v_or_b32_e32 v22, v27, v22
	v_or_b32_e32 v27, v55, v36
	v_or_b32_e32 v36, v57, v40
	v_or_b32_e32 v40, v62, v44
	v_perm_b32 v44, v8, v8, 0x2010003
	v_or_b32_e32 v24, v39, v24
	v_or_b32_e32 v39, v61, v42
	;; [unrolled: 1-line block ×3, first 2 shown]
	s_wait_dscnt 0x0
	v_perm_b32 v113, v241, v241, 0x2010003
	v_dot4_i32_iu8 v46, v22, v44, v54 neg_lo:[1,1,0]
	v_perm_b32 v54, v234, v234, 0x2010003
	v_dot4_i32_iu8 v1, v24, v44, v1 neg_lo:[1,1,0]
	v_dot4_i32_iu8 v63, v27, v44, v25 neg_lo:[1,1,0]
	;; [unrolled: 1-line block ×3, first 2 shown]
	v_perm_b32 v5, v7, v6, 0xc0c0400
	v_dot4_i32_iu8 v55, v22, v54, v56 neg_lo:[1,1,0]
	v_perm_b32 v56, v240, v240, 0x2010003
	v_dot4_i32_iu8 v61, v24, v54, v30 neg_lo:[1,1,0]
	v_dot4_i32_iu8 v32, v27, v54, v32 neg_lo:[1,1,0]
	;; [unrolled: 1-line block ×3, first 2 shown]
	v_perm_b32 v6, v9, v8, 0x4000c0c
	v_dot4_i32_iu8 v0, v22, v56, v0 neg_lo:[1,1,0]
	v_perm_b32 v22, v16, v16, 0x2010003
	v_dot4_i32_iu8 v62, v24, v56, v23 neg_lo:[1,1,0]
	v_dot4_i32_iu8 v34, v27, v56, v34 neg_lo:[1,1,0]
	v_perm_b32 v7, v81, v85, 0x7030c0c
	v_or_b32_e32 v5, v6, v5
	v_dot4_i32_iu8 v47, v36, v22, v47 neg_lo:[1,1,0]
	v_dot4_i32_iu8 v36, v36, v56, v41 neg_lo:[1,1,0]
	;; [unrolled: 1-line block ×11, first 2 shown]
	v_lshlrev_b32_e32 v54, 24, v20
	v_dot4_i32_iu8 v40, v40, v56, v45 neg_lo:[1,1,0]
	v_dot4_i32_iu8 v45, v42, v22, v19 neg_lo:[1,1,0]
	v_perm_b32 v19, v20, v213, 0x7030c0c
	v_lshlrev_b32_e32 v59, 24, v13
	v_perm_b32 v20, v215, v54, 0xc0c0703
	v_dot4_i32_iu8 v42, v42, v56, v26 neg_lo:[1,1,0]
	v_perm_b32 v13, v13, v212, 0x7030c0c
	v_dot4_i32_iu8 v57, v24, v22, v28 neg_lo:[1,1,0]
	v_dot4_i32_iu8 v82, v27, v22, v29 neg_lo:[1,1,0]
	v_or_b32_e32 v56, v19, v20
	v_perm_b32 v19, v214, v59, 0xc0c0703
	v_lshlrev_b32_e32 v20, 8, v15
	v_perm_b32 v60, v235, v235, 0x2010003
	v_perm_b32 v6, v31, v33, 0xc0c0703
	;; [unrolled: 1-line block ×3, first 2 shown]
	v_or_b32_e32 v13, v13, v19
	v_dot4_i32_iu8 v19, v56, v234, v38 neg_lo:[1,1,0]
	v_or_b32_e32 v7, v7, v12
	s_delay_alu instid0(VALU_DEP_4) | instskip(SKIP_1) | instid1(VALU_DEP_4)
	v_or_b32_e32 v6, v8, v6
	v_add_nc_u32_e32 v8, v206, v199
	v_dot4_i32_iu8 v38, v13, v235, v19 neg_lo:[1,1,0]
	v_dot4_i32_iu8 v19, v56, v240, v112 neg_lo:[1,1,0]
	;; [unrolled: 1-line block ×3, first 2 shown]
	s_delay_alu instid0(VALU_DEP_2) | instskip(SKIP_1) | instid1(VALU_DEP_3)
	v_dot4_i32_iu8 v112, v13, v241, v19 neg_lo:[1,1,0]
	v_lshlrev_b32_e32 v19, 16, v15
	v_dot4_i32_iu8 v4, v6, v5, v4 neg_lo:[1,1,0]
	v_add3_u32 v5, v207, v200, v208
	v_add3_u32 v6, v201, v202, v209
	s_delay_alu instid0(VALU_DEP_4) | instskip(SKIP_4) | instid1(VALU_DEP_1)
	v_perm_b32 v114, v20, v19, 0x7030c0c
	v_add_nc_u32_e32 v19, 0x800, v161
	v_add3_u32 v4, v4, v205, v8
	ds_load_2addr_b32 v[19:20], v19 offset1:7
	v_cvt_f32_i32_e32 v4, v4
	v_fma_mix_f32 v4, v191, v4, v191 op_sel:[0,0,1] op_sel_hi:[1,0,1]
	s_delay_alu instid0(VALU_DEP_1) | instskip(SKIP_1) | instid1(VALU_DEP_1)
	v_add_f32_e32 v91, v91, v4
	v_cvt_f32_i32_e32 v4, v38
	v_fma_mix_f32 v4, v190, v4, v190 op_sel:[0,0,1] op_sel_hi:[1,0,1]
	s_wait_dscnt 0x0
	v_lshlrev_b32_e32 v21, 16, v20
	v_lshlrev_b32_e32 v22, 8, v20
	v_perm_b32 v20, v20, v20, 0xc0c0003
	v_add_f32_e32 v107, v107, v4
	s_delay_alu instid0(VALU_DEP_3) | instskip(SKIP_1) | instid1(VALU_DEP_2)
	v_perm_b32 v136, v22, v21, 0x7030c0c
	v_add_nc_u32_e32 v21, 0xc00, v161
	v_or_b32_e32 v20, v136, v20
	ds_load_2addr_b32 v[21:22], v21 offset1:7
	v_perm_b32 v136, v9, v9, 0x2010003
	v_dot4_i32_iu8 v61, v20, v60, v61 neg_lo:[1,1,0]
	s_delay_alu instid0(VALU_DEP_2) | instskip(NEXT) | instid1(VALU_DEP_1)
	v_dot4_i32_iu8 v1, v20, v136, v1 neg_lo:[1,1,0]
	v_dot4_i32_iu8 v1, v10, v19, v1 neg_lo:[1,1,0]
	s_delay_alu instid0(VALU_DEP_1)
	v_cvt_f32_i32_e32 v1, v1
	s_wait_dscnt 0x0
	v_lshlrev_b32_e32 v23, 16, v22
	v_lshlrev_b32_e32 v24, 8, v22
	v_perm_b32 v22, v22, v22, 0xc0c0003
	v_fma_mix_f32 v1, v184, v1, v184 op_sel:[0,0,1] op_sel_hi:[1,0,1]
	s_delay_alu instid0(VALU_DEP_3) | instskip(SKIP_1) | instid1(VALU_DEP_3)
	v_perm_b32 v137, v24, v23, 0x7030c0c
	v_add_nc_u32_e32 v23, 0x1000, v161
	v_add_f32_e32 v90, v90, v1
	s_delay_alu instid0(VALU_DEP_3) | instskip(SKIP_2) | instid1(VALU_DEP_1)
	v_or_b32_e32 v22, v137, v22
	ds_load_2addr_b32 v[23:24], v23 offset1:7
	v_dot4_i32_iu8 v32, v22, v60, v32 neg_lo:[1,1,0]
	v_dot4_i32_iu8 v32, v21, v37, v32 neg_lo:[1,1,0]
	s_delay_alu instid0(VALU_DEP_1) | instskip(NEXT) | instid1(VALU_DEP_1)
	v_cvt_f32_i32_e32 v12, v32
	v_fma_mix_f32 v12, v177, v12, v177 op_sel:[0,0,1] op_sel_hi:[1,0,1]
	s_wait_dscnt 0x0
	v_lshlrev_b32_e32 v25, 16, v24
	v_lshlrev_b32_e32 v26, 8, v24
	v_perm_b32 v24, v24, v24, 0xc0c0003
	v_add_f32_e32 v83, v83, v12
	s_delay_alu instid0(VALU_DEP_3) | instskip(SKIP_1) | instid1(VALU_DEP_2)
	v_perm_b32 v138, v26, v25, 0x7030c0c
	v_add_nc_u32_e32 v25, 0x1400, v161
	v_or_b32_e32 v24, v138, v24
	ds_load_2addr_b32 v[25:26], v25 offset1:7
	s_wait_dscnt 0x0
	v_lshlrev_b32_e32 v27, 16, v26
	v_lshlrev_b32_e32 v28, 8, v26
	v_perm_b32 v26, v26, v26, 0xc0c0003
	s_delay_alu instid0(VALU_DEP_2) | instskip(SKIP_1) | instid1(VALU_DEP_2)
	v_perm_b32 v141, v28, v27, 0x7030c0c
	v_add_nc_u32_e32 v27, 0x1800, v161
	v_or_b32_e32 v26, v141, v26
	ds_load_2addr_b32 v[27:28], v27 offset1:7
	s_wait_dscnt 0x0
	v_lshlrev_b32_e32 v29, 16, v28
	v_lshlrev_b32_e32 v30, 8, v28
	v_perm_b32 v28, v28, v28, 0xc0c0003
	s_delay_alu instid0(VALU_DEP_2) | instskip(SKIP_2) | instid1(VALU_DEP_3)
	v_perm_b32 v143, v30, v29, 0x7030c0c
	v_add_nc_u32_e32 v29, 0x1c00, v161
	v_add_nc_u32_e32 v161, 32, v161
	v_or_b32_e32 v28, v143, v28
	ds_load_2addr_b32 v[29:30], v29 offset1:7
	s_wait_dscnt 0x0
	v_lshlrev_b32_e32 v144, 16, v30
	v_lshlrev_b32_e32 v145, 8, v30
	v_perm_b32 v30, v30, v30, 0xc0c0003
	s_delay_alu instid0(VALU_DEP_2) | instskip(SKIP_2) | instid1(VALU_DEP_3)
	v_perm_b32 v144, v145, v144, 0x7030c0c
	v_perm_b32 v145, v15, v15, 0xc0c0003
	v_bfe_i32 v15, v15, 16, 8
	v_or_b32_e32 v30, v144, v30
	s_delay_alu instid0(VALU_DEP_3) | instskip(NEXT) | instid1(VALU_DEP_1)
	v_or_b32_e32 v114, v114, v145
	v_dot4_i32_iu8 v46, v114, v136, v46 neg_lo:[1,1,0]
	v_dot4_i32_iu8 v55, v114, v60, v55 neg_lo:[1,1,0]
	;; [unrolled: 1-line block ×3, first 2 shown]
	v_perm_b32 v114, v17, v17, 0x2010003
	s_delay_alu instid0(VALU_DEP_2) | instskip(NEXT) | instid1(VALU_DEP_2)
	v_dot4_i32_iu8 v0, v14, v228, v0 neg_lo:[1,1,0]
	v_dot4_i32_iu8 v57, v20, v114, v57 neg_lo:[1,1,0]
	;; [unrolled: 1-line block ×47, first 2 shown]
	v_cvt_f32_i32_e32 v4, v28
	v_dot4_i32_iu8 v13, v13, v17, v14 neg_lo:[1,1,0]
	v_bfe_i32 v14, v17, 16, 8
	v_cvt_f32_i32_e32 v0, v0
	v_cvt_f32_i32_e32 v8, v19
	;; [unrolled: 1-line block ×4, first 2 shown]
	v_mul_i32_i24_e32 v14, v15, v14
	v_cvt_f32_i32_e32 v15, v34
	v_cvt_f32_i32_e32 v16, v35
	v_cvt_f32_i32_e32 v17, v23
	v_cvt_f32_i32_e32 v19, v24
	v_add3_u32 v14, v203, v204, v14
	v_cvt_f32_i32_e32 v20, v36
	v_cvt_f32_i32_e32 v23, v26
	v_cvt_f32_i32_e32 v24, v39
	v_cvt_f32_i32_e32 v26, v27
	v_add3_u32 v7, v210, v211, v14
	;; [unrolled: 5-line block ×3, first 2 shown]
	v_cvt_f32_i32_e32 v6, v13
	v_cvt_f32_i32_e32 v7, v50
	;; [unrolled: 1-line block ×5, first 2 shown]
	v_fma_mix_f32 v6, v187, v6, v187 op_sel:[0,0,1] op_sel_hi:[1,0,1]
	v_cvt_f32_i32_e32 v18, v18
	v_cvt_f32_i32_e32 v27, v37
	;; [unrolled: 1-line block ×3, first 2 shown]
	v_fma_mix_f32 v5, v194, v5, v194 op_sel:[0,0,1] op_sel_hi:[1,0,1]
	v_add_f32_e32 v108, v108, v6
	v_cvt_f32_i32_e32 v6, v42
	v_fma_mix_f32 v4, v185, v4, v185 op_sel:[0,0,1] op_sel_hi:[1,0,1]
	v_fma_mix_f32 v0, v183, v0, v183 op_sel:[0,0,1] op_sel_hi:[1,0,1]
	v_add_f32_e32 v94, v94, v5
	v_cvt_f32_i32_e32 v5, v112
	v_fma_mix_f32 v6, v182, v6, v182 op_sel:[0,0,1] op_sel_hi:[1,0,1]
	v_fma_mix_f32 v7, v181, v7, v181 op_sel:[0,0,1] op_sel_hi:[1,0,1]
	;; [unrolled: 1-line block ×9, first 2 shown]
	v_add_f32_e32 v105, v105, v5
	v_cvt_f32_i32_e32 v5, v40
	v_fma_mix_f32 v16, v173, v16, v173 op_sel:[0,0,1] op_sel_hi:[1,0,1]
	v_fma_mix_f32 v17, v172, v17, v172 op_sel:[0,0,1] op_sel_hi:[1,0,1]
	;; [unrolled: 1-line block ×15, first 2 shown]
	v_add_f32_e32 v97, v97, v4
	v_dual_add_f32 v93, v93, v5 :: v_dual_add_f32 v92, v92, v0
	v_dual_add_f32 v89, v89, v6 :: v_dual_add_f32 v88, v88, v7
	;; [unrolled: 1-line block ×3, first 2 shown]
	v_add_f32_e32 v84, v84, v11
	v_dual_add_f32 v80, v80, v13 :: v_dual_add_f32 v79, v79, v14
	v_dual_add_f32 v78, v78, v15 :: v_dual_add_f32 v77, v77, v16
	;; [unrolled: 1-line block ×6, first 2 shown]
	v_add_f32_e32 v68, v68, v26
	v_add_f32_e32 v67, v67, v10
	v_dual_add_f32 v66, v66, v18 :: v_dual_add_f32 v65, v65, v27
	v_add_f32_e32 v64, v64, v28
	s_cbranch_scc1 .LBB163_11
; %bb.12:                               ;   in Loop: Header=BB163_6 Depth=1
	s_wait_loadcnt 0x0
	s_barrier_signal -1
	s_barrier_wait -1
	global_inv scope:SCOPE_SE
	s_branch .LBB163_5
.LBB163_13:
	s_clause 0x2
	scratch_load_b32 v1, off, off offset:64 th:TH_LOAD_LU
	scratch_load_b32 v2, off, off offset:68 th:TH_LOAD_LU
	scratch_load_b32 v3, off, off offset:72
.LBB163_14:
	s_mov_b32 s0, exec_lo
	s_wait_loadcnt 0x0
	v_cmpx_gt_u32_e64 s4, v3
	s_cbranch_execz .LBB163_65
; %bb.15:
	v_add_nc_u32_e32 v0, s14, v2
	v_mul_lo_u32 v5, v3, s6
	s_delay_alu instid0(VALU_DEP_2)
	v_cmp_gt_u32_e32 vcc_lo, s6, v0
	s_and_saveexec_b32 s1, vcc_lo
	s_cbranch_execz .LBB163_17
; %bb.16:
	v_bfe_u32 v3, v91, 16, 1
	s_delay_alu instid0(VALU_DEP_3) | instskip(SKIP_1) | instid1(VALU_DEP_3)
	v_add_nc_u32_e32 v2, v0, v5
	v_cmp_o_f32_e64 s0, v91, v91
	v_add3_u32 v4, v91, v3, 0x7fff
	v_mov_b32_e32 v3, 0
	s_delay_alu instid0(VALU_DEP_2) | instskip(NEXT) | instid1(VALU_DEP_2)
	v_lshrrev_b32_e32 v4, 16, v4
	v_lshlrev_b64_e32 v[2:3], 1, v[2:3]
	s_delay_alu instid0(VALU_DEP_2) | instskip(SKIP_1) | instid1(VALU_DEP_2)
	v_cndmask_b32_e64 v4, 0x7fc0, v4, s0
	s_wait_kmcnt 0x0
	v_add_co_u32 v2, s0, s8, v2
	s_wait_alu 0xf1ff
	s_delay_alu instid0(VALU_DEP_3)
	v_add_co_ci_u32_e64 v3, null, s9, v3, s0
	global_store_b16 v[2:3], v4, off
.LBB163_17:
	s_or_b32 exec_lo, exec_lo, s1
	v_add_nc_u32_e32 v2, 32, v0
	s_delay_alu instid0(VALU_DEP_1)
	v_cmp_gt_u32_e64 s0, s6, v2
	s_and_saveexec_b32 s2, s0
	s_cbranch_execz .LBB163_19
; %bb.18:
	v_bfe_u32 v4, v108, 16, 1
	v_add_nc_u32_e32 v3, v2, v5
	v_cmp_o_f32_e64 s1, v108, v108
	s_delay_alu instid0(VALU_DEP_3) | instskip(SKIP_1) | instid1(VALU_DEP_2)
	v_add3_u32 v6, v108, v4, 0x7fff
	v_mov_b32_e32 v4, 0
	v_lshrrev_b32_e32 v6, 16, v6
	s_delay_alu instid0(VALU_DEP_2) | instskip(SKIP_1) | instid1(VALU_DEP_2)
	v_lshlrev_b64_e32 v[3:4], 1, v[3:4]
	s_wait_alu 0xf1ff
	v_cndmask_b32_e64 v6, 0x7fc0, v6, s1
	s_wait_kmcnt 0x0
	s_delay_alu instid0(VALU_DEP_2)
	v_add_co_u32 v3, s1, s8, v3
	s_wait_alu 0xf1ff
	v_add_co_ci_u32_e64 v4, null, s9, v4, s1
	global_store_b16 v[3:4], v6, off
.LBB163_19:
	s_wait_alu 0xfffe
	s_or_b32 exec_lo, exec_lo, s2
	v_add_nc_u32_e32 v3, 64, v0
	s_delay_alu instid0(VALU_DEP_1)
	v_cmp_gt_u32_e64 s1, s6, v3
	s_and_saveexec_b32 s3, s1
	s_cbranch_execz .LBB163_21
; %bb.20:
	v_bfe_u32 v4, v107, 16, 1
	v_dual_mov_b32 v7, 0 :: v_dual_add_nc_u32 v6, v3, v5
	v_cmp_o_f32_e64 s2, v107, v107
	s_delay_alu instid0(VALU_DEP_3) | instskip(NEXT) | instid1(VALU_DEP_3)
	v_add3_u32 v4, v107, v4, 0x7fff
	v_lshlrev_b64_e32 v[6:7], 1, v[6:7]
	s_delay_alu instid0(VALU_DEP_2) | instskip(SKIP_1) | instid1(VALU_DEP_1)
	v_lshrrev_b32_e32 v4, 16, v4
	s_wait_alu 0xf1ff
	v_cndmask_b32_e64 v4, 0x7fc0, v4, s2
	s_wait_kmcnt 0x0
	s_delay_alu instid0(VALU_DEP_3)
	v_add_co_u32 v6, s2, s8, v6
	s_wait_alu 0xf1ff
	v_add_co_ci_u32_e64 v7, null, s9, v7, s2
	global_store_b16 v[6:7], v4, off
.LBB163_21:
	s_wait_alu 0xfffe
	s_or_b32 exec_lo, exec_lo, s3
	v_add_nc_u32_e32 v4, 0x60, v0
	s_delay_alu instid0(VALU_DEP_1)
	v_cmp_gt_u32_e64 s2, s6, v4
	s_and_saveexec_b32 s5, s2
	s_cbranch_execz .LBB163_23
; %bb.22:
	v_bfe_u32 v6, v105, 16, 1
	v_add_nc_u32_e32 v5, v4, v5
	v_cmp_o_f32_e64 s3, v105, v105
	s_delay_alu instid0(VALU_DEP_3) | instskip(SKIP_1) | instid1(VALU_DEP_2)
	v_add3_u32 v7, v105, v6, 0x7fff
	v_mov_b32_e32 v6, 0
	v_lshrrev_b32_e32 v7, 16, v7
	s_delay_alu instid0(VALU_DEP_2) | instskip(SKIP_1) | instid1(VALU_DEP_2)
	v_lshlrev_b64_e32 v[5:6], 1, v[5:6]
	s_wait_alu 0xf1ff
	v_cndmask_b32_e64 v7, 0x7fc0, v7, s3
	s_wait_kmcnt 0x0
	s_delay_alu instid0(VALU_DEP_2)
	v_add_co_u32 v5, s3, s8, v5
	s_wait_alu 0xf1ff
	v_add_co_ci_u32_e64 v6, null, s9, v6, s3
	global_store_b16 v[5:6], v7, off
.LBB163_23:
	s_wait_alu 0xfffe
	s_or_b32 exec_lo, exec_lo, s5
	v_add3_u32 v5, v1, s7, 8
	s_delay_alu instid0(VALU_DEP_1)
	v_cmp_gt_u32_e64 s3, s4, v5
	s_and_b32 exec_lo, exec_lo, s3
	s_cbranch_execz .LBB163_65
; %bb.24:
	v_mul_lo_u32 v5, v5, s6
	s_and_saveexec_b32 s5, vcc_lo
	s_cbranch_execnz .LBB163_66
; %bb.25:
	s_wait_alu 0xfffe
	s_or_b32 exec_lo, exec_lo, s5
	s_and_saveexec_b32 s5, s0
	s_cbranch_execnz .LBB163_67
.LBB163_26:
	s_wait_alu 0xfffe
	s_or_b32 exec_lo, exec_lo, s5
	s_and_saveexec_b32 s5, s1
	s_cbranch_execnz .LBB163_68
.LBB163_27:
	s_wait_alu 0xfffe
	s_or_b32 exec_lo, exec_lo, s5
	s_and_saveexec_b32 s5, s2
	s_cbranch_execz .LBB163_29
.LBB163_28:
	v_bfe_u32 v6, v92, 16, 1
	v_add_nc_u32_e32 v5, v5, v4
	v_cmp_o_f32_e64 s3, v92, v92
	s_delay_alu instid0(VALU_DEP_3) | instskip(SKIP_1) | instid1(VALU_DEP_2)
	v_add3_u32 v7, v92, v6, 0x7fff
	v_mov_b32_e32 v6, 0
	v_lshrrev_b32_e32 v7, 16, v7
	s_delay_alu instid0(VALU_DEP_2) | instskip(SKIP_1) | instid1(VALU_DEP_2)
	v_lshlrev_b64_e32 v[5:6], 1, v[5:6]
	s_wait_alu 0xf1ff
	v_cndmask_b32_e64 v7, 0x7fc0, v7, s3
	s_wait_kmcnt 0x0
	s_delay_alu instid0(VALU_DEP_2)
	v_add_co_u32 v5, s3, s8, v5
	s_wait_alu 0xf1ff
	v_add_co_ci_u32_e64 v6, null, s9, v6, s3
	global_store_b16 v[5:6], v7, off
.LBB163_29:
	s_wait_alu 0xfffe
	s_or_b32 exec_lo, exec_lo, s5
	v_add3_u32 v5, v1, s7, 16
	s_delay_alu instid0(VALU_DEP_1)
	v_cmp_gt_u32_e64 s3, s4, v5
	s_and_b32 exec_lo, exec_lo, s3
	s_cbranch_execz .LBB163_65
; %bb.30:
	v_mul_lo_u32 v5, v5, s6
	s_and_saveexec_b32 s5, vcc_lo
	s_cbranch_execnz .LBB163_69
; %bb.31:
	s_wait_alu 0xfffe
	s_or_b32 exec_lo, exec_lo, s5
	s_and_saveexec_b32 s5, s0
	s_cbranch_execnz .LBB163_70
.LBB163_32:
	s_wait_alu 0xfffe
	s_or_b32 exec_lo, exec_lo, s5
	s_and_saveexec_b32 s5, s1
	s_cbranch_execnz .LBB163_71
.LBB163_33:
	s_wait_alu 0xfffe
	s_or_b32 exec_lo, exec_lo, s5
	s_and_saveexec_b32 s5, s2
	s_cbranch_execz .LBB163_35
.LBB163_34:
	v_bfe_u32 v6, v87, 16, 1
	v_add_nc_u32_e32 v5, v5, v4
	v_cmp_o_f32_e64 s3, v87, v87
	s_delay_alu instid0(VALU_DEP_3) | instskip(SKIP_1) | instid1(VALU_DEP_2)
	v_add3_u32 v7, v87, v6, 0x7fff
	v_mov_b32_e32 v6, 0
	v_lshrrev_b32_e32 v7, 16, v7
	s_delay_alu instid0(VALU_DEP_2) | instskip(SKIP_1) | instid1(VALU_DEP_2)
	v_lshlrev_b64_e32 v[5:6], 1, v[5:6]
	s_wait_alu 0xf1ff
	v_cndmask_b32_e64 v7, 0x7fc0, v7, s3
	s_wait_kmcnt 0x0
	s_delay_alu instid0(VALU_DEP_2)
	v_add_co_u32 v5, s3, s8, v5
	s_wait_alu 0xf1ff
	v_add_co_ci_u32_e64 v6, null, s9, v6, s3
	global_store_b16 v[5:6], v7, off
.LBB163_35:
	s_wait_alu 0xfffe
	s_or_b32 exec_lo, exec_lo, s5
	v_add3_u32 v5, v1, s7, 24
	s_delay_alu instid0(VALU_DEP_1)
	v_cmp_gt_u32_e64 s3, s4, v5
	s_and_b32 exec_lo, exec_lo, s3
	s_cbranch_execz .LBB163_65
; %bb.36:
	v_mul_lo_u32 v5, v5, s6
	s_and_saveexec_b32 s5, vcc_lo
	s_cbranch_execnz .LBB163_72
; %bb.37:
	s_wait_alu 0xfffe
	s_or_b32 exec_lo, exec_lo, s5
	s_and_saveexec_b32 s5, s0
	s_cbranch_execnz .LBB163_73
.LBB163_38:
	s_wait_alu 0xfffe
	s_or_b32 exec_lo, exec_lo, s5
	s_and_saveexec_b32 s5, s1
	s_cbranch_execnz .LBB163_74
.LBB163_39:
	s_wait_alu 0xfffe
	s_or_b32 exec_lo, exec_lo, s5
	s_and_saveexec_b32 s5, s2
	s_cbranch_execz .LBB163_41
.LBB163_40:
	v_bfe_u32 v6, v80, 16, 1
	v_add_nc_u32_e32 v5, v5, v4
	v_cmp_o_f32_e64 s3, v80, v80
	s_delay_alu instid0(VALU_DEP_3) | instskip(SKIP_1) | instid1(VALU_DEP_2)
	v_add3_u32 v7, v80, v6, 0x7fff
	v_mov_b32_e32 v6, 0
	v_lshrrev_b32_e32 v7, 16, v7
	s_delay_alu instid0(VALU_DEP_2) | instskip(SKIP_1) | instid1(VALU_DEP_2)
	v_lshlrev_b64_e32 v[5:6], 1, v[5:6]
	s_wait_alu 0xf1ff
	v_cndmask_b32_e64 v7, 0x7fc0, v7, s3
	s_wait_kmcnt 0x0
	s_delay_alu instid0(VALU_DEP_2)
	v_add_co_u32 v5, s3, s8, v5
	s_wait_alu 0xf1ff
	v_add_co_ci_u32_e64 v6, null, s9, v6, s3
	global_store_b16 v[5:6], v7, off
.LBB163_41:
	s_wait_alu 0xfffe
	s_or_b32 exec_lo, exec_lo, s5
	v_add3_u32 v5, v1, s7, 32
	s_delay_alu instid0(VALU_DEP_1)
	v_cmp_gt_u32_e64 s3, s4, v5
	s_and_b32 exec_lo, exec_lo, s3
	s_cbranch_execz .LBB163_65
; %bb.42:
	v_mul_lo_u32 v5, v5, s6
	s_and_saveexec_b32 s5, vcc_lo
	s_cbranch_execnz .LBB163_75
; %bb.43:
	s_wait_alu 0xfffe
	s_or_b32 exec_lo, exec_lo, s5
	s_and_saveexec_b32 s5, s0
	s_cbranch_execnz .LBB163_76
.LBB163_44:
	s_wait_alu 0xfffe
	s_or_b32 exec_lo, exec_lo, s5
	s_and_saveexec_b32 s5, s1
	s_cbranch_execnz .LBB163_77
.LBB163_45:
	s_wait_alu 0xfffe
	s_or_b32 exec_lo, exec_lo, s5
	s_and_saveexec_b32 s5, s2
	s_cbranch_execz .LBB163_47
.LBB163_46:
	v_bfe_u32 v6, v76, 16, 1
	v_add_nc_u32_e32 v5, v5, v4
	v_cmp_o_f32_e64 s3, v76, v76
	s_delay_alu instid0(VALU_DEP_3) | instskip(SKIP_1) | instid1(VALU_DEP_2)
	v_add3_u32 v7, v76, v6, 0x7fff
	v_mov_b32_e32 v6, 0
	v_lshrrev_b32_e32 v7, 16, v7
	s_delay_alu instid0(VALU_DEP_2) | instskip(SKIP_1) | instid1(VALU_DEP_2)
	v_lshlrev_b64_e32 v[5:6], 1, v[5:6]
	s_wait_alu 0xf1ff
	v_cndmask_b32_e64 v7, 0x7fc0, v7, s3
	s_wait_kmcnt 0x0
	s_delay_alu instid0(VALU_DEP_2)
	v_add_co_u32 v5, s3, s8, v5
	s_wait_alu 0xf1ff
	v_add_co_ci_u32_e64 v6, null, s9, v6, s3
	global_store_b16 v[5:6], v7, off
.LBB163_47:
	s_wait_alu 0xfffe
	s_or_b32 exec_lo, exec_lo, s5
	v_add3_u32 v5, v1, s7, 40
	s_delay_alu instid0(VALU_DEP_1)
	v_cmp_gt_u32_e64 s3, s4, v5
	s_and_b32 exec_lo, exec_lo, s3
	s_cbranch_execz .LBB163_65
; %bb.48:
	v_mul_lo_u32 v5, v5, s6
	s_and_saveexec_b32 s5, vcc_lo
	s_cbranch_execnz .LBB163_78
; %bb.49:
	s_wait_alu 0xfffe
	s_or_b32 exec_lo, exec_lo, s5
	s_and_saveexec_b32 s5, s0
	s_cbranch_execnz .LBB163_79
.LBB163_50:
	s_wait_alu 0xfffe
	s_or_b32 exec_lo, exec_lo, s5
	s_and_saveexec_b32 s5, s1
	s_cbranch_execnz .LBB163_80
.LBB163_51:
	s_wait_alu 0xfffe
	s_or_b32 exec_lo, exec_lo, s5
	s_and_saveexec_b32 s5, s2
	s_cbranch_execz .LBB163_53
.LBB163_52:
	v_bfe_u32 v6, v72, 16, 1
	v_add_nc_u32_e32 v5, v5, v4
	v_cmp_o_f32_e64 s3, v72, v72
	s_delay_alu instid0(VALU_DEP_3) | instskip(SKIP_1) | instid1(VALU_DEP_2)
	v_add3_u32 v7, v72, v6, 0x7fff
	v_mov_b32_e32 v6, 0
	v_lshrrev_b32_e32 v7, 16, v7
	s_delay_alu instid0(VALU_DEP_2) | instskip(SKIP_1) | instid1(VALU_DEP_2)
	v_lshlrev_b64_e32 v[5:6], 1, v[5:6]
	s_wait_alu 0xf1ff
	v_cndmask_b32_e64 v7, 0x7fc0, v7, s3
	s_wait_kmcnt 0x0
	s_delay_alu instid0(VALU_DEP_2)
	v_add_co_u32 v5, s3, s8, v5
	s_wait_alu 0xf1ff
	v_add_co_ci_u32_e64 v6, null, s9, v6, s3
	global_store_b16 v[5:6], v7, off
.LBB163_53:
	s_wait_alu 0xfffe
	s_or_b32 exec_lo, exec_lo, s5
	v_add3_u32 v5, v1, s7, 48
	s_delay_alu instid0(VALU_DEP_1)
	v_cmp_gt_u32_e64 s3, s4, v5
	s_and_b32 exec_lo, exec_lo, s3
	s_cbranch_execz .LBB163_65
; %bb.54:
	v_mul_lo_u32 v5, v5, s6
	s_and_saveexec_b32 s5, vcc_lo
	s_cbranch_execnz .LBB163_81
; %bb.55:
	s_wait_alu 0xfffe
	s_or_b32 exec_lo, exec_lo, s5
	s_and_saveexec_b32 s5, s0
	s_cbranch_execnz .LBB163_82
.LBB163_56:
	s_wait_alu 0xfffe
	s_or_b32 exec_lo, exec_lo, s5
	s_and_saveexec_b32 s5, s1
	s_cbranch_execnz .LBB163_83
.LBB163_57:
	s_wait_alu 0xfffe
	s_or_b32 exec_lo, exec_lo, s5
	s_and_saveexec_b32 s5, s2
	s_cbranch_execz .LBB163_59
.LBB163_58:
	v_bfe_u32 v6, v68, 16, 1
	v_add_nc_u32_e32 v5, v5, v4
	v_cmp_o_f32_e64 s3, v68, v68
	s_delay_alu instid0(VALU_DEP_3) | instskip(SKIP_1) | instid1(VALU_DEP_2)
	v_add3_u32 v7, v68, v6, 0x7fff
	v_mov_b32_e32 v6, 0
	v_lshrrev_b32_e32 v7, 16, v7
	s_delay_alu instid0(VALU_DEP_2) | instskip(SKIP_1) | instid1(VALU_DEP_2)
	v_lshlrev_b64_e32 v[5:6], 1, v[5:6]
	s_wait_alu 0xf1ff
	v_cndmask_b32_e64 v7, 0x7fc0, v7, s3
	s_wait_kmcnt 0x0
	s_delay_alu instid0(VALU_DEP_2)
	v_add_co_u32 v5, s3, s8, v5
	s_wait_alu 0xf1ff
	v_add_co_ci_u32_e64 v6, null, s9, v6, s3
	global_store_b16 v[5:6], v7, off
.LBB163_59:
	s_wait_alu 0xfffe
	s_or_b32 exec_lo, exec_lo, s5
	v_add3_u32 v1, v1, s7, 56
	s_delay_alu instid0(VALU_DEP_1)
	v_cmp_gt_u32_e64 s3, s4, v1
	s_and_b32 exec_lo, exec_lo, s3
	s_cbranch_execz .LBB163_65
; %bb.60:
	v_mul_lo_u32 v1, v1, s6
	s_and_saveexec_b32 s3, vcc_lo
	s_cbranch_execnz .LBB163_84
; %bb.61:
	s_wait_alu 0xfffe
	s_or_b32 exec_lo, exec_lo, s3
	s_and_saveexec_b32 s3, s0
	s_cbranch_execnz .LBB163_85
.LBB163_62:
	s_wait_alu 0xfffe
	s_or_b32 exec_lo, exec_lo, s3
	s_and_saveexec_b32 s0, s1
	s_cbranch_execnz .LBB163_86
.LBB163_63:
	s_wait_alu 0xfffe
	s_or_b32 exec_lo, exec_lo, s0
	s_delay_alu instid0(SALU_CYCLE_1)
	s_and_b32 exec_lo, exec_lo, s2
	s_cbranch_execz .LBB163_65
.LBB163_64:
	v_bfe_u32 v2, v64, 16, 1
	v_dual_mov_b32 v1, 0 :: v_dual_add_nc_u32 v0, v1, v4
	v_cmp_o_f32_e32 vcc_lo, v64, v64
	s_delay_alu instid0(VALU_DEP_3) | instskip(NEXT) | instid1(VALU_DEP_3)
	v_add3_u32 v2, v64, v2, 0x7fff
	v_lshlrev_b64_e32 v[0:1], 1, v[0:1]
	s_delay_alu instid0(VALU_DEP_2) | instskip(SKIP_1) | instid1(VALU_DEP_1)
	v_lshrrev_b32_e32 v2, 16, v2
	s_wait_alu 0xfffd
	v_cndmask_b32_e32 v2, 0x7fc0, v2, vcc_lo
	s_wait_kmcnt 0x0
	s_delay_alu instid0(VALU_DEP_3)
	v_add_co_u32 v0, vcc_lo, s8, v0
	s_wait_alu 0xfffd
	v_add_co_ci_u32_e64 v1, null, s9, v1, vcc_lo
	global_store_b16 v[0:1], v2, off
.LBB163_65:
	s_nop 0
	s_sendmsg sendmsg(MSG_DEALLOC_VGPRS)
	s_endpgm
.LBB163_66:
	v_bfe_u32 v7, v97, 16, 1
	s_delay_alu instid0(VALU_DEP_2) | instskip(SKIP_1) | instid1(VALU_DEP_3)
	v_add_nc_u32_e32 v6, v5, v0
	v_cmp_o_f32_e64 s3, v97, v97
	v_add3_u32 v8, v97, v7, 0x7fff
	v_mov_b32_e32 v7, 0
	s_delay_alu instid0(VALU_DEP_2) | instskip(NEXT) | instid1(VALU_DEP_2)
	v_lshrrev_b32_e32 v8, 16, v8
	v_lshlrev_b64_e32 v[6:7], 1, v[6:7]
	s_wait_alu 0xf1ff
	s_delay_alu instid0(VALU_DEP_2) | instskip(SKIP_1) | instid1(VALU_DEP_2)
	v_cndmask_b32_e64 v8, 0x7fc0, v8, s3
	s_wait_kmcnt 0x0
	v_add_co_u32 v6, s3, s8, v6
	s_wait_alu 0xf1ff
	v_add_co_ci_u32_e64 v7, null, s9, v7, s3
	global_store_b16 v[6:7], v8, off
	s_wait_alu 0xfffe
	s_or_b32 exec_lo, exec_lo, s5
	s_and_saveexec_b32 s5, s0
	s_cbranch_execz .LBB163_26
.LBB163_67:
	v_bfe_u32 v7, v94, 16, 1
	v_add_nc_u32_e32 v6, v5, v2
	v_cmp_o_f32_e64 s3, v94, v94
	s_delay_alu instid0(VALU_DEP_3) | instskip(SKIP_1) | instid1(VALU_DEP_2)
	v_add3_u32 v8, v94, v7, 0x7fff
	v_mov_b32_e32 v7, 0
	v_lshrrev_b32_e32 v8, 16, v8
	s_delay_alu instid0(VALU_DEP_2) | instskip(SKIP_1) | instid1(VALU_DEP_2)
	v_lshlrev_b64_e32 v[6:7], 1, v[6:7]
	s_wait_alu 0xf1ff
	v_cndmask_b32_e64 v8, 0x7fc0, v8, s3
	s_wait_kmcnt 0x0
	s_delay_alu instid0(VALU_DEP_2)
	v_add_co_u32 v6, s3, s8, v6
	s_wait_alu 0xf1ff
	v_add_co_ci_u32_e64 v7, null, s9, v7, s3
	global_store_b16 v[6:7], v8, off
	s_wait_alu 0xfffe
	s_or_b32 exec_lo, exec_lo, s5
	s_and_saveexec_b32 s5, s1
	s_cbranch_execz .LBB163_27
.LBB163_68:
	v_bfe_u32 v7, v93, 16, 1
	v_add_nc_u32_e32 v6, v5, v3
	v_cmp_o_f32_e64 s3, v93, v93
	s_delay_alu instid0(VALU_DEP_3) | instskip(SKIP_1) | instid1(VALU_DEP_2)
	v_add3_u32 v8, v93, v7, 0x7fff
	v_mov_b32_e32 v7, 0
	v_lshrrev_b32_e32 v8, 16, v8
	s_delay_alu instid0(VALU_DEP_2) | instskip(SKIP_1) | instid1(VALU_DEP_2)
	v_lshlrev_b64_e32 v[6:7], 1, v[6:7]
	s_wait_alu 0xf1ff
	v_cndmask_b32_e64 v8, 0x7fc0, v8, s3
	s_wait_kmcnt 0x0
	s_delay_alu instid0(VALU_DEP_2)
	v_add_co_u32 v6, s3, s8, v6
	s_wait_alu 0xf1ff
	v_add_co_ci_u32_e64 v7, null, s9, v7, s3
	global_store_b16 v[6:7], v8, off
	s_wait_alu 0xfffe
	s_or_b32 exec_lo, exec_lo, s5
	s_and_saveexec_b32 s5, s2
	s_cbranch_execnz .LBB163_28
	s_branch .LBB163_29
.LBB163_69:
	v_bfe_u32 v7, v90, 16, 1
	s_delay_alu instid0(VALU_DEP_2) | instskip(SKIP_1) | instid1(VALU_DEP_3)
	v_add_nc_u32_e32 v6, v5, v0
	v_cmp_o_f32_e64 s3, v90, v90
	v_add3_u32 v8, v90, v7, 0x7fff
	v_mov_b32_e32 v7, 0
	s_delay_alu instid0(VALU_DEP_2) | instskip(NEXT) | instid1(VALU_DEP_2)
	v_lshrrev_b32_e32 v8, 16, v8
	v_lshlrev_b64_e32 v[6:7], 1, v[6:7]
	s_wait_alu 0xf1ff
	s_delay_alu instid0(VALU_DEP_2) | instskip(SKIP_1) | instid1(VALU_DEP_2)
	v_cndmask_b32_e64 v8, 0x7fc0, v8, s3
	s_wait_kmcnt 0x0
	v_add_co_u32 v6, s3, s8, v6
	s_wait_alu 0xf1ff
	v_add_co_ci_u32_e64 v7, null, s9, v7, s3
	global_store_b16 v[6:7], v8, off
	s_wait_alu 0xfffe
	s_or_b32 exec_lo, exec_lo, s5
	s_and_saveexec_b32 s5, s0
	s_cbranch_execz .LBB163_32
.LBB163_70:
	v_bfe_u32 v7, v89, 16, 1
	v_add_nc_u32_e32 v6, v5, v2
	v_cmp_o_f32_e64 s3, v89, v89
	s_delay_alu instid0(VALU_DEP_3) | instskip(SKIP_1) | instid1(VALU_DEP_2)
	v_add3_u32 v8, v89, v7, 0x7fff
	v_mov_b32_e32 v7, 0
	v_lshrrev_b32_e32 v8, 16, v8
	s_delay_alu instid0(VALU_DEP_2) | instskip(SKIP_1) | instid1(VALU_DEP_2)
	v_lshlrev_b64_e32 v[6:7], 1, v[6:7]
	s_wait_alu 0xf1ff
	v_cndmask_b32_e64 v8, 0x7fc0, v8, s3
	s_wait_kmcnt 0x0
	s_delay_alu instid0(VALU_DEP_2)
	v_add_co_u32 v6, s3, s8, v6
	s_wait_alu 0xf1ff
	v_add_co_ci_u32_e64 v7, null, s9, v7, s3
	global_store_b16 v[6:7], v8, off
	s_wait_alu 0xfffe
	s_or_b32 exec_lo, exec_lo, s5
	s_and_saveexec_b32 s5, s1
	s_cbranch_execz .LBB163_33
.LBB163_71:
	v_bfe_u32 v7, v88, 16, 1
	v_add_nc_u32_e32 v6, v5, v3
	v_cmp_o_f32_e64 s3, v88, v88
	s_delay_alu instid0(VALU_DEP_3) | instskip(SKIP_1) | instid1(VALU_DEP_2)
	v_add3_u32 v8, v88, v7, 0x7fff
	v_mov_b32_e32 v7, 0
	v_lshrrev_b32_e32 v8, 16, v8
	s_delay_alu instid0(VALU_DEP_2) | instskip(SKIP_1) | instid1(VALU_DEP_2)
	v_lshlrev_b64_e32 v[6:7], 1, v[6:7]
	s_wait_alu 0xf1ff
	v_cndmask_b32_e64 v8, 0x7fc0, v8, s3
	s_wait_kmcnt 0x0
	s_delay_alu instid0(VALU_DEP_2)
	v_add_co_u32 v6, s3, s8, v6
	s_wait_alu 0xf1ff
	v_add_co_ci_u32_e64 v7, null, s9, v7, s3
	global_store_b16 v[6:7], v8, off
	s_wait_alu 0xfffe
	s_or_b32 exec_lo, exec_lo, s5
	s_and_saveexec_b32 s5, s2
	s_cbranch_execnz .LBB163_34
	s_branch .LBB163_35
.LBB163_72:
	v_bfe_u32 v7, v86, 16, 1
	s_delay_alu instid0(VALU_DEP_2) | instskip(SKIP_1) | instid1(VALU_DEP_3)
	v_add_nc_u32_e32 v6, v5, v0
	v_cmp_o_f32_e64 s3, v86, v86
	v_add3_u32 v8, v86, v7, 0x7fff
	v_mov_b32_e32 v7, 0
	s_delay_alu instid0(VALU_DEP_2) | instskip(NEXT) | instid1(VALU_DEP_2)
	v_lshrrev_b32_e32 v8, 16, v8
	v_lshlrev_b64_e32 v[6:7], 1, v[6:7]
	s_wait_alu 0xf1ff
	s_delay_alu instid0(VALU_DEP_2) | instskip(SKIP_1) | instid1(VALU_DEP_2)
	v_cndmask_b32_e64 v8, 0x7fc0, v8, s3
	s_wait_kmcnt 0x0
	v_add_co_u32 v6, s3, s8, v6
	s_wait_alu 0xf1ff
	v_add_co_ci_u32_e64 v7, null, s9, v7, s3
	global_store_b16 v[6:7], v8, off
	s_wait_alu 0xfffe
	s_or_b32 exec_lo, exec_lo, s5
	s_and_saveexec_b32 s5, s0
	s_cbranch_execz .LBB163_38
.LBB163_73:
	v_bfe_u32 v7, v84, 16, 1
	v_add_nc_u32_e32 v6, v5, v2
	v_cmp_o_f32_e64 s3, v84, v84
	s_delay_alu instid0(VALU_DEP_3) | instskip(SKIP_1) | instid1(VALU_DEP_2)
	v_add3_u32 v8, v84, v7, 0x7fff
	v_mov_b32_e32 v7, 0
	v_lshrrev_b32_e32 v8, 16, v8
	s_delay_alu instid0(VALU_DEP_2) | instskip(SKIP_1) | instid1(VALU_DEP_2)
	v_lshlrev_b64_e32 v[6:7], 1, v[6:7]
	s_wait_alu 0xf1ff
	v_cndmask_b32_e64 v8, 0x7fc0, v8, s3
	s_wait_kmcnt 0x0
	s_delay_alu instid0(VALU_DEP_2)
	v_add_co_u32 v6, s3, s8, v6
	s_wait_alu 0xf1ff
	v_add_co_ci_u32_e64 v7, null, s9, v7, s3
	global_store_b16 v[6:7], v8, off
	s_wait_alu 0xfffe
	s_or_b32 exec_lo, exec_lo, s5
	s_and_saveexec_b32 s5, s1
	s_cbranch_execz .LBB163_39
.LBB163_74:
	v_bfe_u32 v7, v83, 16, 1
	v_add_nc_u32_e32 v6, v5, v3
	v_cmp_o_f32_e64 s3, v83, v83
	s_delay_alu instid0(VALU_DEP_3) | instskip(SKIP_1) | instid1(VALU_DEP_2)
	v_add3_u32 v8, v83, v7, 0x7fff
	v_mov_b32_e32 v7, 0
	v_lshrrev_b32_e32 v8, 16, v8
	s_delay_alu instid0(VALU_DEP_2) | instskip(SKIP_1) | instid1(VALU_DEP_2)
	v_lshlrev_b64_e32 v[6:7], 1, v[6:7]
	s_wait_alu 0xf1ff
	v_cndmask_b32_e64 v8, 0x7fc0, v8, s3
	s_wait_kmcnt 0x0
	s_delay_alu instid0(VALU_DEP_2)
	v_add_co_u32 v6, s3, s8, v6
	s_wait_alu 0xf1ff
	v_add_co_ci_u32_e64 v7, null, s9, v7, s3
	global_store_b16 v[6:7], v8, off
	s_wait_alu 0xfffe
	s_or_b32 exec_lo, exec_lo, s5
	s_and_saveexec_b32 s5, s2
	s_cbranch_execnz .LBB163_40
	s_branch .LBB163_41
.LBB163_75:
	v_bfe_u32 v7, v79, 16, 1
	s_delay_alu instid0(VALU_DEP_2) | instskip(SKIP_1) | instid1(VALU_DEP_3)
	v_add_nc_u32_e32 v6, v5, v0
	v_cmp_o_f32_e64 s3, v79, v79
	v_add3_u32 v8, v79, v7, 0x7fff
	v_mov_b32_e32 v7, 0
	s_delay_alu instid0(VALU_DEP_2) | instskip(NEXT) | instid1(VALU_DEP_2)
	v_lshrrev_b32_e32 v8, 16, v8
	v_lshlrev_b64_e32 v[6:7], 1, v[6:7]
	s_wait_alu 0xf1ff
	s_delay_alu instid0(VALU_DEP_2) | instskip(SKIP_1) | instid1(VALU_DEP_2)
	v_cndmask_b32_e64 v8, 0x7fc0, v8, s3
	s_wait_kmcnt 0x0
	v_add_co_u32 v6, s3, s8, v6
	s_wait_alu 0xf1ff
	v_add_co_ci_u32_e64 v7, null, s9, v7, s3
	global_store_b16 v[6:7], v8, off
	s_wait_alu 0xfffe
	s_or_b32 exec_lo, exec_lo, s5
	s_and_saveexec_b32 s5, s0
	s_cbranch_execz .LBB163_44
.LBB163_76:
	v_bfe_u32 v7, v78, 16, 1
	v_add_nc_u32_e32 v6, v5, v2
	v_cmp_o_f32_e64 s3, v78, v78
	s_delay_alu instid0(VALU_DEP_3) | instskip(SKIP_1) | instid1(VALU_DEP_2)
	v_add3_u32 v8, v78, v7, 0x7fff
	v_mov_b32_e32 v7, 0
	v_lshrrev_b32_e32 v8, 16, v8
	s_delay_alu instid0(VALU_DEP_2) | instskip(SKIP_1) | instid1(VALU_DEP_2)
	v_lshlrev_b64_e32 v[6:7], 1, v[6:7]
	s_wait_alu 0xf1ff
	v_cndmask_b32_e64 v8, 0x7fc0, v8, s3
	s_wait_kmcnt 0x0
	s_delay_alu instid0(VALU_DEP_2)
	v_add_co_u32 v6, s3, s8, v6
	s_wait_alu 0xf1ff
	v_add_co_ci_u32_e64 v7, null, s9, v7, s3
	global_store_b16 v[6:7], v8, off
	s_wait_alu 0xfffe
	s_or_b32 exec_lo, exec_lo, s5
	s_and_saveexec_b32 s5, s1
	s_cbranch_execz .LBB163_45
.LBB163_77:
	v_bfe_u32 v7, v77, 16, 1
	v_add_nc_u32_e32 v6, v5, v3
	v_cmp_o_f32_e64 s3, v77, v77
	s_delay_alu instid0(VALU_DEP_3) | instskip(SKIP_1) | instid1(VALU_DEP_2)
	v_add3_u32 v8, v77, v7, 0x7fff
	v_mov_b32_e32 v7, 0
	v_lshrrev_b32_e32 v8, 16, v8
	s_delay_alu instid0(VALU_DEP_2) | instskip(SKIP_1) | instid1(VALU_DEP_2)
	v_lshlrev_b64_e32 v[6:7], 1, v[6:7]
	s_wait_alu 0xf1ff
	v_cndmask_b32_e64 v8, 0x7fc0, v8, s3
	s_wait_kmcnt 0x0
	s_delay_alu instid0(VALU_DEP_2)
	v_add_co_u32 v6, s3, s8, v6
	s_wait_alu 0xf1ff
	v_add_co_ci_u32_e64 v7, null, s9, v7, s3
	global_store_b16 v[6:7], v8, off
	s_wait_alu 0xfffe
	s_or_b32 exec_lo, exec_lo, s5
	s_and_saveexec_b32 s5, s2
	s_cbranch_execnz .LBB163_46
	s_branch .LBB163_47
.LBB163_78:
	v_bfe_u32 v7, v75, 16, 1
	s_delay_alu instid0(VALU_DEP_2) | instskip(SKIP_1) | instid1(VALU_DEP_3)
	v_add_nc_u32_e32 v6, v5, v0
	v_cmp_o_f32_e64 s3, v75, v75
	v_add3_u32 v8, v75, v7, 0x7fff
	v_mov_b32_e32 v7, 0
	s_delay_alu instid0(VALU_DEP_2) | instskip(NEXT) | instid1(VALU_DEP_2)
	v_lshrrev_b32_e32 v8, 16, v8
	v_lshlrev_b64_e32 v[6:7], 1, v[6:7]
	s_wait_alu 0xf1ff
	s_delay_alu instid0(VALU_DEP_2) | instskip(SKIP_1) | instid1(VALU_DEP_2)
	v_cndmask_b32_e64 v8, 0x7fc0, v8, s3
	s_wait_kmcnt 0x0
	v_add_co_u32 v6, s3, s8, v6
	s_wait_alu 0xf1ff
	v_add_co_ci_u32_e64 v7, null, s9, v7, s3
	global_store_b16 v[6:7], v8, off
	s_wait_alu 0xfffe
	s_or_b32 exec_lo, exec_lo, s5
	s_and_saveexec_b32 s5, s0
	s_cbranch_execz .LBB163_50
.LBB163_79:
	v_bfe_u32 v7, v74, 16, 1
	v_add_nc_u32_e32 v6, v5, v2
	v_cmp_o_f32_e64 s3, v74, v74
	s_delay_alu instid0(VALU_DEP_3) | instskip(SKIP_1) | instid1(VALU_DEP_2)
	v_add3_u32 v8, v74, v7, 0x7fff
	v_mov_b32_e32 v7, 0
	v_lshrrev_b32_e32 v8, 16, v8
	s_delay_alu instid0(VALU_DEP_2) | instskip(SKIP_1) | instid1(VALU_DEP_2)
	v_lshlrev_b64_e32 v[6:7], 1, v[6:7]
	s_wait_alu 0xf1ff
	v_cndmask_b32_e64 v8, 0x7fc0, v8, s3
	s_wait_kmcnt 0x0
	s_delay_alu instid0(VALU_DEP_2)
	v_add_co_u32 v6, s3, s8, v6
	s_wait_alu 0xf1ff
	v_add_co_ci_u32_e64 v7, null, s9, v7, s3
	global_store_b16 v[6:7], v8, off
	s_wait_alu 0xfffe
	s_or_b32 exec_lo, exec_lo, s5
	s_and_saveexec_b32 s5, s1
	s_cbranch_execz .LBB163_51
.LBB163_80:
	v_bfe_u32 v7, v73, 16, 1
	v_add_nc_u32_e32 v6, v5, v3
	v_cmp_o_f32_e64 s3, v73, v73
	s_delay_alu instid0(VALU_DEP_3) | instskip(SKIP_1) | instid1(VALU_DEP_2)
	v_add3_u32 v8, v73, v7, 0x7fff
	v_mov_b32_e32 v7, 0
	v_lshrrev_b32_e32 v8, 16, v8
	s_delay_alu instid0(VALU_DEP_2) | instskip(SKIP_1) | instid1(VALU_DEP_2)
	v_lshlrev_b64_e32 v[6:7], 1, v[6:7]
	s_wait_alu 0xf1ff
	v_cndmask_b32_e64 v8, 0x7fc0, v8, s3
	s_wait_kmcnt 0x0
	s_delay_alu instid0(VALU_DEP_2)
	v_add_co_u32 v6, s3, s8, v6
	s_wait_alu 0xf1ff
	v_add_co_ci_u32_e64 v7, null, s9, v7, s3
	global_store_b16 v[6:7], v8, off
	s_wait_alu 0xfffe
	s_or_b32 exec_lo, exec_lo, s5
	s_and_saveexec_b32 s5, s2
	s_cbranch_execnz .LBB163_52
	s_branch .LBB163_53
.LBB163_81:
	v_bfe_u32 v7, v71, 16, 1
	s_delay_alu instid0(VALU_DEP_2) | instskip(SKIP_1) | instid1(VALU_DEP_3)
	v_add_nc_u32_e32 v6, v5, v0
	v_cmp_o_f32_e64 s3, v71, v71
	v_add3_u32 v8, v71, v7, 0x7fff
	v_mov_b32_e32 v7, 0
	s_delay_alu instid0(VALU_DEP_2) | instskip(NEXT) | instid1(VALU_DEP_2)
	v_lshrrev_b32_e32 v8, 16, v8
	v_lshlrev_b64_e32 v[6:7], 1, v[6:7]
	s_wait_alu 0xf1ff
	s_delay_alu instid0(VALU_DEP_2) | instskip(SKIP_1) | instid1(VALU_DEP_2)
	v_cndmask_b32_e64 v8, 0x7fc0, v8, s3
	s_wait_kmcnt 0x0
	v_add_co_u32 v6, s3, s8, v6
	s_wait_alu 0xf1ff
	v_add_co_ci_u32_e64 v7, null, s9, v7, s3
	global_store_b16 v[6:7], v8, off
	s_wait_alu 0xfffe
	s_or_b32 exec_lo, exec_lo, s5
	s_and_saveexec_b32 s5, s0
	s_cbranch_execz .LBB163_56
.LBB163_82:
	v_bfe_u32 v7, v70, 16, 1
	v_add_nc_u32_e32 v6, v5, v2
	v_cmp_o_f32_e64 s3, v70, v70
	s_delay_alu instid0(VALU_DEP_3) | instskip(SKIP_1) | instid1(VALU_DEP_2)
	v_add3_u32 v8, v70, v7, 0x7fff
	v_mov_b32_e32 v7, 0
	v_lshrrev_b32_e32 v8, 16, v8
	s_delay_alu instid0(VALU_DEP_2) | instskip(SKIP_1) | instid1(VALU_DEP_2)
	v_lshlrev_b64_e32 v[6:7], 1, v[6:7]
	s_wait_alu 0xf1ff
	v_cndmask_b32_e64 v8, 0x7fc0, v8, s3
	s_wait_kmcnt 0x0
	s_delay_alu instid0(VALU_DEP_2)
	v_add_co_u32 v6, s3, s8, v6
	s_wait_alu 0xf1ff
	v_add_co_ci_u32_e64 v7, null, s9, v7, s3
	global_store_b16 v[6:7], v8, off
	s_wait_alu 0xfffe
	s_or_b32 exec_lo, exec_lo, s5
	s_and_saveexec_b32 s5, s1
	s_cbranch_execz .LBB163_57
.LBB163_83:
	v_bfe_u32 v7, v69, 16, 1
	v_add_nc_u32_e32 v6, v5, v3
	v_cmp_o_f32_e64 s3, v69, v69
	s_delay_alu instid0(VALU_DEP_3) | instskip(SKIP_1) | instid1(VALU_DEP_2)
	v_add3_u32 v8, v69, v7, 0x7fff
	v_mov_b32_e32 v7, 0
	v_lshrrev_b32_e32 v8, 16, v8
	s_delay_alu instid0(VALU_DEP_2) | instskip(SKIP_1) | instid1(VALU_DEP_2)
	v_lshlrev_b64_e32 v[6:7], 1, v[6:7]
	s_wait_alu 0xf1ff
	v_cndmask_b32_e64 v8, 0x7fc0, v8, s3
	s_wait_kmcnt 0x0
	s_delay_alu instid0(VALU_DEP_2)
	v_add_co_u32 v6, s3, s8, v6
	s_wait_alu 0xf1ff
	v_add_co_ci_u32_e64 v7, null, s9, v7, s3
	global_store_b16 v[6:7], v8, off
	s_wait_alu 0xfffe
	s_or_b32 exec_lo, exec_lo, s5
	s_and_saveexec_b32 s5, s2
	s_cbranch_execnz .LBB163_58
	s_branch .LBB163_59
.LBB163_84:
	v_bfe_u32 v6, v67, 16, 1
	s_delay_alu instid0(VALU_DEP_2) | instskip(SKIP_1) | instid1(VALU_DEP_3)
	v_add_nc_u32_e32 v5, v1, v0
	v_cmp_o_f32_e32 vcc_lo, v67, v67
	v_add3_u32 v0, v67, v6, 0x7fff
	v_mov_b32_e32 v6, 0
	s_delay_alu instid0(VALU_DEP_2) | instskip(NEXT) | instid1(VALU_DEP_2)
	v_lshrrev_b32_e32 v0, 16, v0
	v_lshlrev_b64_e32 v[5:6], 1, v[5:6]
	s_wait_alu 0xfffd
	s_delay_alu instid0(VALU_DEP_2) | instskip(SKIP_1) | instid1(VALU_DEP_2)
	v_cndmask_b32_e32 v0, 0x7fc0, v0, vcc_lo
	s_wait_kmcnt 0x0
	v_add_co_u32 v5, vcc_lo, s8, v5
	s_wait_alu 0xfffd
	v_add_co_ci_u32_e64 v6, null, s9, v6, vcc_lo
	global_store_b16 v[5:6], v0, off
	s_wait_alu 0xfffe
	s_or_b32 exec_lo, exec_lo, s3
	s_and_saveexec_b32 s3, s0
	s_cbranch_execz .LBB163_62
.LBB163_85:
	v_bfe_u32 v0, v66, 16, 1
	v_dual_mov_b32 v6, 0 :: v_dual_add_nc_u32 v5, v1, v2
	v_cmp_o_f32_e32 vcc_lo, v66, v66
	s_delay_alu instid0(VALU_DEP_3) | instskip(NEXT) | instid1(VALU_DEP_3)
	v_add3_u32 v0, v66, v0, 0x7fff
	v_lshlrev_b64_e32 v[5:6], 1, v[5:6]
	s_delay_alu instid0(VALU_DEP_2) | instskip(SKIP_1) | instid1(VALU_DEP_1)
	v_lshrrev_b32_e32 v0, 16, v0
	s_wait_alu 0xfffd
	v_cndmask_b32_e32 v0, 0x7fc0, v0, vcc_lo
	s_wait_kmcnt 0x0
	s_delay_alu instid0(VALU_DEP_3)
	v_add_co_u32 v5, vcc_lo, s8, v5
	s_wait_alu 0xfffd
	v_add_co_ci_u32_e64 v6, null, s9, v6, vcc_lo
	global_store_b16 v[5:6], v0, off
	s_wait_alu 0xfffe
	s_or_b32 exec_lo, exec_lo, s3
	s_and_saveexec_b32 s0, s1
	s_cbranch_execz .LBB163_63
.LBB163_86:
	v_bfe_u32 v0, v65, 16, 1
	v_dual_mov_b32 v3, 0 :: v_dual_add_nc_u32 v2, v1, v3
	v_cmp_o_f32_e32 vcc_lo, v65, v65
	s_delay_alu instid0(VALU_DEP_3) | instskip(NEXT) | instid1(VALU_DEP_3)
	v_add3_u32 v0, v65, v0, 0x7fff
	v_lshlrev_b64_e32 v[2:3], 1, v[2:3]
	s_delay_alu instid0(VALU_DEP_2) | instskip(SKIP_1) | instid1(VALU_DEP_1)
	v_lshrrev_b32_e32 v0, 16, v0
	s_wait_alu 0xfffd
	v_cndmask_b32_e32 v0, 0x7fc0, v0, vcc_lo
	s_wait_kmcnt 0x0
	s_delay_alu instid0(VALU_DEP_3)
	v_add_co_u32 v2, vcc_lo, s8, v2
	s_wait_alu 0xfffd
	v_add_co_ci_u32_e64 v3, null, s9, v3, vcc_lo
	global_store_b16 v[2:3], v0, off
	s_wait_alu 0xfffe
	s_or_b32 exec_lo, exec_lo, s0
	s_delay_alu instid0(SALU_CYCLE_1)
	s_and_b32 exec_lo, exec_lo, s2
	s_cbranch_execnz .LBB163_64
	s_branch .LBB163_65
	.section	.rodata,"a",@progbits
	.p2align	6, 0x0
	.amdhsa_kernel _ZL12mul_mat_q5_1IN3c108BFloat16ELb0EEvPKvS3_PT_iiiii
		.amdhsa_group_segment_fixed_size 46720
		.amdhsa_private_segment_fixed_size 80
		.amdhsa_kernarg_size 44
		.amdhsa_user_sgpr_count 2
		.amdhsa_user_sgpr_dispatch_ptr 0
		.amdhsa_user_sgpr_queue_ptr 0
		.amdhsa_user_sgpr_kernarg_segment_ptr 1
		.amdhsa_user_sgpr_dispatch_id 0
		.amdhsa_user_sgpr_private_segment_size 0
		.amdhsa_wavefront_size32 1
		.amdhsa_uses_dynamic_stack 0
		.amdhsa_enable_private_segment 1
		.amdhsa_system_sgpr_workgroup_id_x 1
		.amdhsa_system_sgpr_workgroup_id_y 1
		.amdhsa_system_sgpr_workgroup_id_z 0
		.amdhsa_system_sgpr_workgroup_info 0
		.amdhsa_system_vgpr_workitem_id 1
		.amdhsa_next_free_vgpr 256
		.amdhsa_next_free_sgpr 17
		.amdhsa_reserve_vcc 1
		.amdhsa_float_round_mode_32 0
		.amdhsa_float_round_mode_16_64 0
		.amdhsa_float_denorm_mode_32 3
		.amdhsa_float_denorm_mode_16_64 3
		.amdhsa_fp16_overflow 0
		.amdhsa_workgroup_processor_mode 1
		.amdhsa_memory_ordered 1
		.amdhsa_forward_progress 1
		.amdhsa_inst_pref_size 204
		.amdhsa_round_robin_scheduling 0
		.amdhsa_exception_fp_ieee_invalid_op 0
		.amdhsa_exception_fp_denorm_src 0
		.amdhsa_exception_fp_ieee_div_zero 0
		.amdhsa_exception_fp_ieee_overflow 0
		.amdhsa_exception_fp_ieee_underflow 0
		.amdhsa_exception_fp_ieee_inexact 0
		.amdhsa_exception_int_div_zero 0
	.end_amdhsa_kernel
	.section	.text._ZL12mul_mat_q5_1IN3c108BFloat16ELb0EEvPKvS3_PT_iiiii,"axG",@progbits,_ZL12mul_mat_q5_1IN3c108BFloat16ELb0EEvPKvS3_PT_iiiii,comdat
.Lfunc_end163:
	.size	_ZL12mul_mat_q5_1IN3c108BFloat16ELb0EEvPKvS3_PT_iiiii, .Lfunc_end163-_ZL12mul_mat_q5_1IN3c108BFloat16ELb0EEvPKvS3_PT_iiiii
                                        ; -- End function
	.set _ZL12mul_mat_q5_1IN3c108BFloat16ELb0EEvPKvS3_PT_iiiii.num_vgpr, 256
	.set _ZL12mul_mat_q5_1IN3c108BFloat16ELb0EEvPKvS3_PT_iiiii.num_agpr, 0
	.set _ZL12mul_mat_q5_1IN3c108BFloat16ELb0EEvPKvS3_PT_iiiii.numbered_sgpr, 17
	.set _ZL12mul_mat_q5_1IN3c108BFloat16ELb0EEvPKvS3_PT_iiiii.num_named_barrier, 0
	.set _ZL12mul_mat_q5_1IN3c108BFloat16ELb0EEvPKvS3_PT_iiiii.private_seg_size, 80
	.set _ZL12mul_mat_q5_1IN3c108BFloat16ELb0EEvPKvS3_PT_iiiii.uses_vcc, 1
	.set _ZL12mul_mat_q5_1IN3c108BFloat16ELb0EEvPKvS3_PT_iiiii.uses_flat_scratch, 1
	.set _ZL12mul_mat_q5_1IN3c108BFloat16ELb0EEvPKvS3_PT_iiiii.has_dyn_sized_stack, 0
	.set _ZL12mul_mat_q5_1IN3c108BFloat16ELb0EEvPKvS3_PT_iiiii.has_recursion, 0
	.set _ZL12mul_mat_q5_1IN3c108BFloat16ELb0EEvPKvS3_PT_iiiii.has_indirect_call, 0
	.section	.AMDGPU.csdata,"",@progbits
; Kernel info:
; codeLenInByte = 26040
; TotalNumSgprs: 19
; NumVgprs: 256
; ScratchSize: 80
; MemoryBound: 0
; FloatMode: 240
; IeeeMode: 1
; LDSByteSize: 46720 bytes/workgroup (compile time only)
; SGPRBlocks: 0
; VGPRBlocks: 31
; NumSGPRsForWavesPerEU: 19
; NumVGPRsForWavesPerEU: 256
; Occupancy: 4
; WaveLimiterHint : 0
; COMPUTE_PGM_RSRC2:SCRATCH_EN: 1
; COMPUTE_PGM_RSRC2:USER_SGPR: 2
; COMPUTE_PGM_RSRC2:TRAP_HANDLER: 0
; COMPUTE_PGM_RSRC2:TGID_X_EN: 1
; COMPUTE_PGM_RSRC2:TGID_Y_EN: 1
; COMPUTE_PGM_RSRC2:TGID_Z_EN: 0
; COMPUTE_PGM_RSRC2:TIDIG_COMP_CNT: 1
	.section	.text._ZL12mul_mat_q5_1IN3c108BFloat16ELb1EEvPKvS3_PT_iiiii,"axG",@progbits,_ZL12mul_mat_q5_1IN3c108BFloat16ELb1EEvPKvS3_PT_iiiii,comdat
	.globl	_ZL12mul_mat_q5_1IN3c108BFloat16ELb1EEvPKvS3_PT_iiiii ; -- Begin function _ZL12mul_mat_q5_1IN3c108BFloat16ELb1EEvPKvS3_PT_iiiii
	.p2align	8
	.type	_ZL12mul_mat_q5_1IN3c108BFloat16ELb1EEvPKvS3_PT_iiiii,@function
_ZL12mul_mat_q5_1IN3c108BFloat16ELb1EEvPKvS3_PT_iiiii: ; @_ZL12mul_mat_q5_1IN3c108BFloat16ELb1EEvPKvS3_PT_iiiii
; %bb.0:
	s_clause 0x1
	s_load_b128 s[4:7], s[0:1], 0x18
	s_load_b32 s12, s[0:1], 0x28
	v_bfe_u32 v48, v0, 10, 10
	v_and_b32_e32 v1, 0x3ff, v0
	s_lshl_b32 s13, ttmp7, 6
	scratch_store_b32 off, v1, off offset:56 ; 4-byte Folded Spill
	s_wait_kmcnt 0x0
	s_cmp_gt_i32 s4, 31
	s_cbranch_scc1 .LBB164_2
; %bb.1:
	v_bfe_u32 v1, v0, 10, 10
	v_and_b32_e32 v2, 0x3ff, v0
	s_mov_b32 s2, 0
	s_delay_alu instid0(VALU_DEP_2)
	v_add_nc_u32_e32 v3, s13, v1
	s_branch .LBB164_3
.LBB164_2:
	s_mov_b32 s2, -1
                                        ; implicit-def: $vgpr1
                                        ; implicit-def: $vgpr2
                                        ; implicit-def: $vgpr3
.LBB164_3:
	s_load_b64 s[8:9], s[0:1], 0x10
	v_dual_mov_b32 v80, 0 :: v_dual_mov_b32 v103, 0
	v_dual_mov_b32 v84, 0 :: v_dual_mov_b32 v123, 0
	;; [unrolled: 1-line block ×16, first 2 shown]
	s_and_not1_b32 vcc_lo, exec_lo, s2
	s_lshl_b32 s14, ttmp9, 7
	s_cbranch_vccnz .LBB164_14
; %bb.4:
	v_dual_mov_b32 v102, 0 :: v_dual_and_b32 v49, 0x3ff, v0
	s_not_b32 s16, s14
	v_dual_mov_b32 v100, 0 :: v_dual_add_nc_u32 v37, 8, v48
	s_ashr_i32 s10, s4, 31
	v_dual_mov_b32 v95, 0 :: v_dual_add_nc_u32 v38, 16, v48
	s_add_co_i32 s5, s5, s16
	v_dual_mov_b32 v106, 0 :: v_dual_add_nc_u32 v39, 24, v48
	s_lshr_b32 s10, s10, 27
	v_dual_mov_b32 v91, 0 :: v_dual_add_nc_u32 v40, 32, v48
	v_dual_mov_b32 v121, 0 :: v_dual_and_b32 v18, 3, v0
	v_min_i32_e32 v1, s5, v48
	v_dual_mov_b32 v120, 0 :: v_dual_lshlrev_b32 v17, 3, v49
	v_dual_mov_b32 v94, 0 :: v_dual_add_nc_u32 v41, 40, v48
	s_add_co_i32 s4, s4, s10
	v_min_i32_e32 v3, s5, v37
	v_dual_mov_b32 v87, 0 :: v_dual_add_nc_u32 v42, 48, v48
	v_min_i32_e32 v4, s5, v38
	v_dual_mov_b32 v90, 0 :: v_dual_add_nc_u32 v43, 56, v48
	s_wait_alu 0xfffe
	s_ashr_i32 s15, s4, 5
	v_min_i32_e32 v5, s5, v39
	v_min_i32_e32 v6, s5, v40
	v_mul_lo_u32 v109, v1, s15
	v_mad_co_u64_u32 v[1:2], null, 0x104, v1, v[17:18]
	v_min_i32_e32 v7, s5, v41
	v_mul_lo_u32 v110, v3, s15
	v_mad_co_u64_u32 v[2:3], null, 0x104, v3, v[17:18]
	;; [unrolled: 3-line block ×4, first 2 shown]
	v_dual_mov_b32 v82, 0 :: v_dual_add_nc_u32 v29, s13, v48
	v_mul_lo_u32 v114, v6, s15
	v_mad_co_u64_u32 v[5:6], null, 0x104, v6, v[17:18]
	v_mul_lo_u32 v115, v7, s15
	v_mad_co_u64_u32 v[6:7], null, 0x104, v7, v[17:18]
	;; [unrolled: 2-line block ×4, first 2 shown]
	v_dual_mov_b32 v124, 0 :: v_dual_add_nc_u32 v9, 8, v29
	v_dual_mov_b32 v131, 0 :: v_dual_add_nc_u32 v12, 16, v29
	;; [unrolled: 1-line block ×3, first 2 shown]
	s_ashr_i32 s11, s7, 31
	s_delay_alu instid0(VALU_DEP_3) | instskip(NEXT) | instid1(VALU_DEP_3)
	v_cvt_f64_u32_e32 v[21:22], v9
	v_cvt_f64_u32_e32 v[23:24], v12
	v_dual_mov_b32 v118, 0 :: v_dual_add_nc_u32 v9, 32, v29
	v_cvt_f64_u32_e32 v[25:26], v13
	v_dual_mov_b32 v101, 0 :: v_dual_add_nc_u32 v12, 40, v29
	v_dual_mov_b32 v96, 0 :: v_dual_add_nc_u32 v13, 48, v29
	;; [unrolled: 1-line block ×3, first 2 shown]
	s_lshr_b32 s4, s11, 27
	v_cvt_f64_u32_e32 v[15:16], v29
	s_wait_alu 0xfffe
	s_add_co_i32 s4, s7, s4
	s_add_co_i32 s7, s6, -1
	v_cvt_f64_u32_e32 v[27:28], v9
	v_cvt_f64_i32_e32 v[19:20], s7
	v_cvt_f64_u32_e32 v[31:32], v13
	v_cvt_f64_u32_e32 v[33:34], v33
	v_bfe_u32 v45, v0, 3, 7
	scratch_store_b32 off, v29, off offset:116 ; 4-byte Folded Spill
	v_cvt_f64_u32_e32 v[29:30], v12
	v_dual_mov_b32 v83, 0 :: v_dual_add_nc_u32 v10, 64, v48
	v_dual_mov_b32 v86, 0 :: v_dual_add_nc_u32 v11, 0x48, v48
	;; [unrolled: 1-line block ×5, first 2 shown]
	v_min_i32_e32 v10, s5, v10
	v_min_i32_e32 v11, s5, v11
	;; [unrolled: 1-line block ×4, first 2 shown]
	v_dual_mov_b32 v93, 0 :: v_dual_add_nc_u32 v36, 0x68, v48
	v_min_i32_e32 v35, s5, v35
	v_mul_lo_u32 v122, v10, s15
	v_mad_co_u64_u32 v[9:10], null, 0x104, v10, v[17:18]
	v_mul_lo_u32 v125, v11, s15
	v_mad_co_u64_u32 v[10:11], null, 0x104, v11, v[17:18]
	v_mad_co_u64_u32 v[11:12], null, 0x104, v13, v[17:18]
	v_mul_lo_u32 v126, v13, s15
	v_mad_co_u64_u32 v[12:13], null, 0x104, v14, v[17:18]
	v_mul_lo_u32 v127, v14, s15
	v_min_i32_e32 v44, s5, v36
	v_mul_lo_u32 v129, v35, s15
	v_mad_co_u64_u32 v[13:14], null, 0x104, v35, v[17:18]
	v_min_num_f64_e32 v[35:36], v[15:16], v[19:20]
	v_min_num_f64_e32 v[21:22], v[21:22], v[19:20]
	;; [unrolled: 1-line block ×8, first 2 shown]
	scratch_store_b32 off, v45, off offset:60 ; 4-byte Folded Spill
	v_lshl_add_u32 v45, v48, 2, v45
	v_mad_co_u64_u32 v[14:15], null, 0x104, v44, v[17:18]
	v_mul_lo_u32 v130, v44, s15
	v_dual_mov_b32 v85, 0 :: v_dual_add_nc_u32 v44, 0x78, v48
	s_delay_alu instid0(VALU_DEP_4) | instskip(SKIP_1) | instid1(VALU_DEP_3)
	v_min_i32_e32 v47, s5, v45
	v_dual_mov_b32 v89, 0 :: v_dual_add_nc_u32 v46, 0x70, v48
	v_min_i32_e32 v33, s5, v44
	v_dual_mov_b32 v84, 0 :: v_dual_and_b32 v133, 7, v0
	s_delay_alu instid0(VALU_DEP_4) | instskip(SKIP_2) | instid1(VALU_DEP_4)
	v_ashrrev_i32_e32 v15, 31, v47
	v_dual_mov_b32 v123, 0 :: v_dual_add_nc_u32 v44, 32, v45
	v_min_i32_e32 v16, s5, v46
	v_lshlrev_b32_e32 v46, 2, v133
	s_delay_alu instid0(VALU_DEP_4) | instskip(NEXT) | instid1(VALU_DEP_4)
	v_lshrrev_b32_e32 v15, 30, v15
	v_min_i32_e32 v44, s5, v44
	v_mov_b32_e32 v81, 0
	v_mul_lo_u32 v132, v16, s15
	v_mul_lo_u32 v134, v33, s15
	v_add_nc_u32_e32 v34, v47, v15
	v_mad_co_u64_u32 v[15:16], null, 0x104, v16, v[17:18]
	v_mad_co_u64_u32 v[16:17], null, 0x104, v33, v[17:18]
	s_delay_alu instid0(VALU_DEP_3) | instskip(SKIP_2) | instid1(VALU_DEP_3)
	v_dual_mov_b32 v103, 0 :: v_dual_and_b32 v34, -4, v34
	v_dual_mov_b32 v80, 0 :: v_dual_add_nc_u32 v17, 64, v45
	v_cvt_i32_f64_e32 v21, v[21:22]
	v_add3_u32 v33, v34, v46, 0xa200
	v_ashrrev_i32_e32 v34, 31, v44
	v_bfe_u32 v105, v0, 2, 8
	v_min_i32_e32 v17, s5, v17
	v_cvt_i32_f64_e32 v19, v[19:20]
	v_cvt_i32_f64_e32 v35, v[35:36]
	v_lshrrev_b32_e32 v34, 30, v34
	v_cvt_i32_f64_e32 v25, v[25:26]
	v_ashrrev_i32_e32 v36, 31, v17
	v_cvt_i32_f64_e32 v27, v[27:28]
	v_cvt_i32_f64_e32 v28, v[29:30]
	v_add_nc_u32_e32 v22, v44, v34
	v_cvt_i32_f64_e32 v29, v[31:32]
	v_lshrrev_b32_e32 v26, 30, v36
	v_mul_lo_u32 v137, v17, s15
	v_lshlrev_b32_e32 v31, 5, v17
	v_and_b32_e32 v22, -4, v22
	v_cvt_i32_f64_e32 v23, v[23:24]
	v_add_nc_u32_e32 v26, v17, v26
	v_dual_mov_b32 v111, 0 :: v_dual_lshlrev_b32 v108, 2, v18
	s_delay_alu instid0(VALU_DEP_4)
	v_add3_u32 v20, v22, v46, 0xa200
	v_lshl_add_u32 v22, v48, 3, v105
	s_wait_alu 0xfffe
	s_ashr_i32 s4, s4, 5
	v_and_b32_e32 v34, 31, v0
	s_load_b128 s[0:3], s[0:1], 0x0
	v_add_nc_u32_e32 v45, 0x60, v45
	v_and_b32_e32 v22, 63, v22
	v_lshlrev_b32_e32 v32, 2, v49
	v_lshl_or_b32 v34, v34, 2, 0x8200
	v_and_b32_e32 v26, -4, v26
	v_min_i32_e32 v45, s5, v45
	v_or_b32_e32 v17, s13, v22
	v_lshl_or_b32 v22, v22, 4, v108
	v_and_b32_e32 v32, 28, v32
	v_mul_lo_u32 v135, v47, s15
	v_ashrrev_i32_e32 v24, 31, v45
	v_min_i32_e32 v17, s7, v17
	v_lshlrev_b32_e32 v47, 5, v47
	v_lshlrev_b32_e32 v30, 5, v44
	v_add3_u32 v26, v26, v46, 0xa200
	v_lshrrev_b32_e32 v24, 30, v24
	v_mad_co_u64_u32 v[17:18], null, v17, s4, v[18:19]
	v_lshlrev_b32_e32 v36, 5, v45
	s_mul_i32 s10, s15, s14
	s_delay_alu instid0(VALU_DEP_3)
	v_add_nc_u32_e32 v24, v45, v24
	v_mul_lo_u32 v136, v44, s15
	v_mul_lo_u32 v138, v45, s15
	s_ashr_i32 s11, s10, 31
	scratch_store_b64 off, v[17:18], off offset:64 ; 8-byte Folded Spill
	v_add_nc_u32_e32 v17, 0xb280, v22
	v_add_nc_u32_e32 v18, 0x60, v49
	v_lshlrev_b32_e32 v22, 7, v48
	v_and_b32_e32 v24, -4, v24
	v_add_nc_u32_e32 v159, v33, v47
	scratch_store_b32 off, v17, off         ; 4-byte Folded Spill
	v_mul_lo_u32 v17, s4, v35
	v_add_nc_u32_e32 v35, 32, v49
	v_and_b32_e32 v18, 0x1fc, v18
	v_add3_u32 v24, v24, v46, 0xa200
	v_add_nc_u32_e32 v153, 0x8200, v22
	v_add_nc_u32_e32 v160, v20, v30
	;; [unrolled: 1-line block ×3, first 2 shown]
	s_mul_u64 s[10:11], s[10:11], 24
	scratch_store_b32 off, v17, off offset:4 ; 4-byte Folded Spill
	v_mul_lo_u32 v17, s4, v21
	v_lshlrev_b32_e32 v21, 7, v37
	v_lshlrev_b32_e32 v37, 7, v43
	v_add_nc_u32_e32 v162, v24, v36
	s_mov_b32 s5, 0
	s_wait_kmcnt 0x0
	s_add_nc_u64 s[0:1], s[0:1], s[10:11]
	s_add_co_i32 s7, s15, 3
	v_add_nc_u32_e32 v170, v34, v37
	scratch_store_b32 off, v17, off offset:8 ; 4-byte Folded Spill
	v_mul_lo_u32 v17, s4, v23
	v_lshlrev_b32_e32 v23, 7, v38
	v_lshlrev_b32_e32 v38, 5, v49
	scratch_store_b32 off, v17, off offset:12 ; 4-byte Folded Spill
	v_mul_lo_u32 v17, s4, v25
	v_lshlrev_b32_e32 v25, 7, v39
	v_and_b32_e32 v39, 0x1fc, v35
	s_delay_alu instid0(VALU_DEP_1)
	v_add_nc_u32_e32 v39, v38, v39
	scratch_store_b32 off, v17, off offset:16 ; 4-byte Folded Spill
	v_mul_lo_u32 v17, s4, v27
	v_lshlrev_b32_e32 v27, 7, v40
	v_and_b32_e32 v40, 0xfc, v0
	v_lshrrev_b32_e32 v0, 3, v35
	v_add_nc_u32_e32 v35, v38, v18
	s_delay_alu instid0(VALU_DEP_4)
	v_add_nc_u32_e32 v167, v34, v27
	scratch_store_b32 off, v0, off offset:88 ; 4-byte Folded Spill
	v_add_nc_u32_e32 v0, 0xae00, v35
	scratch_store_b32 off, v17, off offset:20 ; 4-byte Folded Spill
	v_mul_lo_u32 v17, s4, v28
	v_lshlrev_b32_e32 v28, 7, v41
	scratch_store_b32 off, v0, off offset:72 ; 4-byte Folded Spill
	v_add_nc_u32_e32 v168, v34, v28
	scratch_store_b32 off, v17, off offset:24 ; 4-byte Folded Spill
	v_mul_lo_u32 v17, s4, v29
	v_lshlrev_b32_e32 v29, 7, v42
	s_delay_alu instid0(VALU_DEP_1) | instskip(SKIP_4) | instid1(VALU_DEP_2)
	v_add_nc_u32_e32 v169, v34, v29
	scratch_store_b32 off, v17, off offset:28 ; 4-byte Folded Spill
	v_mul_lo_u32 v17, s4, v19
	v_add_nc_u32_e32 v19, 64, v49
	v_add_co_u32 v18, s4, s2, v32
	v_and_b32_e32 v19, 0x1fc, v19
	s_delay_alu instid0(VALU_DEP_1)
	v_add_nc_u32_e32 v41, v38, v19
	v_add_nc_u32_e32 v38, v38, v40
	s_wait_alu 0xf1ff
	v_add_co_ci_u32_e64 v19, null, s3, 0, s4
	s_movk_i32 s4, 0x80
	v_add_nc_u32_e32 v0, 0xaa00, v41
	s_clause 0x1
	scratch_store_b32 off, v17, off offset:32
	scratch_store_b32 off, v0, off offset:76
	v_add_nc_u32_e32 v0, 0xa600, v39
	scratch_store_b32 off, v0, off offset:80 ; 4-byte Folded Spill
	v_add_nc_u32_e32 v0, 0xa200, v38
	s_clause 0x1
	scratch_store_b32 off, v0, off offset:84
	scratch_store_b32 off, v48, off offset:112
	v_lshl_add_u32 v0, v48, 4, 0xb280
	scratch_store_b32 off, v0, off offset:36 ; 4-byte Folded Spill
	v_add_nc_u32_e32 v0, 0xae10, v35
	scratch_store_b32 off, v0, off offset:92 ; 4-byte Folded Spill
	v_add_nc_u32_e32 v0, 0xaa10, v41
	scratch_store_b32 off, v0, off offset:96 ; 4-byte Folded Spill
	v_add_nc_u32_e32 v0, 0xa610, v39
	scratch_store_b32 off, v0, off offset:100 ; 4-byte Folded Spill
	v_add_nc_u32_e32 v0, 0xa210, v38
	scratch_store_b32 off, v0, off offset:104 ; 4-byte Folded Spill
	s_wait_alu 0xfffe
	v_mad_u32_u24 v0, 0x104, v49, s4
	s_mov_b32 s4, s5
	scratch_store_b32 off, v0, off offset:108 ; 4-byte Folded Spill
	v_add_nc_u32_e32 v0, v34, v22
	scratch_store_b32 off, v0, off offset:40 ; 4-byte Folded Spill
	v_add_nc_u32_e32 v0, v34, v21
	;; [unrolled: 2-line block ×4, first 2 shown]
	scratch_store_b32 off, v0, off offset:52 ; 4-byte Folded Spill
	s_branch .LBB164_6
.LBB164_5:                              ;   in Loop: Header=BB164_6 Depth=1
	s_add_co_i32 s4, s4, 8
	s_add_co_i32 s7, s7, -8
	s_wait_alu 0xfffe
	s_cmp_ge_i32 s4, s15
	s_cbranch_scc1 .LBB164_13
.LBB164_6:                              ; =>This Loop Header: Depth=1
                                        ;     Child Loop BB164_8 Depth 2
                                        ;     Child Loop BB164_11 Depth 2
	s_wait_alu 0xfffe
	s_mul_u64 s[10:11], s[4:5], 24
	s_cmp_gt_u32 s7, 3
	s_wait_alu 0xfffe
	s_add_nc_u64 s[10:11], s[0:1], s[10:11]
	s_wait_alu 0xfffe
	v_mad_co_u64_u32 v[20:21], null, v105, 24, s[10:11]
	s_delay_alu instid0(VALU_DEP_1) | instskip(SKIP_3) | instid1(VALU_DEP_4)
	v_mad_co_i64_i32 v[22:23], null, v109, 24, v[20:21]
	v_mad_co_i64_i32 v[24:25], null, v110, 24, v[20:21]
	;; [unrolled: 1-line block ×4, first 2 shown]
	v_add_co_u32 v30, vcc_lo, v22, v108
	v_mad_co_i64_i32 v[36:37], null, v114, 24, v[20:21]
	s_wait_alu 0xfffd
	v_add_co_ci_u32_e64 v31, null, 0, v23, vcc_lo
	v_add_co_u32 v32, vcc_lo, v24, v108
	v_mad_co_i64_i32 v[40:41], null, v115, 24, v[20:21]
	s_wait_alu 0xfffd
	v_add_co_ci_u32_e64 v33, null, 0, v25, vcc_lo
	;; [unrolled: 4-line block ×4, first 2 shown]
	v_add_co_u32 v42, vcc_lo, v36, v108
	s_clause 0x7
	global_load_b32 v54, v[30:31], off offset:8
	global_load_b32 v55, v[32:33], off offset:8
	;; [unrolled: 1-line block ×8, first 2 shown]
	v_mad_co_i64_i32 v[24:25], null, v122, 24, v[20:21]
	s_wait_alu 0xfffd
	v_add_co_ci_u32_e64 v43, null, 0, v37, vcc_lo
	v_add_co_u32 v48, vcc_lo, v40, v108
	v_mad_co_i64_i32 v[27:28], null, v126, 24, v[20:21]
	s_wait_alu 0xfffd
	v_add_co_ci_u32_e64 v49, null, 0, v41, vcc_lo
	v_add_co_u32 v50, vcc_lo, v44, v108
	;; [unrolled: 4-line block ×3, first 2 shown]
	v_mad_co_i64_i32 v[22:23], null, v125, 24, v[20:21]
	s_wait_alu 0xfffd
	v_add_co_ci_u32_e64 v53, null, 0, v47, vcc_lo
	s_clause 0x7
	global_load_b32 v62, v[42:43], off offset:8
	global_load_b32 v48, v[48:49], off offset:8
	;; [unrolled: 1-line block ×8, first 2 shown]
	v_add_co_u32 v31, vcc_lo, v24, v108
	s_wait_alu 0xfffd
	v_add_co_ci_u32_e64 v32, null, 0, v25, vcc_lo
	v_add_co_u32 v24, vcc_lo, v27, v108
	s_wait_alu 0xfffd
	v_add_co_ci_u32_e64 v25, null, 0, v28, vcc_lo
	;; [unrolled: 3-line block ×4, first 2 shown]
	s_clause 0x7
	global_load_b32 v50, v[50:51], off offset:8
	global_load_b32 v51, v[52:53], off offset:8
	;; [unrolled: 1-line block ×8, first 2 shown]
	v_mad_co_i64_i32 v[27:28], null, v129, 24, v[20:21]
	v_mad_co_i64_i32 v[36:37], null, v132, 24, v[20:21]
	;; [unrolled: 1-line block ×4, first 2 shown]
	s_delay_alu instid0(VALU_DEP_4)
	v_add_co_u32 v38, vcc_lo, v27, v108
	global_load_b32 v53, v[27:28], off offset:4
	s_wait_alu 0xfffd
	v_add_co_ci_u32_e64 v39, null, 0, v28, vcc_lo
	v_add_co_u32 v27, vcc_lo, v36, v108
	s_wait_alu 0xfffd
	v_add_co_ci_u32_e64 v28, null, 0, v37, vcc_lo
	v_add_co_u32 v29, vcc_lo, v20, v108
	;; [unrolled: 3-line block ×3, first 2 shown]
	s_wait_alu 0xfffd
	v_add_co_ci_u32_e64 v32, null, 0, v35, vcc_lo
	s_clause 0x3
	global_load_b32 v29, v[29:30], off offset:8
	global_load_b32 v30, v[27:28], off offset:8
	;; [unrolled: 1-line block ×4, first 2 shown]
	v_mad_co_u64_u32 v[40:41], null, v133, 24, s[10:11]
	s_delay_alu instid0(VALU_DEP_1)
	v_mad_co_i64_i32 v[27:28], null, v135, 24, v[40:41]
	v_mad_co_i64_i32 v[38:39], null, v136, 24, v[40:41]
	;; [unrolled: 1-line block ×4, first 2 shown]
	s_clause 0x6
	global_load_b32 v31, v[20:21], off offset:4
	global_load_b32 v33, v[36:37], off offset:4
	;; [unrolled: 1-line block ×3, first 2 shown]
	global_load_b32 v27, v[27:28], off
	global_load_b32 v28, v[38:39], off
	;; [unrolled: 1-line block ×4, first 2 shown]
	s_wait_loadcnt 0x23
	v_lshrrev_b32_e32 v39, 4, v54
	s_wait_loadcnt 0x22
	v_and_b32_e32 v41, 0xf0f0f0f, v55
	v_lshrrev_b32_e32 v42, 4, v55
	v_and_b32_e32 v38, 0xf0f0f0f, v54
	s_wait_loadcnt 0x1f
	v_ashrrev_i32_e32 v55, v108, v58
	s_wait_loadcnt 0x1e
	v_ashrrev_i32_e32 v43, v108, v59
	;; [unrolled: 2-line block ×4, first 2 shown]
	v_lshrrev_b32_e32 v54, 4, v56
	v_lshlrev_b32_e32 v187, 4, v55
	v_lshlrev_b32_e32 v180, 4, v43
	;; [unrolled: 1-line block ×5, first 2 shown]
	v_lshrrev_b32_e32 v79, 12, v37
	v_lshrrev_b32_e32 v171, 5, v37
	v_lshlrev_b32_e32 v174, 11, v40
	v_lshrrev_b32_e32 v177, 12, v40
	v_lshrrev_b32_e32 v178, 5, v40
	v_lshlrev_b32_e32 v181, 11, v43
	;; [unrolled: 3-line block ×3, first 2 shown]
	v_lshrrev_b32_e32 v191, 12, v55
	v_lshrrev_b32_e32 v192, 5, v55
	s_wait_loadcnt 0x19
	v_ashrrev_i32_e32 v46, v108, v46
	s_wait_loadcnt 0x18
	v_ashrrev_i32_e32 v44, v108, v44
	;; [unrolled: 2-line block ×5, first 2 shown]
	v_and_b32_e32 v49, 0xf0f0f0f, v56
	v_and_b32_e32 v56, 0xf0f0f0f, v57
	v_lshrrev_b32_e32 v57, 4, v57
	v_lshrrev_b32_e32 v59, 4, v62
	v_lshlrev_b32_e32 v194, 4, v47
	v_lshlrev_b32_e32 v195, 11, v47
	v_lshrrev_b32_e32 v198, 12, v47
	v_lshrrev_b32_e32 v199, 5, v47
	v_and_b32_e32 v58, 0xf0f0f0f, v62
	v_and_b32_e32 v60, 0xf0f0f0f, v48
	v_lshrrev_b32_e32 v48, 4, v48
	s_wait_loadcnt 0x13
	v_and_b32_e32 v61, 0xf0f0f0f, v50
	v_lshrrev_b32_e32 v50, 4, v50
	s_wait_loadcnt 0x12
	v_and_b32_e32 v62, 0xf0f0f0f, v51
	v_lshrrev_b32_e32 v51, 4, v51
	v_lshlrev_b32_e32 v77, 18, v37
	v_lshlrev_b32_e32 v78, 25, v37
	v_and_b32_e32 v39, 0xf0f0f0f, v39
	v_lshlrev_b32_e32 v172, 2, v37
	v_lshlrev_b32_e32 v37, 9, v37
	;; [unrolled: 1-line block ×4, first 2 shown]
	v_lshrrev_b32_e32 v205, 12, v45
	v_lshrrev_b32_e32 v206, 5, v45
	v_lshlrev_b32_e32 v208, 4, v44
	v_lshlrev_b32_e32 v209, 11, v44
	v_lshrrev_b32_e32 v212, 12, v44
	v_lshrrev_b32_e32 v213, 5, v44
	v_lshlrev_b32_e32 v215, 4, v46
	v_lshlrev_b32_e32 v216, 11, v46
	v_lshrrev_b32_e32 v219, 12, v46
	v_lshrrev_b32_e32 v220, 5, v46
	v_and_b32_e32 v75, 16, v75
	v_and_b32_e32 v76, 0x1000, v76
	v_and_b32_e32 v79, 16, v79
	v_and_b32_e32 v171, 0x1000, v171
	v_lshlrev_b32_e32 v175, 18, v40
	v_lshlrev_b32_e32 v176, 25, v40
	v_and_b32_e32 v42, 0xf0f0f0f, v42
	v_lshlrev_b32_e32 v179, 2, v40
	v_lshlrev_b32_e32 v40, 9, v40
	v_and_b32_e32 v173, 16, v173
	v_and_b32_e32 v174, 0x1000, v174
	v_and_b32_e32 v177, 16, v177
	v_and_b32_e32 v178, 0x1000, v178
	v_lshlrev_b32_e32 v182, 18, v43
	v_lshlrev_b32_e32 v183, 25, v43
	v_and_b32_e32 v54, 0xf0f0f0f, v54
	v_lshlrev_b32_e32 v186, 2, v43
	v_lshlrev_b32_e32 v43, 9, v43
	;; [unrolled: 9-line block ×4, first 2 shown]
	v_and_b32_e32 v194, 16, v194
	v_and_b32_e32 v195, 0x1000, v195
	;; [unrolled: 1-line block ×4, first 2 shown]
	v_ashrrev_i32_e32 v35, v108, v63
	v_lshlrev_b32_e32 v203, 18, v45
	v_lshlrev_b32_e32 v204, 25, v45
	v_and_b32_e32 v48, 0xf0f0f0f, v48
	v_lshlrev_b32_e32 v207, 2, v45
	v_lshlrev_b32_e32 v45, 9, v45
	v_lshlrev_b32_e32 v210, 18, v44
	v_lshlrev_b32_e32 v211, 25, v44
	v_and_b32_e32 v50, 0xf0f0f0f, v50
	v_lshlrev_b32_e32 v214, 2, v44
	v_lshlrev_b32_e32 v44, 9, v44
	;; [unrolled: 5-line block ×3, first 2 shown]
	v_and_b32_e32 v77, 0x100000, v77
	v_and_b32_e32 v78, 0x10000000, v78
	v_and_b32_e32 v172, 0x100000, v172
	v_and_b32_e32 v37, 0x10000000, v37
	v_and_b32_e32 v201, 16, v201
	v_and_b32_e32 v202, 0x1000, v202
	v_and_b32_e32 v205, 16, v205
	v_and_b32_e32 v206, 0x1000, v206
	v_and_b32_e32 v208, 16, v208
	v_and_b32_e32 v209, 0x1000, v209
	v_and_b32_e32 v212, 16, v212
	v_and_b32_e32 v213, 0x1000, v213
	v_and_b32_e32 v215, 16, v215
	v_and_b32_e32 v216, 0x1000, v216
	v_and_b32_e32 v219, 16, v219
	v_and_b32_e32 v220, 0x1000, v220
	v_or3_b32 v38, v75, v38, v76
	v_or3_b32 v39, v79, v39, v171
	v_and_b32_e32 v175, 0x100000, v175
	v_and_b32_e32 v176, 0x10000000, v176
	v_and_b32_e32 v179, 0x100000, v179
	v_and_b32_e32 v40, 0x10000000, v40
	v_or3_b32 v41, v173, v41, v174
	v_or3_b32 v42, v177, v42, v178
	v_and_b32_e32 v182, 0x100000, v182
	v_and_b32_e32 v183, 0x10000000, v183
	v_and_b32_e32 v186, 0x100000, v186
	v_and_b32_e32 v43, 0x10000000, v43
	;; [unrolled: 6-line block ×4, first 2 shown]
	v_or3_b32 v58, v194, v58, v195
	v_or3_b32 v59, v198, v59, v199
	s_wait_loadcnt 0xe
	v_and_b32_e32 v63, 0xf0f0f0f, v52
	v_lshrrev_b32_e32 v52, 4, v52
	v_lshlrev_b32_e32 v66, 4, v35
	v_lshlrev_b32_e32 v67, 11, v35
	v_lshrrev_b32_e32 v70, 12, v35
	v_lshrrev_b32_e32 v71, 5, v35
	v_and_b32_e32 v203, 0x100000, v203
	v_and_b32_e32 v204, 0x10000000, v204
	;; [unrolled: 1-line block ×12, first 2 shown]
	v_or3_b32 v60, v201, v60, v202
	v_or3_b32 v48, v205, v48, v206
	;; [unrolled: 1-line block ×16, first 2 shown]
	v_and_b32_e32 v65, 0xf0f0f0f, v26
	v_lshlrev_b32_e32 v68, 18, v35
	v_lshlrev_b32_e32 v69, 25, v35
	;; [unrolled: 1-line block ×6, first 2 shown]
	v_and_b32_e32 v52, 0xf0f0f0f, v52
	v_and_b32_e32 v66, 16, v66
	;; [unrolled: 1-line block ×5, first 2 shown]
	v_or3_b32 v55, v60, v203, v204
	v_or3_b32 v45, v48, v207, v45
	;; [unrolled: 1-line block ×6, first 2 shown]
	ds_store_2addr_b32 v1, v38, v37 offset1:1
	ds_store_2addr_b32 v2, v39, v40 offset1:1
	;; [unrolled: 1-line block ×8, first 2 shown]
	v_lshrrev_b32_e32 v26, 4, v26
	v_lshrrev_b32_e32 v40, 12, v36
	;; [unrolled: 1-line block ×3, first 2 shown]
	v_and_b32_e32 v68, 0x100000, v68
	v_and_b32_e32 v69, 0x10000000, v69
	;; [unrolled: 1-line block ×6, first 2 shown]
	v_or3_b32 v63, v66, v63, v67
	v_or3_b32 v52, v70, v52, v71
	v_lshlrev_b32_e32 v38, 18, v36
	v_lshlrev_b32_e32 v42, 25, v36
	v_and_b32_e32 v26, 0xf0f0f0f, v26
	v_and_b32_e32 v40, 16, v40
	;; [unrolled: 1-line block ×3, first 2 shown]
	s_wait_loadcnt 0xd
	v_ashrrev_i32_e32 v25, v108, v25
	v_or3_b32 v37, v63, v68, v69
	v_or3_b32 v35, v52, v72, v35
	;; [unrolled: 1-line block ×3, first 2 shown]
	v_and_b32_e32 v38, 0x100000, v38
	v_and_b32_e32 v42, 0x10000000, v42
	v_lshlrev_b32_e32 v43, 2, v36
	v_lshlrev_b32_e32 v36, 9, v36
	v_or3_b32 v26, v40, v26, v41
	v_lshlrev_b32_e32 v40, 4, v25
	v_lshlrev_b32_e32 v41, 11, v25
	v_and_b32_e32 v43, 0x100000, v43
	v_and_b32_e32 v36, 0x10000000, v36
	;; [unrolled: 1-line block ×5, first 2 shown]
	ds_store_2addr_b32 v9, v37, v35 offset1:1
	v_or3_b32 v35, v39, v38, v42
	v_lshrrev_b32_e32 v24, 4, v24
	v_lshrrev_b32_e32 v38, 12, v25
	v_lshrrev_b32_e32 v39, 5, v25
	v_or3_b32 v26, v26, v43, v36
	v_lshlrev_b32_e32 v36, 18, v25
	v_or3_b32 v37, v40, v44, v41
	v_lshlrev_b32_e32 v40, 25, v25
	v_and_b32_e32 v24, 0xf0f0f0f, v24
	v_and_b32_e32 v38, 16, v38
	;; [unrolled: 1-line block ×3, first 2 shown]
	s_wait_loadcnt 0xc
	v_ashrrev_i32_e32 v23, v108, v23
	v_and_b32_e32 v36, 0x100000, v36
	v_and_b32_e32 v40, 0x10000000, v40
	v_lshlrev_b32_e32 v41, 2, v25
	v_or3_b32 v24, v38, v24, v39
	v_lshlrev_b32_e32 v38, 4, v23
	v_lshlrev_b32_e32 v39, 11, v23
	;; [unrolled: 1-line block ×3, first 2 shown]
	v_and_b32_e32 v42, 0xf0f0f0f, v22
	ds_store_2addr_b32 v10, v35, v26 offset1:1
	v_and_b32_e32 v38, 16, v38
	v_and_b32_e32 v39, 0x1000, v39
	v_or3_b32 v26, v37, v36, v40
	v_lshrrev_b32_e32 v22, 4, v22
	v_lshrrev_b32_e32 v36, 12, v23
	;; [unrolled: 1-line block ×3, first 2 shown]
	v_and_b32_e32 v41, 0x100000, v41
	v_and_b32_e32 v25, 0x10000000, v25
	v_or3_b32 v35, v38, v42, v39
	v_and_b32_e32 v22, 0xf0f0f0f, v22
	v_and_b32_e32 v36, 16, v36
	;; [unrolled: 1-line block ×3, first 2 shown]
	s_wait_loadcnt 0xb
	v_ashrrev_i32_e32 v39, v108, v53
	v_or3_b32 v24, v24, v41, v25
	v_lshlrev_b32_e32 v25, 18, v23
	v_lshlrev_b32_e32 v38, 25, v23
	v_or3_b32 v22, v36, v22, v37
	v_lshlrev_b32_e32 v36, 4, v39
	v_lshlrev_b32_e32 v37, 11, v39
	v_and_b32_e32 v25, 0x100000, v25
	v_and_b32_e32 v38, 0x10000000, v38
	s_wait_loadcnt 0x7
	v_and_b32_e32 v41, 0xf0f0f0f, v64
	v_and_b32_e32 v36, 16, v36
	;; [unrolled: 1-line block ×3, first 2 shown]
	v_lshlrev_b32_e32 v40, 2, v23
	v_lshlrev_b32_e32 v23, 9, v23
	ds_store_2addr_b32 v11, v26, v24 offset1:1
	v_or3_b32 v24, v35, v25, v38
	v_or3_b32 v25, v36, v41, v37
	v_lshrrev_b32_e32 v26, 4, v64
	v_lshrrev_b32_e32 v35, 12, v39
	;; [unrolled: 1-line block ×3, first 2 shown]
	v_and_b32_e32 v40, 0x100000, v40
	v_and_b32_e32 v23, 0x10000000, v23
	;; [unrolled: 1-line block ×5, first 2 shown]
	s_wait_loadcnt 0x4
	v_ashrrev_i32_e32 v34, v108, v34
	v_or3_b32 v22, v22, v40, v23
	v_lshlrev_b32_e32 v23, 18, v39
	v_lshlrev_b32_e32 v37, 25, v39
	;; [unrolled: 1-line block ×4, first 2 shown]
	v_or3_b32 v26, v35, v26, v36
	v_lshlrev_b32_e32 v35, 4, v34
	v_lshlrev_b32_e32 v36, 11, v34
	v_and_b32_e32 v23, 0x100000, v23
	v_and_b32_e32 v37, 0x10000000, v37
	;; [unrolled: 1-line block ×7, first 2 shown]
	v_lshlrev_b32_e32 v41, 18, v34
	v_lshlrev_b32_e32 v42, 25, v34
	v_or3_b32 v23, v25, v23, v37
	v_or3_b32 v25, v26, v38, v39
	;; [unrolled: 1-line block ×3, first 2 shown]
	v_and_b32_e32 v35, 0x100000, v41
	v_and_b32_e32 v36, 0x10000000, v42
	v_lshrrev_b32_e32 v37, 12, v34
	v_lshrrev_b32_e32 v38, 5, v34
	v_ashrrev_i32_e32 v33, v108, v33
	v_lshrrev_b32_e32 v32, 4, v32
	v_or3_b32 v26, v26, v35, v36
	v_and_b32_e32 v35, 16, v37
	v_and_b32_e32 v36, 0x1000, v38
	v_lshlrev_b32_e32 v37, 4, v33
	v_lshlrev_b32_e32 v38, 11, v33
	v_and_b32_e32 v32, 0xf0f0f0f, v32
	v_lshlrev_b32_e32 v39, 2, v34
	v_and_b32_e32 v40, 0xf0f0f0f, v30
	v_and_b32_e32 v37, 16, v37
	v_and_b32_e32 v38, 0x1000, v38
	v_lshlrev_b32_e32 v41, 18, v33
	v_ashrrev_i32_e32 v31, v108, v31
	v_or3_b32 v32, v35, v32, v36
	v_and_b32_e32 v35, 0x100000, v39
	v_or3_b32 v36, v37, v40, v38
	v_and_b32_e32 v37, 0x100000, v41
	v_lshrrev_b32_e32 v30, 4, v30
	v_lshrrev_b32_e32 v38, 12, v33
	;; [unrolled: 1-line block ×3, first 2 shown]
	v_lshlrev_b32_e32 v41, 4, v31
	v_lshlrev_b32_e32 v42, 11, v31
	v_and_b32_e32 v30, 0xf0f0f0f, v30
	v_and_b32_e32 v38, 16, v38
	;; [unrolled: 1-line block ×6, first 2 shown]
	v_lshlrev_b32_e32 v43, 2, v33
	v_or3_b32 v30, v38, v30, v39
	v_lshrrev_b32_e32 v29, 4, v29
	v_lshlrev_b32_e32 v34, 9, v34
	v_or3_b32 v39, v41, v44, v42
	v_lshrrev_b32_e32 v41, 12, v31
	v_lshrrev_b32_e32 v42, 5, v31
	v_lshlrev_b32_e32 v40, 25, v33
	v_lshlrev_b32_e32 v33, 9, v33
	v_and_b32_e32 v38, 0x100000, v43
	v_lshlrev_b32_e32 v43, 18, v31
	v_lshlrev_b32_e32 v44, 25, v31
	v_and_b32_e32 v29, 0xf0f0f0f, v29
	v_and_b32_e32 v41, 16, v41
	;; [unrolled: 1-line block ×3, first 2 shown]
	v_lshlrev_b32_e32 v45, 2, v31
	v_lshlrev_b32_e32 v31, 9, v31
	v_and_b32_e32 v34, 0x10000000, v34
	v_and_b32_e32 v40, 0x10000000, v40
	;; [unrolled: 1-line block ×5, first 2 shown]
	v_or3_b32 v29, v41, v29, v42
	v_and_b32_e32 v41, 0x100000, v45
	v_and_b32_e32 v31, 0x10000000, v31
	v_or3_b32 v32, v32, v35, v34
	v_or3_b32 v34, v36, v37, v40
	;; [unrolled: 1-line block ×5, first 2 shown]
	ds_store_2addr_b32 v12, v24, v22 offset1:1
	ds_store_2addr_b32 v13, v23, v25 offset1:1
	;; [unrolled: 1-line block ×5, first 2 shown]
	s_wait_loadcnt 0x3
	ds_store_b32 v159, v27
	s_wait_loadcnt 0x2
	ds_store_b32 v160, v28
	s_wait_loadcnt 0x1
	ds_store_b32 v161, v20
	s_wait_loadcnt 0x0
	ds_store_b32 v162, v21
	s_cbranch_scc0 .LBB164_5
; %bb.7:                                ;   in Loop: Header=BB164_6 Depth=1
	s_clause 0x1
	scratch_load_b32 v0, off, off offset:60
	scratch_load_b64 v[20:21], off, off offset:64
	s_mov_b32 s10, -4
	v_mov_b32_e32 v172, v153
	s_wait_loadcnt 0x1
	v_add_nc_u32_e32 v28, s4, v0
	scratch_load_b32 v0, off, off offset:4  ; 4-byte Folded Reload
	s_wait_loadcnt 0x1
	v_add_nc_u32_e32 v171, s4, v20
	s_delay_alu instid0(VALU_DEP_1)
	v_mad_co_u64_u32 v[36:37], null, v171, 36, s[2:3]
	s_wait_loadcnt 0x0
	v_add_nc_u32_e32 v20, v28, v0
	scratch_load_b32 v0, off, off offset:8  ; 4-byte Folded Reload
	v_mad_co_i64_i32 v[20:21], null, v20, 36, v[18:19]
	s_wait_loadcnt 0x0
	v_add_nc_u32_e32 v22, v28, v0
	scratch_load_b32 v0, off, off offset:12 ; 4-byte Folded Reload
	v_mad_co_i64_i32 v[22:23], null, v22, 36, v[18:19]
	s_wait_loadcnt 0x0
	v_add_nc_u32_e32 v24, v28, v0
	scratch_load_b32 v0, off, off offset:16 ; 4-byte Folded Reload
	;; [unrolled: 4-line block ×4, first 2 shown]
	s_wait_loadcnt 0x0
	v_add_nc_u32_e32 v30, v28, v0
	scratch_load_b32 v0, off, off offset:24 ; 4-byte Folded Reload
	v_mad_co_i64_i32 v[30:31], null, v30, 36, v[18:19]
	s_wait_loadcnt 0x0
	v_add_nc_u32_e32 v32, v28, v0
	scratch_load_b32 v0, off, off offset:28 ; 4-byte Folded Reload
	v_mad_co_i64_i32 v[32:33], null, v32, 36, v[18:19]
	s_wait_loadcnt 0x0
	v_add_nc_u32_e32 v34, v28, v0
	v_mad_co_i64_i32 v[28:29], null, v29, 36, v[18:19]
	s_delay_alu instid0(VALU_DEP_2)
	v_mad_co_i64_i32 v[34:35], null, v34, 36, v[18:19]
	s_clause 0x8
	global_load_b32 v28, v[28:29], off offset:4
	global_load_b32 v20, v[20:21], off offset:4
	;; [unrolled: 1-line block ×8, first 2 shown]
	global_load_b32 v27, v[36:37], off
	s_clause 0x5
	scratch_load_b32 v0, off, off offset:56
	scratch_load_b32 v173, off, off offset:36
	;; [unrolled: 1-line block ×6, first 2 shown]
	s_wait_loadcnt 0x5
	v_mul_u32_u24_e32 v178, 0x104, v0
	scratch_load_b32 v0, off, off offset:40 ; 4-byte Folded Reload
	ds_store_b32 v170, v28
	s_wait_loadcnt 0x0
	ds_store_b32 v0, v20
	scratch_load_b32 v0, off, off offset:44 ; 4-byte Folded Reload
	s_wait_loadcnt 0x0
	ds_store_b32 v0, v21
	scratch_load_b32 v0, off, off offset:48 ; 4-byte Folded Reload
	s_wait_loadcnt 0x0
	ds_store_b32 v0, v22
	scratch_load_b32 v0, off, off offset:52 ; 4-byte Folded Reload
	s_wait_loadcnt 0x0
	ds_store_b32 v0, v23
	ds_store_b32 v167, v24
	;; [unrolled: 1-line block ×4, first 2 shown]
	scratch_load_b32 v0, off, off           ; 4-byte Folded Reload
	s_wait_loadcnt 0x0
	ds_store_b32 v0, v27
	s_wait_storecnt_dscnt 0x0
	s_barrier_signal -1
	s_barrier_wait -1
	global_inv scope:SCOPE_SE
.LBB164_8:                              ;   Parent Loop BB164_6 Depth=1
                                        ; =>  This Inner Loop Header: Depth=2
	ds_load_2addr_b32 v[20:21], v173 offset1:32
	ds_load_b32 v25, v174
	ds_load_b32 v24, v175
	;; [unrolled: 1-line block ×4, first 2 shown]
	v_add_nc_u32_e32 v38, 0x2098, v178
	v_add_nc_u32_e32 v41, 0x414, v172
	;; [unrolled: 1-line block ×8, first 2 shown]
	s_wait_alu 0xfffe
	s_add_co_i32 s10, s10, 4
	s_wait_alu 0xfffe
	s_cmp_lt_u32 s10, 12
	s_wait_dscnt 0x3
	v_pk_mul_f16 v203, v20, v25
	s_wait_dscnt 0x2
	v_pk_mul_f16 v199, v20, v24
	;; [unrolled: 2-line block ×4, first 2 shown]
	v_pk_mul_f16 v197, v25, v21
	v_pk_mul_f16 v206, v24, v21
	v_pk_mul_f16 v198, v23, v21
	v_pk_mul_f16 v195, v22, v21
	ds_load_2addr_b32 v[20:21], v173 offset0:64 offset1:96
	s_wait_dscnt 0x0
	v_pk_mul_f16 v196, v25, v20
	v_pk_mul_f16 v194, v24, v20
	;; [unrolled: 1-line block ×8, first 2 shown]
	ds_load_2addr_b32 v[20:21], v173 offset0:128 offset1:160
	s_wait_dscnt 0x0
	v_pk_mul_f16 v188, v25, v20
	v_pk_mul_f16 v186, v24, v20
	;; [unrolled: 1-line block ×8, first 2 shown]
	ds_load_2addr_b32 v[20:21], v173 offset0:192 offset1:224
	v_add_nc_u32_e32 v173, 4, v173
	s_wait_dscnt 0x0
	v_pk_mul_f16 v180, v25, v20
	v_pk_mul_f16 v201, v25, v21
	;; [unrolled: 1-line block ×8, first 2 shown]
	ds_load_2addr_b32 v[28:29], v172 offset1:7
	ds_load_2addr_b32 v[26:27], v178 offset1:1
	ds_load_2addr_b32 v[20:21], v178 offset0:2 offset1:3
	ds_load_2addr_b32 v[22:23], v178 offset0:4 offset1:5
	;; [unrolled: 1-line block ×3, first 2 shown]
	s_wait_dscnt 0x4
	v_lshlrev_b32_e32 v224, 8, v29
	s_wait_dscnt 0x3
	v_perm_b32 v30, v28, v27, 0xc0c0703
	s_wait_dscnt 0x2
	v_perm_b32 v31, v21, v20, 0x7030c0c
	v_lshlrev_b32_e32 v226, 16, v29
	s_wait_dscnt 0x0
	v_perm_b32 v33, v25, v24, 0x7030c0c
	s_delay_alu instid0(VALU_DEP_3)
	v_or_b32_e32 v30, v31, v30
	v_add_nc_u32_e32 v31, 0x1c14, v172
	ds_load_2addr_b32 v[42:43], v31 offset1:1
	ds_load_2addr_b32 v[36:37], v172 offset0:3 offset1:4
	ds_load_2addr_b32 v[46:47], v172 offset0:5 offset1:6
	;; [unrolled: 1-line block ×3, first 2 shown]
	s_wait_dscnt 0x2
	v_perm_b32 v31, v26, v37, 0xc0c0703
	v_perm_b32 v34, v29, v36, 0x7030c0c
	s_wait_dscnt 0x0
	v_perm_b32 v32, v46, v48, 0x7030c0c
	v_lshlrev_b32_e32 v254, 8, v48
	v_lshlrev_b32_e32 v255, 8, v46
	;; [unrolled: 1-line block ×4, first 2 shown]
	v_or_b32_e32 v31, v32, v31
	v_perm_b32 v32, v23, v22, 0xc0c0703
	v_lshlrev_b32_e32 v230, 8, v47
	v_perm_b32 v63, v26, v0, 0xc0c0603
	v_lshlrev_b32_e32 v225, 8, v36
	v_dot4_i32_iu8 v30, v31, v30, 0 neg_lo:[1,1,0]
	v_or_b32_e32 v32, v33, v32
	v_perm_b32 v33, v47, v49, 0xc0c0703
	v_add_nc_u32_e32 v31, 0x400, v172
	v_perm_b32 v66, v224, v225, 0x7030c0c
	v_lshlrev_b32_e32 v154, 16, v48
	v_lshlrev_b32_e32 v155, 16, v46
	v_or_b32_e32 v33, v34, v33
	v_lshlrev_b32_e32 v156, 16, v37
	v_lshlrev_b32_e32 v229, 16, v49
	;; [unrolled: 1-line block ×4, first 2 shown]
	v_dot4_i32_iu8 v211, v33, v32, v30 neg_lo:[1,1,0]
	v_add_nc_u32_e32 v30, 0x2080, v178
	v_add_nc_u32_e32 v32, 0x2088, v178
	;; [unrolled: 1-line block ×3, first 2 shown]
	ds_load_2addr_b32 v[34:35], v30 offset1:1
	ds_load_2addr_b32 v[30:31], v31 offset1:7
	;; [unrolled: 1-line block ×5, first 2 shown]
	v_perm_b32 v0, v37, v0, 0x7030c0c
	s_wait_dscnt 0x4
	v_bfe_i32 v38, v34, 16, 8
	s_wait_dscnt 0x3
	v_bfe_i32 v39, v30, 16, 8
	v_bfe_i32 v40, v30, 0, 8
	v_perm_b32 v150, v35, v35, 0x2010003
	s_delay_alu instid0(VALU_DEP_3) | instskip(SKIP_1) | instid1(VALU_DEP_1)
	v_mul_i32_i24_e32 v38, v39, v38
	v_bfe_i32 v39, v34, 0, 8
	v_mad_i32_i24 v52, v40, v39, v38
	v_ashrrev_i32_e32 v38, 24, v34
	v_ashrrev_i32_e32 v39, 24, v30
	v_lshrrev_b16 v40, 8, v30
	s_delay_alu instid0(VALU_DEP_2) | instskip(SKIP_1) | instid1(VALU_DEP_3)
	v_mul_i32_i24_e32 v38, v39, v38
	v_lshrrev_b16 v39, 8, v34
	v_bfe_i32 v40, v40, 0, 8
	s_delay_alu instid0(VALU_DEP_2) | instskip(NEXT) | instid1(VALU_DEP_1)
	v_bfe_i32 v39, v39, 0, 8
	v_mad_i32_i24 v53, v40, v39, v38
	v_add_nc_u32_e32 v38, 0x40c, v172
	v_add_nc_u32_e32 v40, 0x404, v172
	ds_load_2addr_b32 v[38:39], v38 offset1:1
	ds_load_2addr_b32 v[54:55], v40 offset1:1
	;; [unrolled: 1-line block ×4, first 2 shown]
	v_bfe_i32 v56, v35, 8, 8
	s_wait_dscnt 0x3
	v_bfe_i32 v57, v39, 8, 8
	v_ashrrev_i32_e32 v58, 24, v39
	s_wait_dscnt 0x2
	v_bfe_i32 v59, v54, 16, 8
	s_wait_dscnt 0x1
	v_bfe_i32 v60, v51, 0, 8
	v_bfe_i32 v61, v38, 0, 8
	v_mul_i32_i24_e32 v56, v57, v56
	v_ashrrev_i32_e32 v57, 24, v35
	v_bfe_i32 v62, v38, 16, 8
	s_delay_alu instid0(VALU_DEP_2) | instskip(SKIP_3) | instid1(VALU_DEP_2)
	v_mad_i32_i24 v212, v58, v57, v56
	v_bfe_i32 v56, v64, 8, 8
	v_bfe_i32 v57, v54, 8, 8
	;; [unrolled: 1-line block ×3, first 2 shown]
	v_mul_i32_i24_e32 v56, v57, v56
	v_bfe_i32 v57, v64, 0, 8
	s_delay_alu instid0(VALU_DEP_1) | instskip(SKIP_2) | instid1(VALU_DEP_1)
	v_mad_i32_i24 v56, v58, v57, v56
	v_ashrrev_i32_e32 v57, 24, v65
	v_ashrrev_i32_e32 v58, 24, v50
	v_mul_i32_i24_e32 v57, v58, v57
	v_bfe_i32 v58, v64, 16, 8
	s_delay_alu instid0(VALU_DEP_1) | instskip(SKIP_3) | instid1(VALU_DEP_2)
	v_mad_i32_i24 v213, v59, v58, v57
	v_bfe_i32 v57, v65, 8, 8
	v_bfe_i32 v58, v50, 8, 8
	;; [unrolled: 1-line block ×3, first 2 shown]
	v_mul_i32_i24_e32 v57, v58, v57
	v_bfe_i32 v58, v65, 0, 8
	s_delay_alu instid0(VALU_DEP_1) | instskip(SKIP_3) | instid1(VALU_DEP_2)
	v_mad_i32_i24 v214, v59, v58, v57
	v_bfe_i32 v57, v44, 8, 8
	v_bfe_i32 v58, v55, 8, 8
	;; [unrolled: 1-line block ×3, first 2 shown]
	v_mul_i32_i24_e32 v57, v58, v57
	v_bfe_i32 v58, v44, 0, 8
	s_delay_alu instid0(VALU_DEP_1) | instskip(SKIP_2) | instid1(VALU_DEP_1)
	v_mad_i32_i24 v57, v59, v58, v57
	v_bfe_i32 v58, v45, 8, 8
	v_bfe_i32 v59, v51, 8, 8
	v_mul_i32_i24_e32 v58, v59, v58
	v_bfe_i32 v59, v45, 0, 8
	s_delay_alu instid0(VALU_DEP_1) | instskip(SKIP_2) | instid1(VALU_DEP_1)
	v_mad_i32_i24 v58, v60, v59, v58
	v_bfe_i32 v59, v32, 8, 8
	v_bfe_i32 v60, v38, 8, 8
	v_mul_i32_i24_e32 v59, v60, v59
	v_bfe_i32 v60, v32, 0, 8
	s_delay_alu instid0(VALU_DEP_1) | instskip(SKIP_2) | instid1(VALU_DEP_1)
	v_mad_i32_i24 v59, v61, v60, v59
	v_ashrrev_i32_e32 v60, 24, v33
	v_ashrrev_i32_e32 v61, 24, v31
	v_mul_i32_i24_e32 v60, v61, v60
	v_bfe_i32 v61, v32, 16, 8
	s_delay_alu instid0(VALU_DEP_1) | instskip(SKIP_3) | instid1(VALU_DEP_2)
	v_mad_i32_i24 v215, v62, v61, v60
	v_bfe_i32 v60, v33, 8, 8
	v_bfe_i32 v61, v31, 8, 8
	;; [unrolled: 1-line block ×3, first 2 shown]
	v_mul_i32_i24_e32 v60, v61, v60
	v_bfe_i32 v61, v33, 0, 8
	s_delay_alu instid0(VALU_DEP_1) | instskip(SKIP_3) | instid1(VALU_DEP_2)
	v_mad_i32_i24 v216, v62, v61, v60
	v_perm_b32 v60, v28, v27, 0xc0c0602
	v_perm_b32 v61, v21, v20, 0x6020c0c
	;; [unrolled: 1-line block ×3, first 2 shown]
	v_or_b32_e32 v60, v61, v60
	v_perm_b32 v61, v23, v22, 0xc0c0602
	s_delay_alu instid0(VALU_DEP_1) | instskip(SKIP_1) | instid1(VALU_DEP_1)
	v_or_b32_e32 v61, v62, v61
	v_perm_b32 v62, v255, v254, 0x7030c0c
	v_or_b32_e32 v62, v62, v63
	v_perm_b32 v63, v230, v231, 0xc0c0703
	s_delay_alu instid0(VALU_DEP_2) | instskip(NEXT) | instid1(VALU_DEP_2)
	v_dot4_i32_iu8 v60, v62, v60, 0 neg_lo:[1,1,0]
	v_or_b32_e32 v63, v66, v63
	v_perm_b32 v62, v25, v24, 0x5010c0c
	v_perm_b32 v66, v226, v227, 0x7030c0c
	s_delay_alu instid0(VALU_DEP_3) | instskip(SKIP_3) | instid1(VALU_DEP_2)
	v_dot4_i32_iu8 v217, v63, v61, v60 neg_lo:[1,1,0]
	v_perm_b32 v60, v28, v27, 0xc0c0501
	v_perm_b32 v61, v21, v20, 0x5010c0c
	;; [unrolled: 1-line block ×3, first 2 shown]
	v_or_b32_e32 v60, v61, v60
	v_perm_b32 v61, v23, v22, 0xc0c0501
	s_delay_alu instid0(VALU_DEP_1) | instskip(SKIP_1) | instid1(VALU_DEP_1)
	v_or_b32_e32 v61, v62, v61
	v_perm_b32 v62, v155, v154, 0x7030c0c
	v_or_b32_e32 v62, v62, v63
	v_perm_b32 v63, v228, v229, 0xc0c0703
	s_delay_alu instid0(VALU_DEP_2) | instskip(NEXT) | instid1(VALU_DEP_2)
	v_dot4_i32_iu8 v60, v62, v60, 0 neg_lo:[1,1,0]
	v_or_b32_e32 v63, v66, v63
	s_delay_alu instid0(VALU_DEP_1) | instskip(SKIP_2) | instid1(VALU_DEP_1)
	v_dot4_i32_iu8 v218, v63, v61, v60 neg_lo:[1,1,0]
	v_bfe_i32 v60, v39, 0, 8
	v_bfe_i32 v61, v35, 0, 8
	v_mul_i32_i24_e32 v60, v60, v61
	v_add_nc_u32_e32 v61, 0x1414, v172
	s_delay_alu instid0(VALU_DEP_2) | instskip(SKIP_3) | instid1(VALU_DEP_2)
	v_add3_u32 v219, v52, v53, v60
	v_bfe_i32 v52, v39, 16, 8
	v_bfe_i32 v53, v35, 16, 8
	v_ashrrev_i32_e32 v60, 24, v64
	v_mul_i32_i24_e32 v52, v52, v53
	v_ashrrev_i32_e32 v53, 24, v54
	s_delay_alu instid0(VALU_DEP_1) | instskip(SKIP_1) | instid1(VALU_DEP_2)
	v_mul_i32_i24_e32 v53, v53, v60
	v_add_nc_u32_e32 v60, 0x1014, v172
	v_add3_u32 v220, v52, v53, v56
	v_bfe_i32 v52, v50, 16, 8
	v_bfe_i32 v53, v65, 16, 8
	v_ashrrev_i32_e32 v56, 24, v44
	s_delay_alu instid0(VALU_DEP_2) | instskip(SKIP_1) | instid1(VALU_DEP_1)
	v_mul_i32_i24_e32 v52, v52, v53
	v_ashrrev_i32_e32 v53, 24, v55
	v_mul_i32_i24_e32 v53, v53, v56
	v_ashrrev_i32_e32 v56, 24, v45
	s_delay_alu instid0(VALU_DEP_2) | instskip(SKIP_2) | instid1(VALU_DEP_1)
	v_add3_u32 v221, v52, v53, v57
	v_bfe_i32 v52, v55, 16, 8
	v_bfe_i32 v53, v44, 16, 8
	v_mul_i32_i24_e32 v52, v52, v53
	v_ashrrev_i32_e32 v53, 24, v51
	s_delay_alu instid0(VALU_DEP_1) | instskip(SKIP_1) | instid1(VALU_DEP_2)
	v_mul_i32_i24_e32 v53, v53, v56
	v_ashrrev_i32_e32 v56, 24, v32
	v_add3_u32 v222, v52, v53, v58
	v_bfe_i32 v52, v51, 16, 8
	v_bfe_i32 v53, v45, 16, 8
	v_add_nc_u32_e32 v58, 0x1004, v172
	s_delay_alu instid0(VALU_DEP_2) | instskip(SKIP_1) | instid1(VALU_DEP_1)
	v_mul_i32_i24_e32 v52, v52, v53
	v_ashrrev_i32_e32 v53, 24, v38
	v_mul_i32_i24_e32 v53, v53, v56
	v_add_nc_u32_e32 v56, 0x814, v172
	s_delay_alu instid0(VALU_DEP_2) | instskip(SKIP_4) | instid1(VALU_DEP_3)
	v_add3_u32 v223, v52, v53, v59
	v_lshlrev_b32_e32 v52, 16, v39
	v_lshlrev_b32_e32 v53, 8, v39
	v_add_nc_u32_e32 v59, 0xc14, v172
	v_perm_b32 v39, v39, v39, 0xc0c0003
	v_perm_b32 v240, v53, v52, 0x7030c0c
	v_lshlrev_b32_e32 v52, 16, v54
	v_lshlrev_b32_e32 v53, 8, v54
	v_perm_b32 v54, v54, v54, 0xc0c0003
	s_delay_alu instid0(VALU_DEP_4) | instskip(NEXT) | instid1(VALU_DEP_3)
	v_or_b32_e32 v39, v240, v39
	v_perm_b32 v241, v53, v52, 0x7030c0c
	s_wait_dscnt 0x0
	v_lshlrev_b32_e32 v52, 16, v41
	v_lshlrev_b32_e32 v53, 8, v41
	v_perm_b32 v41, v41, v41, 0xc0c0003
	v_or_b32_e32 v158, v241, v54
	s_delay_alu instid0(VALU_DEP_3)
	v_perm_b32 v242, v53, v52, 0x7030c0c
	v_add_nc_u32_e32 v52, 0x804, v172
	v_add_nc_u32_e32 v53, 0xc04, v172
	ds_load_2addr_b32 v[78:79], v52 offset1:1
	ds_load_2addr_b32 v[76:77], v53 offset1:1
	;; [unrolled: 1-line block ×3, first 2 shown]
	v_or_b32_e32 v41, v242, v41
	v_add_nc_u32_e32 v242, 0x4108, v178
	s_delay_alu instid0(VALU_DEP_2) | instskip(SKIP_4) | instid1(VALU_DEP_2)
	v_dot4_i32_iu8 v128, v41, v150, 0 neg_lo:[1,1,0]
	s_wait_dscnt 0x2
	v_lshlrev_b32_e32 v52, 16, v78
	v_lshlrev_b32_e32 v53, 8, v78
	v_perm_b32 v54, v78, v78, 0xc0c0003
	v_perm_b32 v243, v53, v52, 0x7030c0c
	v_add_nc_u32_e32 v52, 0xc0c, v172
	s_delay_alu instid0(VALU_DEP_2)
	v_or_b32_e32 v78, v243, v54
	ds_load_2addr_b32 v[52:53], v52 offset1:1
	s_wait_dscnt 0x0
	v_lshlrev_b32_e32 v56, 16, v53
	v_lshlrev_b32_e32 v57, 8, v53
	v_perm_b32 v53, v53, v53, 0xc0c0003
	s_delay_alu instid0(VALU_DEP_2) | instskip(SKIP_2) | instid1(VALU_DEP_3)
	v_perm_b32 v244, v57, v56, 0x7030c0c
	v_lshlrev_b32_e32 v56, 16, v76
	v_lshlrev_b32_e32 v57, 8, v76
	v_or_b32_e32 v107, v244, v53
	v_perm_b32 v53, v76, v76, 0xc0c0003
	s_delay_alu instid0(VALU_DEP_3)
	v_perm_b32 v245, v57, v56, 0x7030c0c
	v_add_nc_u32_e32 v56, 0x100c, v172
	ds_load_2addr_b32 v[56:57], v56 offset1:1
	ds_load_2addr_b32 v[232:233], v58 offset1:1
	;; [unrolled: 1-line block ×4, first 2 shown]
	v_add_nc_u32_e32 v60, 0x1404, v172
	v_or_b32_e32 v76, v245, v53
	v_add_nc_u32_e32 v244, 0x4110, v178
	v_dot4_i32_iu8 v139, v107, v150, 0 neg_lo:[1,1,0]
	s_wait_dscnt 0x3
	v_lshlrev_b32_e32 v58, 16, v57
	v_lshlrev_b32_e32 v59, 8, v57
	v_perm_b32 v53, v57, v57, 0xc0c0003
	s_delay_alu instid0(VALU_DEP_2) | instskip(SKIP_3) | instid1(VALU_DEP_3)
	v_perm_b32 v246, v59, v58, 0x7030c0c
	s_wait_dscnt 0x2
	v_lshlrev_b32_e32 v58, 16, v232
	v_lshlrev_b32_e32 v59, 8, v232
	v_or_b32_e32 v57, v246, v53
	v_perm_b32 v53, v232, v232, 0xc0c0003
	s_delay_alu instid0(VALU_DEP_3)
	v_perm_b32 v247, v59, v58, 0x7030c0c
	v_add_nc_u32_e32 v58, 0x140c, v172
	ds_load_2addr_b32 v[58:59], v58 offset1:1
	ds_load_2addr_b32 v[234:235], v60 offset1:1
	;; [unrolled: 1-line block ×3, first 2 shown]
	v_or_b32_e32 v232, v247, v53
	v_add_nc_u32_e32 v246, 0x4118, v178
	v_dot4_i32_iu8 v142, v57, v150, 0 neg_lo:[1,1,0]
	s_wait_dscnt 0x2
	v_lshlrev_b32_e32 v60, 16, v59
	v_lshlrev_b32_e32 v61, 8, v59
	v_perm_b32 v53, v59, v59, 0xc0c0003
	s_delay_alu instid0(VALU_DEP_2) | instskip(SKIP_3) | instid1(VALU_DEP_3)
	v_perm_b32 v248, v61, v60, 0x7030c0c
	s_wait_dscnt 0x1
	v_lshlrev_b32_e32 v60, 16, v234
	v_lshlrev_b32_e32 v61, 8, v234
	v_or_b32_e32 v59, v248, v53
	v_perm_b32 v53, v234, v234, 0xc0c0003
	s_delay_alu instid0(VALU_DEP_3) | instskip(SKIP_3) | instid1(VALU_DEP_4)
	v_perm_b32 v249, v61, v60, 0x7030c0c
	v_add_nc_u32_e32 v60, 0x180c, v172
	v_add_nc_u32_e32 v248, 0x6188, v178
	v_dot4_i32_iu8 v145, v59, v150, 0 neg_lo:[1,1,0]
	v_or_b32_e32 v234, v249, v53
	ds_load_2addr_b32 v[60:61], v60 offset1:1
	s_wait_dscnt 0x0
	v_lshlrev_b32_e32 v62, 16, v61
	v_lshlrev_b32_e32 v63, 8, v61
	v_perm_b32 v53, v61, v61, 0xc0c0003
	s_delay_alu instid0(VALU_DEP_2)
	v_perm_b32 v250, v63, v62, 0x7030c0c
	v_add_nc_u32_e32 v62, 0x1804, v172
	v_add_nc_u32_e32 v63, 0x1c04, v172
	ds_load_2addr_b32 v[236:237], v62 offset1:1
	ds_load_2addr_b32 v[238:239], v63 offset1:1
	;; [unrolled: 1-line block ×3, first 2 shown]
	v_or_b32_e32 v61, v250, v53
	v_add_nc_u32_e32 v250, 0x6190, v178
	s_delay_alu instid0(VALU_DEP_2)
	v_dot4_i32_iu8 v163, v61, v150, 0 neg_lo:[1,1,0]
	s_wait_dscnt 0x2
	v_lshlrev_b32_e32 v62, 16, v236
	v_lshlrev_b32_e32 v63, 8, v236
	v_perm_b32 v53, v236, v236, 0xc0c0003
	s_wait_dscnt 0x1
	v_lshlrev_b32_e32 v157, 8, v238
	s_delay_alu instid0(VALU_DEP_3) | instskip(SKIP_1) | instid1(VALU_DEP_2)
	v_perm_b32 v251, v63, v62, 0x7030c0c
	v_add_nc_u32_e32 v62, 0x1c0c, v172
	v_or_b32_e32 v236, v251, v53
	ds_load_2addr_b32 v[62:63], v62 offset1:1
	s_wait_dscnt 0x0
	v_lshlrev_b32_e32 v252, 16, v63
	v_lshlrev_b32_e32 v253, 8, v63
	v_perm_b32 v53, v63, v63, 0xc0c0003
	s_delay_alu instid0(VALU_DEP_2) | instskip(SKIP_1) | instid1(VALU_DEP_2)
	v_perm_b32 v252, v253, v252, 0x7030c0c
	v_lshlrev_b32_e32 v253, 16, v238
	v_or_b32_e32 v63, v252, v53
	s_delay_alu instid0(VALU_DEP_2) | instskip(SKIP_4) | instid1(VALU_DEP_4)
	v_perm_b32 v157, v157, v253, 0x7030c0c
	v_perm_b32 v53, v238, v238, 0xc0c0003
	v_add_nc_u32_e32 v238, 0x6180, v178
	v_add_nc_u32_e32 v252, 0x6198, v178
	v_dot4_i32_iu8 v150, v63, v150, 0 neg_lo:[1,1,0]
	v_or_b32_e32 v157, v157, v53
	v_add_nc_u32_e32 v53, 0x4100, v178
	ds_load_2addr_b32 v[53:54], v53 offset1:1
	ds_load_2addr_b32 v[240:241], v238 offset1:1
	;; [unrolled: 1-line block ×8, first 2 shown]
	v_perm_b32 v238, v27, v27, 0x2010003
	v_perm_b32 v27, v28, v27, 0xc0c0400
	v_add_nc_u32_e32 v178, 32, v178
	s_delay_alu instid0(VALU_DEP_3)
	v_dot4_i32_iu8 v148, v39, v238, 0 neg_lo:[1,1,0]
	v_dot4_i32_iu8 v151, v41, v238, 0 neg_lo:[1,1,0]
	;; [unrolled: 1-line block ×7, first 2 shown]
	s_wait_dscnt 0x7
	v_perm_b32 v152, v54, v54, 0x2010003
	s_wait_dscnt 0x6
	v_perm_b32 v17, v241, v241, 0x2010003
	s_wait_dscnt 0x5
	v_perm_b32 v165, v242, v242, 0x2010003
	v_dot4_i32_iu8 v149, v39, v152, 0 neg_lo:[1,1,0]
	s_delay_alu instid0(VALU_DEP_3)
	v_dot4_i32_iu8 v39, v39, v17, 0 neg_lo:[1,1,0]
	v_dot4_i32_iu8 v98, v41, v152, 0 neg_lo:[1,1,0]
	;; [unrolled: 1-line block ×13, first 2 shown]
	v_perm_b32 v63, v20, v20, 0x2010003
	s_wait_dscnt 0x2
	v_perm_b32 v166, v248, v248, 0x2010003
	v_dot4_i32_iu8 v149, v158, v165, v149 neg_lo:[1,1,0]
	v_dot4_i32_iu8 v98, v78, v165, v98 neg_lo:[1,1,0]
	;; [unrolled: 1-line block ×5, first 2 shown]
	v_perm_b32 v158, v64, v64, 0x2010003
	v_dot4_i32_iu8 v151, v78, v63, v151 neg_lo:[1,1,0]
	v_dot4_i32_iu8 v41, v78, v166, v41 neg_lo:[1,1,0]
	;; [unrolled: 1-line block ×17, first 2 shown]
	v_lshlrev_b32_e32 v157, 24, v37
	v_dot4_i32_iu8 v144, v234, v165, v146 neg_lo:[1,1,0]
	v_dot4_i32_iu8 v146, v236, v158, v163 neg_lo:[1,1,0]
	;; [unrolled: 1-line block ×4, first 2 shown]
	v_perm_b32 v37, v156, v157, 0xc0c0703
	v_lshlrev_b32_e32 v156, 24, v48
	v_perm_b32 v48, v48, v254, 0x7030c0c
	v_lshlrev_b32_e32 v164, 8, v72
	v_lshlrev_b32_e32 v165, 8, v74
	v_or_b32_e32 v0, v0, v37
	v_perm_b32 v37, v154, v156, 0xc0c0703
	v_dot4_i32_iu8 v59, v234, v166, v59 neg_lo:[1,1,0]
	v_dot4_i32_iu8 v61, v236, v166, v61 neg_lo:[1,1,0]
	v_lshlrev_b32_e32 v166, 8, v42
	v_perm_b32 v158, v249, v249, 0x2010003
	v_or_b32_e32 v37, v48, v37
	v_lshlrev_b32_e32 v48, 24, v46
	v_perm_b32 v46, v46, v255, 0x7030c0c
	v_perm_b32 v20, v21, v20, 0x4000c0c
	s_delay_alu instid0(VALU_DEP_3) | instskip(SKIP_1) | instid1(VALU_DEP_3)
	v_perm_b32 v154, v155, v48, 0xc0c0703
	v_dot4_i32_iu8 v155, v28, v240, 0 neg_lo:[1,1,0]
	v_or_b32_e32 v20, v20, v27
	s_delay_alu instid0(VALU_DEP_3) | instskip(SKIP_1) | instid1(VALU_DEP_4)
	v_or_b32_e32 v46, v46, v154
	v_dot4_i32_iu8 v154, v28, v53, 0 neg_lo:[1,1,0]
	v_dot4_i32_iu8 v155, v0, v241, v155 neg_lo:[1,1,0]
	v_perm_b32 v28, v26, v157, 0xc0c0403
	s_delay_alu instid0(VALU_DEP_3) | instskip(SKIP_1) | instid1(VALU_DEP_4)
	v_dot4_i32_iu8 v54, v0, v54, v154 neg_lo:[1,1,0]
	v_dot4_i32_iu8 v0, v0, v35, v163 neg_lo:[1,1,0]
	v_dot4_i32_iu8 v155, v37, v248, v155 neg_lo:[1,1,0]
	v_perm_b32 v35, v65, v65, 0x2010003
	v_lshlrev_b32_e32 v163, 8, v68
	v_dot4_i32_iu8 v54, v37, v242, v54 neg_lo:[1,1,0]
	v_dot4_i32_iu8 v0, v37, v64, v0 neg_lo:[1,1,0]
	;; [unrolled: 1-line block ×3, first 2 shown]
	v_lshlrev_b32_e32 v37, 16, v50
	v_lshlrev_b32_e32 v64, 8, v66
	v_dot4_i32_iu8 v54, v46, v243, v54 neg_lo:[1,1,0]
	v_dot4_i32_iu8 v0, v46, v65, v0 neg_lo:[1,1,0]
	v_lshlrev_b32_e32 v46, 8, v50
	v_lshlrev_b32_e32 v65, 8, v70
	v_perm_b32 v50, v50, v50, 0xc0c0003
	v_perm_b32 v154, v243, v243, 0x2010003
	s_delay_alu instid0(VALU_DEP_4) | instskip(SKIP_1) | instid1(VALU_DEP_2)
	v_perm_b32 v37, v46, v37, 0x7030c0c
	v_lshlrev_b32_e32 v46, 16, v66
	v_or_b32_e32 v37, v37, v50
	s_delay_alu instid0(VALU_DEP_2) | instskip(SKIP_3) | instid1(VALU_DEP_3)
	v_perm_b32 v46, v64, v46, 0x7030c0c
	v_lshlrev_b32_e32 v64, 16, v70
	v_perm_b32 v50, v66, v66, 0xc0c0003
	v_perm_b32 v66, v74, v74, 0xc0c0003
	;; [unrolled: 1-line block ×3, first 2 shown]
	v_lshlrev_b32_e32 v65, 16, v68
	s_delay_alu instid0(VALU_DEP_4) | instskip(SKIP_1) | instid1(VALU_DEP_3)
	v_or_b32_e32 v46, v46, v50
	v_perm_b32 v50, v70, v70, 0xc0c0003
	v_perm_b32 v65, v163, v65, 0x7030c0c
	v_lshlrev_b32_e32 v163, 16, v72
	s_delay_alu instid0(VALU_DEP_3)
	v_or_b32_e32 v50, v64, v50
	v_perm_b32 v64, v68, v68, 0xc0c0003
	v_perm_b32 v68, v21, v21, 0x2010003
	v_dot4_i32_iu8 v98, v46, v154, v98 neg_lo:[1,1,0]
	v_perm_b32 v163, v164, v163, 0x7030c0c
	v_lshlrev_b32_e32 v164, 16, v74
	v_or_b32_e32 v64, v65, v64
	v_perm_b32 v65, v72, v72, 0xc0c0003
	v_dot4_i32_iu8 v70, v37, v68, v148 neg_lo:[1,1,0]
	v_dot4_i32_iu8 v72, v37, v154, v149 neg_lo:[1,1,0]
	v_perm_b32 v164, v165, v164, 0x7030c0c
	v_lshlrev_b32_e32 v165, 16, v42
	v_perm_b32 v42, v42, v42, 0xc0c0003
	v_or_b32_e32 v65, v163, v65
	v_dot4_i32_iu8 v37, v37, v158, v39 neg_lo:[1,1,0]
	v_or_b32_e32 v66, v164, v66
	v_perm_b32 v165, v166, v165, 0x7030c0c
	v_dot4_i32_iu8 v39, v46, v68, v151 neg_lo:[1,1,0]
	v_dot4_i32_iu8 v74, v46, v35, v128 neg_lo:[1,1,0]
	;; [unrolled: 1-line block ×4, first 2 shown]
	v_or_b32_e32 v42, v165, v42
	v_dot4_i32_iu8 v78, v50, v35, v99 neg_lo:[1,1,0]
	v_dot4_i32_iu8 v99, v50, v154, v139 neg_lo:[1,1,0]
	v_dot4_i32_iu8 v50, v50, v158, v76 neg_lo:[1,1,0]
	v_dot4_i32_iu8 v76, v64, v68, v107 neg_lo:[1,1,0]
	v_dot4_i32_iu8 v107, v64, v35, v140 neg_lo:[1,1,0]
	v_dot4_i32_iu8 v128, v64, v154, v141 neg_lo:[1,1,0]
	v_dot4_i32_iu8 v57, v64, v158, v57 neg_lo:[1,1,0]
	v_dot4_i32_iu8 v64, v65, v68, v142 neg_lo:[1,1,0]
	v_dot4_i32_iu8 v139, v65, v35, v143 neg_lo:[1,1,0]
	v_dot4_i32_iu8 v140, v65, v154, v144 neg_lo:[1,1,0]
	v_dot4_i32_iu8 v59, v65, v158, v59 neg_lo:[1,1,0]
	v_dot4_i32_iu8 v65, v66, v68, v145 neg_lo:[1,1,0]
	v_dot4_i32_iu8 v141, v66, v35, v146 neg_lo:[1,1,0]
	v_dot4_i32_iu8 v142, v66, v154, v147 neg_lo:[1,1,0]
	v_dot4_i32_iu8 v61, v66, v158, v61 neg_lo:[1,1,0]
	v_dot4_i32_iu8 v63, v42, v68, v63 neg_lo:[1,1,0]
	v_dot4_i32_iu8 v35, v42, v35, v150 neg_lo:[1,1,0]
	v_dot4_i32_iu8 v66, v42, v154, v152 neg_lo:[1,1,0]
	v_dot4_i32_iu8 v17, v42, v158, v17 neg_lo:[1,1,0]
	v_lshlrev_b32_e32 v42, 16, v55
	v_lshlrev_b32_e32 v68, 8, v55
	;; [unrolled: 1-line block ×14, first 2 shown]
	v_perm_b32 v55, v55, v55, 0xc0c0003
	v_perm_b32 v79, v79, v79, 0xc0c0003
	;; [unrolled: 1-line block ×14, first 2 shown]
	v_or_b32_e32 v42, v42, v55
	v_or_b32_e32 v55, v68, v79
	;; [unrolled: 1-line block ×7, first 2 shown]
	v_perm_b32 v145, v22, v22, 0x2010003
	v_perm_b32 v146, v244, v244, 0x2010003
	s_wait_dscnt 0x1
	v_perm_b32 v147, v250, v250, 0x2010003
	v_lshlrev_b32_e32 v148, 16, v73
	v_lshlrev_b32_e32 v149, 8, v73
	v_dot4_i32_iu8 v70, v42, v145, v70 neg_lo:[1,1,0]
	v_dot4_i32_iu8 v72, v42, v146, v72 neg_lo:[1,1,0]
	;; [unrolled: 1-line block ×3, first 2 shown]
	v_perm_b32 v42, v44, v44, 0x2010003
	v_dot4_i32_iu8 v39, v55, v145, v39 neg_lo:[1,1,0]
	v_dot4_i32_iu8 v98, v55, v146, v98 neg_lo:[1,1,0]
	;; [unrolled: 1-line block ×19, first 2 shown]
	v_perm_b32 v66, v49, v231, 0x7030c0c
	v_lshlrev_b32_e32 v49, 24, v49
	v_perm_b32 v139, v47, v230, 0x7030c0c
	v_lshlrev_b32_e32 v47, 24, v47
	v_dot4_i32_iu8 v65, v143, v145, v65 neg_lo:[1,1,0]
	v_dot4_i32_iu8 v128, v143, v146, v142 neg_lo:[1,1,0]
	v_perm_b32 v158, v229, v49, 0xc0c0703
	v_dot4_i32_iu8 v61, v143, v147, v61 neg_lo:[1,1,0]
	v_dot4_i32_iu8 v63, v144, v145, v63 neg_lo:[1,1,0]
	;; [unrolled: 1-line block ×3, first 2 shown]
	v_lshlrev_b32_e32 v140, 16, v51
	v_or_b32_e32 v66, v66, v158
	v_perm_b32 v158, v228, v47, 0xc0c0703
	v_lshlrev_b32_e32 v141, 8, v51
	v_lshlrev_b32_e32 v142, 16, v67
	v_lshlrev_b32_e32 v143, 8, v67
	v_lshlrev_b32_e32 v144, 16, v71
	v_lshlrev_b32_e32 v145, 8, v71
	v_lshlrev_b32_e32 v146, 16, v69
	v_lshlrev_b32_e32 v147, 8, v69
	v_lshlrev_b32_e32 v150, 16, v75
	v_lshlrev_b32_e32 v151, 8, v75
	v_lshlrev_b32_e32 v152, 16, v43
	v_lshlrev_b32_e32 v154, 8, v43
	v_or_b32_e32 v139, v139, v158
	v_dot4_i32_iu8 v54, v66, v244, v54 neg_lo:[1,1,0]
	v_dot4_i32_iu8 v155, v66, v250, v155 neg_lo:[1,1,0]
	;; [unrolled: 1-line block ×3, first 2 shown]
	v_perm_b32 v51, v51, v51, 0xc0c0003
	v_perm_b32 v67, v67, v67, 0xc0c0003
	;; [unrolled: 1-line block ×7, first 2 shown]
	v_dot4_i32_iu8 v54, v139, v245, v54 neg_lo:[1,1,0]
	v_dot4_i32_iu8 v155, v139, v251, v155 neg_lo:[1,1,0]
	;; [unrolled: 1-line block ×3, first 2 shown]
	v_perm_b32 v44, v45, v45, 0x2010003
	v_perm_b32 v45, v141, v140, 0x7030c0c
	;; [unrolled: 1-line block ×10, first 2 shown]
	v_or_b32_e32 v45, v45, v51
	v_or_b32_e32 v51, v66, v67
	;; [unrolled: 1-line block ×7, first 2 shown]
	v_perm_b32 v73, v23, v23, 0x2010003
	v_dot4_i32_iu8 v72, v45, v158, v72 neg_lo:[1,1,0]
	v_dot4_i32_iu8 v37, v45, v163, v37 neg_lo:[1,1,0]
	;; [unrolled: 1-line block ×27, first 2 shown]
	v_lshlrev_b32_e32 v43, 16, v38
	v_lshlrev_b32_e32 v44, 8, v38
	;; [unrolled: 1-line block ×10, first 2 shown]
	v_perm_b32 v38, v38, v38, 0xc0c0003
	v_perm_b32 v40, v40, v40, 0xc0c0003
	;; [unrolled: 1-line block ×3, first 2 shown]
	v_lshlrev_b32_e32 v107, 16, v58
	v_lshlrev_b32_e32 v128, 8, v58
	v_perm_b32 v60, v60, v60, 0xc0c0003
	v_lshlrev_b32_e32 v141, 16, v62
	v_lshlrev_b32_e32 v142, 8, v62
	v_perm_b32 v43, v44, v43, 0x7030c0c
	v_perm_b32 v44, v73, v71, 0x7030c0c
	;; [unrolled: 1-line block ×10, first 2 shown]
	v_or_b32_e32 v38, v43, v38
	v_or_b32_e32 v40, v44, v40
	v_or_b32_e32 v44, v73, v56
	v_or_b32_e32 v56, v79, v60
	v_perm_b32 v60, v24, v24, 0x2010003
	v_or_b32_e32 v43, v71, v52
	v_or_b32_e32 v52, v78, v58
	;; [unrolled: 1-line block ×3, first 2 shown]
	v_perm_b32 v21, v23, v22, 0xc0c0400
	v_dot4_i32_iu8 v62, v38, v60, v70 neg_lo:[1,1,0]
	v_perm_b32 v70, v246, v246, 0x2010003
	v_dot4_i32_iu8 v78, v40, v60, v39 neg_lo:[1,1,0]
	v_dot4_i32_iu8 v99, v43, v60, v46 neg_lo:[1,1,0]
	;; [unrolled: 1-line block ×5, first 2 shown]
	s_wait_dscnt 0x0
	v_perm_b32 v72, v252, v252, 0x2010003
	v_dot4_i32_iu8 v76, v52, v70, v76 neg_lo:[1,1,0]
	v_dot4_i32_iu8 v74, v40, v70, v74 neg_lo:[1,1,0]
	;; [unrolled: 1-line block ×5, first 2 shown]
	v_perm_b32 v37, v32, v32, 0x2010003
	v_dot4_i32_iu8 v17, v58, v72, v17 neg_lo:[1,1,0]
	v_dot4_i32_iu8 v98, v40, v72, v41 neg_lo:[1,1,0]
	;; [unrolled: 1-line block ×13, first 2 shown]
	v_lshlrev_b32_e32 v58, 24, v36
	v_perm_b32 v35, v36, v225, 0x7030c0c
	v_lshlrev_b32_e32 v72, 24, v29
	v_perm_b32 v29, v29, v224, 0x7030c0c
	v_dot4_i32_iu8 v79, v40, v37, v45 neg_lo:[1,1,0]
	v_perm_b32 v36, v227, v58, 0xc0c0703
	v_dot4_i32_iu8 v51, v43, v37, v51 neg_lo:[1,1,0]
	v_dot4_i32_iu8 v68, v44, v37, v68 neg_lo:[1,1,0]
	v_perm_b32 v22, v25, v24, 0x4000c0c
	v_perm_b32 v23, v48, v156, 0x7030c0c
	v_or_b32_e32 v70, v35, v36
	v_perm_b32 v35, v226, v72, 0xc0c0703
	v_lshlrev_b32_e32 v36, 8, v31
	v_or_b32_e32 v21, v22, v21
	v_perm_b32 v22, v47, v49, 0xc0c0703
	v_dot4_i32_iu8 v0, v70, v32, v0 neg_lo:[1,1,0]
	v_or_b32_e32 v29, v29, v35
	v_dot4_i32_iu8 v35, v70, v246, v54 neg_lo:[1,1,0]
	v_perm_b32 v24, v72, v58, 0x7030c0c
	v_or_b32_e32 v23, v23, v28
	v_perm_b32 v77, v247, v247, 0x2010003
	v_dot4_i32_iu8 v0, v29, v33, v0 neg_lo:[1,1,0]
	v_dot4_i32_iu8 v54, v29, v247, v35 neg_lo:[1,1,0]
	;; [unrolled: 1-line block ×3, first 2 shown]
	v_or_b32_e32 v22, v24, v22
	v_dot4_i32_iu8 v20, v23, v20, 0 neg_lo:[1,1,0]
	v_add_nc_u32_e32 v24, v218, v211
	v_perm_b32 v128, v253, v253, 0x2010003
	v_dot4_i32_iu8 v107, v29, v253, v35 neg_lo:[1,1,0]
	v_lshlrev_b32_e32 v35, 16, v31
	v_bfe_i32 v29, v33, 16, 8
	v_dot4_i32_iu8 v20, v22, v21, v20 neg_lo:[1,1,0]
	v_add3_u32 v21, v219, v212, v220
	v_add3_u32 v22, v213, v214, v221
	v_perm_b32 v139, v36, v35, 0x7030c0c
	v_add_nc_u32_e32 v35, 0x800, v172
	v_add3_u32 v20, v20, v217, v24
	v_cvt_f32_i32_e32 v0, v0
	ds_load_2addr_b32 v[35:36], v35 offset1:7
	v_cvt_f32_i32_e32 v20, v20
	v_fma_mix_f32 v0, v199, v0, v199 op_sel:[0,0,1] op_sel_hi:[1,0,1]
	s_delay_alu instid0(VALU_DEP_2) | instskip(NEXT) | instid1(VALU_DEP_2)
	v_fma_mix_f32 v20, v203, v20, v203 op_sel:[0,0,1] op_sel_hi:[1,0,1]
	v_add_f32_e32 v131, v131, v0
	s_delay_alu instid0(VALU_DEP_2) | instskip(SKIP_1) | instid1(VALU_DEP_1)
	v_add_f32_e32 v100, v100, v20
	v_cvt_f32_i32_e32 v20, v54
	v_fma_mix_f32 v20, v202, v20, v202 op_sel:[0,0,1] op_sel_hi:[1,0,1]
	s_wait_dscnt 0x0
	v_lshlrev_b32_e32 v37, 16, v36
	v_lshlrev_b32_e32 v38, 8, v36
	v_perm_b32 v36, v36, v36, 0xc0c0003
	v_add_f32_e32 v124, v124, v20
	s_delay_alu instid0(VALU_DEP_3) | instskip(SKIP_1) | instid1(VALU_DEP_2)
	v_perm_b32 v140, v38, v37, 0x7030c0c
	v_add_nc_u32_e32 v37, 0xc00, v172
	v_or_b32_e32 v36, v140, v36
	ds_load_2addr_b32 v[37:38], v37 offset1:7
	v_perm_b32 v140, v25, v25, 0x2010003
	v_dot4_i32_iu8 v74, v36, v77, v74 neg_lo:[1,1,0]
	s_delay_alu instid0(VALU_DEP_2) | instskip(SKIP_4) | instid1(VALU_DEP_2)
	v_dot4_i32_iu8 v78, v36, v140, v78 neg_lo:[1,1,0]
	s_wait_dscnt 0x0
	v_lshlrev_b32_e32 v39, 16, v38
	v_lshlrev_b32_e32 v40, 8, v38
	v_perm_b32 v38, v38, v38, 0xc0c0003
	v_perm_b32 v141, v40, v39, 0x7030c0c
	v_add_nc_u32_e32 v39, 0x1000, v172
	s_delay_alu instid0(VALU_DEP_2) | instskip(SKIP_2) | instid1(VALU_DEP_1)
	v_or_b32_e32 v38, v141, v38
	ds_load_2addr_b32 v[39:40], v39 offset1:7
	v_dot4_i32_iu8 v55, v38, v77, v55 neg_lo:[1,1,0]
	v_dot4_i32_iu8 v55, v37, v53, v55 neg_lo:[1,1,0]
	s_wait_dscnt 0x0
	v_lshlrev_b32_e32 v41, 16, v40
	v_lshlrev_b32_e32 v42, 8, v40
	v_perm_b32 v40, v40, v40, 0xc0c0003
	s_delay_alu instid0(VALU_DEP_2) | instskip(SKIP_1) | instid1(VALU_DEP_2)
	v_perm_b32 v142, v42, v41, 0x7030c0c
	v_add_nc_u32_e32 v41, 0x1400, v172
	v_or_b32_e32 v40, v142, v40
	ds_load_2addr_b32 v[41:42], v41 offset1:7
	s_wait_dscnt 0x0
	v_lshlrev_b32_e32 v43, 16, v42
	v_lshlrev_b32_e32 v44, 8, v42
	v_perm_b32 v42, v42, v42, 0xc0c0003
	s_delay_alu instid0(VALU_DEP_2) | instskip(SKIP_1) | instid1(VALU_DEP_2)
	v_perm_b32 v143, v44, v43, 0x7030c0c
	v_add_nc_u32_e32 v43, 0x1800, v172
	v_or_b32_e32 v42, v143, v42
	ds_load_2addr_b32 v[43:44], v43 offset1:7
	s_wait_dscnt 0x0
	v_lshlrev_b32_e32 v45, 16, v44
	v_lshlrev_b32_e32 v46, 8, v44
	v_perm_b32 v44, v44, v44, 0xc0c0003
	s_delay_alu instid0(VALU_DEP_2) | instskip(SKIP_2) | instid1(VALU_DEP_3)
	v_perm_b32 v144, v46, v45, 0x7030c0c
	v_add_nc_u32_e32 v45, 0x1c00, v172
	v_add_nc_u32_e32 v172, 32, v172
	v_or_b32_e32 v44, v144, v44
	ds_load_2addr_b32 v[45:46], v45 offset1:7
	s_wait_dscnt 0x0
	v_lshlrev_b32_e32 v145, 16, v46
	v_lshlrev_b32_e32 v146, 8, v46
	v_perm_b32 v46, v46, v46, 0xc0c0003
	s_delay_alu instid0(VALU_DEP_2) | instskip(SKIP_2) | instid1(VALU_DEP_3)
	v_perm_b32 v145, v146, v145, 0x7030c0c
	v_perm_b32 v146, v31, v31, 0xc0c0003
	v_bfe_i32 v31, v31, 16, 8
	v_or_b32_e32 v46, v145, v46
	s_delay_alu instid0(VALU_DEP_3) | instskip(NEXT) | instid1(VALU_DEP_3)
	v_or_b32_e32 v139, v139, v146
	v_mul_i32_i24_e32 v29, v31, v29
	s_delay_alu instid0(VALU_DEP_3) | instskip(NEXT) | instid1(VALU_DEP_3)
	v_dot4_i32_iu8 v17, v46, v128, v17 neg_lo:[1,1,0]
	v_dot4_i32_iu8 v62, v139, v140, v62 neg_lo:[1,1,0]
	s_delay_alu instid0(VALU_DEP_3)
	v_add3_u32 v29, v215, v216, v29
	v_dot4_i32_iu8 v71, v139, v77, v71 neg_lo:[1,1,0]
	v_dot4_i32_iu8 v73, v139, v128, v73 neg_lo:[1,1,0]
	v_perm_b32 v139, v33, v33, 0x2010003
	v_dot4_i32_iu8 v17, v45, v240, v17 neg_lo:[1,1,0]
	v_add3_u32 v23, v222, v223, v29
	v_cvt_f32_i32_e32 v29, v55
	s_delay_alu instid0(VALU_DEP_4) | instskip(SKIP_1) | instid1(VALU_DEP_4)
	v_dot4_i32_iu8 v79, v36, v139, v79 neg_lo:[1,1,0]
	v_dot4_i32_iu8 v36, v36, v128, v98 neg_lo:[1,1,0]
	v_add3_u32 v21, v21, v22, v23
	v_dot4_i32_iu8 v98, v38, v140, v99 neg_lo:[1,1,0]
	v_dot4_i32_iu8 v51, v38, v139, v51 neg_lo:[1,1,0]
	;; [unrolled: 1-line block ×4, first 2 shown]
	v_cvt_f32_i32_e32 v21, v21
	v_dot4_i32_iu8 v66, v40, v139, v68 neg_lo:[1,1,0]
	v_dot4_i32_iu8 v68, v40, v77, v75 neg_lo:[1,1,0]
	;; [unrolled: 1-line block ×4, first 2 shown]
	v_fma_mix_f32 v21, v206, v21, v206 op_sel:[0,0,1] op_sel_hi:[1,0,1]
	v_dot4_i32_iu8 v64, v42, v139, v67 neg_lo:[1,1,0]
	v_dot4_i32_iu8 v67, v42, v77, v76 neg_lo:[1,1,0]
	;; [unrolled: 1-line block ×10, first 2 shown]
	v_add_f32_e32 v120, v120, v21
	v_cvt_f32_i32_e32 v21, v107
	v_dot4_i32_iu8 v46, v26, v35, v78 neg_lo:[1,1,0]
	v_dot4_i32_iu8 v63, v34, v35, v79 neg_lo:[1,1,0]
	;; [unrolled: 1-line block ×25, first 2 shown]
	v_fma_mix_f32 v21, v200, v21, v200 op_sel:[0,0,1] op_sel_hi:[1,0,1]
	v_cvt_f32_i32_e32 v0, v44
	v_cvt_f32_i32_e32 v20, v56
	;; [unrolled: 1-line block ×4, first 2 shown]
	v_add_f32_e32 v123, v123, v21
	v_cvt_f32_i32_e32 v21, v30
	v_cvt_f32_i32_e32 v24, v69
	;; [unrolled: 1-line block ×22, first 2 shown]
	v_fma_mix_f32 v0, v197, v0, v197 op_sel:[0,0,1] op_sel_hi:[1,0,1]
	v_fma_mix_f32 v20, v198, v20, v198 op_sel:[0,0,1] op_sel_hi:[1,0,1]
	;; [unrolled: 1-line block ×27, first 2 shown]
	v_add_f32_e32 v121, v121, v0
	v_dual_add_f32 v119, v119, v20 :: v_dual_add_f32 v118, v118, v21
	v_dual_add_f32 v111, v111, v22 :: v_dual_add_f32 v106, v106, v23
	;; [unrolled: 1-line block ×11, first 2 shown]
	v_add_f32_e32 v83, v83, v26
	v_dual_add_f32 v82, v82, v34 :: v_dual_add_f32 v81, v81, v44
	v_add_f32_e32 v80, v80, v17
	s_cbranch_scc1 .LBB164_8
; %bb.9:                                ;   in Loop: Header=BB164_6 Depth=1
	s_and_b32 s10, s7, -4
	s_wait_loadcnt 0x0
	s_wait_alu 0xfffe
	s_cmp_eq_u32 s10, 4
	s_barrier_signal -1
	s_barrier_wait -1
	global_inv scope:SCOPE_SE
	s_cbranch_scc1 .LBB164_5
; %bb.10:                               ;   in Loop: Header=BB164_6 Depth=1
	s_clause 0x3
	scratch_load_b32 v0, off, off offset:88
	scratch_load_b32 v17, off, off offset:4
	;; [unrolled: 1-line block ×4, first 2 shown]
	v_add_nc_u32_e32 v36, 4, v171
	s_mov_b32 s10, 12
	scratch_load_b32 v28, off, off offset:32 ; 4-byte Folded Reload
	v_mov_b32_e32 v172, v153
	v_mad_co_u64_u32 v[36:37], null, v36, 36, s[2:3]
	s_wait_loadcnt 0x4
	v_add_nc_u32_e32 v0, s4, v0
	s_wait_loadcnt 0x2
	s_delay_alu instid0(VALU_DEP_1)
	v_add_nc_u32_e32 v22, v0, v20
	scratch_load_b32 v20, off, off offset:12 ; 4-byte Folded Reload
	v_add_nc_u32_e32 v17, v0, v17
	s_wait_loadcnt 0x1
	v_add_nc_u32_e32 v30, v0, v28
	v_mad_co_i64_i32 v[22:23], null, v22, 36, v[18:19]
	s_wait_loadcnt 0x0
	v_add_nc_u32_e32 v24, v0, v20
	scratch_load_b32 v20, off, off offset:16 ; 4-byte Folded Reload
	v_mad_co_i64_i32 v[24:25], null, v24, 36, v[18:19]
	s_wait_loadcnt 0x0
	v_add_nc_u32_e32 v26, v0, v20
	v_mad_co_i64_i32 v[20:21], null, v17, 36, v[18:19]
	scratch_load_b32 v17, off, off offset:20 ; 4-byte Folded Reload
	v_mad_co_i64_i32 v[26:27], null, v26, 36, v[18:19]
	s_wait_loadcnt 0x0
	v_add_nc_u32_e32 v17, v0, v17
	s_delay_alu instid0(VALU_DEP_1)
	v_mad_co_i64_i32 v[28:29], null, v17, 36, v[18:19]
	scratch_load_b32 v17, off, off offset:24 ; 4-byte Folded Reload
	s_wait_loadcnt 0x0
	v_add_nc_u32_e32 v17, v0, v17
	v_add_nc_u32_e32 v0, v0, v31
	v_mad_co_i64_i32 v[30:31], null, v30, 36, v[18:19]
	s_delay_alu instid0(VALU_DEP_3) | instskip(NEXT) | instid1(VALU_DEP_3)
	v_mad_co_i64_i32 v[32:33], null, v17, 36, v[18:19]
	v_mad_co_i64_i32 v[34:35], null, v0, 36, v[18:19]
	s_clause 0x8
	global_load_b32 v0, v[30:31], off offset:4
	global_load_b32 v17, v[20:21], off offset:4
	;; [unrolled: 1-line block ×8, first 2 shown]
	global_load_b32 v26, v[36:37], off
	s_clause 0x5
	scratch_load_b32 v171, off, off offset:36
	scratch_load_b32 v173, off, off offset:108
	;; [unrolled: 1-line block ×6, first 2 shown]
	s_wait_loadcnt 0xe
	ds_store_b32 v170, v0
	scratch_load_b32 v0, off, off offset:40 ; 4-byte Folded Reload
	s_wait_loadcnt 0x0
	ds_store_b32 v0, v17
	scratch_load_b32 v0, off, off offset:44 ; 4-byte Folded Reload
	;; [unrolled: 3-line block ×4, first 2 shown]
	s_wait_loadcnt 0x0
	ds_store_b32 v0, v22
	ds_store_b32 v167, v23
	;; [unrolled: 1-line block ×4, first 2 shown]
	scratch_load_b32 v0, off, off           ; 4-byte Folded Reload
	s_wait_loadcnt 0x0
	ds_store_b32 v0, v26
	s_wait_dscnt 0x0
	s_barrier_signal -1
	s_barrier_wait -1
	global_inv scope:SCOPE_SE
.LBB164_11:                             ;   Parent Loop BB164_6 Depth=1
                                        ; =>  This Inner Loop Header: Depth=2
	ds_load_2addr_b32 v[20:21], v171 offset1:32
	ds_load_b32 v25, v174
	ds_load_b32 v24, v175
	;; [unrolled: 1-line block ×4, first 2 shown]
	v_add_nc_u32_e32 v33, 0x2090, v173
	v_add_nc_u32_e32 v38, 0x2098, v173
	;; [unrolled: 1-line block ×10, first 2 shown]
	s_wait_alu 0xfffe
	s_add_co_i32 s10, s10, 4
	s_wait_alu 0xfffe
	s_cmp_lt_u32 s10, 28
	s_wait_dscnt 0x3
	v_pk_mul_f16 v202, v20, v25
	s_wait_dscnt 0x2
	v_pk_mul_f16 v198, v20, v24
	;; [unrolled: 2-line block ×4, first 2 shown]
	v_pk_mul_f16 v196, v25, v21
	v_pk_mul_f16 v205, v24, v21
	;; [unrolled: 1-line block ×4, first 2 shown]
	ds_load_2addr_b32 v[20:21], v171 offset0:64 offset1:96
	s_wait_dscnt 0x0
	v_pk_mul_f16 v195, v25, v20
	v_pk_mul_f16 v193, v24, v20
	;; [unrolled: 1-line block ×8, first 2 shown]
	ds_load_2addr_b32 v[20:21], v171 offset0:128 offset1:160
	s_wait_dscnt 0x0
	v_pk_mul_f16 v187, v25, v20
	v_pk_mul_f16 v185, v24, v20
	;; [unrolled: 1-line block ×8, first 2 shown]
	ds_load_2addr_b32 v[20:21], v171 offset0:192 offset1:224
	v_add_nc_u32_e32 v171, 4, v171
	s_wait_dscnt 0x0
	v_pk_mul_f16 v179, v25, v20
	v_pk_mul_f16 v200, v25, v21
	;; [unrolled: 1-line block ×8, first 2 shown]
	ds_load_2addr_b32 v[28:29], v172 offset1:7
	ds_load_2addr_b32 v[26:27], v173 offset1:1
	ds_load_2addr_b32 v[20:21], v173 offset0:2 offset1:3
	ds_load_2addr_b32 v[22:23], v173 offset0:4 offset1:5
	;; [unrolled: 1-line block ×3, first 2 shown]
	s_wait_dscnt 0x4
	v_lshlrev_b32_e32 v223, 8, v29
	s_wait_dscnt 0x3
	v_perm_b32 v0, v28, v27, 0xc0c0703
	s_wait_dscnt 0x2
	v_perm_b32 v17, v21, v20, 0x7030c0c
	v_lshlrev_b32_e32 v225, 16, v29
	s_wait_dscnt 0x0
	v_perm_b32 v31, v25, v24, 0x7030c0c
	s_delay_alu instid0(VALU_DEP_3)
	v_or_b32_e32 v30, v17, v0
	v_add_nc_u32_e32 v0, 0x1c14, v172
	ds_load_2addr_b32 v[42:43], v0 offset1:1
	ds_load_2addr_b32 v[36:37], v172 offset0:3 offset1:4
	ds_load_2addr_b32 v[46:47], v172 offset0:5 offset1:6
	;; [unrolled: 1-line block ×3, first 2 shown]
	s_wait_dscnt 0x2
	v_perm_b32 v0, v26, v37, 0xc0c0703
	v_perm_b32 v32, v29, v36, 0x7030c0c
	s_wait_dscnt 0x0
	v_perm_b32 v17, v46, v48, 0x7030c0c
	v_lshlrev_b32_e32 v98, 8, v48
	v_lshlrev_b32_e32 v99, 8, v46
	;; [unrolled: 1-line block ×4, first 2 shown]
	v_or_b32_e32 v0, v17, v0
	v_perm_b32 v17, v23, v22, 0xc0c0703
	v_lshlrev_b32_e32 v229, 8, v47
	v_perm_b32 v61, v26, v107, 0xc0c0603
	v_lshlrev_b32_e32 v224, 8, v36
	v_dot4_i32_iu8 v0, v0, v30, 0 neg_lo:[1,1,0]
	v_or_b32_e32 v17, v31, v17
	v_perm_b32 v31, v47, v49, 0xc0c0703
	v_lshlrev_b32_e32 v128, 16, v48
	v_perm_b32 v62, v223, v224, 0x7030c0c
	v_lshlrev_b32_e32 v139, 16, v46
	v_lshlrev_b32_e32 v140, 16, v37
	v_or_b32_e32 v31, v32, v31
	v_add_nc_u32_e32 v32, 0x2088, v173
	v_lshlrev_b32_e32 v228, 16, v49
	v_lshlrev_b32_e32 v227, 16, v47
	;; [unrolled: 1-line block ×3, first 2 shown]
	v_dot4_i32_iu8 v210, v31, v17, v0 neg_lo:[1,1,0]
	v_add_nc_u32_e32 v0, 0x2080, v173
	v_add_nc_u32_e32 v17, 0x400, v172
	ds_load_2addr_b32 v[34:35], v0 offset1:1
	ds_load_2addr_b32 v[30:31], v17 offset1:7
	;; [unrolled: 1-line block ×5, first 2 shown]
	v_perm_b32 v107, v37, v107, 0x7030c0c
	s_wait_dscnt 0x4
	v_bfe_i32 v0, v34, 16, 8
	s_wait_dscnt 0x3
	v_bfe_i32 v17, v30, 16, 8
	v_bfe_i32 v38, v30, 0, 8
	v_lshrrev_b16 v39, 8, v30
	s_delay_alu instid0(VALU_DEP_3) | instskip(SKIP_1) | instid1(VALU_DEP_3)
	v_mul_i32_i24_e32 v0, v17, v0
	v_bfe_i32 v17, v34, 0, 8
	v_bfe_i32 v39, v39, 0, 8
	s_delay_alu instid0(VALU_DEP_2) | instskip(SKIP_2) | instid1(VALU_DEP_1)
	v_mad_i32_i24 v0, v38, v17, v0
	v_ashrrev_i32_e32 v17, 24, v34
	v_ashrrev_i32_e32 v38, 24, v30
	v_mul_i32_i24_e32 v17, v38, v17
	v_lshrrev_b16 v38, 8, v34
	s_delay_alu instid0(VALU_DEP_1) | instskip(NEXT) | instid1(VALU_DEP_1)
	v_bfe_i32 v38, v38, 0, 8
	v_mad_i32_i24 v17, v39, v38, v17
	v_add_nc_u32_e32 v38, 0x40c, v172
	ds_load_2addr_b32 v[38:39], v38 offset1:1
	ds_load_2addr_b32 v[54:55], v40 offset1:1
	;; [unrolled: 1-line block ×4, first 2 shown]
	v_bfe_i32 v52, v35, 8, 8
	s_wait_dscnt 0x3
	v_bfe_i32 v53, v39, 8, 8
	v_ashrrev_i32_e32 v56, 24, v39
	s_wait_dscnt 0x2
	v_bfe_i32 v57, v54, 16, 8
	s_wait_dscnt 0x1
	v_bfe_i32 v58, v51, 0, 8
	v_bfe_i32 v59, v38, 0, 8
	v_mul_i32_i24_e32 v52, v53, v52
	v_ashrrev_i32_e32 v53, 24, v35
	v_bfe_i32 v60, v38, 16, 8
	s_delay_alu instid0(VALU_DEP_2) | instskip(SKIP_3) | instid1(VALU_DEP_2)
	v_mad_i32_i24 v211, v56, v53, v52
	v_bfe_i32 v52, v64, 8, 8
	v_bfe_i32 v53, v54, 8, 8
	;; [unrolled: 1-line block ×3, first 2 shown]
	v_mul_i32_i24_e32 v52, v53, v52
	v_bfe_i32 v53, v64, 0, 8
	s_delay_alu instid0(VALU_DEP_1) | instskip(SKIP_2) | instid1(VALU_DEP_1)
	v_mad_i32_i24 v52, v56, v53, v52
	v_ashrrev_i32_e32 v53, 24, v65
	v_ashrrev_i32_e32 v56, 24, v50
	v_mul_i32_i24_e32 v53, v56, v53
	v_bfe_i32 v56, v64, 16, 8
	s_delay_alu instid0(VALU_DEP_1) | instskip(SKIP_3) | instid1(VALU_DEP_2)
	v_mad_i32_i24 v212, v57, v56, v53
	v_bfe_i32 v53, v65, 8, 8
	v_bfe_i32 v56, v50, 8, 8
	;; [unrolled: 1-line block ×3, first 2 shown]
	v_mul_i32_i24_e32 v53, v56, v53
	v_bfe_i32 v56, v65, 0, 8
	s_delay_alu instid0(VALU_DEP_1) | instskip(SKIP_3) | instid1(VALU_DEP_2)
	v_mad_i32_i24 v213, v57, v56, v53
	v_bfe_i32 v53, v44, 8, 8
	v_bfe_i32 v56, v55, 8, 8
	v_bfe_i32 v57, v55, 0, 8
	v_mul_i32_i24_e32 v53, v56, v53
	v_bfe_i32 v56, v44, 0, 8
	s_delay_alu instid0(VALU_DEP_1) | instskip(SKIP_2) | instid1(VALU_DEP_1)
	v_mad_i32_i24 v53, v57, v56, v53
	v_bfe_i32 v56, v45, 8, 8
	v_bfe_i32 v57, v51, 8, 8
	v_mul_i32_i24_e32 v56, v57, v56
	v_bfe_i32 v57, v45, 0, 8
	s_delay_alu instid0(VALU_DEP_1) | instskip(SKIP_2) | instid1(VALU_DEP_1)
	v_mad_i32_i24 v56, v58, v57, v56
	v_bfe_i32 v57, v32, 8, 8
	v_bfe_i32 v58, v38, 8, 8
	v_mul_i32_i24_e32 v57, v58, v57
	v_bfe_i32 v58, v32, 0, 8
	s_delay_alu instid0(VALU_DEP_1) | instskip(SKIP_2) | instid1(VALU_DEP_1)
	v_mad_i32_i24 v57, v59, v58, v57
	v_ashrrev_i32_e32 v58, 24, v33
	v_ashrrev_i32_e32 v59, 24, v31
	v_mul_i32_i24_e32 v58, v59, v58
	v_bfe_i32 v59, v32, 16, 8
	s_delay_alu instid0(VALU_DEP_1) | instskip(SKIP_3) | instid1(VALU_DEP_2)
	v_mad_i32_i24 v214, v60, v59, v58
	v_bfe_i32 v58, v33, 8, 8
	v_bfe_i32 v59, v31, 8, 8
	;; [unrolled: 1-line block ×3, first 2 shown]
	v_mul_i32_i24_e32 v58, v59, v58
	v_bfe_i32 v59, v33, 0, 8
	s_delay_alu instid0(VALU_DEP_1) | instskip(SKIP_3) | instid1(VALU_DEP_2)
	v_mad_i32_i24 v215, v60, v59, v58
	v_perm_b32 v58, v28, v27, 0xc0c0602
	v_perm_b32 v59, v21, v20, 0x6020c0c
	;; [unrolled: 1-line block ×3, first 2 shown]
	v_or_b32_e32 v58, v59, v58
	v_perm_b32 v59, v23, v22, 0xc0c0602
	s_delay_alu instid0(VALU_DEP_1) | instskip(SKIP_1) | instid1(VALU_DEP_1)
	v_or_b32_e32 v59, v60, v59
	v_perm_b32 v60, v99, v98, 0x7030c0c
	v_or_b32_e32 v60, v60, v61
	v_perm_b32 v61, v229, v230, 0xc0c0703
	s_delay_alu instid0(VALU_DEP_2) | instskip(NEXT) | instid1(VALU_DEP_2)
	v_dot4_i32_iu8 v58, v60, v58, 0 neg_lo:[1,1,0]
	v_or_b32_e32 v61, v62, v61
	v_perm_b32 v60, v25, v24, 0x5010c0c
	v_perm_b32 v62, v225, v226, 0x7030c0c
	s_delay_alu instid0(VALU_DEP_3) | instskip(SKIP_3) | instid1(VALU_DEP_2)
	v_dot4_i32_iu8 v216, v61, v59, v58 neg_lo:[1,1,0]
	v_perm_b32 v58, v28, v27, 0xc0c0501
	v_perm_b32 v59, v21, v20, 0x5010c0c
	;; [unrolled: 1-line block ×3, first 2 shown]
	v_or_b32_e32 v58, v59, v58
	v_perm_b32 v59, v23, v22, 0xc0c0501
	s_delay_alu instid0(VALU_DEP_1) | instskip(SKIP_1) | instid1(VALU_DEP_1)
	v_or_b32_e32 v59, v60, v59
	v_perm_b32 v60, v139, v128, 0x7030c0c
	v_or_b32_e32 v60, v60, v61
	v_perm_b32 v61, v227, v228, 0xc0c0703
	s_delay_alu instid0(VALU_DEP_2) | instskip(NEXT) | instid1(VALU_DEP_2)
	v_dot4_i32_iu8 v58, v60, v58, 0 neg_lo:[1,1,0]
	v_or_b32_e32 v61, v62, v61
	v_add_nc_u32_e32 v60, 0x1014, v172
	s_delay_alu instid0(VALU_DEP_2) | instskip(SKIP_3) | instid1(VALU_DEP_2)
	v_dot4_i32_iu8 v217, v61, v59, v58 neg_lo:[1,1,0]
	v_bfe_i32 v58, v39, 0, 8
	v_bfe_i32 v59, v35, 0, 8
	v_add_nc_u32_e32 v61, 0x1414, v172
	v_mul_i32_i24_e32 v58, v58, v59
	v_add_nc_u32_e32 v59, 0xc14, v172
	s_delay_alu instid0(VALU_DEP_2) | instskip(SKIP_3) | instid1(VALU_DEP_2)
	v_add3_u32 v218, v0, v17, v58
	v_bfe_i32 v0, v39, 16, 8
	v_bfe_i32 v17, v35, 16, 8
	v_ashrrev_i32_e32 v58, 24, v64
	v_mul_i32_i24_e32 v0, v0, v17
	v_ashrrev_i32_e32 v17, 24, v54
	s_delay_alu instid0(VALU_DEP_1) | instskip(SKIP_1) | instid1(VALU_DEP_2)
	v_mul_i32_i24_e32 v17, v17, v58
	v_add_nc_u32_e32 v58, 0x1004, v172
	v_add3_u32 v219, v0, v17, v52
	v_bfe_i32 v0, v50, 16, 8
	v_bfe_i32 v17, v65, 16, 8
	v_ashrrev_i32_e32 v52, 24, v44
	s_delay_alu instid0(VALU_DEP_2) | instskip(SKIP_1) | instid1(VALU_DEP_1)
	v_mul_i32_i24_e32 v0, v0, v17
	v_ashrrev_i32_e32 v17, 24, v55
	v_mul_i32_i24_e32 v17, v17, v52
	v_ashrrev_i32_e32 v52, 24, v45
	s_delay_alu instid0(VALU_DEP_2) | instskip(SKIP_4) | instid1(VALU_DEP_2)
	v_add3_u32 v220, v0, v17, v53
	v_bfe_i32 v0, v55, 16, 8
	v_bfe_i32 v17, v44, 16, 8
	s_wait_dscnt 0x0
	v_lshlrev_b32_e32 v53, 8, v41
	v_mul_i32_i24_e32 v0, v0, v17
	v_ashrrev_i32_e32 v17, 24, v51
	s_delay_alu instid0(VALU_DEP_1) | instskip(SKIP_1) | instid1(VALU_DEP_2)
	v_mul_i32_i24_e32 v17, v17, v52
	v_ashrrev_i32_e32 v52, 24, v32
	v_add3_u32 v221, v0, v17, v56
	v_bfe_i32 v0, v51, 16, 8
	v_bfe_i32 v17, v45, 16, 8
	v_add_nc_u32_e32 v56, 0x814, v172
	s_delay_alu instid0(VALU_DEP_2) | instskip(SKIP_1) | instid1(VALU_DEP_1)
	v_mul_i32_i24_e32 v0, v0, v17
	v_ashrrev_i32_e32 v17, 24, v38
	v_mul_i32_i24_e32 v17, v17, v52
	v_lshlrev_b32_e32 v52, 8, v54
	s_delay_alu instid0(VALU_DEP_2) | instskip(SKIP_3) | instid1(VALU_DEP_2)
	v_add3_u32 v222, v0, v17, v57
	v_lshlrev_b32_e32 v0, 16, v39
	v_lshlrev_b32_e32 v17, 8, v39
	v_perm_b32 v39, v39, v39, 0xc0c0003
	v_perm_b32 v0, v17, v0, 0x7030c0c
	v_lshlrev_b32_e32 v17, 16, v54
	s_delay_alu instid0(VALU_DEP_2) | instskip(NEXT) | instid1(VALU_DEP_2)
	v_or_b32_e32 v0, v0, v39
	v_perm_b32 v17, v52, v17, 0x7030c0c
	v_lshlrev_b32_e32 v52, 16, v41
	v_perm_b32 v39, v54, v54, 0xc0c0003
	s_delay_alu instid0(VALU_DEP_2)
	v_perm_b32 v141, v53, v52, 0x7030c0c
	v_add_nc_u32_e32 v52, 0x804, v172
	v_add_nc_u32_e32 v53, 0xc04, v172
	ds_load_2addr_b32 v[78:79], v52 offset1:1
	ds_load_2addr_b32 v[76:77], v53 offset1:1
	ds_load_2addr_b32 v[66:67], v56 offset1:1
	v_or_b32_e32 v17, v17, v39
	v_perm_b32 v39, v41, v41, 0xc0c0003
	s_delay_alu instid0(VALU_DEP_1) | instskip(SKIP_4) | instid1(VALU_DEP_2)
	v_or_b32_e32 v39, v141, v39
	s_wait_dscnt 0x2
	v_lshlrev_b32_e32 v52, 16, v78
	v_lshlrev_b32_e32 v53, 8, v78
	v_perm_b32 v41, v78, v78, 0xc0c0003
	v_perm_b32 v142, v53, v52, 0x7030c0c
	v_add_nc_u32_e32 v52, 0xc0c, v172
	s_delay_alu instid0(VALU_DEP_2)
	v_or_b32_e32 v41, v142, v41
	ds_load_2addr_b32 v[52:53], v52 offset1:1
	s_wait_dscnt 0x0
	v_lshlrev_b32_e32 v56, 16, v53
	v_lshlrev_b32_e32 v57, 8, v53
	v_perm_b32 v53, v53, v53, 0xc0c0003
	s_delay_alu instid0(VALU_DEP_2) | instskip(SKIP_2) | instid1(VALU_DEP_3)
	v_perm_b32 v143, v57, v56, 0x7030c0c
	v_lshlrev_b32_e32 v56, 16, v76
	v_lshlrev_b32_e32 v57, 8, v76
	v_or_b32_e32 v78, v143, v53
	v_perm_b32 v53, v76, v76, 0xc0c0003
	s_delay_alu instid0(VALU_DEP_3)
	v_perm_b32 v144, v57, v56, 0x7030c0c
	v_add_nc_u32_e32 v56, 0x100c, v172
	ds_load_2addr_b32 v[56:57], v56 offset1:1
	ds_load_2addr_b32 v[231:232], v58 offset1:1
	;; [unrolled: 1-line block ×4, first 2 shown]
	v_add_nc_u32_e32 v60, 0x1404, v172
	v_or_b32_e32 v76, v144, v53
	s_wait_dscnt 0x3
	v_lshlrev_b32_e32 v58, 16, v57
	v_lshlrev_b32_e32 v59, 8, v57
	v_perm_b32 v53, v57, v57, 0xc0c0003
	s_delay_alu instid0(VALU_DEP_2) | instskip(SKIP_3) | instid1(VALU_DEP_3)
	v_perm_b32 v145, v59, v58, 0x7030c0c
	s_wait_dscnt 0x2
	v_lshlrev_b32_e32 v58, 16, v231
	v_lshlrev_b32_e32 v59, 8, v231
	v_or_b32_e32 v57, v145, v53
	v_perm_b32 v53, v231, v231, 0xc0c0003
	s_delay_alu instid0(VALU_DEP_3)
	v_perm_b32 v146, v59, v58, 0x7030c0c
	v_add_nc_u32_e32 v58, 0x140c, v172
	ds_load_2addr_b32 v[58:59], v58 offset1:1
	ds_load_2addr_b32 v[233:234], v60 offset1:1
	;; [unrolled: 1-line block ×3, first 2 shown]
	v_or_b32_e32 v141, v146, v53
	v_add_nc_u32_e32 v145, 0x6180, v173
	v_add_nc_u32_e32 v146, 0x4108, v173
	s_wait_dscnt 0x2
	v_lshlrev_b32_e32 v60, 16, v59
	v_lshlrev_b32_e32 v61, 8, v59
	v_perm_b32 v53, v59, v59, 0xc0c0003
	s_delay_alu instid0(VALU_DEP_2) | instskip(SKIP_3) | instid1(VALU_DEP_3)
	v_perm_b32 v147, v61, v60, 0x7030c0c
	s_wait_dscnt 0x1
	v_lshlrev_b32_e32 v60, 16, v233
	v_lshlrev_b32_e32 v61, 8, v233
	v_or_b32_e32 v59, v147, v53
	v_perm_b32 v53, v233, v233, 0xc0c0003
	s_delay_alu instid0(VALU_DEP_3) | instskip(SKIP_2) | instid1(VALU_DEP_3)
	v_perm_b32 v148, v61, v60, 0x7030c0c
	v_add_nc_u32_e32 v60, 0x180c, v172
	v_add_nc_u32_e32 v147, 0x6188, v173
	v_or_b32_e32 v142, v148, v53
	ds_load_2addr_b32 v[60:61], v60 offset1:1
	v_add_nc_u32_e32 v148, 0x4110, v173
	s_wait_dscnt 0x0
	v_lshlrev_b32_e32 v62, 16, v61
	v_lshlrev_b32_e32 v63, 8, v61
	v_perm_b32 v53, v61, v61, 0xc0c0003
	s_delay_alu instid0(VALU_DEP_2)
	v_perm_b32 v149, v63, v62, 0x7030c0c
	v_add_nc_u32_e32 v62, 0x1804, v172
	v_add_nc_u32_e32 v63, 0x1c04, v172
	ds_load_2addr_b32 v[235:236], v62 offset1:1
	ds_load_2addr_b32 v[237:238], v63 offset1:1
	;; [unrolled: 1-line block ×3, first 2 shown]
	v_or_b32_e32 v61, v149, v53
	v_add_nc_u32_e32 v149, 0x6190, v173
	s_wait_dscnt 0x2
	v_lshlrev_b32_e32 v62, 16, v235
	v_lshlrev_b32_e32 v63, 8, v235
	v_perm_b32 v53, v235, v235, 0xc0c0003
	s_wait_dscnt 0x1
	v_lshlrev_b32_e32 v154, 8, v237
	s_delay_alu instid0(VALU_DEP_3) | instskip(SKIP_1) | instid1(VALU_DEP_2)
	v_perm_b32 v150, v63, v62, 0x7030c0c
	v_add_nc_u32_e32 v62, 0x1c0c, v172
	v_or_b32_e32 v143, v150, v53
	ds_load_2addr_b32 v[62:63], v62 offset1:1
	v_add_nc_u32_e32 v150, 0x4118, v173
	s_wait_dscnt 0x0
	v_lshlrev_b32_e32 v151, 16, v63
	v_lshlrev_b32_e32 v152, 8, v63
	v_perm_b32 v53, v63, v63, 0xc0c0003
	s_delay_alu instid0(VALU_DEP_2) | instskip(SKIP_1) | instid1(VALU_DEP_2)
	v_perm_b32 v151, v152, v151, 0x7030c0c
	v_lshlrev_b32_e32 v152, 16, v237
	v_or_b32_e32 v63, v151, v53
	s_delay_alu instid0(VALU_DEP_2) | instskip(SKIP_2) | instid1(VALU_DEP_2)
	v_perm_b32 v152, v154, v152, 0x7030c0c
	v_perm_b32 v53, v237, v237, 0xc0c0003
	v_add_nc_u32_e32 v151, 0x6198, v173
	v_or_b32_e32 v144, v152, v53
	v_add_nc_u32_e32 v53, 0x4100, v173
	ds_load_2addr_b32 v[53:54], v53 offset1:1
	ds_load_2addr_b32 v[239:240], v145 offset1:1
	ds_load_2addr_b32 v[241:242], v146 offset1:1
	ds_load_2addr_b32 v[243:244], v148 offset1:1
	ds_load_2addr_b32 v[245:246], v150 offset1:1
	ds_load_2addr_b32 v[247:248], v147 offset1:1
	ds_load_2addr_b32 v[249:250], v149 offset1:1
	ds_load_2addr_b32 v[251:252], v151 offset1:1
	v_perm_b32 v145, v27, v27, 0x2010003
	v_perm_b32 v150, v35, v35, 0x2010003
	;; [unrolled: 1-line block ×3, first 2 shown]
	v_add_nc_u32_e32 v173, 32, v173
	s_delay_alu instid0(VALU_DEP_4)
	v_dot4_i32_iu8 v148, v0, v145, 0 neg_lo:[1,1,0]
	v_dot4_i32_iu8 v151, v39, v145, 0 neg_lo:[1,1,0]
	;; [unrolled: 1-line block ×7, first 2 shown]
	s_wait_dscnt 0x7
	v_perm_b32 v146, v54, v54, 0x2010003
	s_wait_dscnt 0x6
	v_perm_b32 v147, v240, v240, 0x2010003
	v_dot4_i32_iu8 v165, v59, v145, 0 neg_lo:[1,1,0]
	v_dot4_i32_iu8 v166, v59, v150, 0 neg_lo:[1,1,0]
	;; [unrolled: 1-line block ×20, first 2 shown]
	v_perm_b32 v147, v20, v20, 0x2010003
	s_wait_dscnt 0x5
	v_perm_b32 v253, v241, v241, 0x2010003
	s_wait_dscnt 0x2
	v_perm_b32 v254, v247, v247, 0x2010003
	v_perm_b32 v20, v21, v20, 0x4000c0c
	v_dot4_i32_iu8 v148, v17, v147, v148 neg_lo:[1,1,0]
	v_dot4_i32_iu8 v149, v17, v253, v149 neg_lo:[1,1,0]
	s_delay_alu instid0(VALU_DEP_4)
	v_dot4_i32_iu8 v0, v17, v254, v0 neg_lo:[1,1,0]
	v_dot4_i32_iu8 v17, v41, v147, v151 neg_lo:[1,1,0]
	v_perm_b32 v151, v64, v64, 0x2010003
	v_dot4_i32_iu8 v154, v41, v253, v154 neg_lo:[1,1,0]
	v_dot4_i32_iu8 v39, v41, v254, v39 neg_lo:[1,1,0]
	;; [unrolled: 1-line block ×23, first 2 shown]
	v_lshlrev_b32_e32 v144, 24, v37
	v_lshlrev_b32_e32 v147, 8, v72
	;; [unrolled: 1-line block ×4, first 2 shown]
	v_or_b32_e32 v20, v20, v27
	v_perm_b32 v37, v140, v144, 0xc0c0703
	v_dot4_i32_iu8 v140, v34, v28, 0 neg_lo:[1,1,0]
	s_delay_alu instid0(VALU_DEP_2)
	v_or_b32_e32 v37, v107, v37
	v_lshlrev_b32_e32 v107, 24, v48
	v_perm_b32 v48, v48, v98, 0x7030c0c
	v_lshlrev_b32_e32 v98, 24, v46
	v_perm_b32 v46, v46, v99, 0x7030c0c
	v_dot4_i32_iu8 v99, v28, v53, 0 neg_lo:[1,1,0]
	v_perm_b32 v128, v128, v107, 0xc0c0703
	v_dot4_i32_iu8 v35, v37, v35, v140 neg_lo:[1,1,0]
	v_lshlrev_b32_e32 v140, 8, v68
	s_delay_alu instid0(VALU_DEP_4) | instskip(NEXT) | instid1(VALU_DEP_4)
	v_dot4_i32_iu8 v54, v37, v54, v99 neg_lo:[1,1,0]
	v_or_b32_e32 v48, v48, v128
	v_perm_b32 v128, v139, v98, 0xc0c0703
	v_perm_b32 v99, v242, v242, 0x2010003
	;; [unrolled: 1-line block ×3, first 2 shown]
	s_delay_alu instid0(VALU_DEP_4) | instskip(NEXT) | instid1(VALU_DEP_4)
	v_dot4_i32_iu8 v54, v48, v241, v54 neg_lo:[1,1,0]
	v_or_b32_e32 v46, v46, v128
	v_dot4_i32_iu8 v128, v28, v239, 0 neg_lo:[1,1,0]
	v_dot4_i32_iu8 v35, v48, v64, v35 neg_lo:[1,1,0]
	v_lshlrev_b32_e32 v64, 8, v66
	v_perm_b32 v28, v26, v144, 0xc0c0403
	v_dot4_i32_iu8 v54, v46, v242, v54 neg_lo:[1,1,0]
	v_dot4_i32_iu8 v128, v37, v240, v128 neg_lo:[1,1,0]
	;; [unrolled: 1-line block ×3, first 2 shown]
	v_perm_b32 v37, v65, v65, 0x2010003
	v_lshlrev_b32_e32 v65, 8, v70
	s_delay_alu instid0(VALU_DEP_4) | instskip(SKIP_1) | instid1(VALU_DEP_2)
	v_dot4_i32_iu8 v128, v48, v247, v128 neg_lo:[1,1,0]
	v_lshlrev_b32_e32 v48, 8, v50
	v_dot4_i32_iu8 v128, v46, v248, v128 neg_lo:[1,1,0]
	v_lshlrev_b32_e32 v46, 16, v50
	v_perm_b32 v50, v50, v50, 0xc0c0003
	s_delay_alu instid0(VALU_DEP_2) | instskip(SKIP_1) | instid1(VALU_DEP_2)
	v_perm_b32 v46, v48, v46, 0x7030c0c
	v_lshlrev_b32_e32 v48, 16, v66
	v_or_b32_e32 v46, v46, v50
	s_delay_alu instid0(VALU_DEP_2) | instskip(SKIP_4) | instid1(VALU_DEP_4)
	v_perm_b32 v48, v64, v48, 0x7030c0c
	v_lshlrev_b32_e32 v64, 16, v70
	v_perm_b32 v50, v66, v66, 0xc0c0003
	v_perm_b32 v66, v74, v74, 0xc0c0003
	v_dot4_i32_iu8 v0, v46, v139, v0 neg_lo:[1,1,0]
	v_perm_b32 v64, v65, v64, 0x7030c0c
	v_lshlrev_b32_e32 v65, 16, v68
	v_or_b32_e32 v48, v48, v50
	v_perm_b32 v50, v70, v70, 0xc0c0003
	s_delay_alu instid0(VALU_DEP_3) | instskip(SKIP_1) | instid1(VALU_DEP_3)
	v_perm_b32 v65, v140, v65, 0x7030c0c
	v_lshlrev_b32_e32 v140, 16, v72
	v_or_b32_e32 v50, v64, v50
	v_perm_b32 v64, v68, v68, 0xc0c0003
	v_perm_b32 v68, v21, v21, 0x2010003
	v_dot4_i32_iu8 v39, v48, v139, v39 neg_lo:[1,1,0]
	v_perm_b32 v140, v147, v140, 0x7030c0c
	v_lshlrev_b32_e32 v147, 16, v74
	v_or_b32_e32 v64, v65, v64
	v_perm_b32 v65, v72, v72, 0xc0c0003
	v_dot4_i32_iu8 v70, v46, v68, v148 neg_lo:[1,1,0]
	v_dot4_i32_iu8 v72, v46, v99, v149 neg_lo:[1,1,0]
	v_perm_b32 v147, v150, v147, 0x7030c0c
	v_lshlrev_b32_e32 v150, 16, v42
	v_perm_b32 v42, v42, v42, 0xc0c0003
	v_or_b32_e32 v65, v140, v65
	v_dot4_i32_iu8 v17, v48, v68, v17 neg_lo:[1,1,0]
	v_or_b32_e32 v66, v147, v66
	v_perm_b32 v150, v151, v150, 0x7030c0c
	v_dot4_i32_iu8 v46, v48, v37, v152 neg_lo:[1,1,0]
	v_dot4_i32_iu8 v74, v48, v99, v154 neg_lo:[1,1,0]
	v_dot4_i32_iu8 v41, v50, v68, v41 neg_lo:[1,1,0]
	v_dot4_i32_iu8 v48, v50, v37, v155 neg_lo:[1,1,0]
	v_or_b32_e32 v42, v150, v42
	v_dot4_i32_iu8 v140, v50, v99, v156 neg_lo:[1,1,0]
	v_dot4_i32_iu8 v50, v50, v139, v76 neg_lo:[1,1,0]
	;; [unrolled: 1-line block ×18, first 2 shown]
	v_lshlrev_b32_e32 v63, 16, v55
	v_lshlrev_b32_e32 v99, 8, v55
	;; [unrolled: 1-line block ×14, first 2 shown]
	v_perm_b32 v55, v55, v55, 0xc0c0003
	v_perm_b32 v79, v79, v79, 0xc0c0003
	;; [unrolled: 1-line block ×14, first 2 shown]
	v_or_b32_e32 v55, v63, v55
	v_or_b32_e32 v63, v99, v79
	;; [unrolled: 1-line block ×7, first 2 shown]
	v_perm_b32 v145, v22, v22, 0x2010003
	v_perm_b32 v146, v243, v243, 0x2010003
	s_wait_dscnt 0x1
	v_perm_b32 v150, v249, v249, 0x2010003
	v_lshlrev_b32_e32 v151, 16, v73
	v_lshlrev_b32_e32 v152, 8, v73
	v_dot4_i32_iu8 v70, v55, v145, v70 neg_lo:[1,1,0]
	v_dot4_i32_iu8 v72, v55, v146, v72 neg_lo:[1,1,0]
	;; [unrolled: 1-line block ×3, first 2 shown]
	v_perm_b32 v55, v44, v44, 0x2010003
	v_dot4_i32_iu8 v17, v63, v145, v17 neg_lo:[1,1,0]
	v_dot4_i32_iu8 v74, v63, v146, v74 neg_lo:[1,1,0]
	v_dot4_i32_iu8 v39, v63, v150, v39 neg_lo:[1,1,0]
	v_dot4_i32_iu8 v41, v77, v145, v41 neg_lo:[1,1,0]
	v_dot4_i32_iu8 v46, v63, v55, v46 neg_lo:[1,1,0]
	v_dot4_i32_iu8 v48, v77, v55, v48 neg_lo:[1,1,0]
	v_dot4_i32_iu8 v63, v77, v146, v140 neg_lo:[1,1,0]
	v_dot4_i32_iu8 v50, v77, v150, v50 neg_lo:[1,1,0]
	v_dot4_i32_iu8 v76, v79, v145, v76 neg_lo:[1,1,0]
	v_dot4_i32_iu8 v77, v79, v55, v78 neg_lo:[1,1,0]
	v_dot4_i32_iu8 v78, v79, v146, v147 neg_lo:[1,1,0]
	v_dot4_i32_iu8 v57, v79, v150, v57 neg_lo:[1,1,0]
	v_dot4_i32_iu8 v64, v99, v145, v64 neg_lo:[1,1,0]
	v_dot4_i32_iu8 v79, v99, v55, v141 neg_lo:[1,1,0]
	v_dot4_i32_iu8 v140, v99, v146, v148 neg_lo:[1,1,0]
	v_dot4_i32_iu8 v59, v99, v150, v59 neg_lo:[1,1,0]
	v_dot4_i32_iu8 v99, v139, v55, v142 neg_lo:[1,1,0]
	v_dot4_i32_iu8 v37, v143, v55, v37 neg_lo:[1,1,0]
	v_dot4_i32_iu8 v55, v143, v146, v68 neg_lo:[1,1,0]
	v_perm_b32 v68, v49, v230, 0x7030c0c
	v_lshlrev_b32_e32 v49, 24, v49
	v_dot4_i32_iu8 v65, v139, v145, v65 neg_lo:[1,1,0]
	v_dot4_i32_iu8 v141, v139, v146, v149 neg_lo:[1,1,0]
	;; [unrolled: 1-line block ×3, first 2 shown]
	v_perm_b32 v139, v47, v229, 0x7030c0c
	v_lshlrev_b32_e32 v47, 24, v47
	v_perm_b32 v158, v228, v49, 0xc0c0703
	v_dot4_i32_iu8 v66, v143, v145, v66 neg_lo:[1,1,0]
	v_dot4_i32_iu8 v42, v143, v150, v42 neg_lo:[1,1,0]
	v_lshlrev_b32_e32 v142, 16, v51
	v_lshlrev_b32_e32 v143, 8, v51
	v_or_b32_e32 v68, v68, v158
	v_perm_b32 v158, v227, v47, 0xc0c0703
	v_lshlrev_b32_e32 v145, 16, v67
	v_lshlrev_b32_e32 v146, 8, v67
	;; [unrolled: 1-line block ×10, first 2 shown]
	v_or_b32_e32 v139, v139, v158
	v_dot4_i32_iu8 v54, v68, v243, v54 neg_lo:[1,1,0]
	v_dot4_i32_iu8 v128, v68, v249, v128 neg_lo:[1,1,0]
	v_dot4_i32_iu8 v35, v68, v44, v35 neg_lo:[1,1,0]
	v_perm_b32 v51, v51, v51, 0xc0c0003
	v_perm_b32 v67, v67, v67, 0xc0c0003
	;; [unrolled: 1-line block ×7, first 2 shown]
	v_dot4_i32_iu8 v54, v139, v244, v54 neg_lo:[1,1,0]
	v_dot4_i32_iu8 v128, v139, v250, v128 neg_lo:[1,1,0]
	;; [unrolled: 1-line block ×3, first 2 shown]
	v_perm_b32 v35, v45, v45, 0x2010003
	v_perm_b32 v44, v143, v142, 0x7030c0c
	;; [unrolled: 1-line block ×10, first 2 shown]
	v_or_b32_e32 v44, v44, v51
	v_or_b32_e32 v45, v45, v67
	;; [unrolled: 1-line block ×7, first 2 shown]
	v_perm_b32 v73, v23, v23, 0x2010003
	v_dot4_i32_iu8 v72, v44, v158, v72 neg_lo:[1,1,0]
	v_dot4_i32_iu8 v0, v44, v163, v0 neg_lo:[1,1,0]
	;; [unrolled: 1-line block ×27, first 2 shown]
	v_lshlrev_b32_e32 v43, 16, v38
	v_lshlrev_b32_e32 v55, 8, v38
	v_lshlrev_b32_e32 v71, 16, v40
	v_lshlrev_b32_e32 v73, 8, v40
	v_lshlrev_b32_e32 v77, 16, v52
	v_lshlrev_b32_e32 v78, 8, v52
	v_lshlrev_b32_e32 v79, 16, v56
	v_lshlrev_b32_e32 v99, 8, v56
	v_lshlrev_b32_e32 v141, 16, v60
	v_lshlrev_b32_e32 v142, 8, v60
	v_perm_b32 v38, v38, v38, 0xc0c0003
	v_perm_b32 v52, v52, v52, 0xc0c0003
	;; [unrolled: 1-line block ×3, first 2 shown]
	v_lshlrev_b32_e32 v139, 16, v58
	v_lshlrev_b32_e32 v140, 8, v58
	v_perm_b32 v60, v60, v60, 0xc0c0003
	v_lshlrev_b32_e32 v143, 16, v62
	v_lshlrev_b32_e32 v145, 8, v62
	v_perm_b32 v43, v55, v43, 0x7030c0c
	v_perm_b32 v55, v73, v71, 0x7030c0c
	;; [unrolled: 1-line block ×10, first 2 shown]
	v_or_b32_e32 v38, v43, v38
	v_or_b32_e32 v43, v71, v52
	;; [unrolled: 1-line block ×4, first 2 shown]
	v_perm_b32 v60, v24, v24, 0x2010003
	v_or_b32_e32 v40, v55, v40
	v_or_b32_e32 v55, v77, v58
	;; [unrolled: 1-line block ×3, first 2 shown]
	s_wait_dscnt 0x0
	v_perm_b32 v139, v252, v252, 0x2010003
	v_dot4_i32_iu8 v62, v38, v60, v70 neg_lo:[1,1,0]
	v_perm_b32 v70, v245, v245, 0x2010003
	v_dot4_i32_iu8 v17, v40, v60, v17 neg_lo:[1,1,0]
	v_dot4_i32_iu8 v79, v43, v60, v41 neg_lo:[1,1,0]
	;; [unrolled: 1-line block ×3, first 2 shown]
	v_perm_b32 v21, v23, v22, 0xc0c0400
	v_dot4_i32_iu8 v71, v38, v70, v72 neg_lo:[1,1,0]
	v_perm_b32 v72, v251, v251, 0x2010003
	v_dot4_i32_iu8 v77, v40, v70, v46 neg_lo:[1,1,0]
	v_dot4_i32_iu8 v48, v43, v70, v48 neg_lo:[1,1,0]
	;; [unrolled: 1-line block ×3, first 2 shown]
	v_perm_b32 v22, v25, v24, 0x4000c0c
	v_dot4_i32_iu8 v0, v38, v72, v0 neg_lo:[1,1,0]
	v_perm_b32 v38, v32, v32, 0x2010003
	v_dot4_i32_iu8 v78, v40, v72, v39 neg_lo:[1,1,0]
	v_dot4_i32_iu8 v50, v43, v72, v50 neg_lo:[1,1,0]
	v_perm_b32 v23, v98, v107, 0x7030c0c
	v_or_b32_e32 v21, v22, v21
	v_dot4_i32_iu8 v63, v52, v38, v63 neg_lo:[1,1,0]
	v_dot4_i32_iu8 v52, v52, v72, v57 neg_lo:[1,1,0]
	;; [unrolled: 1-line block ×11, first 2 shown]
	v_lshlrev_b32_e32 v70, 24, v36
	v_dot4_i32_iu8 v56, v56, v72, v61 neg_lo:[1,1,0]
	v_dot4_i32_iu8 v61, v58, v38, v35 neg_lo:[1,1,0]
	v_perm_b32 v35, v36, v224, 0x7030c0c
	v_lshlrev_b32_e32 v75, 24, v29
	v_perm_b32 v36, v226, v70, 0xc0c0703
	v_dot4_i32_iu8 v58, v58, v72, v42 neg_lo:[1,1,0]
	v_perm_b32 v29, v29, v223, 0x7030c0c
	v_dot4_i32_iu8 v73, v40, v38, v44 neg_lo:[1,1,0]
	v_dot4_i32_iu8 v99, v43, v38, v45 neg_lo:[1,1,0]
	v_or_b32_e32 v72, v35, v36
	v_perm_b32 v35, v225, v75, 0xc0c0703
	v_lshlrev_b32_e32 v36, 8, v31
	v_perm_b32 v76, v246, v246, 0x2010003
	v_perm_b32 v22, v47, v49, 0xc0c0703
	v_perm_b32 v24, v75, v70, 0x7030c0c
	v_or_b32_e32 v29, v29, v35
	v_dot4_i32_iu8 v35, v72, v245, v54 neg_lo:[1,1,0]
	v_or_b32_e32 v23, v23, v28
	s_delay_alu instid0(VALU_DEP_4) | instskip(SKIP_1) | instid1(VALU_DEP_4)
	v_or_b32_e32 v22, v24, v22
	v_add_nc_u32_e32 v24, v217, v210
	v_dot4_i32_iu8 v54, v29, v246, v35 neg_lo:[1,1,0]
	v_dot4_i32_iu8 v35, v72, v251, v128 neg_lo:[1,1,0]
	;; [unrolled: 1-line block ×3, first 2 shown]
	s_delay_alu instid0(VALU_DEP_2) | instskip(SKIP_1) | instid1(VALU_DEP_3)
	v_dot4_i32_iu8 v128, v29, v252, v35 neg_lo:[1,1,0]
	v_lshlrev_b32_e32 v35, 16, v31
	v_dot4_i32_iu8 v20, v22, v21, v20 neg_lo:[1,1,0]
	v_add3_u32 v21, v218, v211, v219
	v_add3_u32 v22, v212, v213, v220
	s_delay_alu instid0(VALU_DEP_4) | instskip(SKIP_4) | instid1(VALU_DEP_1)
	v_perm_b32 v140, v36, v35, 0x7030c0c
	v_add_nc_u32_e32 v35, 0x800, v172
	v_add3_u32 v20, v20, v216, v24
	ds_load_2addr_b32 v[35:36], v35 offset1:7
	v_cvt_f32_i32_e32 v20, v20
	v_fma_mix_f32 v20, v202, v20, v202 op_sel:[0,0,1] op_sel_hi:[1,0,1]
	s_delay_alu instid0(VALU_DEP_1) | instskip(SKIP_1) | instid1(VALU_DEP_1)
	v_add_f32_e32 v100, v100, v20
	v_cvt_f32_i32_e32 v20, v54
	v_fma_mix_f32 v20, v201, v20, v201 op_sel:[0,0,1] op_sel_hi:[1,0,1]
	s_wait_dscnt 0x0
	v_lshlrev_b32_e32 v37, 16, v36
	v_lshlrev_b32_e32 v38, 8, v36
	v_perm_b32 v36, v36, v36, 0xc0c0003
	v_add_f32_e32 v124, v124, v20
	s_delay_alu instid0(VALU_DEP_3) | instskip(SKIP_1) | instid1(VALU_DEP_2)
	v_perm_b32 v141, v38, v37, 0x7030c0c
	v_add_nc_u32_e32 v37, 0xc00, v172
	v_or_b32_e32 v36, v141, v36
	ds_load_2addr_b32 v[37:38], v37 offset1:7
	v_perm_b32 v141, v25, v25, 0x2010003
	v_dot4_i32_iu8 v77, v36, v76, v77 neg_lo:[1,1,0]
	s_delay_alu instid0(VALU_DEP_2) | instskip(NEXT) | instid1(VALU_DEP_1)
	v_dot4_i32_iu8 v17, v36, v141, v17 neg_lo:[1,1,0]
	v_dot4_i32_iu8 v17, v26, v35, v17 neg_lo:[1,1,0]
	s_delay_alu instid0(VALU_DEP_1)
	v_cvt_f32_i32_e32 v17, v17
	s_wait_dscnt 0x0
	v_lshlrev_b32_e32 v39, 16, v38
	v_lshlrev_b32_e32 v40, 8, v38
	v_perm_b32 v38, v38, v38, 0xc0c0003
	v_fma_mix_f32 v17, v195, v17, v195 op_sel:[0,0,1] op_sel_hi:[1,0,1]
	s_delay_alu instid0(VALU_DEP_3) | instskip(SKIP_1) | instid1(VALU_DEP_3)
	v_perm_b32 v142, v40, v39, 0x7030c0c
	v_add_nc_u32_e32 v39, 0x1000, v172
	v_add_f32_e32 v111, v111, v17
	s_delay_alu instid0(VALU_DEP_3) | instskip(SKIP_2) | instid1(VALU_DEP_1)
	v_or_b32_e32 v38, v142, v38
	ds_load_2addr_b32 v[39:40], v39 offset1:7
	v_dot4_i32_iu8 v48, v38, v76, v48 neg_lo:[1,1,0]
	v_dot4_i32_iu8 v48, v37, v53, v48 neg_lo:[1,1,0]
	s_delay_alu instid0(VALU_DEP_1) | instskip(NEXT) | instid1(VALU_DEP_1)
	v_cvt_f32_i32_e32 v28, v48
	v_fma_mix_f32 v28, v188, v28, v188 op_sel:[0,0,1] op_sel_hi:[1,0,1]
	s_wait_dscnt 0x0
	v_lshlrev_b32_e32 v41, 16, v40
	v_lshlrev_b32_e32 v42, 8, v40
	v_perm_b32 v40, v40, v40, 0xc0c0003
	v_add_f32_e32 v97, v97, v28
	s_delay_alu instid0(VALU_DEP_3) | instskip(SKIP_1) | instid1(VALU_DEP_2)
	v_perm_b32 v143, v42, v41, 0x7030c0c
	v_add_nc_u32_e32 v41, 0x1400, v172
	v_or_b32_e32 v40, v143, v40
	ds_load_2addr_b32 v[41:42], v41 offset1:7
	s_wait_dscnt 0x0
	v_lshlrev_b32_e32 v43, 16, v42
	v_lshlrev_b32_e32 v44, 8, v42
	v_perm_b32 v42, v42, v42, 0xc0c0003
	s_delay_alu instid0(VALU_DEP_2) | instskip(SKIP_1) | instid1(VALU_DEP_2)
	v_perm_b32 v145, v44, v43, 0x7030c0c
	v_add_nc_u32_e32 v43, 0x1800, v172
	v_or_b32_e32 v42, v145, v42
	ds_load_2addr_b32 v[43:44], v43 offset1:7
	s_wait_dscnt 0x0
	v_lshlrev_b32_e32 v45, 16, v44
	v_lshlrev_b32_e32 v46, 8, v44
	v_perm_b32 v44, v44, v44, 0xc0c0003
	s_delay_alu instid0(VALU_DEP_2) | instskip(SKIP_2) | instid1(VALU_DEP_3)
	v_perm_b32 v146, v46, v45, 0x7030c0c
	v_add_nc_u32_e32 v45, 0x1c00, v172
	v_add_nc_u32_e32 v172, 32, v172
	v_or_b32_e32 v44, v146, v44
	ds_load_2addr_b32 v[45:46], v45 offset1:7
	s_wait_dscnt 0x0
	v_lshlrev_b32_e32 v147, 16, v46
	v_lshlrev_b32_e32 v148, 8, v46
	v_perm_b32 v46, v46, v46, 0xc0c0003
	s_delay_alu instid0(VALU_DEP_2) | instskip(SKIP_2) | instid1(VALU_DEP_3)
	v_perm_b32 v147, v148, v147, 0x7030c0c
	v_perm_b32 v148, v31, v31, 0xc0c0003
	v_bfe_i32 v31, v31, 16, 8
	v_or_b32_e32 v46, v147, v46
	s_delay_alu instid0(VALU_DEP_3) | instskip(NEXT) | instid1(VALU_DEP_1)
	v_or_b32_e32 v140, v140, v148
	v_dot4_i32_iu8 v62, v140, v141, v62 neg_lo:[1,1,0]
	v_dot4_i32_iu8 v71, v140, v76, v71 neg_lo:[1,1,0]
	v_dot4_i32_iu8 v0, v140, v139, v0 neg_lo:[1,1,0]
	v_perm_b32 v140, v33, v33, 0x2010003
	s_delay_alu instid0(VALU_DEP_2) | instskip(NEXT) | instid1(VALU_DEP_2)
	v_dot4_i32_iu8 v0, v30, v239, v0 neg_lo:[1,1,0]
	v_dot4_i32_iu8 v73, v36, v140, v73 neg_lo:[1,1,0]
	;; [unrolled: 1-line block ×47, first 2 shown]
	v_cvt_f32_i32_e32 v20, v44
	v_dot4_i32_iu8 v29, v29, v33, v30 neg_lo:[1,1,0]
	v_bfe_i32 v30, v33, 16, 8
	v_cvt_f32_i32_e32 v0, v0
	v_cvt_f32_i32_e32 v24, v35
	v_cvt_f32_i32_e32 v25, v36
	v_cvt_f32_i32_e32 v27, v67
	v_mul_i32_i24_e32 v30, v31, v30
	v_cvt_f32_i32_e32 v31, v50
	v_cvt_f32_i32_e32 v32, v51
	v_cvt_f32_i32_e32 v33, v39
	v_cvt_f32_i32_e32 v35, v40
	v_add3_u32 v30, v214, v215, v30
	v_cvt_f32_i32_e32 v36, v52
	v_cvt_f32_i32_e32 v39, v42
	v_cvt_f32_i32_e32 v40, v55
	v_cvt_f32_i32_e32 v42, v43
	v_add3_u32 v23, v221, v222, v30
	;; [unrolled: 5-line block ×3, first 2 shown]
	v_cvt_f32_i32_e32 v22, v29
	v_cvt_f32_i32_e32 v23, v66
	;; [unrolled: 1-line block ×5, first 2 shown]
	v_fma_mix_f32 v22, v198, v22, v198 op_sel:[0,0,1] op_sel_hi:[1,0,1]
	v_cvt_f32_i32_e32 v34, v34
	v_cvt_f32_i32_e32 v43, v53
	;; [unrolled: 1-line block ×3, first 2 shown]
	v_fma_mix_f32 v21, v205, v21, v205 op_sel:[0,0,1] op_sel_hi:[1,0,1]
	v_add_f32_e32 v131, v131, v22
	v_cvt_f32_i32_e32 v22, v58
	v_fma_mix_f32 v20, v196, v20, v196 op_sel:[0,0,1] op_sel_hi:[1,0,1]
	v_fma_mix_f32 v0, v194, v0, v194 op_sel:[0,0,1] op_sel_hi:[1,0,1]
	v_add_f32_e32 v120, v120, v21
	v_cvt_f32_i32_e32 v21, v128
	v_fma_mix_f32 v22, v193, v22, v193 op_sel:[0,0,1] op_sel_hi:[1,0,1]
	v_fma_mix_f32 v23, v192, v23, v192 op_sel:[0,0,1] op_sel_hi:[1,0,1]
	;; [unrolled: 1-line block ×9, first 2 shown]
	v_add_f32_e32 v123, v123, v21
	v_cvt_f32_i32_e32 v21, v56
	v_fma_mix_f32 v32, v184, v32, v184 op_sel:[0,0,1] op_sel_hi:[1,0,1]
	v_fma_mix_f32 v33, v183, v33, v183 op_sel:[0,0,1] op_sel_hi:[1,0,1]
	;; [unrolled: 1-line block ×15, first 2 shown]
	v_add_f32_e32 v121, v121, v20
	v_dual_add_f32 v119, v119, v21 :: v_dual_add_f32 v118, v118, v0
	v_add_f32_e32 v106, v106, v22
	v_dual_add_f32 v104, v104, v23 :: v_dual_add_f32 v103, v103, v24
	v_dual_add_f32 v102, v102, v25 :: v_dual_add_f32 v101, v101, v27
	;; [unrolled: 1-line block ×8, first 2 shown]
	v_add_f32_e32 v84, v84, v42
	v_add_f32_e32 v83, v83, v26
	v_dual_add_f32 v82, v82, v34 :: v_dual_add_f32 v81, v81, v43
	v_add_f32_e32 v80, v80, v44
	s_cbranch_scc1 .LBB164_11
; %bb.12:                               ;   in Loop: Header=BB164_6 Depth=1
	s_wait_loadcnt 0x0
	s_barrier_signal -1
	s_barrier_wait -1
	global_inv scope:SCOPE_SE
	s_branch .LBB164_5
.LBB164_13:
	s_clause 0x2
	scratch_load_b32 v1, off, off offset:112 th:TH_LOAD_LU
	scratch_load_b32 v2, off, off offset:56 th:TH_LOAD_LU
	scratch_load_b32 v3, off, off offset:116
.LBB164_14:
	s_mov_b32 s0, exec_lo
	s_wait_loadcnt 0x0
	v_cmpx_gt_u32_e64 s6, v3
	s_cbranch_execz .LBB164_65
; %bb.15:
	v_add_nc_u32_e32 v0, s14, v2
	v_mul_lo_u32 v5, v3, s12
	s_delay_alu instid0(VALU_DEP_2)
	v_cmp_gt_u32_e32 vcc_lo, s12, v0
	s_and_saveexec_b32 s1, vcc_lo
	s_cbranch_execz .LBB164_17
; %bb.16:
	v_bfe_u32 v3, v100, 16, 1
	s_delay_alu instid0(VALU_DEP_3) | instskip(SKIP_1) | instid1(VALU_DEP_3)
	v_add_nc_u32_e32 v2, v0, v5
	v_cmp_o_f32_e64 s0, v100, v100
	v_add3_u32 v4, v100, v3, 0x7fff
	v_mov_b32_e32 v3, 0
	s_delay_alu instid0(VALU_DEP_2) | instskip(NEXT) | instid1(VALU_DEP_2)
	v_lshrrev_b32_e32 v4, 16, v4
	v_lshlrev_b64_e32 v[2:3], 1, v[2:3]
	s_delay_alu instid0(VALU_DEP_2) | instskip(SKIP_1) | instid1(VALU_DEP_2)
	v_cndmask_b32_e64 v4, 0x7fc0, v4, s0
	s_wait_kmcnt 0x0
	v_add_co_u32 v2, s0, s8, v2
	s_wait_alu 0xf1ff
	s_delay_alu instid0(VALU_DEP_3)
	v_add_co_ci_u32_e64 v3, null, s9, v3, s0
	global_store_b16 v[2:3], v4, off
.LBB164_17:
	s_or_b32 exec_lo, exec_lo, s1
	v_add_nc_u32_e32 v2, 32, v0
	s_delay_alu instid0(VALU_DEP_1)
	v_cmp_gt_u32_e64 s0, s12, v2
	s_and_saveexec_b32 s2, s0
	s_cbranch_execz .LBB164_19
; %bb.18:
	v_bfe_u32 v4, v131, 16, 1
	v_add_nc_u32_e32 v3, v2, v5
	v_cmp_o_f32_e64 s1, v131, v131
	s_delay_alu instid0(VALU_DEP_3) | instskip(SKIP_1) | instid1(VALU_DEP_2)
	v_add3_u32 v6, v131, v4, 0x7fff
	v_mov_b32_e32 v4, 0
	v_lshrrev_b32_e32 v6, 16, v6
	s_delay_alu instid0(VALU_DEP_2) | instskip(SKIP_1) | instid1(VALU_DEP_2)
	v_lshlrev_b64_e32 v[3:4], 1, v[3:4]
	s_wait_alu 0xf1ff
	v_cndmask_b32_e64 v6, 0x7fc0, v6, s1
	s_wait_kmcnt 0x0
	s_delay_alu instid0(VALU_DEP_2)
	v_add_co_u32 v3, s1, s8, v3
	s_wait_alu 0xf1ff
	v_add_co_ci_u32_e64 v4, null, s9, v4, s1
	global_store_b16 v[3:4], v6, off
.LBB164_19:
	s_wait_alu 0xfffe
	s_or_b32 exec_lo, exec_lo, s2
	v_add_nc_u32_e32 v3, 64, v0
	s_delay_alu instid0(VALU_DEP_1)
	v_cmp_gt_u32_e64 s1, s12, v3
	s_and_saveexec_b32 s3, s1
	s_cbranch_execz .LBB164_21
; %bb.20:
	v_bfe_u32 v4, v124, 16, 1
	v_dual_mov_b32 v7, 0 :: v_dual_add_nc_u32 v6, v3, v5
	v_cmp_o_f32_e64 s2, v124, v124
	s_delay_alu instid0(VALU_DEP_3) | instskip(NEXT) | instid1(VALU_DEP_3)
	v_add3_u32 v4, v124, v4, 0x7fff
	v_lshlrev_b64_e32 v[6:7], 1, v[6:7]
	s_delay_alu instid0(VALU_DEP_2) | instskip(SKIP_1) | instid1(VALU_DEP_1)
	v_lshrrev_b32_e32 v4, 16, v4
	s_wait_alu 0xf1ff
	v_cndmask_b32_e64 v4, 0x7fc0, v4, s2
	s_wait_kmcnt 0x0
	s_delay_alu instid0(VALU_DEP_3)
	v_add_co_u32 v6, s2, s8, v6
	s_wait_alu 0xf1ff
	v_add_co_ci_u32_e64 v7, null, s9, v7, s2
	global_store_b16 v[6:7], v4, off
.LBB164_21:
	s_wait_alu 0xfffe
	s_or_b32 exec_lo, exec_lo, s3
	v_add_nc_u32_e32 v4, 0x60, v0
	s_delay_alu instid0(VALU_DEP_1)
	v_cmp_gt_u32_e64 s2, s12, v4
	s_and_saveexec_b32 s4, s2
	s_cbranch_execz .LBB164_23
; %bb.22:
	v_bfe_u32 v6, v123, 16, 1
	v_add_nc_u32_e32 v5, v4, v5
	v_cmp_o_f32_e64 s3, v123, v123
	s_delay_alu instid0(VALU_DEP_3) | instskip(SKIP_1) | instid1(VALU_DEP_2)
	v_add3_u32 v7, v123, v6, 0x7fff
	v_mov_b32_e32 v6, 0
	v_lshrrev_b32_e32 v7, 16, v7
	s_delay_alu instid0(VALU_DEP_2) | instskip(SKIP_1) | instid1(VALU_DEP_2)
	v_lshlrev_b64_e32 v[5:6], 1, v[5:6]
	s_wait_alu 0xf1ff
	v_cndmask_b32_e64 v7, 0x7fc0, v7, s3
	s_wait_kmcnt 0x0
	s_delay_alu instid0(VALU_DEP_2)
	v_add_co_u32 v5, s3, s8, v5
	s_wait_alu 0xf1ff
	v_add_co_ci_u32_e64 v6, null, s9, v6, s3
	global_store_b16 v[5:6], v7, off
.LBB164_23:
	s_wait_alu 0xfffe
	s_or_b32 exec_lo, exec_lo, s4
	v_add3_u32 v5, v1, s13, 8
	s_delay_alu instid0(VALU_DEP_1)
	v_cmp_gt_u32_e64 s3, s6, v5
	s_and_b32 exec_lo, exec_lo, s3
	s_cbranch_execz .LBB164_65
; %bb.24:
	v_mul_lo_u32 v5, v5, s12
	s_and_saveexec_b32 s4, vcc_lo
	s_cbranch_execnz .LBB164_66
; %bb.25:
	s_wait_alu 0xfffe
	s_or_b32 exec_lo, exec_lo, s4
	s_and_saveexec_b32 s4, s0
	s_cbranch_execnz .LBB164_67
.LBB164_26:
	s_wait_alu 0xfffe
	s_or_b32 exec_lo, exec_lo, s4
	s_and_saveexec_b32 s4, s1
	s_cbranch_execnz .LBB164_68
.LBB164_27:
	s_wait_alu 0xfffe
	s_or_b32 exec_lo, exec_lo, s4
	s_and_saveexec_b32 s4, s2
	s_cbranch_execz .LBB164_29
.LBB164_28:
	v_bfe_u32 v6, v118, 16, 1
	v_add_nc_u32_e32 v5, v5, v4
	v_cmp_o_f32_e64 s3, v118, v118
	s_delay_alu instid0(VALU_DEP_3) | instskip(SKIP_1) | instid1(VALU_DEP_2)
	v_add3_u32 v7, v118, v6, 0x7fff
	v_mov_b32_e32 v6, 0
	v_lshrrev_b32_e32 v7, 16, v7
	s_delay_alu instid0(VALU_DEP_2) | instskip(SKIP_1) | instid1(VALU_DEP_2)
	v_lshlrev_b64_e32 v[5:6], 1, v[5:6]
	s_wait_alu 0xf1ff
	v_cndmask_b32_e64 v7, 0x7fc0, v7, s3
	s_wait_kmcnt 0x0
	s_delay_alu instid0(VALU_DEP_2)
	v_add_co_u32 v5, s3, s8, v5
	s_wait_alu 0xf1ff
	v_add_co_ci_u32_e64 v6, null, s9, v6, s3
	global_store_b16 v[5:6], v7, off
.LBB164_29:
	s_wait_alu 0xfffe
	s_or_b32 exec_lo, exec_lo, s4
	v_add3_u32 v5, v1, s13, 16
	s_delay_alu instid0(VALU_DEP_1)
	v_cmp_gt_u32_e64 s3, s6, v5
	s_and_b32 exec_lo, exec_lo, s3
	s_cbranch_execz .LBB164_65
; %bb.30:
	v_mul_lo_u32 v5, v5, s12
	s_and_saveexec_b32 s4, vcc_lo
	s_cbranch_execnz .LBB164_69
; %bb.31:
	s_wait_alu 0xfffe
	s_or_b32 exec_lo, exec_lo, s4
	s_and_saveexec_b32 s4, s0
	s_cbranch_execnz .LBB164_70
.LBB164_32:
	s_wait_alu 0xfffe
	s_or_b32 exec_lo, exec_lo, s4
	s_and_saveexec_b32 s4, s1
	s_cbranch_execnz .LBB164_71
.LBB164_33:
	s_wait_alu 0xfffe
	s_or_b32 exec_lo, exec_lo, s4
	s_and_saveexec_b32 s4, s2
	s_cbranch_execz .LBB164_35
.LBB164_34:
	v_bfe_u32 v6, v103, 16, 1
	v_add_nc_u32_e32 v5, v5, v4
	v_cmp_o_f32_e64 s3, v103, v103
	s_delay_alu instid0(VALU_DEP_3) | instskip(SKIP_1) | instid1(VALU_DEP_2)
	v_add3_u32 v7, v103, v6, 0x7fff
	v_mov_b32_e32 v6, 0
	v_lshrrev_b32_e32 v7, 16, v7
	s_delay_alu instid0(VALU_DEP_2) | instskip(SKIP_1) | instid1(VALU_DEP_2)
	v_lshlrev_b64_e32 v[5:6], 1, v[5:6]
	s_wait_alu 0xf1ff
	v_cndmask_b32_e64 v7, 0x7fc0, v7, s3
	s_wait_kmcnt 0x0
	s_delay_alu instid0(VALU_DEP_2)
	v_add_co_u32 v5, s3, s8, v5
	s_wait_alu 0xf1ff
	v_add_co_ci_u32_e64 v6, null, s9, v6, s3
	global_store_b16 v[5:6], v7, off
.LBB164_35:
	s_wait_alu 0xfffe
	s_or_b32 exec_lo, exec_lo, s4
	v_add3_u32 v5, v1, s13, 24
	s_delay_alu instid0(VALU_DEP_1)
	v_cmp_gt_u32_e64 s3, s6, v5
	s_and_b32 exec_lo, exec_lo, s3
	s_cbranch_execz .LBB164_65
; %bb.36:
	v_mul_lo_u32 v5, v5, s12
	s_and_saveexec_b32 s4, vcc_lo
	s_cbranch_execnz .LBB164_72
; %bb.37:
	s_wait_alu 0xfffe
	s_or_b32 exec_lo, exec_lo, s4
	s_and_saveexec_b32 s4, s0
	s_cbranch_execnz .LBB164_73
.LBB164_38:
	s_wait_alu 0xfffe
	s_or_b32 exec_lo, exec_lo, s4
	s_and_saveexec_b32 s4, s1
	s_cbranch_execnz .LBB164_74
.LBB164_39:
	s_wait_alu 0xfffe
	s_or_b32 exec_lo, exec_lo, s4
	s_and_saveexec_b32 s4, s2
	s_cbranch_execz .LBB164_41
.LBB164_40:
	v_bfe_u32 v6, v96, 16, 1
	v_add_nc_u32_e32 v5, v5, v4
	v_cmp_o_f32_e64 s3, v96, v96
	s_delay_alu instid0(VALU_DEP_3) | instskip(SKIP_1) | instid1(VALU_DEP_2)
	v_add3_u32 v7, v96, v6, 0x7fff
	v_mov_b32_e32 v6, 0
	v_lshrrev_b32_e32 v7, 16, v7
	s_delay_alu instid0(VALU_DEP_2) | instskip(SKIP_1) | instid1(VALU_DEP_2)
	v_lshlrev_b64_e32 v[5:6], 1, v[5:6]
	s_wait_alu 0xf1ff
	v_cndmask_b32_e64 v7, 0x7fc0, v7, s3
	s_wait_kmcnt 0x0
	s_delay_alu instid0(VALU_DEP_2)
	v_add_co_u32 v5, s3, s8, v5
	s_wait_alu 0xf1ff
	v_add_co_ci_u32_e64 v6, null, s9, v6, s3
	global_store_b16 v[5:6], v7, off
.LBB164_41:
	s_wait_alu 0xfffe
	s_or_b32 exec_lo, exec_lo, s4
	v_add3_u32 v5, v1, s13, 32
	s_delay_alu instid0(VALU_DEP_1)
	v_cmp_gt_u32_e64 s3, s6, v5
	s_and_b32 exec_lo, exec_lo, s3
	s_cbranch_execz .LBB164_65
; %bb.42:
	v_mul_lo_u32 v5, v5, s12
	s_and_saveexec_b32 s4, vcc_lo
	s_cbranch_execnz .LBB164_75
; %bb.43:
	s_wait_alu 0xfffe
	s_or_b32 exec_lo, exec_lo, s4
	s_and_saveexec_b32 s4, s0
	s_cbranch_execnz .LBB164_76
.LBB164_44:
	s_wait_alu 0xfffe
	s_or_b32 exec_lo, exec_lo, s4
	s_and_saveexec_b32 s4, s1
	s_cbranch_execnz .LBB164_77
.LBB164_45:
	s_wait_alu 0xfffe
	s_or_b32 exec_lo, exec_lo, s4
	s_and_saveexec_b32 s4, s2
	s_cbranch_execz .LBB164_47
.LBB164_46:
	v_bfe_u32 v6, v92, 16, 1
	v_add_nc_u32_e32 v5, v5, v4
	v_cmp_o_f32_e64 s3, v92, v92
	s_delay_alu instid0(VALU_DEP_3) | instskip(SKIP_1) | instid1(VALU_DEP_2)
	v_add3_u32 v7, v92, v6, 0x7fff
	v_mov_b32_e32 v6, 0
	v_lshrrev_b32_e32 v7, 16, v7
	s_delay_alu instid0(VALU_DEP_2) | instskip(SKIP_1) | instid1(VALU_DEP_2)
	v_lshlrev_b64_e32 v[5:6], 1, v[5:6]
	s_wait_alu 0xf1ff
	v_cndmask_b32_e64 v7, 0x7fc0, v7, s3
	s_wait_kmcnt 0x0
	s_delay_alu instid0(VALU_DEP_2)
	v_add_co_u32 v5, s3, s8, v5
	s_wait_alu 0xf1ff
	v_add_co_ci_u32_e64 v6, null, s9, v6, s3
	global_store_b16 v[5:6], v7, off
.LBB164_47:
	s_wait_alu 0xfffe
	s_or_b32 exec_lo, exec_lo, s4
	v_add3_u32 v5, v1, s13, 40
	s_delay_alu instid0(VALU_DEP_1)
	v_cmp_gt_u32_e64 s3, s6, v5
	s_and_b32 exec_lo, exec_lo, s3
	s_cbranch_execz .LBB164_65
; %bb.48:
	v_mul_lo_u32 v5, v5, s12
	s_and_saveexec_b32 s4, vcc_lo
	s_cbranch_execnz .LBB164_78
; %bb.49:
	s_wait_alu 0xfffe
	s_or_b32 exec_lo, exec_lo, s4
	s_and_saveexec_b32 s4, s0
	s_cbranch_execnz .LBB164_79
.LBB164_50:
	s_wait_alu 0xfffe
	s_or_b32 exec_lo, exec_lo, s4
	s_and_saveexec_b32 s4, s1
	s_cbranch_execnz .LBB164_80
.LBB164_51:
	s_wait_alu 0xfffe
	s_or_b32 exec_lo, exec_lo, s4
	s_and_saveexec_b32 s4, s2
	s_cbranch_execz .LBB164_53
.LBB164_52:
	v_bfe_u32 v6, v88, 16, 1
	v_add_nc_u32_e32 v5, v5, v4
	v_cmp_o_f32_e64 s3, v88, v88
	s_delay_alu instid0(VALU_DEP_3) | instskip(SKIP_1) | instid1(VALU_DEP_2)
	v_add3_u32 v7, v88, v6, 0x7fff
	v_mov_b32_e32 v6, 0
	v_lshrrev_b32_e32 v7, 16, v7
	s_delay_alu instid0(VALU_DEP_2) | instskip(SKIP_1) | instid1(VALU_DEP_2)
	v_lshlrev_b64_e32 v[5:6], 1, v[5:6]
	s_wait_alu 0xf1ff
	v_cndmask_b32_e64 v7, 0x7fc0, v7, s3
	s_wait_kmcnt 0x0
	s_delay_alu instid0(VALU_DEP_2)
	v_add_co_u32 v5, s3, s8, v5
	s_wait_alu 0xf1ff
	v_add_co_ci_u32_e64 v6, null, s9, v6, s3
	global_store_b16 v[5:6], v7, off
.LBB164_53:
	s_wait_alu 0xfffe
	s_or_b32 exec_lo, exec_lo, s4
	v_add3_u32 v5, v1, s13, 48
	s_delay_alu instid0(VALU_DEP_1)
	v_cmp_gt_u32_e64 s3, s6, v5
	s_and_b32 exec_lo, exec_lo, s3
	s_cbranch_execz .LBB164_65
; %bb.54:
	v_mul_lo_u32 v5, v5, s12
	s_and_saveexec_b32 s4, vcc_lo
	s_cbranch_execnz .LBB164_81
; %bb.55:
	s_wait_alu 0xfffe
	s_or_b32 exec_lo, exec_lo, s4
	s_and_saveexec_b32 s4, s0
	s_cbranch_execnz .LBB164_82
.LBB164_56:
	s_wait_alu 0xfffe
	s_or_b32 exec_lo, exec_lo, s4
	s_and_saveexec_b32 s4, s1
	s_cbranch_execnz .LBB164_83
.LBB164_57:
	s_wait_alu 0xfffe
	s_or_b32 exec_lo, exec_lo, s4
	s_and_saveexec_b32 s4, s2
	s_cbranch_execz .LBB164_59
.LBB164_58:
	v_bfe_u32 v6, v84, 16, 1
	v_add_nc_u32_e32 v5, v5, v4
	v_cmp_o_f32_e64 s3, v84, v84
	s_delay_alu instid0(VALU_DEP_3) | instskip(SKIP_1) | instid1(VALU_DEP_2)
	v_add3_u32 v7, v84, v6, 0x7fff
	v_mov_b32_e32 v6, 0
	v_lshrrev_b32_e32 v7, 16, v7
	s_delay_alu instid0(VALU_DEP_2) | instskip(SKIP_1) | instid1(VALU_DEP_2)
	v_lshlrev_b64_e32 v[5:6], 1, v[5:6]
	s_wait_alu 0xf1ff
	v_cndmask_b32_e64 v7, 0x7fc0, v7, s3
	s_wait_kmcnt 0x0
	s_delay_alu instid0(VALU_DEP_2)
	v_add_co_u32 v5, s3, s8, v5
	s_wait_alu 0xf1ff
	v_add_co_ci_u32_e64 v6, null, s9, v6, s3
	global_store_b16 v[5:6], v7, off
.LBB164_59:
	s_wait_alu 0xfffe
	s_or_b32 exec_lo, exec_lo, s4
	v_add3_u32 v1, v1, s13, 56
	s_delay_alu instid0(VALU_DEP_1)
	v_cmp_gt_u32_e64 s3, s6, v1
	s_and_b32 exec_lo, exec_lo, s3
	s_cbranch_execz .LBB164_65
; %bb.60:
	v_mul_lo_u32 v1, v1, s12
	s_and_saveexec_b32 s3, vcc_lo
	s_cbranch_execnz .LBB164_84
; %bb.61:
	s_wait_alu 0xfffe
	s_or_b32 exec_lo, exec_lo, s3
	s_and_saveexec_b32 s3, s0
	s_cbranch_execnz .LBB164_85
.LBB164_62:
	s_wait_alu 0xfffe
	s_or_b32 exec_lo, exec_lo, s3
	s_and_saveexec_b32 s0, s1
	s_cbranch_execnz .LBB164_86
.LBB164_63:
	s_wait_alu 0xfffe
	s_or_b32 exec_lo, exec_lo, s0
	s_delay_alu instid0(SALU_CYCLE_1)
	s_and_b32 exec_lo, exec_lo, s2
	s_cbranch_execz .LBB164_65
.LBB164_64:
	v_bfe_u32 v2, v80, 16, 1
	v_dual_mov_b32 v1, 0 :: v_dual_add_nc_u32 v0, v1, v4
	v_cmp_o_f32_e32 vcc_lo, v80, v80
	s_delay_alu instid0(VALU_DEP_3) | instskip(NEXT) | instid1(VALU_DEP_3)
	v_add3_u32 v2, v80, v2, 0x7fff
	v_lshlrev_b64_e32 v[0:1], 1, v[0:1]
	s_delay_alu instid0(VALU_DEP_2) | instskip(SKIP_1) | instid1(VALU_DEP_1)
	v_lshrrev_b32_e32 v2, 16, v2
	s_wait_alu 0xfffd
	v_cndmask_b32_e32 v2, 0x7fc0, v2, vcc_lo
	s_wait_kmcnt 0x0
	s_delay_alu instid0(VALU_DEP_3)
	v_add_co_u32 v0, vcc_lo, s8, v0
	s_wait_alu 0xfffd
	v_add_co_ci_u32_e64 v1, null, s9, v1, vcc_lo
	global_store_b16 v[0:1], v2, off
.LBB164_65:
	s_nop 0
	s_sendmsg sendmsg(MSG_DEALLOC_VGPRS)
	s_endpgm
.LBB164_66:
	v_bfe_u32 v7, v121, 16, 1
	s_delay_alu instid0(VALU_DEP_2) | instskip(SKIP_1) | instid1(VALU_DEP_3)
	v_add_nc_u32_e32 v6, v5, v0
	v_cmp_o_f32_e64 s3, v121, v121
	v_add3_u32 v8, v121, v7, 0x7fff
	v_mov_b32_e32 v7, 0
	s_delay_alu instid0(VALU_DEP_2) | instskip(NEXT) | instid1(VALU_DEP_2)
	v_lshrrev_b32_e32 v8, 16, v8
	v_lshlrev_b64_e32 v[6:7], 1, v[6:7]
	s_wait_alu 0xf1ff
	s_delay_alu instid0(VALU_DEP_2) | instskip(SKIP_1) | instid1(VALU_DEP_2)
	v_cndmask_b32_e64 v8, 0x7fc0, v8, s3
	s_wait_kmcnt 0x0
	v_add_co_u32 v6, s3, s8, v6
	s_wait_alu 0xf1ff
	v_add_co_ci_u32_e64 v7, null, s9, v7, s3
	global_store_b16 v[6:7], v8, off
	s_wait_alu 0xfffe
	s_or_b32 exec_lo, exec_lo, s4
	s_and_saveexec_b32 s4, s0
	s_cbranch_execz .LBB164_26
.LBB164_67:
	v_bfe_u32 v7, v120, 16, 1
	v_add_nc_u32_e32 v6, v5, v2
	v_cmp_o_f32_e64 s3, v120, v120
	s_delay_alu instid0(VALU_DEP_3) | instskip(SKIP_1) | instid1(VALU_DEP_2)
	v_add3_u32 v8, v120, v7, 0x7fff
	v_mov_b32_e32 v7, 0
	v_lshrrev_b32_e32 v8, 16, v8
	s_delay_alu instid0(VALU_DEP_2) | instskip(SKIP_1) | instid1(VALU_DEP_2)
	v_lshlrev_b64_e32 v[6:7], 1, v[6:7]
	s_wait_alu 0xf1ff
	v_cndmask_b32_e64 v8, 0x7fc0, v8, s3
	s_wait_kmcnt 0x0
	s_delay_alu instid0(VALU_DEP_2)
	v_add_co_u32 v6, s3, s8, v6
	s_wait_alu 0xf1ff
	v_add_co_ci_u32_e64 v7, null, s9, v7, s3
	global_store_b16 v[6:7], v8, off
	s_wait_alu 0xfffe
	s_or_b32 exec_lo, exec_lo, s4
	s_and_saveexec_b32 s4, s1
	s_cbranch_execz .LBB164_27
.LBB164_68:
	v_bfe_u32 v7, v119, 16, 1
	v_add_nc_u32_e32 v6, v5, v3
	v_cmp_o_f32_e64 s3, v119, v119
	s_delay_alu instid0(VALU_DEP_3) | instskip(SKIP_1) | instid1(VALU_DEP_2)
	v_add3_u32 v8, v119, v7, 0x7fff
	v_mov_b32_e32 v7, 0
	v_lshrrev_b32_e32 v8, 16, v8
	s_delay_alu instid0(VALU_DEP_2) | instskip(SKIP_1) | instid1(VALU_DEP_2)
	v_lshlrev_b64_e32 v[6:7], 1, v[6:7]
	s_wait_alu 0xf1ff
	v_cndmask_b32_e64 v8, 0x7fc0, v8, s3
	s_wait_kmcnt 0x0
	s_delay_alu instid0(VALU_DEP_2)
	v_add_co_u32 v6, s3, s8, v6
	s_wait_alu 0xf1ff
	v_add_co_ci_u32_e64 v7, null, s9, v7, s3
	global_store_b16 v[6:7], v8, off
	s_wait_alu 0xfffe
	s_or_b32 exec_lo, exec_lo, s4
	s_and_saveexec_b32 s4, s2
	s_cbranch_execnz .LBB164_28
	s_branch .LBB164_29
.LBB164_69:
	v_bfe_u32 v7, v111, 16, 1
	s_delay_alu instid0(VALU_DEP_2) | instskip(SKIP_1) | instid1(VALU_DEP_3)
	v_add_nc_u32_e32 v6, v5, v0
	v_cmp_o_f32_e64 s3, v111, v111
	v_add3_u32 v8, v111, v7, 0x7fff
	v_mov_b32_e32 v7, 0
	s_delay_alu instid0(VALU_DEP_2) | instskip(NEXT) | instid1(VALU_DEP_2)
	v_lshrrev_b32_e32 v8, 16, v8
	v_lshlrev_b64_e32 v[6:7], 1, v[6:7]
	s_wait_alu 0xf1ff
	s_delay_alu instid0(VALU_DEP_2) | instskip(SKIP_1) | instid1(VALU_DEP_2)
	v_cndmask_b32_e64 v8, 0x7fc0, v8, s3
	s_wait_kmcnt 0x0
	v_add_co_u32 v6, s3, s8, v6
	s_wait_alu 0xf1ff
	v_add_co_ci_u32_e64 v7, null, s9, v7, s3
	global_store_b16 v[6:7], v8, off
	s_wait_alu 0xfffe
	s_or_b32 exec_lo, exec_lo, s4
	s_and_saveexec_b32 s4, s0
	s_cbranch_execz .LBB164_32
.LBB164_70:
	v_bfe_u32 v7, v106, 16, 1
	v_add_nc_u32_e32 v6, v5, v2
	v_cmp_o_f32_e64 s3, v106, v106
	s_delay_alu instid0(VALU_DEP_3) | instskip(SKIP_1) | instid1(VALU_DEP_2)
	v_add3_u32 v8, v106, v7, 0x7fff
	v_mov_b32_e32 v7, 0
	v_lshrrev_b32_e32 v8, 16, v8
	s_delay_alu instid0(VALU_DEP_2) | instskip(SKIP_1) | instid1(VALU_DEP_2)
	v_lshlrev_b64_e32 v[6:7], 1, v[6:7]
	s_wait_alu 0xf1ff
	v_cndmask_b32_e64 v8, 0x7fc0, v8, s3
	s_wait_kmcnt 0x0
	s_delay_alu instid0(VALU_DEP_2)
	v_add_co_u32 v6, s3, s8, v6
	s_wait_alu 0xf1ff
	v_add_co_ci_u32_e64 v7, null, s9, v7, s3
	global_store_b16 v[6:7], v8, off
	s_wait_alu 0xfffe
	s_or_b32 exec_lo, exec_lo, s4
	s_and_saveexec_b32 s4, s1
	s_cbranch_execz .LBB164_33
.LBB164_71:
	v_bfe_u32 v7, v104, 16, 1
	v_add_nc_u32_e32 v6, v5, v3
	v_cmp_o_f32_e64 s3, v104, v104
	s_delay_alu instid0(VALU_DEP_3) | instskip(SKIP_1) | instid1(VALU_DEP_2)
	v_add3_u32 v8, v104, v7, 0x7fff
	v_mov_b32_e32 v7, 0
	v_lshrrev_b32_e32 v8, 16, v8
	s_delay_alu instid0(VALU_DEP_2) | instskip(SKIP_1) | instid1(VALU_DEP_2)
	v_lshlrev_b64_e32 v[6:7], 1, v[6:7]
	s_wait_alu 0xf1ff
	v_cndmask_b32_e64 v8, 0x7fc0, v8, s3
	s_wait_kmcnt 0x0
	s_delay_alu instid0(VALU_DEP_2)
	v_add_co_u32 v6, s3, s8, v6
	s_wait_alu 0xf1ff
	v_add_co_ci_u32_e64 v7, null, s9, v7, s3
	global_store_b16 v[6:7], v8, off
	s_wait_alu 0xfffe
	s_or_b32 exec_lo, exec_lo, s4
	s_and_saveexec_b32 s4, s2
	s_cbranch_execnz .LBB164_34
	s_branch .LBB164_35
.LBB164_72:
	v_bfe_u32 v7, v102, 16, 1
	s_delay_alu instid0(VALU_DEP_2) | instskip(SKIP_1) | instid1(VALU_DEP_3)
	v_add_nc_u32_e32 v6, v5, v0
	v_cmp_o_f32_e64 s3, v102, v102
	v_add3_u32 v8, v102, v7, 0x7fff
	v_mov_b32_e32 v7, 0
	s_delay_alu instid0(VALU_DEP_2) | instskip(NEXT) | instid1(VALU_DEP_2)
	v_lshrrev_b32_e32 v8, 16, v8
	v_lshlrev_b64_e32 v[6:7], 1, v[6:7]
	s_wait_alu 0xf1ff
	s_delay_alu instid0(VALU_DEP_2) | instskip(SKIP_1) | instid1(VALU_DEP_2)
	v_cndmask_b32_e64 v8, 0x7fc0, v8, s3
	s_wait_kmcnt 0x0
	v_add_co_u32 v6, s3, s8, v6
	s_wait_alu 0xf1ff
	v_add_co_ci_u32_e64 v7, null, s9, v7, s3
	global_store_b16 v[6:7], v8, off
	s_wait_alu 0xfffe
	s_or_b32 exec_lo, exec_lo, s4
	s_and_saveexec_b32 s4, s0
	s_cbranch_execz .LBB164_38
.LBB164_73:
	v_bfe_u32 v7, v101, 16, 1
	v_add_nc_u32_e32 v6, v5, v2
	v_cmp_o_f32_e64 s3, v101, v101
	s_delay_alu instid0(VALU_DEP_3) | instskip(SKIP_1) | instid1(VALU_DEP_2)
	v_add3_u32 v8, v101, v7, 0x7fff
	v_mov_b32_e32 v7, 0
	v_lshrrev_b32_e32 v8, 16, v8
	s_delay_alu instid0(VALU_DEP_2) | instskip(SKIP_1) | instid1(VALU_DEP_2)
	v_lshlrev_b64_e32 v[6:7], 1, v[6:7]
	s_wait_alu 0xf1ff
	v_cndmask_b32_e64 v8, 0x7fc0, v8, s3
	s_wait_kmcnt 0x0
	s_delay_alu instid0(VALU_DEP_2)
	v_add_co_u32 v6, s3, s8, v6
	s_wait_alu 0xf1ff
	v_add_co_ci_u32_e64 v7, null, s9, v7, s3
	global_store_b16 v[6:7], v8, off
	s_wait_alu 0xfffe
	s_or_b32 exec_lo, exec_lo, s4
	s_and_saveexec_b32 s4, s1
	s_cbranch_execz .LBB164_39
.LBB164_74:
	v_bfe_u32 v7, v97, 16, 1
	v_add_nc_u32_e32 v6, v5, v3
	v_cmp_o_f32_e64 s3, v97, v97
	s_delay_alu instid0(VALU_DEP_3) | instskip(SKIP_1) | instid1(VALU_DEP_2)
	v_add3_u32 v8, v97, v7, 0x7fff
	v_mov_b32_e32 v7, 0
	v_lshrrev_b32_e32 v8, 16, v8
	s_delay_alu instid0(VALU_DEP_2) | instskip(SKIP_1) | instid1(VALU_DEP_2)
	v_lshlrev_b64_e32 v[6:7], 1, v[6:7]
	s_wait_alu 0xf1ff
	v_cndmask_b32_e64 v8, 0x7fc0, v8, s3
	s_wait_kmcnt 0x0
	s_delay_alu instid0(VALU_DEP_2)
	v_add_co_u32 v6, s3, s8, v6
	s_wait_alu 0xf1ff
	v_add_co_ci_u32_e64 v7, null, s9, v7, s3
	global_store_b16 v[6:7], v8, off
	s_wait_alu 0xfffe
	s_or_b32 exec_lo, exec_lo, s4
	s_and_saveexec_b32 s4, s2
	s_cbranch_execnz .LBB164_40
	s_branch .LBB164_41
.LBB164_75:
	v_bfe_u32 v7, v95, 16, 1
	s_delay_alu instid0(VALU_DEP_2) | instskip(SKIP_1) | instid1(VALU_DEP_3)
	v_add_nc_u32_e32 v6, v5, v0
	v_cmp_o_f32_e64 s3, v95, v95
	v_add3_u32 v8, v95, v7, 0x7fff
	v_mov_b32_e32 v7, 0
	s_delay_alu instid0(VALU_DEP_2) | instskip(NEXT) | instid1(VALU_DEP_2)
	v_lshrrev_b32_e32 v8, 16, v8
	v_lshlrev_b64_e32 v[6:7], 1, v[6:7]
	s_wait_alu 0xf1ff
	s_delay_alu instid0(VALU_DEP_2) | instskip(SKIP_1) | instid1(VALU_DEP_2)
	v_cndmask_b32_e64 v8, 0x7fc0, v8, s3
	s_wait_kmcnt 0x0
	v_add_co_u32 v6, s3, s8, v6
	s_wait_alu 0xf1ff
	v_add_co_ci_u32_e64 v7, null, s9, v7, s3
	global_store_b16 v[6:7], v8, off
	s_wait_alu 0xfffe
	s_or_b32 exec_lo, exec_lo, s4
	s_and_saveexec_b32 s4, s0
	s_cbranch_execz .LBB164_44
.LBB164_76:
	v_bfe_u32 v7, v94, 16, 1
	v_add_nc_u32_e32 v6, v5, v2
	v_cmp_o_f32_e64 s3, v94, v94
	s_delay_alu instid0(VALU_DEP_3) | instskip(SKIP_1) | instid1(VALU_DEP_2)
	v_add3_u32 v8, v94, v7, 0x7fff
	v_mov_b32_e32 v7, 0
	v_lshrrev_b32_e32 v8, 16, v8
	s_delay_alu instid0(VALU_DEP_2) | instskip(SKIP_1) | instid1(VALU_DEP_2)
	v_lshlrev_b64_e32 v[6:7], 1, v[6:7]
	s_wait_alu 0xf1ff
	v_cndmask_b32_e64 v8, 0x7fc0, v8, s3
	s_wait_kmcnt 0x0
	s_delay_alu instid0(VALU_DEP_2)
	v_add_co_u32 v6, s3, s8, v6
	s_wait_alu 0xf1ff
	v_add_co_ci_u32_e64 v7, null, s9, v7, s3
	global_store_b16 v[6:7], v8, off
	s_wait_alu 0xfffe
	s_or_b32 exec_lo, exec_lo, s4
	s_and_saveexec_b32 s4, s1
	s_cbranch_execz .LBB164_45
.LBB164_77:
	v_bfe_u32 v7, v93, 16, 1
	v_add_nc_u32_e32 v6, v5, v3
	v_cmp_o_f32_e64 s3, v93, v93
	s_delay_alu instid0(VALU_DEP_3) | instskip(SKIP_1) | instid1(VALU_DEP_2)
	v_add3_u32 v8, v93, v7, 0x7fff
	v_mov_b32_e32 v7, 0
	v_lshrrev_b32_e32 v8, 16, v8
	s_delay_alu instid0(VALU_DEP_2) | instskip(SKIP_1) | instid1(VALU_DEP_2)
	v_lshlrev_b64_e32 v[6:7], 1, v[6:7]
	s_wait_alu 0xf1ff
	v_cndmask_b32_e64 v8, 0x7fc0, v8, s3
	s_wait_kmcnt 0x0
	s_delay_alu instid0(VALU_DEP_2)
	v_add_co_u32 v6, s3, s8, v6
	s_wait_alu 0xf1ff
	v_add_co_ci_u32_e64 v7, null, s9, v7, s3
	global_store_b16 v[6:7], v8, off
	s_wait_alu 0xfffe
	s_or_b32 exec_lo, exec_lo, s4
	s_and_saveexec_b32 s4, s2
	s_cbranch_execnz .LBB164_46
	s_branch .LBB164_47
.LBB164_78:
	v_bfe_u32 v7, v91, 16, 1
	s_delay_alu instid0(VALU_DEP_2) | instskip(SKIP_1) | instid1(VALU_DEP_3)
	v_add_nc_u32_e32 v6, v5, v0
	v_cmp_o_f32_e64 s3, v91, v91
	v_add3_u32 v8, v91, v7, 0x7fff
	v_mov_b32_e32 v7, 0
	s_delay_alu instid0(VALU_DEP_2) | instskip(NEXT) | instid1(VALU_DEP_2)
	v_lshrrev_b32_e32 v8, 16, v8
	v_lshlrev_b64_e32 v[6:7], 1, v[6:7]
	s_wait_alu 0xf1ff
	s_delay_alu instid0(VALU_DEP_2) | instskip(SKIP_1) | instid1(VALU_DEP_2)
	v_cndmask_b32_e64 v8, 0x7fc0, v8, s3
	s_wait_kmcnt 0x0
	v_add_co_u32 v6, s3, s8, v6
	s_wait_alu 0xf1ff
	v_add_co_ci_u32_e64 v7, null, s9, v7, s3
	global_store_b16 v[6:7], v8, off
	s_wait_alu 0xfffe
	s_or_b32 exec_lo, exec_lo, s4
	s_and_saveexec_b32 s4, s0
	s_cbranch_execz .LBB164_50
.LBB164_79:
	v_bfe_u32 v7, v90, 16, 1
	v_add_nc_u32_e32 v6, v5, v2
	v_cmp_o_f32_e64 s3, v90, v90
	s_delay_alu instid0(VALU_DEP_3) | instskip(SKIP_1) | instid1(VALU_DEP_2)
	v_add3_u32 v8, v90, v7, 0x7fff
	v_mov_b32_e32 v7, 0
	v_lshrrev_b32_e32 v8, 16, v8
	s_delay_alu instid0(VALU_DEP_2) | instskip(SKIP_1) | instid1(VALU_DEP_2)
	v_lshlrev_b64_e32 v[6:7], 1, v[6:7]
	s_wait_alu 0xf1ff
	v_cndmask_b32_e64 v8, 0x7fc0, v8, s3
	s_wait_kmcnt 0x0
	s_delay_alu instid0(VALU_DEP_2)
	v_add_co_u32 v6, s3, s8, v6
	s_wait_alu 0xf1ff
	v_add_co_ci_u32_e64 v7, null, s9, v7, s3
	global_store_b16 v[6:7], v8, off
	s_wait_alu 0xfffe
	s_or_b32 exec_lo, exec_lo, s4
	s_and_saveexec_b32 s4, s1
	s_cbranch_execz .LBB164_51
.LBB164_80:
	v_bfe_u32 v7, v89, 16, 1
	v_add_nc_u32_e32 v6, v5, v3
	v_cmp_o_f32_e64 s3, v89, v89
	s_delay_alu instid0(VALU_DEP_3) | instskip(SKIP_1) | instid1(VALU_DEP_2)
	v_add3_u32 v8, v89, v7, 0x7fff
	v_mov_b32_e32 v7, 0
	v_lshrrev_b32_e32 v8, 16, v8
	s_delay_alu instid0(VALU_DEP_2) | instskip(SKIP_1) | instid1(VALU_DEP_2)
	v_lshlrev_b64_e32 v[6:7], 1, v[6:7]
	s_wait_alu 0xf1ff
	v_cndmask_b32_e64 v8, 0x7fc0, v8, s3
	s_wait_kmcnt 0x0
	s_delay_alu instid0(VALU_DEP_2)
	v_add_co_u32 v6, s3, s8, v6
	s_wait_alu 0xf1ff
	v_add_co_ci_u32_e64 v7, null, s9, v7, s3
	global_store_b16 v[6:7], v8, off
	s_wait_alu 0xfffe
	s_or_b32 exec_lo, exec_lo, s4
	s_and_saveexec_b32 s4, s2
	s_cbranch_execnz .LBB164_52
	s_branch .LBB164_53
.LBB164_81:
	v_bfe_u32 v7, v87, 16, 1
	s_delay_alu instid0(VALU_DEP_2) | instskip(SKIP_1) | instid1(VALU_DEP_3)
	v_add_nc_u32_e32 v6, v5, v0
	v_cmp_o_f32_e64 s3, v87, v87
	v_add3_u32 v8, v87, v7, 0x7fff
	v_mov_b32_e32 v7, 0
	s_delay_alu instid0(VALU_DEP_2) | instskip(NEXT) | instid1(VALU_DEP_2)
	v_lshrrev_b32_e32 v8, 16, v8
	v_lshlrev_b64_e32 v[6:7], 1, v[6:7]
	s_wait_alu 0xf1ff
	s_delay_alu instid0(VALU_DEP_2) | instskip(SKIP_1) | instid1(VALU_DEP_2)
	v_cndmask_b32_e64 v8, 0x7fc0, v8, s3
	s_wait_kmcnt 0x0
	v_add_co_u32 v6, s3, s8, v6
	s_wait_alu 0xf1ff
	v_add_co_ci_u32_e64 v7, null, s9, v7, s3
	global_store_b16 v[6:7], v8, off
	s_wait_alu 0xfffe
	s_or_b32 exec_lo, exec_lo, s4
	s_and_saveexec_b32 s4, s0
	s_cbranch_execz .LBB164_56
.LBB164_82:
	v_bfe_u32 v7, v86, 16, 1
	v_add_nc_u32_e32 v6, v5, v2
	v_cmp_o_f32_e64 s3, v86, v86
	s_delay_alu instid0(VALU_DEP_3) | instskip(SKIP_1) | instid1(VALU_DEP_2)
	v_add3_u32 v8, v86, v7, 0x7fff
	v_mov_b32_e32 v7, 0
	v_lshrrev_b32_e32 v8, 16, v8
	s_delay_alu instid0(VALU_DEP_2) | instskip(SKIP_1) | instid1(VALU_DEP_2)
	v_lshlrev_b64_e32 v[6:7], 1, v[6:7]
	s_wait_alu 0xf1ff
	v_cndmask_b32_e64 v8, 0x7fc0, v8, s3
	s_wait_kmcnt 0x0
	s_delay_alu instid0(VALU_DEP_2)
	v_add_co_u32 v6, s3, s8, v6
	s_wait_alu 0xf1ff
	v_add_co_ci_u32_e64 v7, null, s9, v7, s3
	global_store_b16 v[6:7], v8, off
	s_wait_alu 0xfffe
	s_or_b32 exec_lo, exec_lo, s4
	s_and_saveexec_b32 s4, s1
	s_cbranch_execz .LBB164_57
.LBB164_83:
	v_bfe_u32 v7, v85, 16, 1
	v_add_nc_u32_e32 v6, v5, v3
	v_cmp_o_f32_e64 s3, v85, v85
	s_delay_alu instid0(VALU_DEP_3) | instskip(SKIP_1) | instid1(VALU_DEP_2)
	v_add3_u32 v8, v85, v7, 0x7fff
	v_mov_b32_e32 v7, 0
	v_lshrrev_b32_e32 v8, 16, v8
	s_delay_alu instid0(VALU_DEP_2) | instskip(SKIP_1) | instid1(VALU_DEP_2)
	v_lshlrev_b64_e32 v[6:7], 1, v[6:7]
	s_wait_alu 0xf1ff
	v_cndmask_b32_e64 v8, 0x7fc0, v8, s3
	s_wait_kmcnt 0x0
	s_delay_alu instid0(VALU_DEP_2)
	v_add_co_u32 v6, s3, s8, v6
	s_wait_alu 0xf1ff
	v_add_co_ci_u32_e64 v7, null, s9, v7, s3
	global_store_b16 v[6:7], v8, off
	s_wait_alu 0xfffe
	s_or_b32 exec_lo, exec_lo, s4
	s_and_saveexec_b32 s4, s2
	s_cbranch_execnz .LBB164_58
	s_branch .LBB164_59
.LBB164_84:
	v_bfe_u32 v6, v83, 16, 1
	s_delay_alu instid0(VALU_DEP_2) | instskip(SKIP_1) | instid1(VALU_DEP_3)
	v_add_nc_u32_e32 v5, v1, v0
	v_cmp_o_f32_e32 vcc_lo, v83, v83
	v_add3_u32 v0, v83, v6, 0x7fff
	v_mov_b32_e32 v6, 0
	s_delay_alu instid0(VALU_DEP_2) | instskip(NEXT) | instid1(VALU_DEP_2)
	v_lshrrev_b32_e32 v0, 16, v0
	v_lshlrev_b64_e32 v[5:6], 1, v[5:6]
	s_wait_alu 0xfffd
	s_delay_alu instid0(VALU_DEP_2) | instskip(SKIP_1) | instid1(VALU_DEP_2)
	v_cndmask_b32_e32 v0, 0x7fc0, v0, vcc_lo
	s_wait_kmcnt 0x0
	v_add_co_u32 v5, vcc_lo, s8, v5
	s_wait_alu 0xfffd
	v_add_co_ci_u32_e64 v6, null, s9, v6, vcc_lo
	global_store_b16 v[5:6], v0, off
	s_wait_alu 0xfffe
	s_or_b32 exec_lo, exec_lo, s3
	s_and_saveexec_b32 s3, s0
	s_cbranch_execz .LBB164_62
.LBB164_85:
	v_bfe_u32 v0, v82, 16, 1
	v_dual_mov_b32 v6, 0 :: v_dual_add_nc_u32 v5, v1, v2
	v_cmp_o_f32_e32 vcc_lo, v82, v82
	s_delay_alu instid0(VALU_DEP_3) | instskip(NEXT) | instid1(VALU_DEP_3)
	v_add3_u32 v0, v82, v0, 0x7fff
	v_lshlrev_b64_e32 v[5:6], 1, v[5:6]
	s_delay_alu instid0(VALU_DEP_2) | instskip(SKIP_1) | instid1(VALU_DEP_1)
	v_lshrrev_b32_e32 v0, 16, v0
	s_wait_alu 0xfffd
	v_cndmask_b32_e32 v0, 0x7fc0, v0, vcc_lo
	s_wait_kmcnt 0x0
	s_delay_alu instid0(VALU_DEP_3)
	v_add_co_u32 v5, vcc_lo, s8, v5
	s_wait_alu 0xfffd
	v_add_co_ci_u32_e64 v6, null, s9, v6, vcc_lo
	global_store_b16 v[5:6], v0, off
	s_wait_alu 0xfffe
	s_or_b32 exec_lo, exec_lo, s3
	s_and_saveexec_b32 s0, s1
	s_cbranch_execz .LBB164_63
.LBB164_86:
	v_bfe_u32 v0, v81, 16, 1
	v_dual_mov_b32 v3, 0 :: v_dual_add_nc_u32 v2, v1, v3
	v_cmp_o_f32_e32 vcc_lo, v81, v81
	s_delay_alu instid0(VALU_DEP_3) | instskip(NEXT) | instid1(VALU_DEP_3)
	v_add3_u32 v0, v81, v0, 0x7fff
	v_lshlrev_b64_e32 v[2:3], 1, v[2:3]
	s_delay_alu instid0(VALU_DEP_2) | instskip(SKIP_1) | instid1(VALU_DEP_1)
	v_lshrrev_b32_e32 v0, 16, v0
	s_wait_alu 0xfffd
	v_cndmask_b32_e32 v0, 0x7fc0, v0, vcc_lo
	s_wait_kmcnt 0x0
	s_delay_alu instid0(VALU_DEP_3)
	v_add_co_u32 v2, vcc_lo, s8, v2
	s_wait_alu 0xfffd
	v_add_co_ci_u32_e64 v3, null, s9, v3, vcc_lo
	global_store_b16 v[2:3], v0, off
	s_wait_alu 0xfffe
	s_or_b32 exec_lo, exec_lo, s0
	s_delay_alu instid0(SALU_CYCLE_1)
	s_and_b32 exec_lo, exec_lo, s2
	s_cbranch_execnz .LBB164_64
	s_branch .LBB164_65
	.section	.rodata,"a",@progbits
	.p2align	6, 0x0
	.amdhsa_kernel _ZL12mul_mat_q5_1IN3c108BFloat16ELb1EEvPKvS3_PT_iiiii
		.amdhsa_group_segment_fixed_size 46720
		.amdhsa_private_segment_fixed_size 124
		.amdhsa_kernarg_size 44
		.amdhsa_user_sgpr_count 2
		.amdhsa_user_sgpr_dispatch_ptr 0
		.amdhsa_user_sgpr_queue_ptr 0
		.amdhsa_user_sgpr_kernarg_segment_ptr 1
		.amdhsa_user_sgpr_dispatch_id 0
		.amdhsa_user_sgpr_private_segment_size 0
		.amdhsa_wavefront_size32 1
		.amdhsa_uses_dynamic_stack 0
		.amdhsa_enable_private_segment 1
		.amdhsa_system_sgpr_workgroup_id_x 1
		.amdhsa_system_sgpr_workgroup_id_y 1
		.amdhsa_system_sgpr_workgroup_id_z 0
		.amdhsa_system_sgpr_workgroup_info 0
		.amdhsa_system_vgpr_workitem_id 1
		.amdhsa_next_free_vgpr 256
		.amdhsa_next_free_sgpr 17
		.amdhsa_reserve_vcc 1
		.amdhsa_float_round_mode_32 0
		.amdhsa_float_round_mode_16_64 0
		.amdhsa_float_denorm_mode_32 3
		.amdhsa_float_denorm_mode_16_64 3
		.amdhsa_fp16_overflow 0
		.amdhsa_workgroup_processor_mode 1
		.amdhsa_memory_ordered 1
		.amdhsa_forward_progress 1
		.amdhsa_inst_pref_size 210
		.amdhsa_round_robin_scheduling 0
		.amdhsa_exception_fp_ieee_invalid_op 0
		.amdhsa_exception_fp_denorm_src 0
		.amdhsa_exception_fp_ieee_div_zero 0
		.amdhsa_exception_fp_ieee_overflow 0
		.amdhsa_exception_fp_ieee_underflow 0
		.amdhsa_exception_fp_ieee_inexact 0
		.amdhsa_exception_int_div_zero 0
	.end_amdhsa_kernel
	.section	.text._ZL12mul_mat_q5_1IN3c108BFloat16ELb1EEvPKvS3_PT_iiiii,"axG",@progbits,_ZL12mul_mat_q5_1IN3c108BFloat16ELb1EEvPKvS3_PT_iiiii,comdat
.Lfunc_end164:
	.size	_ZL12mul_mat_q5_1IN3c108BFloat16ELb1EEvPKvS3_PT_iiiii, .Lfunc_end164-_ZL12mul_mat_q5_1IN3c108BFloat16ELb1EEvPKvS3_PT_iiiii
                                        ; -- End function
	.set _ZL12mul_mat_q5_1IN3c108BFloat16ELb1EEvPKvS3_PT_iiiii.num_vgpr, 256
	.set _ZL12mul_mat_q5_1IN3c108BFloat16ELb1EEvPKvS3_PT_iiiii.num_agpr, 0
	.set _ZL12mul_mat_q5_1IN3c108BFloat16ELb1EEvPKvS3_PT_iiiii.numbered_sgpr, 17
	.set _ZL12mul_mat_q5_1IN3c108BFloat16ELb1EEvPKvS3_PT_iiiii.num_named_barrier, 0
	.set _ZL12mul_mat_q5_1IN3c108BFloat16ELb1EEvPKvS3_PT_iiiii.private_seg_size, 124
	.set _ZL12mul_mat_q5_1IN3c108BFloat16ELb1EEvPKvS3_PT_iiiii.uses_vcc, 1
	.set _ZL12mul_mat_q5_1IN3c108BFloat16ELb1EEvPKvS3_PT_iiiii.uses_flat_scratch, 1
	.set _ZL12mul_mat_q5_1IN3c108BFloat16ELb1EEvPKvS3_PT_iiiii.has_dyn_sized_stack, 0
	.set _ZL12mul_mat_q5_1IN3c108BFloat16ELb1EEvPKvS3_PT_iiiii.has_recursion, 0
	.set _ZL12mul_mat_q5_1IN3c108BFloat16ELb1EEvPKvS3_PT_iiiii.has_indirect_call, 0
	.section	.AMDGPU.csdata,"",@progbits
; Kernel info:
; codeLenInByte = 26840
; TotalNumSgprs: 19
; NumVgprs: 256
; ScratchSize: 124
; MemoryBound: 0
; FloatMode: 240
; IeeeMode: 1
; LDSByteSize: 46720 bytes/workgroup (compile time only)
; SGPRBlocks: 0
; VGPRBlocks: 31
; NumSGPRsForWavesPerEU: 19
; NumVGPRsForWavesPerEU: 256
; Occupancy: 4
; WaveLimiterHint : 0
; COMPUTE_PGM_RSRC2:SCRATCH_EN: 1
; COMPUTE_PGM_RSRC2:USER_SGPR: 2
; COMPUTE_PGM_RSRC2:TRAP_HANDLER: 0
; COMPUTE_PGM_RSRC2:TGID_X_EN: 1
; COMPUTE_PGM_RSRC2:TGID_Y_EN: 1
; COMPUTE_PGM_RSRC2:TGID_Z_EN: 0
; COMPUTE_PGM_RSRC2:TIDIG_COMP_CNT: 1
	.section	.text._ZL12mul_mat_q8_0IN3c108BFloat16ELb0EEvPKvS3_PT_iiiii,"axG",@progbits,_ZL12mul_mat_q8_0IN3c108BFloat16ELb0EEvPKvS3_PT_iiiii,comdat
	.globl	_ZL12mul_mat_q8_0IN3c108BFloat16ELb0EEvPKvS3_PT_iiiii ; -- Begin function _ZL12mul_mat_q8_0IN3c108BFloat16ELb0EEvPKvS3_PT_iiiii
	.p2align	8
	.type	_ZL12mul_mat_q8_0IN3c108BFloat16ELb0EEvPKvS3_PT_iiiii,@function
_ZL12mul_mat_q8_0IN3c108BFloat16ELb0EEvPKvS3_PT_iiiii: ; @_ZL12mul_mat_q8_0IN3c108BFloat16ELb0EEvPKvS3_PT_iiiii
; %bb.0:
	s_clause 0x1
	s_load_b32 s10, s[0:1], 0x18
	s_load_b96 s[4:6], s[0:1], 0x20
	v_bfe_u32 v58, v0, 10, 10
	v_and_b32_e32 v59, 0x3ff, v0
	s_lshl_b32 s7, ttmp7, 6
	s_wait_kmcnt 0x0
	s_cmp_gt_i32 s10, 31
	s_cbranch_scc1 .LBB165_2
; %bb.1:
	v_bfe_u32 v1, v0, 10, 10
	v_and_b32_e32 v2, 0x3ff, v0
	s_mov_b32 s2, 0
	s_delay_alu instid0(VALU_DEP_2)
	v_add_nc_u32_e32 v62, s7, v1
	s_branch .LBB165_3
.LBB165_2:
	s_mov_b32 s2, -1
                                        ; implicit-def: $vgpr1
                                        ; implicit-def: $vgpr2
                                        ; implicit-def: $vgpr62
.LBB165_3:
	s_load_b64 s[8:9], s[0:1], 0x10
	v_dual_mov_b32 v37, 0 :: v_dual_mov_b32 v64, 0
	v_dual_mov_b32 v41, 0 :: v_dual_mov_b32 v38, 0
	;; [unrolled: 1-line block ×15, first 2 shown]
	v_mov_b32_e32 v73, 0
	v_mov_b32_e32 v63, 0
	s_and_not1_b32 vcc_lo, exec_lo, s2
	s_lshl_b32 s14, ttmp9, 7
	s_cbranch_vccnz .LBB165_9
; %bb.4:
	v_dual_mov_b32 v63, 0 :: v_dual_add_nc_u32 v62, s7, v58
	s_add_co_i32 s16, s4, -1
	s_ashr_i32 s11, s10, 31
	v_cvt_f64_i32_e32 v[2:3], s16
	s_delay_alu instid0(VALU_DEP_2)
	v_dual_mov_b32 v66, 0 :: v_dual_add_nc_u32 v1, 8, v62
	v_cvt_f64_u32_e32 v[4:5], v62
	v_dual_mov_b32 v73, 0 :: v_dual_add_nc_u32 v8, 16, v62
	v_dual_mov_b32 v67, 0 :: v_dual_add_nc_u32 v10, 24, v62
	;; [unrolled: 1-line block ×3, first 2 shown]
	v_cvt_f64_u32_e32 v[6:7], v1
	v_dual_mov_b32 v55, 0 :: v_dual_add_nc_u32 v14, 40, v62
	v_dual_mov_b32 v68, 0 :: v_dual_add_nc_u32 v1, 48, v62
	;; [unrolled: 1-line block ×3, first 2 shown]
	v_cvt_f64_u32_e32 v[8:9], v8
	v_cvt_f64_u32_e32 v[10:11], v10
	v_cvt_f64_u32_e32 v[12:13], v12
	v_cvt_f64_u32_e32 v[14:15], v14
	v_cvt_f64_u32_e32 v[16:17], v1
	v_cvt_f64_u32_e32 v[18:19], v18
	s_lshr_b32 s11, s11, 27
	v_mov_b32_e32 v49, 0
	s_add_co_i32 s10, s10, s11
	v_mov_b32_e32 v70, 0
	s_ashr_i32 s15, s10, 5
	v_mov_b32_e32 v41, 0
	v_mul_lo_u32 v72, s15, v58
	s_lshl_b32 s20, s15, 3
	v_mov_b32_e32 v60, 0
	v_dual_mov_b32 v69, 0 :: v_dual_lshlrev_b32 v28, 3, v58
	v_bfe_u32 v29, v0, 2, 8
	v_dual_mov_b32 v40, 0 :: v_dual_and_b32 v1, 3, v0
	v_add_nc_u32_e32 v74, s20, v72
	s_load_b128 s[0:3], s[0:1], 0x0
	s_ashr_i32 s12, s5, 31
	v_dual_mov_b32 v47, 0 :: v_dual_lshlrev_b32 v20, 2, v59
	v_min_num_f64_e32 v[4:5], v[4:5], v[2:3]
	v_dual_mov_b32 v64, 0 :: v_dual_add_nc_u32 v75, s20, v74
	s_lshr_b32 s10, s12, 27
	v_dual_mov_b32 v56, 0 :: v_dual_add_nc_u32 v21, 8, v58
	v_min_num_f64_e32 v[6:7], v[6:7], v[2:3]
	s_delay_alu instid0(VALU_DEP_3) | instskip(SKIP_2) | instid1(VALU_DEP_2)
	v_dual_mov_b32 v37, 0 :: v_dual_add_nc_u32 v78, s20, v75
	s_add_co_i32 s5, s5, s10
	v_dual_mov_b32 v43, 0 :: v_dual_add_nc_u32 v22, 16, v58
	v_add_nc_u32_e32 v79, s20, v78
	v_min_num_f64_e32 v[8:9], v[8:9], v[2:3]
	v_min_num_f64_e32 v[10:11], v[10:11], v[2:3]
	;; [unrolled: 1-line block ×6, first 2 shown]
	v_add_nc_u32_e32 v82, s20, v79
	v_add_nc_u32_e32 v18, v29, v28
	v_add_nc_u16 v19, v29, v28
	v_lshlrev_b32_e32 v28, 2, v1
	s_ashr_i32 s5, s5, 5
	v_add_nc_u32_e32 v86, s20, v82
	v_dual_mov_b32 v52, 0 :: v_dual_add_nc_u32 v23, 24, v58
	v_dual_mov_b32 v39, 0 :: v_dual_add_nc_u32 v24, 32, v58
	s_delay_alu instid0(VALU_DEP_3) | instskip(SKIP_2) | instid1(VALU_DEP_3)
	v_add_nc_u32_e32 v91, s20, v86
	v_dual_mov_b32 v48, 0 :: v_dual_add_nc_u32 v25, 40, v58
	v_dual_mov_b32 v65, 0 :: v_dual_add_nc_u32 v26, 48, v58
	v_add_nc_u32_e32 v96, s20, v91
	v_dual_mov_b32 v44, 0 :: v_dual_add_nc_u32 v27, 56, v58
	v_dual_mov_b32 v57, 0 :: v_dual_and_b32 v30, 31, v0
	v_cvt_i32_f64_e32 v4, v[4:5]
	s_delay_alu instid0(VALU_DEP_4) | instskip(SKIP_3) | instid1(VALU_DEP_4)
	v_add_nc_u32_e32 v98, s20, v96
	v_mul_lo_u32 v103, s15, v18
	v_dual_mov_b32 v45, 0 :: v_dual_and_b32 v76, 28, v20
	v_cvt_i32_f64_e32 v5, v[6:7]
	v_add_nc_u32_e32 v101, s20, v98
	v_bfe_u32 v71, v0, 3, 7
	v_dual_mov_b32 v53, 0 :: v_dual_lshlrev_b32 v0, 7, v58
	v_mad_u32_u24 v77, 0x84, v58, v20
	s_delay_alu instid0(VALU_DEP_4)
	v_add_nc_u32_e32 v104, s20, v101
	v_cvt_i32_f64_e32 v6, v[8:9]
	v_cvt_i32_f64_e32 v7, v[10:11]
	;; [unrolled: 1-line block ×6, first 2 shown]
	v_lshrrev_b16 v2, 1, v19
	v_add_nc_u32_e32 v3, 64, v18
	v_and_b32_e32 v13, 63, v18
	v_add_nc_u32_e32 v105, s20, v104
	v_lshl_or_b32 v29, v30, 2, 0x4200
	v_and_b32_e32 v2, 0x7fc, v2
	v_lshrrev_b32_e32 v14, 1, v3
	v_lshlrev_b32_e32 v15, 4, v3
	v_or_b32_e32 v3, s7, v13
	v_lshl_or_b32 v13, v13, 4, v28
	v_add3_u32 v16, v2, v28, 0x6200
	v_add_nc_u32_e32 v106, s20, v105
	v_and_b32_e32 v14, 0xffc, v14
	v_min_i32_e32 v2, s16, v3
	v_lshlrev_b32_e32 v80, 7, v21
	v_dual_mov_b32 v54, 0 :: v_dual_lshlrev_b32 v81, 7, v22
	v_lshlrev_b32_e32 v12, 4, v18
	s_delay_alu instid0(VALU_DEP_4)
	v_mad_co_u64_u32 v[2:3], null, v2, s5, v[1:2]
	v_mul_lo_u32 v111, s5, v4
	v_add_nc_u32_e32 v3, 32, v59
	v_add_nc_u32_e32 v4, 64, v59
	;; [unrolled: 1-line block ×4, first 2 shown]
	v_mul_lo_u32 v112, s5, v5
	v_add_nc_u32_e32 v5, 0x60, v59
	v_add3_u32 v13, v14, v28, 0x6200
	v_lshlrev_b32_e32 v115, 7, v23
	v_lshlrev_b32_e32 v117, 7, v24
	;; [unrolled: 1-line block ×4, first 2 shown]
	v_mul_lo_u32 v113, s5, v6
	v_mul_lo_u32 v114, s5, v7
	;; [unrolled: 1-line block ×3, first 2 shown]
	v_lshlrev_b32_e32 v123, 7, v27
	v_lshrrev_b32_e32 v6, 3, v3
	v_lshrrev_b32_e32 v7, 3, v4
	;; [unrolled: 1-line block ×3, first 2 shown]
	s_mul_i32 s10, s15, s14
	v_mul_lo_u32 v118, s5, v9
	v_mul_lo_u32 v120, s5, v10
	;; [unrolled: 1-line block ×3, first 2 shown]
	s_movk_i32 s17, 0x1080
	s_movk_i32 s18, 0x2100
	;; [unrolled: 1-line block ×3, first 2 shown]
	v_lshlrev_b32_e32 v134, 4, v3
	s_wait_kmcnt 0x0
	v_add_co_u32 v3, s5, s2, v76
	s_ashr_i32 s11, s10, 31
	v_dual_mov_b32 v50, 0 :: v_dual_add_nc_u32 v83, 0x420, v77
	v_add_nc_u32_e32 v84, 0x840, v77
	v_dual_mov_b32 v46, 0 :: v_dual_add_nc_u32 v85, 0xc60, v77
	v_dual_mov_b32 v42, 0 :: v_dual_add_nc_u32 v87, 0x1080, v77
	v_add_nc_u32_e32 v88, 0x14a0, v77
	v_dual_mov_b32 v38, 0 :: v_dual_add_nc_u32 v89, 0x18c0, v77
	v_add_nc_u32_e32 v90, 0x1ce0, v77
	v_add_nc_u32_e32 v92, 0x2100, v77
	;; [unrolled: 1-line block ×9, first 2 shown]
	v_lshl_add_u32 v107, s15, 6, v103
	v_add_nc_u32_e32 v110, s20, v108
	v_lshlrev_b32_e32 v124, 4, v58
	v_lshlrev_b32_e32 v125, 4, v21
	;; [unrolled: 1-line block ×8, first 2 shown]
	v_mul_u32_u24_e32 v132, 0x84, v59
	s_wait_alu 0xfffe
	v_mad_u32_u24 v133, 0x84, v59, s17
	v_mad_u32_u24 v135, 0x84, v59, s18
	v_lshlrev_b32_e32 v136, 4, v4
	v_mad_u32_u24 v137, 0x84, v59, s19
	v_lshlrev_b32_e32 v138, 4, v5
	s_wait_alu 0xf1ff
	v_add_co_ci_u32_e64 v4, null, s3, 0, s5
	v_add_nc_u32_e32 v139, v16, v12
	v_add_nc_u32_e32 v140, v13, v15
	;; [unrolled: 1-line block ×10, first 2 shown]
	v_lshlrev_b32_e32 v149, 2, v71
	v_lshlrev_b32_e32 v150, 2, v20
	;; [unrolled: 1-line block ×5, first 2 shown]
	s_mul_u64 s[12:13], s[10:11], 34
	s_mov_b32 s11, 0
	s_add_nc_u64 s[0:1], s[0:1], s[12:13]
	s_mov_b32 s10, s11
.LBB165_5:                              ; =>This Loop Header: Depth=1
                                        ;     Child Loop BB165_6 Depth 2
	s_delay_alu instid0(SALU_CYCLE_1)
	s_mul_u64 s[12:13], s[10:11], 34
	v_add_nc_u32_e32 v35, s10, v71
	s_wait_alu 0xfffe
	s_add_nc_u64 s[12:13], s[0:1], s[12:13]
	v_add_nc_u32_e32 v25, s10, v2
	s_wait_alu 0xfffe
	v_mad_co_u64_u32 v[5:6], null, v71, 34, s[12:13]
	s_mov_b32 s5, 0
	v_mad_co_u64_u32 v[25:26], null, v25, 36, s[2:3]
	v_mad_co_u64_u32 v[7:8], null, v72, 34, v[5:6]
	;; [unrolled: 1-line block ×5, first 2 shown]
	s_delay_alu instid0(VALU_DEP_4)
	v_add_co_u32 v7, vcc_lo, v7, v76
	v_mad_co_u64_u32 v[15:16], null, v79, 34, v[5:6]
	s_wait_alu 0xfffd
	v_add_co_ci_u32_e64 v8, null, 0, v8, vcc_lo
	v_add_co_u32 v9, vcc_lo, v9, v76
	v_mad_co_u64_u32 v[17:18], null, v82, 34, v[5:6]
	s_wait_alu 0xfffd
	v_add_co_ci_u32_e64 v10, null, 0, v10, vcc_lo
	;; [unrolled: 4-line block ×4, first 2 shown]
	v_add_co_u32 v15, vcc_lo, v15, v76
	s_wait_alu 0xfffd
	v_add_co_ci_u32_e64 v16, null, 0, v16, vcc_lo
	v_add_co_u32 v17, vcc_lo, v17, v76
	s_wait_alu 0xfffd
	v_add_co_ci_u32_e64 v18, null, 0, v18, vcc_lo
	;; [unrolled: 3-line block ×3, first 2 shown]
	v_add_co_u32 v21, vcc_lo, v21, v76
	v_mad_co_u64_u32 v[23:24], null, v96, 34, v[5:6]
	s_wait_alu 0xfffd
	v_add_co_ci_u32_e64 v22, null, 0, v22, vcc_lo
	s_clause 0x7
	global_load_b32 v27, v[7:8], off offset:2
	global_load_b32 v28, v[9:10], off offset:2
	;; [unrolled: 1-line block ×8, first 2 shown]
	v_mad_co_u64_u32 v[7:8], null, v98, 34, v[5:6]
	v_mad_co_u64_u32 v[11:12], null, v101, 34, v[5:6]
	;; [unrolled: 1-line block ×3, first 2 shown]
	v_add_co_u32 v9, vcc_lo, v23, v76
	v_mad_co_u64_u32 v[15:16], null, v105, 34, v[5:6]
	s_wait_alu 0xfffd
	v_add_co_ci_u32_e64 v10, null, 0, v24, vcc_lo
	v_add_co_u32 v7, vcc_lo, v7, v76
	v_mad_co_u64_u32 v[17:18], null, v106, 34, v[5:6]
	s_wait_alu 0xfffd
	v_add_co_ci_u32_e64 v8, null, 0, v8, vcc_lo
	;; [unrolled: 4-line block ×4, first 2 shown]
	v_add_co_u32 v15, vcc_lo, v15, v76
	s_wait_alu 0xfffd
	v_add_co_ci_u32_e64 v16, null, 0, v16, vcc_lo
	v_add_co_u32 v17, vcc_lo, v17, v76
	s_wait_alu 0xfffd
	v_add_co_ci_u32_e64 v18, null, 0, v18, vcc_lo
	v_add_co_u32 v19, vcc_lo, v19, v76
	v_mad_co_u64_u32 v[21:22], null, v1, 34, s[12:13]
	s_wait_alu 0xfffd
	v_add_co_ci_u32_e64 v20, null, 0, v20, vcc_lo
	v_add_co_u32 v5, vcc_lo, v5, v76
	s_wait_alu 0xfffd
	v_add_co_ci_u32_e64 v6, null, 0, v6, vcc_lo
	s_clause 0x7
	global_load_b32 v36, v[9:10], off offset:2
	global_load_b32 v154, v[7:8], off offset:2
	;; [unrolled: 1-line block ×8, first 2 shown]
	v_add_nc_u32_e32 v7, v35, v112
	v_add_nc_u32_e32 v11, v35, v114
	;; [unrolled: 1-line block ×5, first 2 shown]
	v_mad_co_u64_u32 v[23:24], null, v103, 34, v[21:22]
	v_add_nc_u32_e32 v9, v35, v113
	v_mad_co_i64_i32 v[7:8], null, v7, 36, v[3:4]
	v_mad_co_u64_u32 v[21:22], null, v107, 34, v[21:22]
	v_mad_co_i64_i32 v[11:12], null, v11, 36, v[3:4]
	v_add_nc_u32_e32 v17, v35, v116
	v_mad_co_i64_i32 v[13:14], null, v13, 36, v[3:4]
	v_add_nc_u32_e32 v19, v35, v120
	v_mad_co_i64_i32 v[15:16], null, v15, 36, v[3:4]
	v_mad_co_i64_i32 v[5:6], null, v5, 36, v[3:4]
	;; [unrolled: 1-line block ×5, first 2 shown]
	s_clause 0x1
	global_load_u16 v23, v[23:24], off
	global_load_u16 v21, v[21:22], off
	s_clause 0x8
	global_load_b32 v22, v[25:26], off
	global_load_b32 v7, v[7:8], off offset:4
	global_load_b32 v8, v[11:12], off offset:4
	;; [unrolled: 1-line block ×8, first 2 shown]
	s_wait_loadcnt 0xa
	v_cvt_f32_f16_e32 v14, v23
	s_wait_loadcnt 0x9
	v_cvt_f32_f16_e32 v15, v21
	;; [unrolled: 2-line block ×3, first 2 shown]
	ds_store_b32 v77, v27
	ds_store_b32 v83, v28
	;; [unrolled: 1-line block ×18, first 2 shown]
	s_wait_loadcnt 0x7
	ds_store_b32 v142, v7
	s_wait_loadcnt 0x6
	ds_store_b32 v144, v8
	;; [unrolled: 2-line block ×8, first 2 shown]
	ds_store_b32 v109, v13
	s_wait_dscnt 0x0
	s_barrier_signal -1
	s_barrier_wait -1
	global_inv scope:SCOPE_SE
.LBB165_6:                              ;   Parent Loop BB165_5 Depth=1
                                        ; =>  This Inner Loop Header: Depth=2
	s_wait_alu 0xfffe
	s_lshr_b32 s17, s5, 1
	s_lshl_b32 s16, s5, 2
	s_wait_alu 0xfffe
	s_add_co_i32 s13, s17, 0x6a40
	s_addk_co_i32 s17, 0x6200
	s_wait_alu 0xfffe
	v_add_nc_u32_e32 v6, s13, v124
	s_add_co_i32 s12, s16, 0x4200
	v_add3_u32 v7, s17, v149, v150
	ds_load_b32 v29, v6
	s_wait_alu 0xfffe
	v_add_nc_u32_e32 v5, s12, v0
	v_add_nc_u32_e32 v6, s16, v132
	ds_load_b32 v155, v7
	ds_load_b128 v[31:34], v5
	ds_load_b128 v[158:161], v5 offset:16
	ds_load_2addr_b32 v[11:12], v6 offset1:1
	ds_load_2addr_b32 v[9:10], v6 offset0:2 offset1:3
	ds_load_2addr_b32 v[7:8], v6 offset0:4 offset1:5
	;; [unrolled: 1-line block ×3, first 2 shown]
	s_wait_dscnt 0x5
	v_perm_b32 v15, v34, v33, 0x5010c0c
	v_perm_b32 v16, v34, v33, 0x7030c0c
	s_wait_dscnt 0x3
	v_perm_b32 v13, v11, v12, 0xc0c0501
	s_wait_dscnt 0x2
	v_perm_b32 v14, v10, v9, 0x5010c0c
	v_perm_b32 v17, v34, v33, 0x4000c0c
	;; [unrolled: 1-line block ×4, first 2 shown]
	s_delay_alu instid0(VALU_DEP_4) | instskip(SKIP_1) | instid1(VALU_DEP_1)
	v_or_b32_e32 v13, v14, v13
	v_perm_b32 v14, v31, v32, 0xc0c0501
	v_or_b32_e32 v14, v15, v14
	v_perm_b32 v15, v10, v9, 0x7030c0c
	s_delay_alu instid0(VALU_DEP_2) | instskip(SKIP_1) | instid1(VALU_DEP_1)
	v_dot4_i32_iu8 v13, v13, v14, 0 neg_lo:[1,1,0]
	v_perm_b32 v14, v11, v12, 0xc0c0703
	v_or_b32_e32 v14, v15, v14
	v_perm_b32 v15, v31, v32, 0xc0c0703
	s_delay_alu instid0(VALU_DEP_1) | instskip(SKIP_1) | instid1(VALU_DEP_2)
	v_or_b32_e32 v15, v16, v15
	v_perm_b32 v16, v10, v9, 0x4000c0c
	v_dot4_i32_iu8 v14, v14, v15, 0 neg_lo:[1,1,0]
	v_perm_b32 v15, v11, v12, 0xc0c0400
	s_delay_alu instid0(VALU_DEP_1) | instskip(SKIP_1) | instid1(VALU_DEP_1)
	v_or_b32_e32 v15, v16, v15
	v_perm_b32 v16, v31, v32, 0xc0c0400
	v_or_b32_e32 v16, v17, v16
	v_perm_b32 v17, v10, v9, 0x6020c0c
	s_delay_alu instid0(VALU_DEP_2) | instskip(SKIP_1) | instid1(VALU_DEP_1)
	v_dot4_i32_iu8 v15, v15, v16, 0 neg_lo:[1,1,0]
	v_perm_b32 v16, v11, v12, 0xc0c0602
	v_or_b32_e32 v16, v17, v16
	v_perm_b32 v17, v31, v32, 0xc0c0602
	s_delay_alu instid0(VALU_DEP_1) | instskip(SKIP_2) | instid1(VALU_DEP_2)
	v_or_b32_e32 v17, v18, v17
	s_wait_dscnt 0x0
	v_perm_b32 v18, v6, v5, 0x6020c0c
	v_dot4_i32_iu8 v16, v16, v17, 0 neg_lo:[1,1,0]
	v_perm_b32 v17, v8, v7, 0xc0c0602
	s_delay_alu instid0(VALU_DEP_1) | instskip(SKIP_1) | instid1(VALU_DEP_1)
	v_or_b32_e32 v17, v18, v17
	v_perm_b32 v18, v159, v158, 0xc0c0602
	v_or_b32_e32 v18, v19, v18
	v_perm_b32 v19, v161, v160, 0x4000c0c
	s_delay_alu instid0(VALU_DEP_2) | instskip(SKIP_2) | instid1(VALU_DEP_1)
	v_dot4_i32_iu8 v16, v17, v18, v16 neg_lo:[1,1,0]
	v_perm_b32 v17, v8, v7, 0xc0c0400
	v_perm_b32 v18, v6, v5, 0x4000c0c
	v_or_b32_e32 v17, v18, v17
	v_perm_b32 v18, v159, v158, 0xc0c0400
	s_delay_alu instid0(VALU_DEP_1) | instskip(SKIP_1) | instid1(VALU_DEP_2)
	v_or_b32_e32 v18, v19, v18
	v_perm_b32 v19, v161, v160, 0x7030c0c
	v_dot4_i32_iu8 v15, v17, v18, v15 neg_lo:[1,1,0]
	v_perm_b32 v17, v8, v7, 0xc0c0703
	v_perm_b32 v18, v6, v5, 0x7030c0c
	s_delay_alu instid0(VALU_DEP_1) | instskip(SKIP_1) | instid1(VALU_DEP_1)
	v_or_b32_e32 v17, v18, v17
	v_perm_b32 v18, v159, v158, 0xc0c0703
	v_or_b32_e32 v18, v19, v18
	v_perm_b32 v19, v161, v160, 0x5010c0c
	s_delay_alu instid0(VALU_DEP_2) | instskip(SKIP_2) | instid1(VALU_DEP_1)
	v_dot4_i32_iu8 v14, v17, v18, v14 neg_lo:[1,1,0]
	v_perm_b32 v17, v8, v7, 0xc0c0501
	v_perm_b32 v18, v6, v5, 0x5010c0c
	v_or_b32_e32 v17, v18, v17
	v_perm_b32 v18, v159, v158, 0xc0c0501
	s_delay_alu instid0(VALU_DEP_1) | instskip(NEXT) | instid1(VALU_DEP_1)
	v_or_b32_e32 v18, v19, v18
	v_dot4_i32_iu8 v13, v17, v18, v13 neg_lo:[1,1,0]
	s_delay_alu instid0(VALU_DEP_1) | instskip(SKIP_1) | instid1(VALU_DEP_2)
	v_add_nc_u32_e32 v13, v13, v14
	v_mul_f32_e32 v14, v29, v155
	v_add3_u32 v13, v15, v16, v13
	s_delay_alu instid0(VALU_DEP_1) | instskip(NEXT) | instid1(VALU_DEP_1)
	v_cvt_f32_i32_e32 v13, v13
	v_fmac_f32_e32 v66, v14, v13
	v_add3_u32 v13, s17, v151, v134
	v_add3_u32 v14, s17, v152, v136
	ds_load_b32 v157, v13
	v_add_nc_u32_e32 v13, s16, v135
	ds_load_b32 v156, v14
	ds_load_2addr_b32 v[17:18], v13 offset1:1
	ds_load_2addr_b32 v[19:20], v13 offset0:2 offset1:3
	ds_load_2addr_b32 v[15:16], v13 offset0:4 offset1:5
	;; [unrolled: 1-line block ×3, first 2 shown]
	v_add_nc_u32_e32 v35, s16, v133
	s_wait_dscnt 0x5
	v_mul_f32_e32 v170, v29, v157
	v_add_nc_u32_e32 v36, s12, v80
	s_wait_dscnt 0x4
	v_mul_f32_e32 v22, v29, v156
	s_wait_dscnt 0x3
	v_dot4_i32_iu8 v21, v31, v17, 0 neg_lo:[1,1,0]
	s_delay_alu instid0(VALU_DEP_1) | instskip(SKIP_1) | instid1(VALU_DEP_1)
	v_dot4_i32_iu8 v21, v32, v18, v21 neg_lo:[1,1,0]
	s_wait_dscnt 0x2
	v_dot4_i32_iu8 v21, v33, v19, v21 neg_lo:[1,1,0]
	s_delay_alu instid0(VALU_DEP_1) | instskip(SKIP_1) | instid1(VALU_DEP_1)
	v_dot4_i32_iu8 v21, v34, v20, v21 neg_lo:[1,1,0]
	s_wait_dscnt 0x1
	v_dot4_i32_iu8 v21, v158, v15, v21 neg_lo:[1,1,0]
	s_delay_alu instid0(VALU_DEP_1) | instskip(SKIP_1) | instid1(VALU_DEP_1)
	v_dot4_i32_iu8 v21, v159, v16, v21 neg_lo:[1,1,0]
	s_wait_dscnt 0x0
	v_dot4_i32_iu8 v21, v160, v13, v21 neg_lo:[1,1,0]
	s_delay_alu instid0(VALU_DEP_1) | instskip(NEXT) | instid1(VALU_DEP_1)
	v_dot4_i32_iu8 v21, v161, v14, v21 neg_lo:[1,1,0]
	v_cvt_f32_i32_e32 v21, v21
	s_delay_alu instid0(VALU_DEP_1)
	v_fmac_f32_e32 v70, v22, v21
	v_add3_u32 v22, s17, v153, v138
	v_add_nc_u32_e32 v21, s16, v137
	ds_load_b32 v154, v22
	ds_load_2addr_b32 v[25:26], v21 offset1:1
	ds_load_2addr_b32 v[27:28], v21 offset0:2 offset1:3
	ds_load_2addr_b32 v[23:24], v21 offset0:4 offset1:5
	;; [unrolled: 1-line block ×3, first 2 shown]
	s_wait_dscnt 0x4
	v_mul_f32_e32 v29, v29, v154
	s_wait_dscnt 0x3
	v_dot4_i32_iu8 v30, v31, v25, 0 neg_lo:[1,1,0]
	s_delay_alu instid0(VALU_DEP_1) | instskip(SKIP_1) | instid1(VALU_DEP_1)
	v_dot4_i32_iu8 v30, v32, v26, v30 neg_lo:[1,1,0]
	s_wait_dscnt 0x2
	v_dot4_i32_iu8 v30, v33, v27, v30 neg_lo:[1,1,0]
	s_delay_alu instid0(VALU_DEP_1) | instskip(SKIP_1) | instid1(VALU_DEP_1)
	v_dot4_i32_iu8 v30, v34, v28, v30 neg_lo:[1,1,0]
	;; [unrolled: 4-line block ×3, first 2 shown]
	s_wait_dscnt 0x0
	v_dot4_i32_iu8 v30, v160, v21, v30 neg_lo:[1,1,0]
	s_delay_alu instid0(VALU_DEP_1) | instskip(NEXT) | instid1(VALU_DEP_1)
	v_dot4_i32_iu8 v30, v161, v22, v30 neg_lo:[1,1,0]
	v_cvt_f32_i32_e32 v30, v30
	s_delay_alu instid0(VALU_DEP_1)
	v_fmac_f32_e32 v69, v29, v30
	v_add_nc_u32_e32 v29, s13, v125
	ds_load_b32 v171, v29
	ds_load_2addr_b32 v[29:30], v35 offset1:1
	ds_load_b128 v[162:165], v36
	ds_load_b128 v[166:169], v36 offset:16
	s_wait_dscnt 0x3
	v_mul_f32_e32 v172, v155, v171
	s_wait_dscnt 0x2
	v_dot4_i32_iu8 v31, v29, v31, 0 neg_lo:[1,1,0]
	s_wait_dscnt 0x1
	v_dot4_i32_iu8 v36, v162, v11, 0 neg_lo:[1,1,0]
	s_delay_alu instid0(VALU_DEP_2) | instskip(SKIP_2) | instid1(VALU_DEP_1)
	v_dot4_i32_iu8 v173, v30, v32, v31 neg_lo:[1,1,0]
	ds_load_2addr_b32 v[31:32], v35 offset0:2 offset1:3
	v_dot4_i32_iu8 v36, v163, v12, v36 neg_lo:[1,1,0]
	v_dot4_i32_iu8 v36, v164, v9, v36 neg_lo:[1,1,0]
	s_delay_alu instid0(VALU_DEP_1) | instskip(SKIP_1) | instid1(VALU_DEP_1)
	v_dot4_i32_iu8 v36, v165, v10, v36 neg_lo:[1,1,0]
	s_wait_dscnt 0x1
	v_dot4_i32_iu8 v36, v166, v7, v36 neg_lo:[1,1,0]
	s_wait_dscnt 0x0
	v_dot4_i32_iu8 v33, v31, v33, v173 neg_lo:[1,1,0]
	s_delay_alu instid0(VALU_DEP_1) | instskip(SKIP_4) | instid1(VALU_DEP_2)
	v_dot4_i32_iu8 v173, v32, v34, v33 neg_lo:[1,1,0]
	ds_load_2addr_b32 v[33:34], v35 offset0:4 offset1:5
	s_wait_dscnt 0x0
	v_dot4_i32_iu8 v158, v33, v158, v173 neg_lo:[1,1,0]
	v_perm_b32 v173, v169, v168, 0x6020c0c
	v_dot4_i32_iu8 v158, v34, v159, v158 neg_lo:[1,1,0]
	v_dot4_i32_iu8 v159, v167, v8, v36 neg_lo:[1,1,0]
	ds_load_2addr_b32 v[35:36], v35 offset0:6 offset1:7
	v_dot4_i32_iu8 v159, v168, v5, v159 neg_lo:[1,1,0]
	s_wait_dscnt 0x0
	v_dot4_i32_iu8 v158, v35, v160, v158 neg_lo:[1,1,0]
	v_perm_b32 v160, v165, v164, 0x5010c0c
	s_delay_alu instid0(VALU_DEP_2) | instskip(SKIP_1) | instid1(VALU_DEP_2)
	v_dot4_i32_iu8 v158, v36, v161, v158 neg_lo:[1,1,0]
	v_perm_b32 v161, v165, v164, 0x7030c0c
	v_cvt_f32_i32_e32 v158, v158
	s_delay_alu instid0(VALU_DEP_1) | instskip(SKIP_3) | instid1(VALU_DEP_3)
	v_fmac_f32_e32 v73, v170, v158
	v_dot4_i32_iu8 v158, v169, v6, v159 neg_lo:[1,1,0]
	v_perm_b32 v159, v32, v31, 0x5010c0c
	v_perm_b32 v170, v165, v164, 0x4000c0c
	v_cvt_f32_i32_e32 v158, v158
	s_delay_alu instid0(VALU_DEP_1) | instskip(SKIP_2) | instid1(VALU_DEP_2)
	v_fmac_f32_e32 v68, v172, v158
	v_perm_b32 v158, v29, v30, 0xc0c0501
	v_perm_b32 v172, v165, v164, 0x6020c0c
	v_or_b32_e32 v158, v159, v158
	v_perm_b32 v159, v162, v163, 0xc0c0501
	s_delay_alu instid0(VALU_DEP_1) | instskip(SKIP_1) | instid1(VALU_DEP_2)
	v_or_b32_e32 v159, v160, v159
	v_perm_b32 v160, v32, v31, 0x7030c0c
	v_dot4_i32_iu8 v158, v159, v158, 0 neg_lo:[1,1,0]
	v_perm_b32 v159, v29, v30, 0xc0c0703
	s_delay_alu instid0(VALU_DEP_1) | instskip(SKIP_1) | instid1(VALU_DEP_1)
	v_or_b32_e32 v159, v160, v159
	v_perm_b32 v160, v162, v163, 0xc0c0703
	v_or_b32_e32 v160, v161, v160
	v_perm_b32 v161, v32, v31, 0x4000c0c
	s_delay_alu instid0(VALU_DEP_2) | instskip(SKIP_1) | instid1(VALU_DEP_1)
	v_dot4_i32_iu8 v159, v160, v159, 0 neg_lo:[1,1,0]
	v_perm_b32 v160, v29, v30, 0xc0c0400
	v_or_b32_e32 v160, v161, v160
	v_perm_b32 v161, v162, v163, 0xc0c0400
	s_delay_alu instid0(VALU_DEP_1) | instskip(SKIP_1) | instid1(VALU_DEP_2)
	v_or_b32_e32 v161, v170, v161
	v_perm_b32 v170, v32, v31, 0x6020c0c
	v_dot4_i32_iu8 v160, v161, v160, 0 neg_lo:[1,1,0]
	v_perm_b32 v161, v29, v30, 0xc0c0602
	s_delay_alu instid0(VALU_DEP_1) | instskip(SKIP_1) | instid1(VALU_DEP_1)
	v_or_b32_e32 v161, v170, v161
	v_perm_b32 v170, v162, v163, 0xc0c0602
	v_or_b32_e32 v170, v172, v170
	v_perm_b32 v172, v36, v35, 0x6020c0c
	s_delay_alu instid0(VALU_DEP_2) | instskip(SKIP_1) | instid1(VALU_DEP_1)
	v_dot4_i32_iu8 v161, v170, v161, 0 neg_lo:[1,1,0]
	v_perm_b32 v170, v34, v33, 0xc0c0602
	v_or_b32_e32 v170, v172, v170
	v_perm_b32 v172, v167, v166, 0xc0c0602
	s_delay_alu instid0(VALU_DEP_1) | instskip(SKIP_1) | instid1(VALU_DEP_2)
	v_or_b32_e32 v172, v173, v172
	v_perm_b32 v173, v169, v168, 0x4000c0c
	v_dot4_i32_iu8 v161, v172, v170, v161 neg_lo:[1,1,0]
	v_perm_b32 v170, v34, v33, 0xc0c0400
	v_perm_b32 v172, v36, v35, 0x4000c0c
	s_delay_alu instid0(VALU_DEP_1) | instskip(SKIP_1) | instid1(VALU_DEP_1)
	v_or_b32_e32 v170, v172, v170
	v_perm_b32 v172, v167, v166, 0xc0c0400
	v_or_b32_e32 v172, v173, v172
	v_perm_b32 v173, v169, v168, 0x7030c0c
	s_delay_alu instid0(VALU_DEP_2) | instskip(SKIP_2) | instid1(VALU_DEP_1)
	v_dot4_i32_iu8 v160, v172, v170, v160 neg_lo:[1,1,0]
	v_perm_b32 v170, v34, v33, 0xc0c0703
	v_perm_b32 v172, v36, v35, 0x7030c0c
	v_or_b32_e32 v170, v172, v170
	v_perm_b32 v172, v167, v166, 0xc0c0703
	s_delay_alu instid0(VALU_DEP_1) | instskip(SKIP_1) | instid1(VALU_DEP_2)
	v_or_b32_e32 v172, v173, v172
	v_perm_b32 v173, v169, v168, 0x5010c0c
	v_dot4_i32_iu8 v159, v172, v170, v159 neg_lo:[1,1,0]
	v_perm_b32 v170, v34, v33, 0xc0c0501
	v_perm_b32 v172, v36, v35, 0x5010c0c
	s_delay_alu instid0(VALU_DEP_1) | instskip(SKIP_1) | instid1(VALU_DEP_1)
	v_or_b32_e32 v170, v172, v170
	v_perm_b32 v172, v167, v166, 0xc0c0501
	v_or_b32_e32 v172, v173, v172
	s_delay_alu instid0(VALU_DEP_1) | instskip(NEXT) | instid1(VALU_DEP_1)
	v_dot4_i32_iu8 v158, v172, v170, v158 neg_lo:[1,1,0]
	v_add_nc_u32_e32 v158, v158, v159
	v_mul_f32_e32 v159, v157, v171
	s_delay_alu instid0(VALU_DEP_2) | instskip(NEXT) | instid1(VALU_DEP_1)
	v_add3_u32 v158, v160, v161, v158
	v_cvt_f32_i32_e32 v158, v158
	s_delay_alu instid0(VALU_DEP_1) | instskip(SKIP_2) | instid1(VALU_DEP_2)
	v_fmac_f32_e32 v67, v159, v158
	v_dot4_i32_iu8 v158, v162, v17, 0 neg_lo:[1,1,0]
	v_mul_f32_e32 v159, v156, v171
	v_dot4_i32_iu8 v158, v163, v18, v158 neg_lo:[1,1,0]
	s_delay_alu instid0(VALU_DEP_1) | instskip(NEXT) | instid1(VALU_DEP_1)
	v_dot4_i32_iu8 v158, v164, v19, v158 neg_lo:[1,1,0]
	v_dot4_i32_iu8 v158, v165, v20, v158 neg_lo:[1,1,0]
	s_delay_alu instid0(VALU_DEP_1) | instskip(NEXT) | instid1(VALU_DEP_1)
	v_dot4_i32_iu8 v158, v166, v15, v158 neg_lo:[1,1,0]
	;; [unrolled: 3-line block ×3, first 2 shown]
	v_dot4_i32_iu8 v158, v169, v14, v158 neg_lo:[1,1,0]
	s_delay_alu instid0(VALU_DEP_1) | instskip(NEXT) | instid1(VALU_DEP_1)
	v_cvt_f32_i32_e32 v158, v158
	v_fmac_f32_e32 v65, v159, v158
	v_dot4_i32_iu8 v158, v162, v25, 0 neg_lo:[1,1,0]
	v_dual_mul_f32 v159, v154, v171 :: v_dual_add_nc_u32 v162, s12, v81
	s_delay_alu instid0(VALU_DEP_2) | instskip(NEXT) | instid1(VALU_DEP_1)
	v_dot4_i32_iu8 v158, v163, v26, v158 neg_lo:[1,1,0]
	v_dot4_i32_iu8 v158, v164, v27, v158 neg_lo:[1,1,0]
	s_delay_alu instid0(VALU_DEP_1) | instskip(NEXT) | instid1(VALU_DEP_1)
	v_dot4_i32_iu8 v158, v165, v28, v158 neg_lo:[1,1,0]
	v_dot4_i32_iu8 v158, v166, v23, v158 neg_lo:[1,1,0]
	s_delay_alu instid0(VALU_DEP_1) | instskip(NEXT) | instid1(VALU_DEP_1)
	;; [unrolled: 3-line block ×3, first 2 shown]
	v_dot4_i32_iu8 v158, v169, v22, v158 neg_lo:[1,1,0]
	v_cvt_f32_i32_e32 v158, v158
	s_delay_alu instid0(VALU_DEP_1)
	v_fmac_f32_e32 v64, v159, v158
	v_add_nc_u32_e32 v158, s13, v126
	ds_load_b32 v166, v158
	ds_load_b128 v[158:161], v162
	ds_load_b128 v[162:165], v162 offset:16
	s_wait_dscnt 0x2
	v_mul_f32_e32 v168, v155, v166
	s_wait_dscnt 0x1
	v_dot4_i32_iu8 v167, v11, v158, 0 neg_lo:[1,1,0]
	s_delay_alu instid0(VALU_DEP_1) | instskip(NEXT) | instid1(VALU_DEP_1)
	v_dot4_i32_iu8 v167, v12, v159, v167 neg_lo:[1,1,0]
	v_dot4_i32_iu8 v167, v9, v160, v167 neg_lo:[1,1,0]
	s_delay_alu instid0(VALU_DEP_1) | instskip(SKIP_1) | instid1(VALU_DEP_1)
	v_dot4_i32_iu8 v167, v10, v161, v167 neg_lo:[1,1,0]
	s_wait_dscnt 0x0
	v_dot4_i32_iu8 v167, v7, v162, v167 neg_lo:[1,1,0]
	s_delay_alu instid0(VALU_DEP_1) | instskip(NEXT) | instid1(VALU_DEP_1)
	v_dot4_i32_iu8 v167, v8, v163, v167 neg_lo:[1,1,0]
	v_dot4_i32_iu8 v167, v5, v164, v167 neg_lo:[1,1,0]
	s_delay_alu instid0(VALU_DEP_1) | instskip(NEXT) | instid1(VALU_DEP_1)
	v_dot4_i32_iu8 v167, v6, v165, v167 neg_lo:[1,1,0]
	v_cvt_f32_i32_e32 v167, v167
	s_delay_alu instid0(VALU_DEP_1) | instskip(SKIP_2) | instid1(VALU_DEP_2)
	v_fmac_f32_e32 v63, v168, v167
	v_dot4_i32_iu8 v167, v29, v158, 0 neg_lo:[1,1,0]
	v_mul_f32_e32 v168, v157, v166
	v_dot4_i32_iu8 v167, v30, v159, v167 neg_lo:[1,1,0]
	s_delay_alu instid0(VALU_DEP_1) | instskip(NEXT) | instid1(VALU_DEP_1)
	v_dot4_i32_iu8 v167, v31, v160, v167 neg_lo:[1,1,0]
	v_dot4_i32_iu8 v167, v32, v161, v167 neg_lo:[1,1,0]
	s_delay_alu instid0(VALU_DEP_1) | instskip(NEXT) | instid1(VALU_DEP_1)
	v_dot4_i32_iu8 v167, v33, v162, v167 neg_lo:[1,1,0]
	;; [unrolled: 3-line block ×3, first 2 shown]
	v_dot4_i32_iu8 v167, v36, v165, v167 neg_lo:[1,1,0]
	s_delay_alu instid0(VALU_DEP_1) | instskip(NEXT) | instid1(VALU_DEP_1)
	v_cvt_f32_i32_e32 v167, v167
	v_fmac_f32_e32 v61, v168, v167
	v_dot4_i32_iu8 v167, v158, v17, 0 neg_lo:[1,1,0]
	v_dot4_i32_iu8 v158, v158, v25, 0 neg_lo:[1,1,0]
	v_mul_f32_e32 v168, v156, v166
	s_delay_alu instid0(VALU_DEP_3) | instskip(NEXT) | instid1(VALU_DEP_3)
	v_dot4_i32_iu8 v167, v159, v18, v167 neg_lo:[1,1,0]
	v_dot4_i32_iu8 v158, v159, v26, v158 neg_lo:[1,1,0]
	v_mul_f32_e32 v159, v154, v166
	s_delay_alu instid0(VALU_DEP_3) | instskip(NEXT) | instid1(VALU_DEP_3)
	v_dot4_i32_iu8 v167, v160, v19, v167 neg_lo:[1,1,0]
	v_dot4_i32_iu8 v158, v160, v27, v158 neg_lo:[1,1,0]
	s_delay_alu instid0(VALU_DEP_2) | instskip(NEXT) | instid1(VALU_DEP_2)
	v_dot4_i32_iu8 v167, v161, v20, v167 neg_lo:[1,1,0]
	v_dot4_i32_iu8 v158, v161, v28, v158 neg_lo:[1,1,0]
	s_delay_alu instid0(VALU_DEP_2) | instskip(NEXT) | instid1(VALU_DEP_2)
	v_dot4_i32_iu8 v167, v162, v15, v167 neg_lo:[1,1,0]
	v_dot4_i32_iu8 v158, v162, v23, v158 neg_lo:[1,1,0]
	v_add_nc_u32_e32 v162, s12, v115
	s_delay_alu instid0(VALU_DEP_3) | instskip(NEXT) | instid1(VALU_DEP_3)
	v_dot4_i32_iu8 v167, v163, v16, v167 neg_lo:[1,1,0]
	v_dot4_i32_iu8 v158, v163, v24, v158 neg_lo:[1,1,0]
	s_delay_alu instid0(VALU_DEP_2) | instskip(NEXT) | instid1(VALU_DEP_2)
	v_dot4_i32_iu8 v167, v164, v13, v167 neg_lo:[1,1,0]
	v_dot4_i32_iu8 v158, v164, v21, v158 neg_lo:[1,1,0]
	s_delay_alu instid0(VALU_DEP_2) | instskip(NEXT) | instid1(VALU_DEP_2)
	;; [unrolled: 3-line block ×3, first 2 shown]
	v_cvt_f32_i32_e32 v167, v167
	v_cvt_f32_i32_e32 v158, v158
	s_delay_alu instid0(VALU_DEP_1)
	v_dual_fmac_f32 v60, v168, v167 :: v_dual_fmac_f32 v57, v159, v158
	v_add_nc_u32_e32 v158, s13, v127
	ds_load_b32 v166, v158
	ds_load_b128 v[158:161], v162
	ds_load_b128 v[162:165], v162 offset:16
	s_wait_dscnt 0x2
	v_mul_f32_e32 v168, v155, v166
	s_wait_dscnt 0x1
	v_dot4_i32_iu8 v167, v11, v158, 0 neg_lo:[1,1,0]
	s_delay_alu instid0(VALU_DEP_1) | instskip(NEXT) | instid1(VALU_DEP_1)
	v_dot4_i32_iu8 v167, v12, v159, v167 neg_lo:[1,1,0]
	v_dot4_i32_iu8 v167, v9, v160, v167 neg_lo:[1,1,0]
	s_delay_alu instid0(VALU_DEP_1) | instskip(SKIP_1) | instid1(VALU_DEP_1)
	v_dot4_i32_iu8 v167, v10, v161, v167 neg_lo:[1,1,0]
	s_wait_dscnt 0x0
	v_dot4_i32_iu8 v167, v7, v162, v167 neg_lo:[1,1,0]
	s_delay_alu instid0(VALU_DEP_1) | instskip(NEXT) | instid1(VALU_DEP_1)
	v_dot4_i32_iu8 v167, v8, v163, v167 neg_lo:[1,1,0]
	v_dot4_i32_iu8 v167, v5, v164, v167 neg_lo:[1,1,0]
	s_delay_alu instid0(VALU_DEP_1) | instskip(NEXT) | instid1(VALU_DEP_1)
	v_dot4_i32_iu8 v167, v6, v165, v167 neg_lo:[1,1,0]
	v_cvt_f32_i32_e32 v167, v167
	s_delay_alu instid0(VALU_DEP_1) | instskip(SKIP_2) | instid1(VALU_DEP_2)
	v_fmac_f32_e32 v56, v168, v167
	v_dot4_i32_iu8 v167, v29, v158, 0 neg_lo:[1,1,0]
	v_mul_f32_e32 v168, v157, v166
	v_dot4_i32_iu8 v167, v30, v159, v167 neg_lo:[1,1,0]
	s_delay_alu instid0(VALU_DEP_1) | instskip(NEXT) | instid1(VALU_DEP_1)
	v_dot4_i32_iu8 v167, v31, v160, v167 neg_lo:[1,1,0]
	v_dot4_i32_iu8 v167, v32, v161, v167 neg_lo:[1,1,0]
	s_delay_alu instid0(VALU_DEP_1) | instskip(NEXT) | instid1(VALU_DEP_1)
	v_dot4_i32_iu8 v167, v33, v162, v167 neg_lo:[1,1,0]
	;; [unrolled: 3-line block ×3, first 2 shown]
	v_dot4_i32_iu8 v167, v36, v165, v167 neg_lo:[1,1,0]
	s_delay_alu instid0(VALU_DEP_1) | instskip(NEXT) | instid1(VALU_DEP_1)
	v_cvt_f32_i32_e32 v167, v167
	v_fmac_f32_e32 v55, v168, v167
	v_dot4_i32_iu8 v167, v158, v17, 0 neg_lo:[1,1,0]
	v_dot4_i32_iu8 v158, v158, v25, 0 neg_lo:[1,1,0]
	v_mul_f32_e32 v168, v156, v166
	s_delay_alu instid0(VALU_DEP_3) | instskip(NEXT) | instid1(VALU_DEP_3)
	v_dot4_i32_iu8 v167, v159, v18, v167 neg_lo:[1,1,0]
	v_dot4_i32_iu8 v158, v159, v26, v158 neg_lo:[1,1,0]
	v_mul_f32_e32 v159, v154, v166
	s_delay_alu instid0(VALU_DEP_3) | instskip(NEXT) | instid1(VALU_DEP_3)
	v_dot4_i32_iu8 v167, v160, v19, v167 neg_lo:[1,1,0]
	v_dot4_i32_iu8 v158, v160, v27, v158 neg_lo:[1,1,0]
	s_delay_alu instid0(VALU_DEP_2) | instskip(NEXT) | instid1(VALU_DEP_2)
	v_dot4_i32_iu8 v167, v161, v20, v167 neg_lo:[1,1,0]
	v_dot4_i32_iu8 v158, v161, v28, v158 neg_lo:[1,1,0]
	s_delay_alu instid0(VALU_DEP_2) | instskip(NEXT) | instid1(VALU_DEP_2)
	v_dot4_i32_iu8 v167, v162, v15, v167 neg_lo:[1,1,0]
	v_dot4_i32_iu8 v158, v162, v23, v158 neg_lo:[1,1,0]
	v_add_nc_u32_e32 v162, s12, v117
	s_delay_alu instid0(VALU_DEP_3) | instskip(NEXT) | instid1(VALU_DEP_3)
	v_dot4_i32_iu8 v167, v163, v16, v167 neg_lo:[1,1,0]
	v_dot4_i32_iu8 v158, v163, v24, v158 neg_lo:[1,1,0]
	s_delay_alu instid0(VALU_DEP_2) | instskip(NEXT) | instid1(VALU_DEP_2)
	v_dot4_i32_iu8 v167, v164, v13, v167 neg_lo:[1,1,0]
	v_dot4_i32_iu8 v158, v164, v21, v158 neg_lo:[1,1,0]
	s_delay_alu instid0(VALU_DEP_2) | instskip(NEXT) | instid1(VALU_DEP_2)
	v_dot4_i32_iu8 v167, v165, v14, v167 neg_lo:[1,1,0]
	v_dot4_i32_iu8 v158, v165, v22, v158 neg_lo:[1,1,0]
	s_delay_alu instid0(VALU_DEP_2) | instskip(NEXT) | instid1(VALU_DEP_2)
	v_cvt_f32_i32_e32 v167, v167
	v_cvt_f32_i32_e32 v158, v158
	s_delay_alu instid0(VALU_DEP_1)
	v_dual_fmac_f32 v54, v168, v167 :: v_dual_fmac_f32 v53, v159, v158
	v_add_nc_u32_e32 v158, s13, v128
	ds_load_b32 v166, v158
	ds_load_b128 v[158:161], v162
	ds_load_b128 v[162:165], v162 offset:16
	s_wait_dscnt 0x2
	v_mul_f32_e32 v168, v155, v166
	s_wait_dscnt 0x1
	v_dot4_i32_iu8 v167, v11, v158, 0 neg_lo:[1,1,0]
	s_delay_alu instid0(VALU_DEP_1) | instskip(NEXT) | instid1(VALU_DEP_1)
	v_dot4_i32_iu8 v167, v12, v159, v167 neg_lo:[1,1,0]
	v_dot4_i32_iu8 v167, v9, v160, v167 neg_lo:[1,1,0]
	s_delay_alu instid0(VALU_DEP_1) | instskip(SKIP_1) | instid1(VALU_DEP_1)
	v_dot4_i32_iu8 v167, v10, v161, v167 neg_lo:[1,1,0]
	s_wait_dscnt 0x0
	v_dot4_i32_iu8 v167, v7, v162, v167 neg_lo:[1,1,0]
	s_delay_alu instid0(VALU_DEP_1) | instskip(NEXT) | instid1(VALU_DEP_1)
	v_dot4_i32_iu8 v167, v8, v163, v167 neg_lo:[1,1,0]
	v_dot4_i32_iu8 v167, v5, v164, v167 neg_lo:[1,1,0]
	s_delay_alu instid0(VALU_DEP_1) | instskip(NEXT) | instid1(VALU_DEP_1)
	v_dot4_i32_iu8 v167, v6, v165, v167 neg_lo:[1,1,0]
	v_cvt_f32_i32_e32 v167, v167
	s_delay_alu instid0(VALU_DEP_1) | instskip(SKIP_2) | instid1(VALU_DEP_2)
	v_fmac_f32_e32 v52, v168, v167
	v_dot4_i32_iu8 v167, v29, v158, 0 neg_lo:[1,1,0]
	v_mul_f32_e32 v168, v157, v166
	v_dot4_i32_iu8 v167, v30, v159, v167 neg_lo:[1,1,0]
	s_delay_alu instid0(VALU_DEP_1) | instskip(NEXT) | instid1(VALU_DEP_1)
	v_dot4_i32_iu8 v167, v31, v160, v167 neg_lo:[1,1,0]
	v_dot4_i32_iu8 v167, v32, v161, v167 neg_lo:[1,1,0]
	s_delay_alu instid0(VALU_DEP_1) | instskip(NEXT) | instid1(VALU_DEP_1)
	v_dot4_i32_iu8 v167, v33, v162, v167 neg_lo:[1,1,0]
	;; [unrolled: 3-line block ×3, first 2 shown]
	v_dot4_i32_iu8 v167, v36, v165, v167 neg_lo:[1,1,0]
	s_delay_alu instid0(VALU_DEP_1) | instskip(NEXT) | instid1(VALU_DEP_1)
	v_cvt_f32_i32_e32 v167, v167
	v_fmac_f32_e32 v51, v168, v167
	v_dot4_i32_iu8 v167, v158, v17, 0 neg_lo:[1,1,0]
	v_dot4_i32_iu8 v158, v158, v25, 0 neg_lo:[1,1,0]
	v_mul_f32_e32 v168, v156, v166
	s_delay_alu instid0(VALU_DEP_3) | instskip(NEXT) | instid1(VALU_DEP_3)
	v_dot4_i32_iu8 v167, v159, v18, v167 neg_lo:[1,1,0]
	v_dot4_i32_iu8 v158, v159, v26, v158 neg_lo:[1,1,0]
	v_mul_f32_e32 v159, v154, v166
	s_delay_alu instid0(VALU_DEP_3) | instskip(NEXT) | instid1(VALU_DEP_3)
	v_dot4_i32_iu8 v167, v160, v19, v167 neg_lo:[1,1,0]
	v_dot4_i32_iu8 v158, v160, v27, v158 neg_lo:[1,1,0]
	s_delay_alu instid0(VALU_DEP_2) | instskip(NEXT) | instid1(VALU_DEP_2)
	v_dot4_i32_iu8 v167, v161, v20, v167 neg_lo:[1,1,0]
	v_dot4_i32_iu8 v158, v161, v28, v158 neg_lo:[1,1,0]
	s_delay_alu instid0(VALU_DEP_2) | instskip(NEXT) | instid1(VALU_DEP_2)
	v_dot4_i32_iu8 v167, v162, v15, v167 neg_lo:[1,1,0]
	v_dot4_i32_iu8 v158, v162, v23, v158 neg_lo:[1,1,0]
	v_add_nc_u32_e32 v162, s12, v119
	s_delay_alu instid0(VALU_DEP_3) | instskip(NEXT) | instid1(VALU_DEP_3)
	v_dot4_i32_iu8 v167, v163, v16, v167 neg_lo:[1,1,0]
	v_dot4_i32_iu8 v158, v163, v24, v158 neg_lo:[1,1,0]
	s_delay_alu instid0(VALU_DEP_2) | instskip(NEXT) | instid1(VALU_DEP_2)
	v_dot4_i32_iu8 v167, v164, v13, v167 neg_lo:[1,1,0]
	v_dot4_i32_iu8 v158, v164, v21, v158 neg_lo:[1,1,0]
	s_delay_alu instid0(VALU_DEP_2) | instskip(NEXT) | instid1(VALU_DEP_2)
	;; [unrolled: 3-line block ×3, first 2 shown]
	v_cvt_f32_i32_e32 v167, v167
	v_cvt_f32_i32_e32 v158, v158
	s_delay_alu instid0(VALU_DEP_1)
	v_dual_fmac_f32 v50, v168, v167 :: v_dual_fmac_f32 v49, v159, v158
	v_add_nc_u32_e32 v158, s13, v129
	ds_load_b32 v166, v158
	ds_load_b128 v[158:161], v162
	ds_load_b128 v[162:165], v162 offset:16
	s_wait_dscnt 0x2
	v_mul_f32_e32 v168, v155, v166
	s_wait_dscnt 0x1
	v_dot4_i32_iu8 v167, v11, v158, 0 neg_lo:[1,1,0]
	s_delay_alu instid0(VALU_DEP_1) | instskip(NEXT) | instid1(VALU_DEP_1)
	v_dot4_i32_iu8 v167, v12, v159, v167 neg_lo:[1,1,0]
	v_dot4_i32_iu8 v167, v9, v160, v167 neg_lo:[1,1,0]
	s_delay_alu instid0(VALU_DEP_1) | instskip(SKIP_1) | instid1(VALU_DEP_1)
	v_dot4_i32_iu8 v167, v10, v161, v167 neg_lo:[1,1,0]
	s_wait_dscnt 0x0
	v_dot4_i32_iu8 v167, v7, v162, v167 neg_lo:[1,1,0]
	s_delay_alu instid0(VALU_DEP_1) | instskip(NEXT) | instid1(VALU_DEP_1)
	v_dot4_i32_iu8 v167, v8, v163, v167 neg_lo:[1,1,0]
	v_dot4_i32_iu8 v167, v5, v164, v167 neg_lo:[1,1,0]
	s_delay_alu instid0(VALU_DEP_1) | instskip(NEXT) | instid1(VALU_DEP_1)
	v_dot4_i32_iu8 v167, v6, v165, v167 neg_lo:[1,1,0]
	v_cvt_f32_i32_e32 v167, v167
	s_delay_alu instid0(VALU_DEP_1) | instskip(SKIP_2) | instid1(VALU_DEP_2)
	v_fmac_f32_e32 v48, v168, v167
	v_dot4_i32_iu8 v167, v29, v158, 0 neg_lo:[1,1,0]
	v_mul_f32_e32 v168, v157, v166
	v_dot4_i32_iu8 v167, v30, v159, v167 neg_lo:[1,1,0]
	s_delay_alu instid0(VALU_DEP_1) | instskip(NEXT) | instid1(VALU_DEP_1)
	v_dot4_i32_iu8 v167, v31, v160, v167 neg_lo:[1,1,0]
	v_dot4_i32_iu8 v167, v32, v161, v167 neg_lo:[1,1,0]
	s_delay_alu instid0(VALU_DEP_1) | instskip(NEXT) | instid1(VALU_DEP_1)
	v_dot4_i32_iu8 v167, v33, v162, v167 neg_lo:[1,1,0]
	;; [unrolled: 3-line block ×3, first 2 shown]
	v_dot4_i32_iu8 v167, v36, v165, v167 neg_lo:[1,1,0]
	s_delay_alu instid0(VALU_DEP_1) | instskip(NEXT) | instid1(VALU_DEP_1)
	v_cvt_f32_i32_e32 v167, v167
	v_fmac_f32_e32 v47, v168, v167
	v_dot4_i32_iu8 v167, v158, v17, 0 neg_lo:[1,1,0]
	v_dot4_i32_iu8 v158, v158, v25, 0 neg_lo:[1,1,0]
	v_mul_f32_e32 v168, v156, v166
	s_delay_alu instid0(VALU_DEP_3) | instskip(NEXT) | instid1(VALU_DEP_3)
	v_dot4_i32_iu8 v167, v159, v18, v167 neg_lo:[1,1,0]
	v_dot4_i32_iu8 v158, v159, v26, v158 neg_lo:[1,1,0]
	v_mul_f32_e32 v159, v154, v166
	s_delay_alu instid0(VALU_DEP_3) | instskip(NEXT) | instid1(VALU_DEP_3)
	v_dot4_i32_iu8 v167, v160, v19, v167 neg_lo:[1,1,0]
	v_dot4_i32_iu8 v158, v160, v27, v158 neg_lo:[1,1,0]
	s_delay_alu instid0(VALU_DEP_2) | instskip(NEXT) | instid1(VALU_DEP_2)
	v_dot4_i32_iu8 v167, v161, v20, v167 neg_lo:[1,1,0]
	v_dot4_i32_iu8 v158, v161, v28, v158 neg_lo:[1,1,0]
	s_delay_alu instid0(VALU_DEP_2) | instskip(NEXT) | instid1(VALU_DEP_2)
	v_dot4_i32_iu8 v167, v162, v15, v167 neg_lo:[1,1,0]
	v_dot4_i32_iu8 v158, v162, v23, v158 neg_lo:[1,1,0]
	v_add_nc_u32_e32 v162, s12, v121
	s_delay_alu instid0(VALU_DEP_3) | instskip(NEXT) | instid1(VALU_DEP_3)
	v_dot4_i32_iu8 v167, v163, v16, v167 neg_lo:[1,1,0]
	v_dot4_i32_iu8 v158, v163, v24, v158 neg_lo:[1,1,0]
	s_delay_alu instid0(VALU_DEP_2) | instskip(NEXT) | instid1(VALU_DEP_2)
	v_dot4_i32_iu8 v167, v164, v13, v167 neg_lo:[1,1,0]
	v_dot4_i32_iu8 v158, v164, v21, v158 neg_lo:[1,1,0]
	s_delay_alu instid0(VALU_DEP_2) | instskip(NEXT) | instid1(VALU_DEP_2)
	;; [unrolled: 3-line block ×3, first 2 shown]
	v_cvt_f32_i32_e32 v167, v167
	v_cvt_f32_i32_e32 v158, v158
	s_delay_alu instid0(VALU_DEP_1)
	v_fmac_f32_e32 v45, v159, v158
	v_add_nc_u32_e32 v158, s13, v130
	ds_load_b32 v166, v158
	ds_load_b128 v[158:161], v162
	ds_load_b128 v[162:165], v162 offset:16
	v_fmac_f32_e32 v46, v168, v167
	s_wait_dscnt 0x2
	v_mul_f32_e32 v168, v155, v166
	s_wait_dscnt 0x1
	v_dot4_i32_iu8 v167, v11, v158, 0 neg_lo:[1,1,0]
	s_delay_alu instid0(VALU_DEP_1) | instskip(NEXT) | instid1(VALU_DEP_1)
	v_dot4_i32_iu8 v167, v12, v159, v167 neg_lo:[1,1,0]
	v_dot4_i32_iu8 v167, v9, v160, v167 neg_lo:[1,1,0]
	s_delay_alu instid0(VALU_DEP_1) | instskip(SKIP_1) | instid1(VALU_DEP_1)
	v_dot4_i32_iu8 v167, v10, v161, v167 neg_lo:[1,1,0]
	s_wait_dscnt 0x0
	v_dot4_i32_iu8 v167, v7, v162, v167 neg_lo:[1,1,0]
	s_delay_alu instid0(VALU_DEP_1) | instskip(NEXT) | instid1(VALU_DEP_1)
	v_dot4_i32_iu8 v167, v8, v163, v167 neg_lo:[1,1,0]
	v_dot4_i32_iu8 v167, v5, v164, v167 neg_lo:[1,1,0]
	s_delay_alu instid0(VALU_DEP_1) | instskip(NEXT) | instid1(VALU_DEP_1)
	v_dot4_i32_iu8 v167, v6, v165, v167 neg_lo:[1,1,0]
	v_cvt_f32_i32_e32 v167, v167
	s_delay_alu instid0(VALU_DEP_1) | instskip(SKIP_2) | instid1(VALU_DEP_2)
	v_fmac_f32_e32 v44, v168, v167
	v_dot4_i32_iu8 v167, v29, v158, 0 neg_lo:[1,1,0]
	v_mul_f32_e32 v168, v157, v166
	v_dot4_i32_iu8 v167, v30, v159, v167 neg_lo:[1,1,0]
	s_delay_alu instid0(VALU_DEP_1) | instskip(NEXT) | instid1(VALU_DEP_1)
	v_dot4_i32_iu8 v167, v31, v160, v167 neg_lo:[1,1,0]
	v_dot4_i32_iu8 v167, v32, v161, v167 neg_lo:[1,1,0]
	s_delay_alu instid0(VALU_DEP_1) | instskip(NEXT) | instid1(VALU_DEP_1)
	v_dot4_i32_iu8 v167, v33, v162, v167 neg_lo:[1,1,0]
	v_dot4_i32_iu8 v167, v34, v163, v167 neg_lo:[1,1,0]
	s_delay_alu instid0(VALU_DEP_1) | instskip(NEXT) | instid1(VALU_DEP_1)
	v_dot4_i32_iu8 v167, v35, v164, v167 neg_lo:[1,1,0]
	v_dot4_i32_iu8 v167, v36, v165, v167 neg_lo:[1,1,0]
	s_delay_alu instid0(VALU_DEP_1) | instskip(NEXT) | instid1(VALU_DEP_1)
	v_cvt_f32_i32_e32 v167, v167
	v_fmac_f32_e32 v43, v168, v167
	v_dot4_i32_iu8 v167, v158, v17, 0 neg_lo:[1,1,0]
	v_dot4_i32_iu8 v158, v158, v25, 0 neg_lo:[1,1,0]
	v_mul_f32_e32 v168, v156, v166
	s_delay_alu instid0(VALU_DEP_3) | instskip(NEXT) | instid1(VALU_DEP_3)
	v_dot4_i32_iu8 v167, v159, v18, v167 neg_lo:[1,1,0]
	v_dot4_i32_iu8 v158, v159, v26, v158 neg_lo:[1,1,0]
	v_mul_f32_e32 v159, v154, v166
	s_delay_alu instid0(VALU_DEP_3) | instskip(NEXT) | instid1(VALU_DEP_3)
	v_dot4_i32_iu8 v167, v160, v19, v167 neg_lo:[1,1,0]
	v_dot4_i32_iu8 v158, v160, v27, v158 neg_lo:[1,1,0]
	s_delay_alu instid0(VALU_DEP_2) | instskip(NEXT) | instid1(VALU_DEP_2)
	v_dot4_i32_iu8 v167, v161, v20, v167 neg_lo:[1,1,0]
	v_dot4_i32_iu8 v158, v161, v28, v158 neg_lo:[1,1,0]
	s_delay_alu instid0(VALU_DEP_2) | instskip(NEXT) | instid1(VALU_DEP_2)
	v_dot4_i32_iu8 v167, v162, v15, v167 neg_lo:[1,1,0]
	v_dot4_i32_iu8 v158, v162, v23, v158 neg_lo:[1,1,0]
	v_add_nc_u32_e32 v162, s12, v123
	s_add_co_i32 s12, s5, 8
	s_cmp_lt_u32 s5, 24
	v_dot4_i32_iu8 v167, v163, v16, v167 neg_lo:[1,1,0]
	v_dot4_i32_iu8 v158, v163, v24, v158 neg_lo:[1,1,0]
	s_wait_alu 0xfffe
	s_mov_b32 s5, s12
	s_delay_alu instid0(VALU_DEP_2) | instskip(NEXT) | instid1(VALU_DEP_2)
	v_dot4_i32_iu8 v167, v164, v13, v167 neg_lo:[1,1,0]
	v_dot4_i32_iu8 v158, v164, v21, v158 neg_lo:[1,1,0]
	s_delay_alu instid0(VALU_DEP_2) | instskip(NEXT) | instid1(VALU_DEP_2)
	v_dot4_i32_iu8 v167, v165, v14, v167 neg_lo:[1,1,0]
	v_dot4_i32_iu8 v158, v165, v22, v158 neg_lo:[1,1,0]
	s_delay_alu instid0(VALU_DEP_2) | instskip(NEXT) | instid1(VALU_DEP_2)
	v_cvt_f32_i32_e32 v167, v167
	v_cvt_f32_i32_e32 v158, v158
	s_delay_alu instid0(VALU_DEP_1)
	v_dual_fmac_f32 v42, v168, v167 :: v_dual_fmac_f32 v41, v159, v158
	v_add_nc_u32_e32 v158, s13, v131
	ds_load_b32 v166, v158
	ds_load_b128 v[158:161], v162
	ds_load_b128 v[162:165], v162 offset:16
	s_wait_dscnt 0x1
	v_dot4_i32_iu8 v11, v11, v158, 0 neg_lo:[1,1,0]
	s_delay_alu instid0(VALU_DEP_1) | instskip(NEXT) | instid1(VALU_DEP_1)
	v_dot4_i32_iu8 v11, v12, v159, v11 neg_lo:[1,1,0]
	v_dot4_i32_iu8 v9, v9, v160, v11 neg_lo:[1,1,0]
	s_delay_alu instid0(VALU_DEP_1) | instskip(SKIP_1) | instid1(VALU_DEP_1)
	v_dot4_i32_iu8 v9, v10, v161, v9 neg_lo:[1,1,0]
	s_wait_dscnt 0x0
	v_dot4_i32_iu8 v7, v7, v162, v9 neg_lo:[1,1,0]
	s_delay_alu instid0(VALU_DEP_1) | instskip(NEXT) | instid1(VALU_DEP_1)
	v_dot4_i32_iu8 v7, v8, v163, v7 neg_lo:[1,1,0]
	v_dot4_i32_iu8 v5, v5, v164, v7 neg_lo:[1,1,0]
	s_delay_alu instid0(VALU_DEP_1) | instskip(SKIP_1) | instid1(VALU_DEP_2)
	v_dot4_i32_iu8 v5, v6, v165, v5 neg_lo:[1,1,0]
	v_mul_f32_e32 v6, v155, v166
	v_cvt_f32_i32_e32 v5, v5
	s_delay_alu instid0(VALU_DEP_1) | instskip(SKIP_2) | instid1(VALU_DEP_2)
	v_fmac_f32_e32 v40, v6, v5
	v_dot4_i32_iu8 v5, v29, v158, 0 neg_lo:[1,1,0]
	v_mul_f32_e32 v6, v157, v166
	v_dot4_i32_iu8 v5, v30, v159, v5 neg_lo:[1,1,0]
	s_delay_alu instid0(VALU_DEP_1) | instskip(NEXT) | instid1(VALU_DEP_1)
	v_dot4_i32_iu8 v5, v31, v160, v5 neg_lo:[1,1,0]
	v_dot4_i32_iu8 v5, v32, v161, v5 neg_lo:[1,1,0]
	s_delay_alu instid0(VALU_DEP_1) | instskip(NEXT) | instid1(VALU_DEP_1)
	v_dot4_i32_iu8 v5, v33, v162, v5 neg_lo:[1,1,0]
	;; [unrolled: 3-line block ×3, first 2 shown]
	v_dot4_i32_iu8 v5, v36, v165, v5 neg_lo:[1,1,0]
	s_delay_alu instid0(VALU_DEP_1) | instskip(NEXT) | instid1(VALU_DEP_1)
	v_cvt_f32_i32_e32 v5, v5
	v_fmac_f32_e32 v39, v6, v5
	v_dot4_i32_iu8 v5, v158, v17, 0 neg_lo:[1,1,0]
	v_mul_f32_e32 v6, v156, v166
	s_delay_alu instid0(VALU_DEP_2) | instskip(NEXT) | instid1(VALU_DEP_1)
	v_dot4_i32_iu8 v5, v159, v18, v5 neg_lo:[1,1,0]
	v_dot4_i32_iu8 v5, v160, v19, v5 neg_lo:[1,1,0]
	s_delay_alu instid0(VALU_DEP_1) | instskip(NEXT) | instid1(VALU_DEP_1)
	v_dot4_i32_iu8 v5, v161, v20, v5 neg_lo:[1,1,0]
	v_dot4_i32_iu8 v5, v162, v15, v5 neg_lo:[1,1,0]
	s_delay_alu instid0(VALU_DEP_1) | instskip(NEXT) | instid1(VALU_DEP_1)
	;; [unrolled: 3-line block ×3, first 2 shown]
	v_dot4_i32_iu8 v5, v165, v14, v5 neg_lo:[1,1,0]
	v_cvt_f32_i32_e32 v5, v5
	s_delay_alu instid0(VALU_DEP_1) | instskip(SKIP_2) | instid1(VALU_DEP_2)
	v_fmac_f32_e32 v38, v6, v5
	v_dot4_i32_iu8 v5, v158, v25, 0 neg_lo:[1,1,0]
	v_mul_f32_e32 v6, v154, v166
	v_dot4_i32_iu8 v5, v159, v26, v5 neg_lo:[1,1,0]
	s_delay_alu instid0(VALU_DEP_1) | instskip(NEXT) | instid1(VALU_DEP_1)
	v_dot4_i32_iu8 v5, v160, v27, v5 neg_lo:[1,1,0]
	v_dot4_i32_iu8 v5, v161, v28, v5 neg_lo:[1,1,0]
	s_delay_alu instid0(VALU_DEP_1) | instskip(NEXT) | instid1(VALU_DEP_1)
	v_dot4_i32_iu8 v5, v162, v23, v5 neg_lo:[1,1,0]
	;; [unrolled: 3-line block ×3, first 2 shown]
	v_dot4_i32_iu8 v5, v165, v22, v5 neg_lo:[1,1,0]
	s_delay_alu instid0(VALU_DEP_1) | instskip(NEXT) | instid1(VALU_DEP_1)
	v_cvt_f32_i32_e32 v5, v5
	v_fmac_f32_e32 v37, v6, v5
	s_cbranch_scc1 .LBB165_6
; %bb.7:                                ;   in Loop: Header=BB165_5 Depth=1
	s_add_co_i32 s10, s10, 4
	s_wait_loadcnt 0x0
	s_wait_alu 0xfffe
	s_cmp_ge_i32 s10, s15
	s_barrier_signal -1
	s_barrier_wait -1
	global_inv scope:SCOPE_SE
	s_cbranch_scc0 .LBB165_5
; %bb.8:
	v_dual_mov_b32 v1, v58 :: v_dual_mov_b32 v2, v59
.LBB165_9:
	s_mov_b32 s0, exec_lo
	v_cmpx_gt_u32_e64 s4, v62
	s_cbranch_execz .LBB165_60
; %bb.10:
	s_delay_alu instid0(VALU_DEP_2) | instskip(SKIP_1) | instid1(VALU_DEP_2)
	v_add_nc_u32_e32 v0, s14, v2
	v_mul_lo_u32 v5, v62, s6
	v_cmp_gt_u32_e32 vcc_lo, s6, v0
	s_and_saveexec_b32 s1, vcc_lo
	s_cbranch_execz .LBB165_12
; %bb.11:
	v_bfe_u32 v3, v66, 16, 1
	s_delay_alu instid0(VALU_DEP_3) | instskip(SKIP_1) | instid1(VALU_DEP_3)
	v_add_nc_u32_e32 v2, v0, v5
	v_cmp_o_f32_e64 s0, v66, v66
	v_add3_u32 v4, v66, v3, 0x7fff
	v_mov_b32_e32 v3, 0
	s_delay_alu instid0(VALU_DEP_2) | instskip(NEXT) | instid1(VALU_DEP_2)
	v_lshrrev_b32_e32 v4, 16, v4
	v_lshlrev_b64_e32 v[2:3], 1, v[2:3]
	s_delay_alu instid0(VALU_DEP_2) | instskip(SKIP_1) | instid1(VALU_DEP_2)
	v_cndmask_b32_e64 v4, 0x7fc0, v4, s0
	s_wait_kmcnt 0x0
	v_add_co_u32 v2, s0, s8, v2
	s_wait_alu 0xf1ff
	s_delay_alu instid0(VALU_DEP_3)
	v_add_co_ci_u32_e64 v3, null, s9, v3, s0
	global_store_b16 v[2:3], v4, off
.LBB165_12:
	s_or_b32 exec_lo, exec_lo, s1
	v_add_nc_u32_e32 v2, 32, v0
	s_delay_alu instid0(VALU_DEP_1)
	v_cmp_gt_u32_e64 s0, s6, v2
	s_and_saveexec_b32 s2, s0
	s_cbranch_execz .LBB165_14
; %bb.13:
	v_bfe_u32 v4, v73, 16, 1
	v_add_nc_u32_e32 v3, v2, v5
	v_cmp_o_f32_e64 s1, v73, v73
	s_delay_alu instid0(VALU_DEP_3) | instskip(SKIP_1) | instid1(VALU_DEP_2)
	v_add3_u32 v6, v73, v4, 0x7fff
	v_mov_b32_e32 v4, 0
	v_lshrrev_b32_e32 v6, 16, v6
	s_delay_alu instid0(VALU_DEP_2) | instskip(SKIP_1) | instid1(VALU_DEP_2)
	v_lshlrev_b64_e32 v[3:4], 1, v[3:4]
	s_wait_alu 0xf1ff
	v_cndmask_b32_e64 v6, 0x7fc0, v6, s1
	s_wait_kmcnt 0x0
	s_delay_alu instid0(VALU_DEP_2)
	v_add_co_u32 v3, s1, s8, v3
	s_wait_alu 0xf1ff
	v_add_co_ci_u32_e64 v4, null, s9, v4, s1
	global_store_b16 v[3:4], v6, off
.LBB165_14:
	s_wait_alu 0xfffe
	s_or_b32 exec_lo, exec_lo, s2
	v_add_nc_u32_e32 v3, 64, v0
	s_delay_alu instid0(VALU_DEP_1)
	v_cmp_gt_u32_e64 s1, s6, v3
	s_and_saveexec_b32 s3, s1
	s_cbranch_execz .LBB165_16
; %bb.15:
	v_bfe_u32 v4, v70, 16, 1
	v_dual_mov_b32 v7, 0 :: v_dual_add_nc_u32 v6, v3, v5
	v_cmp_o_f32_e64 s2, v70, v70
	s_delay_alu instid0(VALU_DEP_3) | instskip(NEXT) | instid1(VALU_DEP_3)
	v_add3_u32 v4, v70, v4, 0x7fff
	v_lshlrev_b64_e32 v[6:7], 1, v[6:7]
	s_delay_alu instid0(VALU_DEP_2) | instskip(SKIP_1) | instid1(VALU_DEP_1)
	v_lshrrev_b32_e32 v4, 16, v4
	s_wait_alu 0xf1ff
	v_cndmask_b32_e64 v4, 0x7fc0, v4, s2
	s_wait_kmcnt 0x0
	s_delay_alu instid0(VALU_DEP_3)
	v_add_co_u32 v6, s2, s8, v6
	s_wait_alu 0xf1ff
	v_add_co_ci_u32_e64 v7, null, s9, v7, s2
	global_store_b16 v[6:7], v4, off
.LBB165_16:
	s_wait_alu 0xfffe
	s_or_b32 exec_lo, exec_lo, s3
	v_add_nc_u32_e32 v4, 0x60, v0
	s_delay_alu instid0(VALU_DEP_1)
	v_cmp_gt_u32_e64 s2, s6, v4
	s_and_saveexec_b32 s5, s2
	s_cbranch_execz .LBB165_18
; %bb.17:
	v_bfe_u32 v6, v69, 16, 1
	v_add_nc_u32_e32 v5, v4, v5
	v_cmp_o_f32_e64 s3, v69, v69
	s_delay_alu instid0(VALU_DEP_3) | instskip(SKIP_1) | instid1(VALU_DEP_2)
	v_add3_u32 v7, v69, v6, 0x7fff
	v_mov_b32_e32 v6, 0
	v_lshrrev_b32_e32 v7, 16, v7
	s_delay_alu instid0(VALU_DEP_2) | instskip(SKIP_1) | instid1(VALU_DEP_2)
	v_lshlrev_b64_e32 v[5:6], 1, v[5:6]
	s_wait_alu 0xf1ff
	v_cndmask_b32_e64 v7, 0x7fc0, v7, s3
	s_wait_kmcnt 0x0
	s_delay_alu instid0(VALU_DEP_2)
	v_add_co_u32 v5, s3, s8, v5
	s_wait_alu 0xf1ff
	v_add_co_ci_u32_e64 v6, null, s9, v6, s3
	global_store_b16 v[5:6], v7, off
.LBB165_18:
	s_wait_alu 0xfffe
	s_or_b32 exec_lo, exec_lo, s5
	v_add3_u32 v5, v1, s7, 8
	s_delay_alu instid0(VALU_DEP_1)
	v_cmp_gt_u32_e64 s3, s4, v5
	s_and_b32 exec_lo, exec_lo, s3
	s_cbranch_execz .LBB165_60
; %bb.19:
	v_mul_lo_u32 v5, v5, s6
	s_and_saveexec_b32 s5, vcc_lo
	s_cbranch_execnz .LBB165_61
; %bb.20:
	s_wait_alu 0xfffe
	s_or_b32 exec_lo, exec_lo, s5
	s_and_saveexec_b32 s5, s0
	s_cbranch_execnz .LBB165_62
.LBB165_21:
	s_wait_alu 0xfffe
	s_or_b32 exec_lo, exec_lo, s5
	s_and_saveexec_b32 s5, s1
	s_cbranch_execnz .LBB165_63
.LBB165_22:
	s_wait_alu 0xfffe
	s_or_b32 exec_lo, exec_lo, s5
	s_and_saveexec_b32 s5, s2
	s_cbranch_execz .LBB165_24
.LBB165_23:
	v_bfe_u32 v6, v64, 16, 1
	v_add_nc_u32_e32 v5, v5, v4
	v_cmp_o_f32_e64 s3, v64, v64
	s_delay_alu instid0(VALU_DEP_3) | instskip(SKIP_1) | instid1(VALU_DEP_2)
	v_add3_u32 v7, v64, v6, 0x7fff
	v_mov_b32_e32 v6, 0
	v_lshrrev_b32_e32 v7, 16, v7
	s_delay_alu instid0(VALU_DEP_2) | instskip(SKIP_1) | instid1(VALU_DEP_2)
	v_lshlrev_b64_e32 v[5:6], 1, v[5:6]
	s_wait_alu 0xf1ff
	v_cndmask_b32_e64 v7, 0x7fc0, v7, s3
	s_wait_kmcnt 0x0
	s_delay_alu instid0(VALU_DEP_2)
	v_add_co_u32 v5, s3, s8, v5
	s_wait_alu 0xf1ff
	v_add_co_ci_u32_e64 v6, null, s9, v6, s3
	global_store_b16 v[5:6], v7, off
.LBB165_24:
	s_wait_alu 0xfffe
	s_or_b32 exec_lo, exec_lo, s5
	v_add3_u32 v5, v1, s7, 16
	s_delay_alu instid0(VALU_DEP_1)
	v_cmp_gt_u32_e64 s3, s4, v5
	s_and_b32 exec_lo, exec_lo, s3
	s_cbranch_execz .LBB165_60
; %bb.25:
	v_mul_lo_u32 v5, v5, s6
	s_and_saveexec_b32 s5, vcc_lo
	s_cbranch_execnz .LBB165_64
; %bb.26:
	s_wait_alu 0xfffe
	s_or_b32 exec_lo, exec_lo, s5
	s_and_saveexec_b32 s5, s0
	s_cbranch_execnz .LBB165_65
.LBB165_27:
	s_wait_alu 0xfffe
	s_or_b32 exec_lo, exec_lo, s5
	s_and_saveexec_b32 s5, s1
	s_cbranch_execnz .LBB165_66
.LBB165_28:
	s_wait_alu 0xfffe
	s_or_b32 exec_lo, exec_lo, s5
	s_and_saveexec_b32 s5, s2
	s_cbranch_execz .LBB165_30
.LBB165_29:
	v_bfe_u32 v6, v57, 16, 1
	v_add_nc_u32_e32 v5, v5, v4
	v_cmp_o_f32_e64 s3, v57, v57
	s_delay_alu instid0(VALU_DEP_3) | instskip(SKIP_1) | instid1(VALU_DEP_2)
	v_add3_u32 v7, v57, v6, 0x7fff
	v_mov_b32_e32 v6, 0
	v_lshrrev_b32_e32 v7, 16, v7
	s_delay_alu instid0(VALU_DEP_2) | instskip(SKIP_1) | instid1(VALU_DEP_2)
	v_lshlrev_b64_e32 v[5:6], 1, v[5:6]
	s_wait_alu 0xf1ff
	v_cndmask_b32_e64 v7, 0x7fc0, v7, s3
	s_wait_kmcnt 0x0
	s_delay_alu instid0(VALU_DEP_2)
	v_add_co_u32 v5, s3, s8, v5
	s_wait_alu 0xf1ff
	v_add_co_ci_u32_e64 v6, null, s9, v6, s3
	global_store_b16 v[5:6], v7, off
.LBB165_30:
	s_wait_alu 0xfffe
	s_or_b32 exec_lo, exec_lo, s5
	v_add3_u32 v5, v1, s7, 24
	s_delay_alu instid0(VALU_DEP_1)
	v_cmp_gt_u32_e64 s3, s4, v5
	s_and_b32 exec_lo, exec_lo, s3
	s_cbranch_execz .LBB165_60
; %bb.31:
	v_mul_lo_u32 v5, v5, s6
	s_and_saveexec_b32 s5, vcc_lo
	s_cbranch_execnz .LBB165_67
; %bb.32:
	s_wait_alu 0xfffe
	s_or_b32 exec_lo, exec_lo, s5
	s_and_saveexec_b32 s5, s0
	s_cbranch_execnz .LBB165_68
.LBB165_33:
	s_wait_alu 0xfffe
	s_or_b32 exec_lo, exec_lo, s5
	s_and_saveexec_b32 s5, s1
	s_cbranch_execnz .LBB165_69
.LBB165_34:
	s_wait_alu 0xfffe
	s_or_b32 exec_lo, exec_lo, s5
	s_and_saveexec_b32 s5, s2
	s_cbranch_execz .LBB165_36
.LBB165_35:
	v_bfe_u32 v6, v53, 16, 1
	v_add_nc_u32_e32 v5, v5, v4
	v_cmp_o_f32_e64 s3, v53, v53
	s_delay_alu instid0(VALU_DEP_3) | instskip(SKIP_1) | instid1(VALU_DEP_2)
	v_add3_u32 v7, v53, v6, 0x7fff
	v_mov_b32_e32 v6, 0
	v_lshrrev_b32_e32 v7, 16, v7
	s_delay_alu instid0(VALU_DEP_2) | instskip(SKIP_1) | instid1(VALU_DEP_2)
	v_lshlrev_b64_e32 v[5:6], 1, v[5:6]
	s_wait_alu 0xf1ff
	v_cndmask_b32_e64 v7, 0x7fc0, v7, s3
	s_wait_kmcnt 0x0
	s_delay_alu instid0(VALU_DEP_2)
	v_add_co_u32 v5, s3, s8, v5
	s_wait_alu 0xf1ff
	v_add_co_ci_u32_e64 v6, null, s9, v6, s3
	global_store_b16 v[5:6], v7, off
.LBB165_36:
	s_wait_alu 0xfffe
	s_or_b32 exec_lo, exec_lo, s5
	v_add3_u32 v5, v1, s7, 32
	s_delay_alu instid0(VALU_DEP_1)
	v_cmp_gt_u32_e64 s3, s4, v5
	s_and_b32 exec_lo, exec_lo, s3
	s_cbranch_execz .LBB165_60
; %bb.37:
	v_mul_lo_u32 v5, v5, s6
	s_and_saveexec_b32 s5, vcc_lo
	s_cbranch_execnz .LBB165_70
; %bb.38:
	s_wait_alu 0xfffe
	s_or_b32 exec_lo, exec_lo, s5
	s_and_saveexec_b32 s5, s0
	s_cbranch_execnz .LBB165_71
.LBB165_39:
	s_wait_alu 0xfffe
	s_or_b32 exec_lo, exec_lo, s5
	s_and_saveexec_b32 s5, s1
	s_cbranch_execnz .LBB165_72
.LBB165_40:
	s_wait_alu 0xfffe
	s_or_b32 exec_lo, exec_lo, s5
	s_and_saveexec_b32 s5, s2
	s_cbranch_execz .LBB165_42
.LBB165_41:
	v_bfe_u32 v6, v49, 16, 1
	v_add_nc_u32_e32 v5, v5, v4
	v_cmp_o_f32_e64 s3, v49, v49
	s_delay_alu instid0(VALU_DEP_3) | instskip(SKIP_1) | instid1(VALU_DEP_2)
	v_add3_u32 v7, v49, v6, 0x7fff
	v_mov_b32_e32 v6, 0
	v_lshrrev_b32_e32 v7, 16, v7
	s_delay_alu instid0(VALU_DEP_2) | instskip(SKIP_1) | instid1(VALU_DEP_2)
	v_lshlrev_b64_e32 v[5:6], 1, v[5:6]
	s_wait_alu 0xf1ff
	v_cndmask_b32_e64 v7, 0x7fc0, v7, s3
	s_wait_kmcnt 0x0
	s_delay_alu instid0(VALU_DEP_2)
	v_add_co_u32 v5, s3, s8, v5
	s_wait_alu 0xf1ff
	v_add_co_ci_u32_e64 v6, null, s9, v6, s3
	global_store_b16 v[5:6], v7, off
.LBB165_42:
	s_wait_alu 0xfffe
	s_or_b32 exec_lo, exec_lo, s5
	v_add3_u32 v5, v1, s7, 40
	s_delay_alu instid0(VALU_DEP_1)
	v_cmp_gt_u32_e64 s3, s4, v5
	s_and_b32 exec_lo, exec_lo, s3
	s_cbranch_execz .LBB165_60
; %bb.43:
	v_mul_lo_u32 v5, v5, s6
	s_and_saveexec_b32 s5, vcc_lo
	s_cbranch_execnz .LBB165_73
; %bb.44:
	s_wait_alu 0xfffe
	s_or_b32 exec_lo, exec_lo, s5
	s_and_saveexec_b32 s5, s0
	s_cbranch_execnz .LBB165_74
.LBB165_45:
	s_wait_alu 0xfffe
	s_or_b32 exec_lo, exec_lo, s5
	s_and_saveexec_b32 s5, s1
	s_cbranch_execnz .LBB165_75
.LBB165_46:
	s_wait_alu 0xfffe
	s_or_b32 exec_lo, exec_lo, s5
	s_and_saveexec_b32 s5, s2
	s_cbranch_execz .LBB165_48
.LBB165_47:
	v_bfe_u32 v6, v45, 16, 1
	v_add_nc_u32_e32 v5, v5, v4
	v_cmp_o_f32_e64 s3, v45, v45
	s_delay_alu instid0(VALU_DEP_3) | instskip(SKIP_1) | instid1(VALU_DEP_2)
	v_add3_u32 v7, v45, v6, 0x7fff
	v_mov_b32_e32 v6, 0
	v_lshrrev_b32_e32 v7, 16, v7
	s_delay_alu instid0(VALU_DEP_2) | instskip(SKIP_1) | instid1(VALU_DEP_2)
	v_lshlrev_b64_e32 v[5:6], 1, v[5:6]
	s_wait_alu 0xf1ff
	v_cndmask_b32_e64 v7, 0x7fc0, v7, s3
	s_wait_kmcnt 0x0
	s_delay_alu instid0(VALU_DEP_2)
	v_add_co_u32 v5, s3, s8, v5
	s_wait_alu 0xf1ff
	v_add_co_ci_u32_e64 v6, null, s9, v6, s3
	global_store_b16 v[5:6], v7, off
.LBB165_48:
	s_wait_alu 0xfffe
	s_or_b32 exec_lo, exec_lo, s5
	v_add3_u32 v5, v1, s7, 48
	s_delay_alu instid0(VALU_DEP_1)
	v_cmp_gt_u32_e64 s3, s4, v5
	s_and_b32 exec_lo, exec_lo, s3
	s_cbranch_execz .LBB165_60
; %bb.49:
	v_mul_lo_u32 v5, v5, s6
	s_and_saveexec_b32 s5, vcc_lo
	s_cbranch_execnz .LBB165_76
; %bb.50:
	s_wait_alu 0xfffe
	s_or_b32 exec_lo, exec_lo, s5
	s_and_saveexec_b32 s5, s0
	s_cbranch_execnz .LBB165_77
.LBB165_51:
	s_wait_alu 0xfffe
	s_or_b32 exec_lo, exec_lo, s5
	s_and_saveexec_b32 s5, s1
	s_cbranch_execnz .LBB165_78
.LBB165_52:
	s_wait_alu 0xfffe
	s_or_b32 exec_lo, exec_lo, s5
	s_and_saveexec_b32 s5, s2
	s_cbranch_execz .LBB165_54
.LBB165_53:
	v_bfe_u32 v6, v41, 16, 1
	v_add_nc_u32_e32 v5, v5, v4
	v_cmp_o_f32_e64 s3, v41, v41
	s_delay_alu instid0(VALU_DEP_3) | instskip(SKIP_1) | instid1(VALU_DEP_2)
	v_add3_u32 v7, v41, v6, 0x7fff
	v_mov_b32_e32 v6, 0
	v_lshrrev_b32_e32 v7, 16, v7
	s_delay_alu instid0(VALU_DEP_2) | instskip(SKIP_1) | instid1(VALU_DEP_2)
	v_lshlrev_b64_e32 v[5:6], 1, v[5:6]
	s_wait_alu 0xf1ff
	v_cndmask_b32_e64 v7, 0x7fc0, v7, s3
	s_wait_kmcnt 0x0
	s_delay_alu instid0(VALU_DEP_2)
	v_add_co_u32 v5, s3, s8, v5
	s_wait_alu 0xf1ff
	v_add_co_ci_u32_e64 v6, null, s9, v6, s3
	global_store_b16 v[5:6], v7, off
.LBB165_54:
	s_wait_alu 0xfffe
	s_or_b32 exec_lo, exec_lo, s5
	v_add3_u32 v1, v1, s7, 56
	s_delay_alu instid0(VALU_DEP_1)
	v_cmp_gt_u32_e64 s3, s4, v1
	s_and_b32 exec_lo, exec_lo, s3
	s_cbranch_execz .LBB165_60
; %bb.55:
	v_mul_lo_u32 v1, v1, s6
	s_and_saveexec_b32 s3, vcc_lo
	s_cbranch_execnz .LBB165_79
; %bb.56:
	s_wait_alu 0xfffe
	s_or_b32 exec_lo, exec_lo, s3
	s_and_saveexec_b32 s3, s0
	s_cbranch_execnz .LBB165_80
.LBB165_57:
	s_wait_alu 0xfffe
	s_or_b32 exec_lo, exec_lo, s3
	s_and_saveexec_b32 s0, s1
	s_cbranch_execnz .LBB165_81
.LBB165_58:
	s_wait_alu 0xfffe
	s_or_b32 exec_lo, exec_lo, s0
	s_delay_alu instid0(SALU_CYCLE_1)
	s_and_b32 exec_lo, exec_lo, s2
	s_cbranch_execz .LBB165_60
.LBB165_59:
	v_bfe_u32 v2, v37, 16, 1
	v_dual_mov_b32 v1, 0 :: v_dual_add_nc_u32 v0, v1, v4
	v_cmp_o_f32_e32 vcc_lo, v37, v37
	s_delay_alu instid0(VALU_DEP_3) | instskip(NEXT) | instid1(VALU_DEP_3)
	v_add3_u32 v2, v37, v2, 0x7fff
	v_lshlrev_b64_e32 v[0:1], 1, v[0:1]
	s_delay_alu instid0(VALU_DEP_2) | instskip(SKIP_1) | instid1(VALU_DEP_1)
	v_lshrrev_b32_e32 v2, 16, v2
	s_wait_alu 0xfffd
	v_cndmask_b32_e32 v2, 0x7fc0, v2, vcc_lo
	s_wait_kmcnt 0x0
	s_delay_alu instid0(VALU_DEP_3)
	v_add_co_u32 v0, vcc_lo, s8, v0
	s_wait_alu 0xfffd
	v_add_co_ci_u32_e64 v1, null, s9, v1, vcc_lo
	global_store_b16 v[0:1], v2, off
.LBB165_60:
	s_nop 0
	s_sendmsg sendmsg(MSG_DEALLOC_VGPRS)
	s_endpgm
.LBB165_61:
	v_bfe_u32 v7, v68, 16, 1
	s_delay_alu instid0(VALU_DEP_2) | instskip(SKIP_1) | instid1(VALU_DEP_3)
	v_add_nc_u32_e32 v6, v5, v0
	v_cmp_o_f32_e64 s3, v68, v68
	v_add3_u32 v8, v68, v7, 0x7fff
	v_mov_b32_e32 v7, 0
	s_delay_alu instid0(VALU_DEP_2) | instskip(NEXT) | instid1(VALU_DEP_2)
	v_lshrrev_b32_e32 v8, 16, v8
	v_lshlrev_b64_e32 v[6:7], 1, v[6:7]
	s_wait_alu 0xf1ff
	s_delay_alu instid0(VALU_DEP_2) | instskip(SKIP_1) | instid1(VALU_DEP_2)
	v_cndmask_b32_e64 v8, 0x7fc0, v8, s3
	s_wait_kmcnt 0x0
	v_add_co_u32 v6, s3, s8, v6
	s_wait_alu 0xf1ff
	v_add_co_ci_u32_e64 v7, null, s9, v7, s3
	global_store_b16 v[6:7], v8, off
	s_wait_alu 0xfffe
	s_or_b32 exec_lo, exec_lo, s5
	s_and_saveexec_b32 s5, s0
	s_cbranch_execz .LBB165_21
.LBB165_62:
	v_bfe_u32 v7, v67, 16, 1
	v_add_nc_u32_e32 v6, v5, v2
	v_cmp_o_f32_e64 s3, v67, v67
	s_delay_alu instid0(VALU_DEP_3) | instskip(SKIP_1) | instid1(VALU_DEP_2)
	v_add3_u32 v8, v67, v7, 0x7fff
	v_mov_b32_e32 v7, 0
	v_lshrrev_b32_e32 v8, 16, v8
	s_delay_alu instid0(VALU_DEP_2) | instskip(SKIP_1) | instid1(VALU_DEP_2)
	v_lshlrev_b64_e32 v[6:7], 1, v[6:7]
	s_wait_alu 0xf1ff
	v_cndmask_b32_e64 v8, 0x7fc0, v8, s3
	s_wait_kmcnt 0x0
	s_delay_alu instid0(VALU_DEP_2)
	v_add_co_u32 v6, s3, s8, v6
	s_wait_alu 0xf1ff
	v_add_co_ci_u32_e64 v7, null, s9, v7, s3
	global_store_b16 v[6:7], v8, off
	s_wait_alu 0xfffe
	s_or_b32 exec_lo, exec_lo, s5
	s_and_saveexec_b32 s5, s1
	s_cbranch_execz .LBB165_22
.LBB165_63:
	v_bfe_u32 v7, v65, 16, 1
	v_add_nc_u32_e32 v6, v5, v3
	v_cmp_o_f32_e64 s3, v65, v65
	s_delay_alu instid0(VALU_DEP_3) | instskip(SKIP_1) | instid1(VALU_DEP_2)
	v_add3_u32 v8, v65, v7, 0x7fff
	v_mov_b32_e32 v7, 0
	v_lshrrev_b32_e32 v8, 16, v8
	s_delay_alu instid0(VALU_DEP_2) | instskip(SKIP_1) | instid1(VALU_DEP_2)
	v_lshlrev_b64_e32 v[6:7], 1, v[6:7]
	s_wait_alu 0xf1ff
	v_cndmask_b32_e64 v8, 0x7fc0, v8, s3
	s_wait_kmcnt 0x0
	s_delay_alu instid0(VALU_DEP_2)
	v_add_co_u32 v6, s3, s8, v6
	s_wait_alu 0xf1ff
	v_add_co_ci_u32_e64 v7, null, s9, v7, s3
	global_store_b16 v[6:7], v8, off
	s_wait_alu 0xfffe
	s_or_b32 exec_lo, exec_lo, s5
	s_and_saveexec_b32 s5, s2
	s_cbranch_execnz .LBB165_23
	s_branch .LBB165_24
.LBB165_64:
	v_bfe_u32 v7, v63, 16, 1
	s_delay_alu instid0(VALU_DEP_2) | instskip(SKIP_1) | instid1(VALU_DEP_3)
	v_add_nc_u32_e32 v6, v5, v0
	v_cmp_o_f32_e64 s3, v63, v63
	v_add3_u32 v8, v63, v7, 0x7fff
	v_mov_b32_e32 v7, 0
	s_delay_alu instid0(VALU_DEP_2) | instskip(NEXT) | instid1(VALU_DEP_2)
	v_lshrrev_b32_e32 v8, 16, v8
	v_lshlrev_b64_e32 v[6:7], 1, v[6:7]
	s_wait_alu 0xf1ff
	s_delay_alu instid0(VALU_DEP_2) | instskip(SKIP_1) | instid1(VALU_DEP_2)
	v_cndmask_b32_e64 v8, 0x7fc0, v8, s3
	s_wait_kmcnt 0x0
	v_add_co_u32 v6, s3, s8, v6
	s_wait_alu 0xf1ff
	v_add_co_ci_u32_e64 v7, null, s9, v7, s3
	global_store_b16 v[6:7], v8, off
	s_wait_alu 0xfffe
	s_or_b32 exec_lo, exec_lo, s5
	s_and_saveexec_b32 s5, s0
	s_cbranch_execz .LBB165_27
.LBB165_65:
	v_bfe_u32 v7, v61, 16, 1
	v_add_nc_u32_e32 v6, v5, v2
	v_cmp_o_f32_e64 s3, v61, v61
	s_delay_alu instid0(VALU_DEP_3) | instskip(SKIP_1) | instid1(VALU_DEP_2)
	v_add3_u32 v8, v61, v7, 0x7fff
	v_mov_b32_e32 v7, 0
	v_lshrrev_b32_e32 v8, 16, v8
	s_delay_alu instid0(VALU_DEP_2) | instskip(SKIP_1) | instid1(VALU_DEP_2)
	v_lshlrev_b64_e32 v[6:7], 1, v[6:7]
	s_wait_alu 0xf1ff
	v_cndmask_b32_e64 v8, 0x7fc0, v8, s3
	s_wait_kmcnt 0x0
	s_delay_alu instid0(VALU_DEP_2)
	v_add_co_u32 v6, s3, s8, v6
	s_wait_alu 0xf1ff
	v_add_co_ci_u32_e64 v7, null, s9, v7, s3
	global_store_b16 v[6:7], v8, off
	s_wait_alu 0xfffe
	s_or_b32 exec_lo, exec_lo, s5
	s_and_saveexec_b32 s5, s1
	s_cbranch_execz .LBB165_28
.LBB165_66:
	v_bfe_u32 v7, v60, 16, 1
	v_add_nc_u32_e32 v6, v5, v3
	v_cmp_o_f32_e64 s3, v60, v60
	s_delay_alu instid0(VALU_DEP_3) | instskip(SKIP_1) | instid1(VALU_DEP_2)
	v_add3_u32 v8, v60, v7, 0x7fff
	v_mov_b32_e32 v7, 0
	v_lshrrev_b32_e32 v8, 16, v8
	s_delay_alu instid0(VALU_DEP_2) | instskip(SKIP_1) | instid1(VALU_DEP_2)
	v_lshlrev_b64_e32 v[6:7], 1, v[6:7]
	s_wait_alu 0xf1ff
	v_cndmask_b32_e64 v8, 0x7fc0, v8, s3
	s_wait_kmcnt 0x0
	s_delay_alu instid0(VALU_DEP_2)
	v_add_co_u32 v6, s3, s8, v6
	s_wait_alu 0xf1ff
	v_add_co_ci_u32_e64 v7, null, s9, v7, s3
	global_store_b16 v[6:7], v8, off
	s_wait_alu 0xfffe
	s_or_b32 exec_lo, exec_lo, s5
	s_and_saveexec_b32 s5, s2
	s_cbranch_execnz .LBB165_29
	s_branch .LBB165_30
.LBB165_67:
	v_bfe_u32 v7, v56, 16, 1
	s_delay_alu instid0(VALU_DEP_2) | instskip(SKIP_1) | instid1(VALU_DEP_3)
	v_add_nc_u32_e32 v6, v5, v0
	v_cmp_o_f32_e64 s3, v56, v56
	v_add3_u32 v8, v56, v7, 0x7fff
	v_mov_b32_e32 v7, 0
	s_delay_alu instid0(VALU_DEP_2) | instskip(NEXT) | instid1(VALU_DEP_2)
	v_lshrrev_b32_e32 v8, 16, v8
	v_lshlrev_b64_e32 v[6:7], 1, v[6:7]
	s_wait_alu 0xf1ff
	s_delay_alu instid0(VALU_DEP_2) | instskip(SKIP_1) | instid1(VALU_DEP_2)
	v_cndmask_b32_e64 v8, 0x7fc0, v8, s3
	s_wait_kmcnt 0x0
	v_add_co_u32 v6, s3, s8, v6
	s_wait_alu 0xf1ff
	v_add_co_ci_u32_e64 v7, null, s9, v7, s3
	global_store_b16 v[6:7], v8, off
	s_wait_alu 0xfffe
	s_or_b32 exec_lo, exec_lo, s5
	s_and_saveexec_b32 s5, s0
	s_cbranch_execz .LBB165_33
.LBB165_68:
	v_bfe_u32 v7, v55, 16, 1
	v_add_nc_u32_e32 v6, v5, v2
	v_cmp_o_f32_e64 s3, v55, v55
	s_delay_alu instid0(VALU_DEP_3) | instskip(SKIP_1) | instid1(VALU_DEP_2)
	v_add3_u32 v8, v55, v7, 0x7fff
	v_mov_b32_e32 v7, 0
	v_lshrrev_b32_e32 v8, 16, v8
	s_delay_alu instid0(VALU_DEP_2) | instskip(SKIP_1) | instid1(VALU_DEP_2)
	v_lshlrev_b64_e32 v[6:7], 1, v[6:7]
	s_wait_alu 0xf1ff
	v_cndmask_b32_e64 v8, 0x7fc0, v8, s3
	s_wait_kmcnt 0x0
	s_delay_alu instid0(VALU_DEP_2)
	v_add_co_u32 v6, s3, s8, v6
	s_wait_alu 0xf1ff
	v_add_co_ci_u32_e64 v7, null, s9, v7, s3
	global_store_b16 v[6:7], v8, off
	s_wait_alu 0xfffe
	s_or_b32 exec_lo, exec_lo, s5
	s_and_saveexec_b32 s5, s1
	s_cbranch_execz .LBB165_34
.LBB165_69:
	v_bfe_u32 v7, v54, 16, 1
	v_add_nc_u32_e32 v6, v5, v3
	v_cmp_o_f32_e64 s3, v54, v54
	s_delay_alu instid0(VALU_DEP_3) | instskip(SKIP_1) | instid1(VALU_DEP_2)
	v_add3_u32 v8, v54, v7, 0x7fff
	v_mov_b32_e32 v7, 0
	v_lshrrev_b32_e32 v8, 16, v8
	s_delay_alu instid0(VALU_DEP_2) | instskip(SKIP_1) | instid1(VALU_DEP_2)
	v_lshlrev_b64_e32 v[6:7], 1, v[6:7]
	s_wait_alu 0xf1ff
	v_cndmask_b32_e64 v8, 0x7fc0, v8, s3
	s_wait_kmcnt 0x0
	s_delay_alu instid0(VALU_DEP_2)
	v_add_co_u32 v6, s3, s8, v6
	s_wait_alu 0xf1ff
	v_add_co_ci_u32_e64 v7, null, s9, v7, s3
	global_store_b16 v[6:7], v8, off
	s_wait_alu 0xfffe
	s_or_b32 exec_lo, exec_lo, s5
	s_and_saveexec_b32 s5, s2
	s_cbranch_execnz .LBB165_35
	s_branch .LBB165_36
.LBB165_70:
	v_bfe_u32 v7, v52, 16, 1
	s_delay_alu instid0(VALU_DEP_2) | instskip(SKIP_1) | instid1(VALU_DEP_3)
	v_add_nc_u32_e32 v6, v5, v0
	v_cmp_o_f32_e64 s3, v52, v52
	v_add3_u32 v8, v52, v7, 0x7fff
	v_mov_b32_e32 v7, 0
	s_delay_alu instid0(VALU_DEP_2) | instskip(NEXT) | instid1(VALU_DEP_2)
	v_lshrrev_b32_e32 v8, 16, v8
	v_lshlrev_b64_e32 v[6:7], 1, v[6:7]
	s_wait_alu 0xf1ff
	s_delay_alu instid0(VALU_DEP_2) | instskip(SKIP_1) | instid1(VALU_DEP_2)
	v_cndmask_b32_e64 v8, 0x7fc0, v8, s3
	s_wait_kmcnt 0x0
	v_add_co_u32 v6, s3, s8, v6
	s_wait_alu 0xf1ff
	v_add_co_ci_u32_e64 v7, null, s9, v7, s3
	global_store_b16 v[6:7], v8, off
	s_wait_alu 0xfffe
	s_or_b32 exec_lo, exec_lo, s5
	s_and_saveexec_b32 s5, s0
	s_cbranch_execz .LBB165_39
.LBB165_71:
	v_bfe_u32 v7, v51, 16, 1
	v_add_nc_u32_e32 v6, v5, v2
	v_cmp_o_f32_e64 s3, v51, v51
	s_delay_alu instid0(VALU_DEP_3) | instskip(SKIP_1) | instid1(VALU_DEP_2)
	v_add3_u32 v8, v51, v7, 0x7fff
	v_mov_b32_e32 v7, 0
	v_lshrrev_b32_e32 v8, 16, v8
	s_delay_alu instid0(VALU_DEP_2) | instskip(SKIP_1) | instid1(VALU_DEP_2)
	v_lshlrev_b64_e32 v[6:7], 1, v[6:7]
	s_wait_alu 0xf1ff
	v_cndmask_b32_e64 v8, 0x7fc0, v8, s3
	s_wait_kmcnt 0x0
	s_delay_alu instid0(VALU_DEP_2)
	v_add_co_u32 v6, s3, s8, v6
	s_wait_alu 0xf1ff
	v_add_co_ci_u32_e64 v7, null, s9, v7, s3
	global_store_b16 v[6:7], v8, off
	s_wait_alu 0xfffe
	s_or_b32 exec_lo, exec_lo, s5
	s_and_saveexec_b32 s5, s1
	s_cbranch_execz .LBB165_40
.LBB165_72:
	v_bfe_u32 v7, v50, 16, 1
	v_add_nc_u32_e32 v6, v5, v3
	v_cmp_o_f32_e64 s3, v50, v50
	s_delay_alu instid0(VALU_DEP_3) | instskip(SKIP_1) | instid1(VALU_DEP_2)
	v_add3_u32 v8, v50, v7, 0x7fff
	v_mov_b32_e32 v7, 0
	v_lshrrev_b32_e32 v8, 16, v8
	s_delay_alu instid0(VALU_DEP_2) | instskip(SKIP_1) | instid1(VALU_DEP_2)
	v_lshlrev_b64_e32 v[6:7], 1, v[6:7]
	s_wait_alu 0xf1ff
	v_cndmask_b32_e64 v8, 0x7fc0, v8, s3
	s_wait_kmcnt 0x0
	s_delay_alu instid0(VALU_DEP_2)
	v_add_co_u32 v6, s3, s8, v6
	s_wait_alu 0xf1ff
	v_add_co_ci_u32_e64 v7, null, s9, v7, s3
	global_store_b16 v[6:7], v8, off
	s_wait_alu 0xfffe
	s_or_b32 exec_lo, exec_lo, s5
	s_and_saveexec_b32 s5, s2
	s_cbranch_execnz .LBB165_41
	s_branch .LBB165_42
.LBB165_73:
	v_bfe_u32 v7, v48, 16, 1
	s_delay_alu instid0(VALU_DEP_2) | instskip(SKIP_1) | instid1(VALU_DEP_3)
	v_add_nc_u32_e32 v6, v5, v0
	v_cmp_o_f32_e64 s3, v48, v48
	v_add3_u32 v8, v48, v7, 0x7fff
	v_mov_b32_e32 v7, 0
	s_delay_alu instid0(VALU_DEP_2) | instskip(NEXT) | instid1(VALU_DEP_2)
	v_lshrrev_b32_e32 v8, 16, v8
	v_lshlrev_b64_e32 v[6:7], 1, v[6:7]
	s_wait_alu 0xf1ff
	s_delay_alu instid0(VALU_DEP_2) | instskip(SKIP_1) | instid1(VALU_DEP_2)
	v_cndmask_b32_e64 v8, 0x7fc0, v8, s3
	s_wait_kmcnt 0x0
	v_add_co_u32 v6, s3, s8, v6
	s_wait_alu 0xf1ff
	v_add_co_ci_u32_e64 v7, null, s9, v7, s3
	global_store_b16 v[6:7], v8, off
	s_wait_alu 0xfffe
	s_or_b32 exec_lo, exec_lo, s5
	s_and_saveexec_b32 s5, s0
	s_cbranch_execz .LBB165_45
.LBB165_74:
	v_bfe_u32 v7, v47, 16, 1
	v_add_nc_u32_e32 v6, v5, v2
	v_cmp_o_f32_e64 s3, v47, v47
	s_delay_alu instid0(VALU_DEP_3) | instskip(SKIP_1) | instid1(VALU_DEP_2)
	v_add3_u32 v8, v47, v7, 0x7fff
	v_mov_b32_e32 v7, 0
	v_lshrrev_b32_e32 v8, 16, v8
	s_delay_alu instid0(VALU_DEP_2) | instskip(SKIP_1) | instid1(VALU_DEP_2)
	v_lshlrev_b64_e32 v[6:7], 1, v[6:7]
	s_wait_alu 0xf1ff
	v_cndmask_b32_e64 v8, 0x7fc0, v8, s3
	s_wait_kmcnt 0x0
	s_delay_alu instid0(VALU_DEP_2)
	v_add_co_u32 v6, s3, s8, v6
	s_wait_alu 0xf1ff
	v_add_co_ci_u32_e64 v7, null, s9, v7, s3
	global_store_b16 v[6:7], v8, off
	s_wait_alu 0xfffe
	s_or_b32 exec_lo, exec_lo, s5
	s_and_saveexec_b32 s5, s1
	s_cbranch_execz .LBB165_46
.LBB165_75:
	v_bfe_u32 v7, v46, 16, 1
	v_add_nc_u32_e32 v6, v5, v3
	v_cmp_o_f32_e64 s3, v46, v46
	s_delay_alu instid0(VALU_DEP_3) | instskip(SKIP_1) | instid1(VALU_DEP_2)
	v_add3_u32 v8, v46, v7, 0x7fff
	v_mov_b32_e32 v7, 0
	v_lshrrev_b32_e32 v8, 16, v8
	s_delay_alu instid0(VALU_DEP_2) | instskip(SKIP_1) | instid1(VALU_DEP_2)
	v_lshlrev_b64_e32 v[6:7], 1, v[6:7]
	s_wait_alu 0xf1ff
	v_cndmask_b32_e64 v8, 0x7fc0, v8, s3
	s_wait_kmcnt 0x0
	s_delay_alu instid0(VALU_DEP_2)
	v_add_co_u32 v6, s3, s8, v6
	s_wait_alu 0xf1ff
	v_add_co_ci_u32_e64 v7, null, s9, v7, s3
	global_store_b16 v[6:7], v8, off
	s_wait_alu 0xfffe
	s_or_b32 exec_lo, exec_lo, s5
	s_and_saveexec_b32 s5, s2
	s_cbranch_execnz .LBB165_47
	s_branch .LBB165_48
.LBB165_76:
	v_bfe_u32 v7, v44, 16, 1
	s_delay_alu instid0(VALU_DEP_2) | instskip(SKIP_1) | instid1(VALU_DEP_3)
	v_add_nc_u32_e32 v6, v5, v0
	v_cmp_o_f32_e64 s3, v44, v44
	v_add3_u32 v8, v44, v7, 0x7fff
	v_mov_b32_e32 v7, 0
	s_delay_alu instid0(VALU_DEP_2) | instskip(NEXT) | instid1(VALU_DEP_2)
	v_lshrrev_b32_e32 v8, 16, v8
	v_lshlrev_b64_e32 v[6:7], 1, v[6:7]
	s_wait_alu 0xf1ff
	s_delay_alu instid0(VALU_DEP_2) | instskip(SKIP_1) | instid1(VALU_DEP_2)
	v_cndmask_b32_e64 v8, 0x7fc0, v8, s3
	s_wait_kmcnt 0x0
	v_add_co_u32 v6, s3, s8, v6
	s_wait_alu 0xf1ff
	v_add_co_ci_u32_e64 v7, null, s9, v7, s3
	global_store_b16 v[6:7], v8, off
	s_wait_alu 0xfffe
	s_or_b32 exec_lo, exec_lo, s5
	s_and_saveexec_b32 s5, s0
	s_cbranch_execz .LBB165_51
.LBB165_77:
	v_bfe_u32 v7, v43, 16, 1
	v_add_nc_u32_e32 v6, v5, v2
	v_cmp_o_f32_e64 s3, v43, v43
	s_delay_alu instid0(VALU_DEP_3) | instskip(SKIP_1) | instid1(VALU_DEP_2)
	v_add3_u32 v8, v43, v7, 0x7fff
	v_mov_b32_e32 v7, 0
	v_lshrrev_b32_e32 v8, 16, v8
	s_delay_alu instid0(VALU_DEP_2) | instskip(SKIP_1) | instid1(VALU_DEP_2)
	v_lshlrev_b64_e32 v[6:7], 1, v[6:7]
	s_wait_alu 0xf1ff
	v_cndmask_b32_e64 v8, 0x7fc0, v8, s3
	s_wait_kmcnt 0x0
	s_delay_alu instid0(VALU_DEP_2)
	v_add_co_u32 v6, s3, s8, v6
	s_wait_alu 0xf1ff
	v_add_co_ci_u32_e64 v7, null, s9, v7, s3
	global_store_b16 v[6:7], v8, off
	s_wait_alu 0xfffe
	s_or_b32 exec_lo, exec_lo, s5
	s_and_saveexec_b32 s5, s1
	s_cbranch_execz .LBB165_52
.LBB165_78:
	v_bfe_u32 v7, v42, 16, 1
	v_add_nc_u32_e32 v6, v5, v3
	v_cmp_o_f32_e64 s3, v42, v42
	s_delay_alu instid0(VALU_DEP_3) | instskip(SKIP_1) | instid1(VALU_DEP_2)
	v_add3_u32 v8, v42, v7, 0x7fff
	v_mov_b32_e32 v7, 0
	v_lshrrev_b32_e32 v8, 16, v8
	s_delay_alu instid0(VALU_DEP_2) | instskip(SKIP_1) | instid1(VALU_DEP_2)
	v_lshlrev_b64_e32 v[6:7], 1, v[6:7]
	s_wait_alu 0xf1ff
	v_cndmask_b32_e64 v8, 0x7fc0, v8, s3
	s_wait_kmcnt 0x0
	s_delay_alu instid0(VALU_DEP_2)
	v_add_co_u32 v6, s3, s8, v6
	s_wait_alu 0xf1ff
	v_add_co_ci_u32_e64 v7, null, s9, v7, s3
	global_store_b16 v[6:7], v8, off
	s_wait_alu 0xfffe
	s_or_b32 exec_lo, exec_lo, s5
	s_and_saveexec_b32 s5, s2
	s_cbranch_execnz .LBB165_53
	s_branch .LBB165_54
.LBB165_79:
	v_bfe_u32 v6, v40, 16, 1
	s_delay_alu instid0(VALU_DEP_2) | instskip(SKIP_1) | instid1(VALU_DEP_3)
	v_add_nc_u32_e32 v5, v1, v0
	v_cmp_o_f32_e32 vcc_lo, v40, v40
	v_add3_u32 v0, v40, v6, 0x7fff
	v_mov_b32_e32 v6, 0
	s_delay_alu instid0(VALU_DEP_2) | instskip(NEXT) | instid1(VALU_DEP_2)
	v_lshrrev_b32_e32 v0, 16, v0
	v_lshlrev_b64_e32 v[5:6], 1, v[5:6]
	s_wait_alu 0xfffd
	s_delay_alu instid0(VALU_DEP_2) | instskip(SKIP_1) | instid1(VALU_DEP_2)
	v_cndmask_b32_e32 v0, 0x7fc0, v0, vcc_lo
	s_wait_kmcnt 0x0
	v_add_co_u32 v5, vcc_lo, s8, v5
	s_wait_alu 0xfffd
	v_add_co_ci_u32_e64 v6, null, s9, v6, vcc_lo
	global_store_b16 v[5:6], v0, off
	s_wait_alu 0xfffe
	s_or_b32 exec_lo, exec_lo, s3
	s_and_saveexec_b32 s3, s0
	s_cbranch_execz .LBB165_57
.LBB165_80:
	v_bfe_u32 v0, v39, 16, 1
	v_dual_mov_b32 v6, 0 :: v_dual_add_nc_u32 v5, v1, v2
	v_cmp_o_f32_e32 vcc_lo, v39, v39
	s_delay_alu instid0(VALU_DEP_3) | instskip(NEXT) | instid1(VALU_DEP_3)
	v_add3_u32 v0, v39, v0, 0x7fff
	v_lshlrev_b64_e32 v[5:6], 1, v[5:6]
	s_delay_alu instid0(VALU_DEP_2) | instskip(SKIP_1) | instid1(VALU_DEP_1)
	v_lshrrev_b32_e32 v0, 16, v0
	s_wait_alu 0xfffd
	v_cndmask_b32_e32 v0, 0x7fc0, v0, vcc_lo
	s_wait_kmcnt 0x0
	s_delay_alu instid0(VALU_DEP_3)
	v_add_co_u32 v5, vcc_lo, s8, v5
	s_wait_alu 0xfffd
	v_add_co_ci_u32_e64 v6, null, s9, v6, vcc_lo
	global_store_b16 v[5:6], v0, off
	s_wait_alu 0xfffe
	s_or_b32 exec_lo, exec_lo, s3
	s_and_saveexec_b32 s0, s1
	s_cbranch_execz .LBB165_58
.LBB165_81:
	v_bfe_u32 v0, v38, 16, 1
	v_dual_mov_b32 v3, 0 :: v_dual_add_nc_u32 v2, v1, v3
	v_cmp_o_f32_e32 vcc_lo, v38, v38
	s_delay_alu instid0(VALU_DEP_3) | instskip(NEXT) | instid1(VALU_DEP_3)
	v_add3_u32 v0, v38, v0, 0x7fff
	v_lshlrev_b64_e32 v[2:3], 1, v[2:3]
	s_delay_alu instid0(VALU_DEP_2) | instskip(SKIP_1) | instid1(VALU_DEP_1)
	v_lshrrev_b32_e32 v0, 16, v0
	s_wait_alu 0xfffd
	v_cndmask_b32_e32 v0, 0x7fc0, v0, vcc_lo
	s_wait_kmcnt 0x0
	s_delay_alu instid0(VALU_DEP_3)
	v_add_co_u32 v2, vcc_lo, s8, v2
	s_wait_alu 0xfffd
	v_add_co_ci_u32_e64 v3, null, s9, v3, vcc_lo
	global_store_b16 v[2:3], v0, off
	s_wait_alu 0xfffe
	s_or_b32 exec_lo, exec_lo, s0
	s_delay_alu instid0(SALU_CYCLE_1)
	s_and_b32 exec_lo, exec_lo, s2
	s_cbranch_execnz .LBB165_59
	s_branch .LBB165_60
	.section	.rodata,"a",@progbits
	.p2align	6, 0x0
	.amdhsa_kernel _ZL12mul_mat_q8_0IN3c108BFloat16ELb0EEvPKvS3_PT_iiiii
		.amdhsa_group_segment_fixed_size 28224
		.amdhsa_private_segment_fixed_size 0
		.amdhsa_kernarg_size 44
		.amdhsa_user_sgpr_count 2
		.amdhsa_user_sgpr_dispatch_ptr 0
		.amdhsa_user_sgpr_queue_ptr 0
		.amdhsa_user_sgpr_kernarg_segment_ptr 1
		.amdhsa_user_sgpr_dispatch_id 0
		.amdhsa_user_sgpr_private_segment_size 0
		.amdhsa_wavefront_size32 1
		.amdhsa_uses_dynamic_stack 0
		.amdhsa_enable_private_segment 0
		.amdhsa_system_sgpr_workgroup_id_x 1
		.amdhsa_system_sgpr_workgroup_id_y 1
		.amdhsa_system_sgpr_workgroup_id_z 0
		.amdhsa_system_sgpr_workgroup_info 0
		.amdhsa_system_vgpr_workitem_id 1
		.amdhsa_next_free_vgpr 174
		.amdhsa_next_free_sgpr 21
		.amdhsa_reserve_vcc 1
		.amdhsa_float_round_mode_32 0
		.amdhsa_float_round_mode_16_64 0
		.amdhsa_float_denorm_mode_32 3
		.amdhsa_float_denorm_mode_16_64 3
		.amdhsa_fp16_overflow 0
		.amdhsa_workgroup_processor_mode 1
		.amdhsa_memory_ordered 1
		.amdhsa_forward_progress 1
		.amdhsa_inst_pref_size 94
		.amdhsa_round_robin_scheduling 0
		.amdhsa_exception_fp_ieee_invalid_op 0
		.amdhsa_exception_fp_denorm_src 0
		.amdhsa_exception_fp_ieee_div_zero 0
		.amdhsa_exception_fp_ieee_overflow 0
		.amdhsa_exception_fp_ieee_underflow 0
		.amdhsa_exception_fp_ieee_inexact 0
		.amdhsa_exception_int_div_zero 0
	.end_amdhsa_kernel
	.section	.text._ZL12mul_mat_q8_0IN3c108BFloat16ELb0EEvPKvS3_PT_iiiii,"axG",@progbits,_ZL12mul_mat_q8_0IN3c108BFloat16ELb0EEvPKvS3_PT_iiiii,comdat
.Lfunc_end165:
	.size	_ZL12mul_mat_q8_0IN3c108BFloat16ELb0EEvPKvS3_PT_iiiii, .Lfunc_end165-_ZL12mul_mat_q8_0IN3c108BFloat16ELb0EEvPKvS3_PT_iiiii
                                        ; -- End function
	.set _ZL12mul_mat_q8_0IN3c108BFloat16ELb0EEvPKvS3_PT_iiiii.num_vgpr, 174
	.set _ZL12mul_mat_q8_0IN3c108BFloat16ELb0EEvPKvS3_PT_iiiii.num_agpr, 0
	.set _ZL12mul_mat_q8_0IN3c108BFloat16ELb0EEvPKvS3_PT_iiiii.numbered_sgpr, 21
	.set _ZL12mul_mat_q8_0IN3c108BFloat16ELb0EEvPKvS3_PT_iiiii.num_named_barrier, 0
	.set _ZL12mul_mat_q8_0IN3c108BFloat16ELb0EEvPKvS3_PT_iiiii.private_seg_size, 0
	.set _ZL12mul_mat_q8_0IN3c108BFloat16ELb0EEvPKvS3_PT_iiiii.uses_vcc, 1
	.set _ZL12mul_mat_q8_0IN3c108BFloat16ELb0EEvPKvS3_PT_iiiii.uses_flat_scratch, 0
	.set _ZL12mul_mat_q8_0IN3c108BFloat16ELb0EEvPKvS3_PT_iiiii.has_dyn_sized_stack, 0
	.set _ZL12mul_mat_q8_0IN3c108BFloat16ELb0EEvPKvS3_PT_iiiii.has_recursion, 0
	.set _ZL12mul_mat_q8_0IN3c108BFloat16ELb0EEvPKvS3_PT_iiiii.has_indirect_call, 0
	.section	.AMDGPU.csdata,"",@progbits
; Kernel info:
; codeLenInByte = 11940
; TotalNumSgprs: 23
; NumVgprs: 174
; ScratchSize: 0
; MemoryBound: 0
; FloatMode: 240
; IeeeMode: 1
; LDSByteSize: 28224 bytes/workgroup (compile time only)
; SGPRBlocks: 0
; VGPRBlocks: 21
; NumSGPRsForWavesPerEU: 23
; NumVGPRsForWavesPerEU: 174
; Occupancy: 8
; WaveLimiterHint : 0
; COMPUTE_PGM_RSRC2:SCRATCH_EN: 0
; COMPUTE_PGM_RSRC2:USER_SGPR: 2
; COMPUTE_PGM_RSRC2:TRAP_HANDLER: 0
; COMPUTE_PGM_RSRC2:TGID_X_EN: 1
; COMPUTE_PGM_RSRC2:TGID_Y_EN: 1
; COMPUTE_PGM_RSRC2:TGID_Z_EN: 0
; COMPUTE_PGM_RSRC2:TIDIG_COMP_CNT: 1
	.section	.text._ZL12mul_mat_q8_0IN3c108BFloat16ELb1EEvPKvS3_PT_iiiii,"axG",@progbits,_ZL12mul_mat_q8_0IN3c108BFloat16ELb1EEvPKvS3_PT_iiiii,comdat
	.globl	_ZL12mul_mat_q8_0IN3c108BFloat16ELb1EEvPKvS3_PT_iiiii ; -- Begin function _ZL12mul_mat_q8_0IN3c108BFloat16ELb1EEvPKvS3_PT_iiiii
	.p2align	8
	.type	_ZL12mul_mat_q8_0IN3c108BFloat16ELb1EEvPKvS3_PT_iiiii,@function
_ZL12mul_mat_q8_0IN3c108BFloat16ELb1EEvPKvS3_PT_iiiii: ; @_ZL12mul_mat_q8_0IN3c108BFloat16ELb1EEvPKvS3_PT_iiiii
; %bb.0:
	s_clause 0x1
	s_load_b128 s[4:7], s[0:1], 0x18
	s_load_b32 s12, s[0:1], 0x28
	v_bfe_u32 v72, v0, 10, 10
	v_and_b32_e32 v73, 0x3ff, v0
	s_lshl_b32 s13, ttmp7, 6
	s_wait_kmcnt 0x0
	s_cmp_gt_i32 s4, 31
	s_cbranch_scc1 .LBB166_2
; %bb.1:
	v_bfe_u32 v1, v0, 10, 10
	v_and_b32_e32 v2, 0x3ff, v0
	s_mov_b32 s2, 0
	s_delay_alu instid0(VALU_DEP_2)
	v_add_nc_u32_e32 v79, s13, v1
	s_branch .LBB166_3
.LBB166_2:
	s_mov_b32 s2, -1
                                        ; implicit-def: $vgpr1
                                        ; implicit-def: $vgpr2
                                        ; implicit-def: $vgpr79
.LBB166_3:
	s_load_b64 s[8:9], s[0:1], 0x10
	v_dual_mov_b32 v53, 0 :: v_dual_mov_b32 v76, 0
	v_dual_mov_b32 v57, 0 :: v_dual_mov_b32 v92, 0
	;; [unrolled: 1-line block ×16, first 2 shown]
	s_and_not1_b32 vcc_lo, exec_lo, s2
	s_lshl_b32 s14, ttmp9, 7
	s_cbranch_vccnz .LBB166_9
; %bb.4:
	s_not_b32 s16, s14
	v_dual_mov_b32 v75, 0 :: v_dual_add_nc_u32 v20, 8, v72
	s_ashr_i32 s10, s4, 31
	v_dual_mov_b32 v89, 0 :: v_dual_add_nc_u32 v34, 16, v72
	s_add_co_i32 s5, s5, s16
	v_dual_mov_b32 v80, 0 :: v_dual_add_nc_u32 v35, 24, v72
	v_dual_mov_b32 v68, 0 :: v_dual_add_nc_u32 v79, s13, v72
	s_lshr_b32 s10, s10, 27
	v_dual_mov_b32 v90, 0 :: v_dual_lshlrev_b32 v21, 2, v73
	v_min_i32_e32 v1, s5, v72
	s_add_co_i32 s4, s4, s10
	v_min_i32_e32 v3, s5, v20
	v_min_i32_e32 v4, s5, v34
	s_wait_alu 0xfffe
	s_ashr_i32 s15, s4, 5
	v_min_i32_e32 v5, s5, v35
	v_dual_mov_b32 v60, 0 :: v_dual_add_nc_u32 v9, 24, v79
	v_mul_lo_u32 v83, v1, s15
	v_mad_co_u64_u32 v[1:2], null, 0x84, v1, v[21:22]
	v_mul_lo_u32 v84, v3, s15
	v_mad_co_u64_u32 v[2:3], null, 0x84, v3, v[21:22]
	s_ashr_i32 s11, s7, 31
	v_mul_lo_u32 v86, v4, s15
	v_mad_co_u64_u32 v[3:4], null, 0x84, v4, v[21:22]
	v_mul_lo_u32 v87, v5, s15
	v_mad_co_u64_u32 v[4:5], null, 0x84, v5, v[21:22]
	v_cvt_f64_u32_e32 v[22:23], v9
	s_lshr_b32 s4, s11, 27
	v_dual_mov_b32 v64, 0 :: v_dual_add_nc_u32 v5, 8, v79
	s_wait_alu 0xfffe
	s_add_co_i32 s4, s7, s4
	s_add_co_i32 s7, s6, -1
	v_dual_mov_b32 v67, 0 :: v_dual_add_nc_u32 v8, 16, v79
	v_cvt_f64_i32_e32 v[12:13], s7
	v_cvt_f64_u32_e32 v[16:17], v5
	v_dual_mov_b32 v56, 0 :: v_dual_add_nc_u32 v5, 32, v79
	s_delay_alu instid0(VALU_DEP_4)
	v_cvt_f64_u32_e32 v[18:19], v8
	v_dual_mov_b32 v63, 0 :: v_dual_add_nc_u32 v8, 40, v79
	v_dual_mov_b32 v78, 0 :: v_dual_add_nc_u32 v9, 48, v79
	;; [unrolled: 1-line block ×4, first 2 shown]
	v_cvt_f64_u32_e32 v[24:25], v5
	v_dual_mov_b32 v74, 0 :: v_dual_add_nc_u32 v37, 40, v72
	v_cvt_f64_u32_e32 v[14:15], v79
	v_dual_mov_b32 v55, 0 :: v_dual_add_nc_u32 v38, 48, v72
	v_cvt_f64_u32_e32 v[26:27], v8
	v_cvt_f64_u32_e32 v[28:29], v9
	;; [unrolled: 1-line block ×3, first 2 shown]
	v_dual_mov_b32 v88, 0 :: v_dual_add_nc_u32 v39, 56, v72
	v_dual_mov_b32 v93, 0 :: v_dual_add_nc_u32 v10, 64, v72
	v_min_i32_e32 v6, s5, v36
	v_dual_mov_b32 v70, 0 :: v_dual_add_nc_u32 v11, 0x48, v72
	v_min_i32_e32 v7, s5, v37
	v_min_i32_e32 v8, s5, v38
	;; [unrolled: 1-line block ×4, first 2 shown]
	v_mul_lo_u32 v91, v6, s15
	v_mad_co_u64_u32 v[5:6], null, 0x84, v6, v[21:22]
	v_min_i32_e32 v11, s5, v11
	v_mul_lo_u32 v94, v7, s15
	v_mad_co_u64_u32 v[6:7], null, 0x84, v7, v[21:22]
	v_mul_lo_u32 v95, v8, s15
	v_mad_co_u64_u32 v[7:8], null, 0x84, v8, v[21:22]
	;; [unrolled: 2-line block ×5, first 2 shown]
	v_min_num_f64_e32 v[22:23], v[22:23], v[12:13]
	v_dual_mov_b32 v77, 0 :: v_dual_add_nc_u32 v32, 0x50, v72
	v_min_num_f64_e32 v[24:25], v[24:25], v[12:13]
	v_min_num_f64_e32 v[16:17], v[16:17], v[12:13]
	;; [unrolled: 1-line block ×3, first 2 shown]
	s_delay_alu instid0(VALU_DEP_4)
	v_min_i32_e32 v40, s5, v32
	v_min_num_f64_e32 v[32:33], v[14:15], v[12:13]
	v_min_num_f64_e32 v[26:27], v[26:27], v[12:13]
	;; [unrolled: 1-line block ×4, first 2 shown]
	v_dual_mov_b32 v66, 0 :: v_dual_add_nc_u32 v41, 0x58, v72
	v_dual_mov_b32 v62, 0 :: v_dual_add_nc_u32 v15, 0x60, v72
	v_mul_lo_u32 v100, v40, s15
	s_delay_alu instid0(VALU_DEP_3) | instskip(SKIP_1) | instid1(VALU_DEP_4)
	v_min_i32_e32 v14, s5, v41
	v_bfe_u32 v41, v0, 2, 8
	v_min_i32_e32 v15, s5, v15
	v_mov_b32_e32 v85, 0
	v_mov_b32_e32 v65, 0
	v_mul_lo_u32 v101, v14, s15
	v_lshl_add_u32 v41, v72, 3, v41
	v_mul_lo_u32 v102, v15, s15
	v_dual_mov_b32 v69, 0 :: v_dual_add_nc_u32 v42, 0x70, v72
	v_mov_b32_e32 v58, 0
	s_delay_alu instid0(VALU_DEP_4) | instskip(SKIP_1) | instid1(VALU_DEP_4)
	v_min_i32_e32 v43, s5, v41
	v_add_nc_u32_e32 v44, 64, v41
	v_min_i32_e32 v42, s5, v42
	v_dual_mov_b32 v61, 0 :: v_dual_mov_b32 v92, 0
	s_delay_alu instid0(VALU_DEP_4) | instskip(NEXT) | instid1(VALU_DEP_4)
	v_ashrrev_i32_e32 v45, 31, v43
	v_min_i32_e32 v44, s5, v44
	s_load_b128 s[0:3], s[0:1], 0x0
	v_dual_mov_b32 v54, 0 :: v_dual_mov_b32 v57, 0
	s_ashr_i32 s4, s4, 5
	v_mad_co_u64_u32 v[11:12], null, 0x84, v40, v[21:22]
	v_add_nc_u32_e32 v40, 0x68, v72
	v_mad_co_u64_u32 v[12:13], null, 0x84, v14, v[21:22]
	v_mad_co_u64_u32 v[13:14], null, 0x84, v15, v[21:22]
	s_delay_alu instid0(VALU_DEP_3)
	v_min_i32_e32 v40, s5, v40
	v_cvt_i32_f64_e32 v32, v[32:33]
	v_cvt_i32_f64_e32 v46, v[16:17]
	v_mov_b32_e32 v53, 0
	v_bfe_u32 v81, v0, 3, 7
	v_mad_co_u64_u32 v[14:15], null, 0x84, v40, v[21:22]
	v_cvt_i32_f64_e32 v22, v[22:23]
	v_mul_lo_u32 v103, v40, s15
	v_lshrrev_b32_e32 v40, 29, v45
	v_cvt_i32_f64_e32 v23, v[24:25]
	v_cvt_i32_f64_e32 v24, v[26:27]
	;; [unrolled: 1-line block ×4, first 2 shown]
	v_add_nc_u32_e32 v16, v43, v40
	v_cvt_i32_f64_e32 v40, v[18:19]
	v_ashrrev_i32_e32 v45, 31, v44
	v_add_nc_u32_e32 v15, 0x78, v72
	v_and_b32_e32 v29, 63, v41
	v_ashrrev_i32_e32 v18, 3, v16
	v_dual_mov_b32 v97, 0 :: v_dual_and_b32 v82, 28, v21
	v_lshrrev_b32_e32 v17, 29, v45
	v_min_i32_e32 v33, s5, v15
	v_and_b32_e32 v15, 3, v0
	v_dual_mov_b32 v76, 0 :: v_dual_lshlrev_b32 v27, 2, v18
	s_delay_alu instid0(VALU_DEP_4) | instskip(SKIP_1) | instid1(VALU_DEP_4)
	v_add_nc_u32_e32 v19, v44, v17
	v_and_b32_e32 v0, 31, v0
	v_lshlrev_b32_e32 v28, 2, v15
	v_mul_lo_u32 v105, v33, s15
	v_lshlrev_b32_e32 v30, 4, v43
	v_ashrrev_i32_e32 v19, 3, v19
	v_lshlrev_b32_e32 v109, 7, v72
	v_add3_u32 v27, v27, v28, 0x6200
	v_lshlrev_b32_e32 v111, 7, v20
	v_lshlrev_b32_e32 v113, 7, v34
	;; [unrolled: 1-line block ×4, first 2 shown]
	s_wait_alu 0xfffe
	v_mul_lo_u32 v108, s4, v32
	v_mul_lo_u32 v110, s4, v46
	v_lshlrev_b32_e32 v119, 7, v37
	v_lshlrev_b32_e32 v121, 7, v38
	;; [unrolled: 1-line block ×3, first 2 shown]
	s_mul_i32 s10, s15, s14
	v_mad_co_u64_u32 v[16:17], null, 0x84, v42, v[21:22]
	v_mad_co_u64_u32 v[17:18], null, 0x84, v33, v[21:22]
	v_lshlrev_b32_e32 v18, 2, v19
	v_or_b32_e32 v19, s13, v29
	v_mul_lo_u32 v114, s4, v22
	v_mul_lo_u32 v116, s4, v23
	v_add_nc_u32_e32 v22, 64, v73
	v_add3_u32 v31, v18, v28, 0x6200
	v_min_i32_e32 v18, s7, v19
	v_add_nc_u32_e32 v23, 0x60, v73
	v_mul_lo_u32 v112, s4, v40
	v_mul_lo_u32 v118, s4, v24
	;; [unrolled: 1-line block ×3, first 2 shown]
	v_mad_co_u64_u32 v[18:19], null, v18, s4, v[15:16]
	v_add_nc_u32_e32 v19, 32, v73
	v_mul_lo_u32 v122, s4, v26
	s_movk_i32 s4, 0x1080
	v_lshl_or_b32 v28, v29, 4, v28
	s_wait_alu 0xfffe
	v_mad_u32_u24 v133, 0x84, v73, s4
	s_movk_i32 s4, 0x2100
	v_lshlrev_b32_e32 v29, 4, v44
	v_lshl_or_b32 v33, v0, 2, 0x4200
	v_lshrrev_b32_e32 v24, 3, v19
	v_lshrrev_b32_e32 v25, 3, v22
	;; [unrolled: 1-line block ×3, first 2 shown]
	s_wait_alu 0xfffe
	v_mad_u32_u24 v135, 0x84, v73, s4
	s_movk_i32 s4, 0x3180
	v_mul_lo_u32 v104, v42, s15
	v_mul_lo_u32 v106, v43, s15
	v_mul_lo_u32 v107, v44, s15
	v_lshlrev_b32_e32 v134, 4, v19
	s_wait_alu 0xfffe
	v_mad_u32_u24 v137, 0x84, v73, s4
	s_wait_kmcnt 0x0
	v_add_co_u32 v19, s4, s2, v82
	s_ashr_i32 s11, s10, 31
	v_add_nc_u32_e32 v0, 0x6a40, v28
	v_lshlrev_b32_e32 v124, 4, v72
	v_lshlrev_b32_e32 v125, 4, v20
	;; [unrolled: 1-line block ×8, first 2 shown]
	v_mul_u32_u24_e32 v132, 0x84, v73
	v_lshlrev_b32_e32 v136, 4, v22
	v_lshlrev_b32_e32 v138, 4, v23
	s_wait_alu 0xf1ff
	v_add_co_ci_u32_e64 v20, null, s3, 0, s4
	v_add_nc_u32_e32 v139, v27, v30
	v_add_nc_u32_e32 v140, v31, v29
	;; [unrolled: 1-line block ×10, first 2 shown]
	v_lshlrev_b32_e32 v149, 2, v81
	v_lshlrev_b32_e32 v150, 2, v21
	;; [unrolled: 1-line block ×5, first 2 shown]
	s_mul_u64 s[10:11], s[10:11], 34
	s_mov_b32 s5, 0
	s_add_nc_u64 s[0:1], s[0:1], s[10:11]
	s_wait_alu 0xfffe
	s_mov_b32 s4, s5
.LBB166_5:                              ; =>This Loop Header: Depth=1
                                        ;     Child Loop BB166_6 Depth 2
	s_wait_alu 0xfffe
	s_mul_u64 s[10:11], s[4:5], 34
	v_add_nc_u32_e32 v51, s4, v81
	s_wait_alu 0xfffe
	s_add_nc_u64 s[10:11], s[0:1], s[10:11]
	v_add_nc_u32_e32 v41, s4, v18
	s_wait_alu 0xfffe
	v_mad_co_u64_u32 v[21:22], null, v81, 34, s[10:11]
	s_mov_b32 s7, 0
	v_mad_co_u64_u32 v[41:42], null, v41, 36, s[2:3]
	v_mad_co_i64_i32 v[23:24], null, v83, 34, v[21:22]
	v_mad_co_i64_i32 v[25:26], null, v84, 34, v[21:22]
	;; [unrolled: 1-line block ×4, first 2 shown]
	s_delay_alu instid0(VALU_DEP_4)
	v_add_co_u32 v23, vcc_lo, v23, v82
	v_mad_co_i64_i32 v[31:32], null, v91, 34, v[21:22]
	s_wait_alu 0xfffd
	v_add_co_ci_u32_e64 v24, null, 0, v24, vcc_lo
	v_add_co_u32 v25, vcc_lo, v25, v82
	v_mad_co_i64_i32 v[33:34], null, v94, 34, v[21:22]
	s_wait_alu 0xfffd
	v_add_co_ci_u32_e64 v26, null, 0, v26, vcc_lo
	;; [unrolled: 4-line block ×4, first 2 shown]
	v_add_co_u32 v31, vcc_lo, v31, v82
	s_wait_alu 0xfffd
	v_add_co_ci_u32_e64 v32, null, 0, v32, vcc_lo
	v_add_co_u32 v33, vcc_lo, v33, v82
	s_wait_alu 0xfffd
	v_add_co_ci_u32_e64 v34, null, 0, v34, vcc_lo
	;; [unrolled: 3-line block ×3, first 2 shown]
	v_add_co_u32 v37, vcc_lo, v37, v82
	v_mad_co_i64_i32 v[39:40], null, v98, 34, v[21:22]
	s_wait_alu 0xfffd
	v_add_co_ci_u32_e64 v38, null, 0, v38, vcc_lo
	s_clause 0x7
	global_load_b32 v43, v[23:24], off offset:2
	global_load_b32 v44, v[25:26], off offset:2
	;; [unrolled: 1-line block ×8, first 2 shown]
	v_mad_co_i64_i32 v[23:24], null, v99, 34, v[21:22]
	v_mad_co_i64_i32 v[27:28], null, v100, 34, v[21:22]
	;; [unrolled: 1-line block ×3, first 2 shown]
	v_add_co_u32 v25, vcc_lo, v39, v82
	v_mad_co_i64_i32 v[31:32], null, v102, 34, v[21:22]
	s_wait_alu 0xfffd
	v_add_co_ci_u32_e64 v26, null, 0, v40, vcc_lo
	v_add_co_u32 v23, vcc_lo, v23, v82
	v_mad_co_i64_i32 v[33:34], null, v103, 34, v[21:22]
	s_wait_alu 0xfffd
	v_add_co_ci_u32_e64 v24, null, 0, v24, vcc_lo
	v_add_co_u32 v27, vcc_lo, v27, v82
	v_mad_co_i64_i32 v[35:36], null, v104, 34, v[21:22]
	s_wait_alu 0xfffd
	v_add_co_ci_u32_e64 v28, null, 0, v28, vcc_lo
	v_add_co_u32 v29, vcc_lo, v29, v82
	v_mad_co_i64_i32 v[21:22], null, v105, 34, v[21:22]
	s_wait_alu 0xfffd
	v_add_co_ci_u32_e64 v30, null, 0, v30, vcc_lo
	v_add_co_u32 v31, vcc_lo, v31, v82
	s_wait_alu 0xfffd
	v_add_co_ci_u32_e64 v32, null, 0, v32, vcc_lo
	v_add_co_u32 v33, vcc_lo, v33, v82
	v_mad_co_u64_u32 v[37:38], null, v15, 34, s[10:11]
	s_wait_alu 0xfffd
	v_add_co_ci_u32_e64 v34, null, 0, v34, vcc_lo
	v_add_co_u32 v35, vcc_lo, v35, v82
	s_wait_alu 0xfffd
	v_add_co_ci_u32_e64 v36, null, 0, v36, vcc_lo
	v_add_co_u32 v21, vcc_lo, v21, v82
	s_wait_alu 0xfffd
	v_add_co_ci_u32_e64 v22, null, 0, v22, vcc_lo
	s_clause 0x7
	global_load_b32 v52, v[25:26], off offset:2
	global_load_b32 v154, v[23:24], off offset:2
	;; [unrolled: 1-line block ×8, first 2 shown]
	v_add_nc_u32_e32 v21, v51, v108
	v_add_nc_u32_e32 v23, v51, v110
	;; [unrolled: 1-line block ×3, first 2 shown]
	v_mad_co_i64_i32 v[39:40], null, v106, 34, v[37:38]
	v_add_nc_u32_e32 v27, v51, v114
	v_mad_co_i64_i32 v[37:38], null, v107, 34, v[37:38]
	v_add_nc_u32_e32 v29, v51, v116
	;; [unrolled: 2-line block ×5, first 2 shown]
	v_mad_co_i64_i32 v[27:28], null, v27, 36, v[19:20]
	v_mad_co_i64_i32 v[29:30], null, v29, 36, v[19:20]
	;; [unrolled: 1-line block ×3, first 2 shown]
	s_clause 0x1
	global_load_u16 v39, v[39:40], off
	global_load_u16 v37, v[37:38], off
	global_load_b32 v38, v[41:42], off
	v_mad_co_i64_i32 v[33:34], null, v33, 36, v[19:20]
	v_mad_co_i64_i32 v[35:36], null, v35, 36, v[19:20]
	s_clause 0x7
	global_load_b32 v21, v[21:22], off offset:4
	global_load_b32 v22, v[23:24], off offset:4
	;; [unrolled: 1-line block ×8, first 2 shown]
	s_wait_loadcnt 0xa
	v_cvt_f32_f16_e32 v29, v39
	s_wait_loadcnt 0x9
	v_cvt_f32_f16_e32 v31, v37
	s_wait_loadcnt 0x8
	v_cvt_f32_f16_e32 v30, v38
	ds_store_b32 v1, v43
	ds_store_b32 v139, v29
	ds_store_b32 v2, v44
	ds_store_b32 v3, v45
	ds_store_b32 v4, v46
	ds_store_b32 v5, v47
	ds_store_b32 v6, v48
	ds_store_b32 v7, v49
	ds_store_b32 v8, v50
	ds_store_b32 v9, v52
	ds_store_b32 v10, v154
	ds_store_b32 v11, v155
	ds_store_b32 v12, v156
	ds_store_b32 v13, v157
	ds_store_b32 v14, v158
	ds_store_b32 v16, v159
	ds_store_b32 v17, v160
	ds_store_b32 v140, v31
	s_wait_loadcnt 0x7
	ds_store_b32 v141, v21
	s_wait_loadcnt 0x6
	ds_store_b32 v142, v22
	;; [unrolled: 2-line block ×8, first 2 shown]
	ds_store_b32 v0, v30
	s_wait_dscnt 0x0
	s_barrier_signal -1
	s_barrier_wait -1
	global_inv scope:SCOPE_SE
.LBB166_6:                              ;   Parent Loop BB166_5 Depth=1
                                        ; =>  This Inner Loop Header: Depth=2
	s_wait_alu 0xfffe
	s_lshr_b32 s17, s7, 1
	s_lshl_b32 s16, s7, 2
	s_wait_alu 0xfffe
	s_add_co_i32 s11, s17, 0x6a40
	s_addk_co_i32 s17, 0x6200
	s_wait_alu 0xfffe
	v_add_nc_u32_e32 v22, s11, v124
	s_add_co_i32 s10, s16, 0x4200
	v_add3_u32 v23, s17, v149, v150
	s_wait_alu 0xfffe
	v_add_nc_u32_e32 v52, s10, v111
	ds_load_b32 v45, v22
	v_add_nc_u32_e32 v21, s10, v109
	v_add_nc_u32_e32 v22, s16, v132
	ds_load_b32 v155, v23
	ds_load_b128 v[47:50], v21
	ds_load_b128 v[158:161], v21 offset:16
	ds_load_2addr_b32 v[27:28], v22 offset1:1
	ds_load_2addr_b32 v[25:26], v22 offset0:2 offset1:3
	ds_load_2addr_b32 v[23:24], v22 offset0:4 offset1:5
	;; [unrolled: 1-line block ×3, first 2 shown]
	s_wait_dscnt 0x5
	v_perm_b32 v31, v50, v49, 0x5010c0c
	v_perm_b32 v32, v50, v49, 0x7030c0c
	s_wait_dscnt 0x3
	v_perm_b32 v29, v27, v28, 0xc0c0501
	s_wait_dscnt 0x2
	v_perm_b32 v30, v26, v25, 0x5010c0c
	v_perm_b32 v33, v50, v49, 0x4000c0c
	;; [unrolled: 1-line block ×4, first 2 shown]
	s_delay_alu instid0(VALU_DEP_4) | instskip(SKIP_1) | instid1(VALU_DEP_1)
	v_or_b32_e32 v29, v30, v29
	v_perm_b32 v30, v47, v48, 0xc0c0501
	v_or_b32_e32 v30, v31, v30
	v_perm_b32 v31, v26, v25, 0x7030c0c
	s_delay_alu instid0(VALU_DEP_2) | instskip(SKIP_1) | instid1(VALU_DEP_1)
	v_dot4_i32_iu8 v29, v29, v30, 0 neg_lo:[1,1,0]
	v_perm_b32 v30, v27, v28, 0xc0c0703
	v_or_b32_e32 v30, v31, v30
	v_perm_b32 v31, v47, v48, 0xc0c0703
	s_delay_alu instid0(VALU_DEP_1) | instskip(SKIP_1) | instid1(VALU_DEP_2)
	v_or_b32_e32 v31, v32, v31
	v_perm_b32 v32, v26, v25, 0x4000c0c
	v_dot4_i32_iu8 v30, v30, v31, 0 neg_lo:[1,1,0]
	v_perm_b32 v31, v27, v28, 0xc0c0400
	s_delay_alu instid0(VALU_DEP_1) | instskip(SKIP_1) | instid1(VALU_DEP_1)
	v_or_b32_e32 v31, v32, v31
	v_perm_b32 v32, v47, v48, 0xc0c0400
	v_or_b32_e32 v32, v33, v32
	v_perm_b32 v33, v26, v25, 0x6020c0c
	s_delay_alu instid0(VALU_DEP_2) | instskip(SKIP_1) | instid1(VALU_DEP_1)
	v_dot4_i32_iu8 v31, v31, v32, 0 neg_lo:[1,1,0]
	v_perm_b32 v32, v27, v28, 0xc0c0602
	v_or_b32_e32 v32, v33, v32
	v_perm_b32 v33, v47, v48, 0xc0c0602
	s_delay_alu instid0(VALU_DEP_1) | instskip(SKIP_2) | instid1(VALU_DEP_2)
	v_or_b32_e32 v33, v34, v33
	s_wait_dscnt 0x0
	v_perm_b32 v34, v22, v21, 0x6020c0c
	v_dot4_i32_iu8 v32, v32, v33, 0 neg_lo:[1,1,0]
	v_perm_b32 v33, v24, v23, 0xc0c0602
	s_delay_alu instid0(VALU_DEP_1) | instskip(SKIP_1) | instid1(VALU_DEP_1)
	v_or_b32_e32 v33, v34, v33
	v_perm_b32 v34, v159, v158, 0xc0c0602
	v_or_b32_e32 v34, v35, v34
	v_perm_b32 v35, v161, v160, 0x4000c0c
	s_delay_alu instid0(VALU_DEP_2) | instskip(SKIP_2) | instid1(VALU_DEP_1)
	v_dot4_i32_iu8 v32, v33, v34, v32 neg_lo:[1,1,0]
	v_perm_b32 v33, v24, v23, 0xc0c0400
	v_perm_b32 v34, v22, v21, 0x4000c0c
	v_or_b32_e32 v33, v34, v33
	v_perm_b32 v34, v159, v158, 0xc0c0400
	s_delay_alu instid0(VALU_DEP_1) | instskip(SKIP_1) | instid1(VALU_DEP_2)
	v_or_b32_e32 v34, v35, v34
	v_perm_b32 v35, v161, v160, 0x7030c0c
	v_dot4_i32_iu8 v31, v33, v34, v31 neg_lo:[1,1,0]
	v_perm_b32 v33, v24, v23, 0xc0c0703
	v_perm_b32 v34, v22, v21, 0x7030c0c
	s_delay_alu instid0(VALU_DEP_1) | instskip(SKIP_1) | instid1(VALU_DEP_1)
	v_or_b32_e32 v33, v34, v33
	v_perm_b32 v34, v159, v158, 0xc0c0703
	v_or_b32_e32 v34, v35, v34
	v_perm_b32 v35, v161, v160, 0x5010c0c
	s_delay_alu instid0(VALU_DEP_2) | instskip(SKIP_2) | instid1(VALU_DEP_1)
	v_dot4_i32_iu8 v30, v33, v34, v30 neg_lo:[1,1,0]
	v_perm_b32 v33, v24, v23, 0xc0c0501
	v_perm_b32 v34, v22, v21, 0x5010c0c
	v_or_b32_e32 v33, v34, v33
	v_perm_b32 v34, v159, v158, 0xc0c0501
	s_delay_alu instid0(VALU_DEP_1) | instskip(NEXT) | instid1(VALU_DEP_1)
	v_or_b32_e32 v34, v35, v34
	v_dot4_i32_iu8 v29, v33, v34, v29 neg_lo:[1,1,0]
	s_delay_alu instid0(VALU_DEP_1) | instskip(SKIP_1) | instid1(VALU_DEP_2)
	v_add_nc_u32_e32 v29, v29, v30
	v_mul_f32_e32 v30, v45, v155
	v_add3_u32 v29, v31, v32, v29
	s_delay_alu instid0(VALU_DEP_1) | instskip(NEXT) | instid1(VALU_DEP_1)
	v_cvt_f32_i32_e32 v29, v29
	v_fmac_f32_e32 v75, v30, v29
	v_add3_u32 v29, s17, v151, v134
	v_add3_u32 v30, s17, v152, v136
	ds_load_b32 v157, v29
	v_add_nc_u32_e32 v29, s16, v135
	ds_load_b32 v156, v30
	ds_load_2addr_b32 v[33:34], v29 offset1:1
	ds_load_2addr_b32 v[35:36], v29 offset0:2 offset1:3
	ds_load_2addr_b32 v[31:32], v29 offset0:4 offset1:5
	;; [unrolled: 1-line block ×3, first 2 shown]
	v_add_nc_u32_e32 v51, s16, v133
	s_wait_dscnt 0x5
	v_mul_f32_e32 v170, v45, v157
	s_wait_dscnt 0x4
	v_mul_f32_e32 v38, v45, v156
	s_wait_dscnt 0x3
	v_dot4_i32_iu8 v37, v47, v33, 0 neg_lo:[1,1,0]
	s_delay_alu instid0(VALU_DEP_1) | instskip(SKIP_1) | instid1(VALU_DEP_1)
	v_dot4_i32_iu8 v37, v48, v34, v37 neg_lo:[1,1,0]
	s_wait_dscnt 0x2
	v_dot4_i32_iu8 v37, v49, v35, v37 neg_lo:[1,1,0]
	s_delay_alu instid0(VALU_DEP_1) | instskip(SKIP_1) | instid1(VALU_DEP_1)
	v_dot4_i32_iu8 v37, v50, v36, v37 neg_lo:[1,1,0]
	;; [unrolled: 4-line block ×3, first 2 shown]
	s_wait_dscnt 0x0
	v_dot4_i32_iu8 v37, v160, v29, v37 neg_lo:[1,1,0]
	s_delay_alu instid0(VALU_DEP_1) | instskip(NEXT) | instid1(VALU_DEP_1)
	v_dot4_i32_iu8 v37, v161, v30, v37 neg_lo:[1,1,0]
	v_cvt_f32_i32_e32 v37, v37
	s_delay_alu instid0(VALU_DEP_1)
	v_fmac_f32_e32 v93, v38, v37
	v_add3_u32 v38, s17, v153, v138
	v_add_nc_u32_e32 v37, s16, v137
	ds_load_b32 v154, v38
	ds_load_2addr_b32 v[41:42], v37 offset1:1
	ds_load_2addr_b32 v[43:44], v37 offset0:2 offset1:3
	ds_load_2addr_b32 v[39:40], v37 offset0:4 offset1:5
	;; [unrolled: 1-line block ×3, first 2 shown]
	s_wait_dscnt 0x4
	v_mul_f32_e32 v45, v45, v154
	s_wait_dscnt 0x3
	v_dot4_i32_iu8 v46, v47, v41, 0 neg_lo:[1,1,0]
	s_delay_alu instid0(VALU_DEP_1) | instskip(SKIP_1) | instid1(VALU_DEP_1)
	v_dot4_i32_iu8 v46, v48, v42, v46 neg_lo:[1,1,0]
	s_wait_dscnt 0x2
	v_dot4_i32_iu8 v46, v49, v43, v46 neg_lo:[1,1,0]
	s_delay_alu instid0(VALU_DEP_1) | instskip(SKIP_1) | instid1(VALU_DEP_1)
	v_dot4_i32_iu8 v46, v50, v44, v46 neg_lo:[1,1,0]
	;; [unrolled: 4-line block ×3, first 2 shown]
	s_wait_dscnt 0x0
	v_dot4_i32_iu8 v46, v160, v37, v46 neg_lo:[1,1,0]
	s_delay_alu instid0(VALU_DEP_1) | instskip(NEXT) | instid1(VALU_DEP_1)
	v_dot4_i32_iu8 v46, v161, v38, v46 neg_lo:[1,1,0]
	v_cvt_f32_i32_e32 v46, v46
	s_delay_alu instid0(VALU_DEP_1)
	v_dual_fmac_f32 v92, v45, v46 :: v_dual_add_nc_u32 v45, s11, v125
	ds_load_b32 v171, v45
	ds_load_2addr_b32 v[45:46], v51 offset1:1
	ds_load_b128 v[162:165], v52
	ds_load_b128 v[166:169], v52 offset:16
	s_wait_dscnt 0x3
	v_mul_f32_e32 v172, v155, v171
	s_wait_dscnt 0x2
	v_dot4_i32_iu8 v47, v45, v47, 0 neg_lo:[1,1,0]
	s_wait_dscnt 0x1
	v_dot4_i32_iu8 v52, v162, v27, 0 neg_lo:[1,1,0]
	s_delay_alu instid0(VALU_DEP_2) | instskip(SKIP_2) | instid1(VALU_DEP_1)
	v_dot4_i32_iu8 v173, v46, v48, v47 neg_lo:[1,1,0]
	ds_load_2addr_b32 v[47:48], v51 offset0:2 offset1:3
	v_dot4_i32_iu8 v52, v163, v28, v52 neg_lo:[1,1,0]
	v_dot4_i32_iu8 v52, v164, v25, v52 neg_lo:[1,1,0]
	s_delay_alu instid0(VALU_DEP_1) | instskip(SKIP_1) | instid1(VALU_DEP_1)
	v_dot4_i32_iu8 v52, v165, v26, v52 neg_lo:[1,1,0]
	s_wait_dscnt 0x1
	v_dot4_i32_iu8 v52, v166, v23, v52 neg_lo:[1,1,0]
	s_wait_dscnt 0x0
	v_dot4_i32_iu8 v49, v47, v49, v173 neg_lo:[1,1,0]
	s_delay_alu instid0(VALU_DEP_1) | instskip(SKIP_4) | instid1(VALU_DEP_2)
	v_dot4_i32_iu8 v173, v48, v50, v49 neg_lo:[1,1,0]
	ds_load_2addr_b32 v[49:50], v51 offset0:4 offset1:5
	s_wait_dscnt 0x0
	v_dot4_i32_iu8 v158, v49, v158, v173 neg_lo:[1,1,0]
	v_perm_b32 v173, v169, v168, 0x6020c0c
	v_dot4_i32_iu8 v158, v50, v159, v158 neg_lo:[1,1,0]
	v_dot4_i32_iu8 v159, v167, v24, v52 neg_lo:[1,1,0]
	ds_load_2addr_b32 v[51:52], v51 offset0:6 offset1:7
	v_dot4_i32_iu8 v159, v168, v21, v159 neg_lo:[1,1,0]
	s_wait_dscnt 0x0
	v_dot4_i32_iu8 v158, v51, v160, v158 neg_lo:[1,1,0]
	v_perm_b32 v160, v165, v164, 0x5010c0c
	s_delay_alu instid0(VALU_DEP_2) | instskip(SKIP_1) | instid1(VALU_DEP_2)
	v_dot4_i32_iu8 v158, v52, v161, v158 neg_lo:[1,1,0]
	v_perm_b32 v161, v165, v164, 0x7030c0c
	v_cvt_f32_i32_e32 v158, v158
	s_delay_alu instid0(VALU_DEP_1) | instskip(SKIP_3) | instid1(VALU_DEP_3)
	v_fmac_f32_e32 v97, v170, v158
	v_dot4_i32_iu8 v158, v169, v22, v159 neg_lo:[1,1,0]
	v_perm_b32 v159, v48, v47, 0x5010c0c
	v_perm_b32 v170, v165, v164, 0x4000c0c
	v_cvt_f32_i32_e32 v158, v158
	s_delay_alu instid0(VALU_DEP_1) | instskip(SKIP_2) | instid1(VALU_DEP_2)
	v_fmac_f32_e32 v90, v172, v158
	v_perm_b32 v158, v45, v46, 0xc0c0501
	v_perm_b32 v172, v165, v164, 0x6020c0c
	v_or_b32_e32 v158, v159, v158
	v_perm_b32 v159, v162, v163, 0xc0c0501
	s_delay_alu instid0(VALU_DEP_1) | instskip(SKIP_1) | instid1(VALU_DEP_2)
	v_or_b32_e32 v159, v160, v159
	v_perm_b32 v160, v48, v47, 0x7030c0c
	v_dot4_i32_iu8 v158, v159, v158, 0 neg_lo:[1,1,0]
	v_perm_b32 v159, v45, v46, 0xc0c0703
	s_delay_alu instid0(VALU_DEP_1) | instskip(SKIP_1) | instid1(VALU_DEP_1)
	v_or_b32_e32 v159, v160, v159
	v_perm_b32 v160, v162, v163, 0xc0c0703
	v_or_b32_e32 v160, v161, v160
	v_perm_b32 v161, v48, v47, 0x4000c0c
	s_delay_alu instid0(VALU_DEP_2) | instskip(SKIP_1) | instid1(VALU_DEP_1)
	v_dot4_i32_iu8 v159, v160, v159, 0 neg_lo:[1,1,0]
	v_perm_b32 v160, v45, v46, 0xc0c0400
	v_or_b32_e32 v160, v161, v160
	v_perm_b32 v161, v162, v163, 0xc0c0400
	s_delay_alu instid0(VALU_DEP_1) | instskip(SKIP_1) | instid1(VALU_DEP_2)
	v_or_b32_e32 v161, v170, v161
	v_perm_b32 v170, v48, v47, 0x6020c0c
	v_dot4_i32_iu8 v160, v161, v160, 0 neg_lo:[1,1,0]
	v_perm_b32 v161, v45, v46, 0xc0c0602
	s_delay_alu instid0(VALU_DEP_1) | instskip(SKIP_1) | instid1(VALU_DEP_1)
	v_or_b32_e32 v161, v170, v161
	v_perm_b32 v170, v162, v163, 0xc0c0602
	v_or_b32_e32 v170, v172, v170
	v_perm_b32 v172, v52, v51, 0x6020c0c
	s_delay_alu instid0(VALU_DEP_2) | instskip(SKIP_1) | instid1(VALU_DEP_1)
	v_dot4_i32_iu8 v161, v170, v161, 0 neg_lo:[1,1,0]
	v_perm_b32 v170, v50, v49, 0xc0c0602
	v_or_b32_e32 v170, v172, v170
	v_perm_b32 v172, v167, v166, 0xc0c0602
	s_delay_alu instid0(VALU_DEP_1) | instskip(SKIP_1) | instid1(VALU_DEP_2)
	v_or_b32_e32 v172, v173, v172
	v_perm_b32 v173, v169, v168, 0x4000c0c
	v_dot4_i32_iu8 v161, v172, v170, v161 neg_lo:[1,1,0]
	v_perm_b32 v170, v50, v49, 0xc0c0400
	v_perm_b32 v172, v52, v51, 0x4000c0c
	s_delay_alu instid0(VALU_DEP_1) | instskip(SKIP_1) | instid1(VALU_DEP_1)
	v_or_b32_e32 v170, v172, v170
	v_perm_b32 v172, v167, v166, 0xc0c0400
	v_or_b32_e32 v172, v173, v172
	v_perm_b32 v173, v169, v168, 0x7030c0c
	s_delay_alu instid0(VALU_DEP_2) | instskip(SKIP_2) | instid1(VALU_DEP_1)
	v_dot4_i32_iu8 v160, v172, v170, v160 neg_lo:[1,1,0]
	v_perm_b32 v170, v50, v49, 0xc0c0703
	v_perm_b32 v172, v52, v51, 0x7030c0c
	v_or_b32_e32 v170, v172, v170
	v_perm_b32 v172, v167, v166, 0xc0c0703
	s_delay_alu instid0(VALU_DEP_1) | instskip(SKIP_1) | instid1(VALU_DEP_2)
	v_or_b32_e32 v172, v173, v172
	v_perm_b32 v173, v169, v168, 0x5010c0c
	v_dot4_i32_iu8 v159, v172, v170, v159 neg_lo:[1,1,0]
	v_perm_b32 v170, v50, v49, 0xc0c0501
	v_perm_b32 v172, v52, v51, 0x5010c0c
	s_delay_alu instid0(VALU_DEP_1) | instskip(SKIP_1) | instid1(VALU_DEP_1)
	v_or_b32_e32 v170, v172, v170
	v_perm_b32 v172, v167, v166, 0xc0c0501
	v_or_b32_e32 v172, v173, v172
	s_delay_alu instid0(VALU_DEP_1) | instskip(NEXT) | instid1(VALU_DEP_1)
	v_dot4_i32_iu8 v158, v172, v170, v158 neg_lo:[1,1,0]
	v_add_nc_u32_e32 v158, v158, v159
	v_mul_f32_e32 v159, v157, v171
	s_delay_alu instid0(VALU_DEP_2) | instskip(NEXT) | instid1(VALU_DEP_1)
	v_add3_u32 v158, v160, v161, v158
	v_cvt_f32_i32_e32 v158, v158
	s_delay_alu instid0(VALU_DEP_1) | instskip(SKIP_2) | instid1(VALU_DEP_2)
	v_fmac_f32_e32 v89, v159, v158
	v_dot4_i32_iu8 v158, v162, v33, 0 neg_lo:[1,1,0]
	v_mul_f32_e32 v159, v156, v171
	v_dot4_i32_iu8 v158, v163, v34, v158 neg_lo:[1,1,0]
	s_delay_alu instid0(VALU_DEP_1) | instskip(NEXT) | instid1(VALU_DEP_1)
	v_dot4_i32_iu8 v158, v164, v35, v158 neg_lo:[1,1,0]
	v_dot4_i32_iu8 v158, v165, v36, v158 neg_lo:[1,1,0]
	s_delay_alu instid0(VALU_DEP_1) | instskip(NEXT) | instid1(VALU_DEP_1)
	v_dot4_i32_iu8 v158, v166, v31, v158 neg_lo:[1,1,0]
	;; [unrolled: 3-line block ×3, first 2 shown]
	v_dot4_i32_iu8 v158, v169, v30, v158 neg_lo:[1,1,0]
	s_delay_alu instid0(VALU_DEP_1) | instskip(NEXT) | instid1(VALU_DEP_1)
	v_cvt_f32_i32_e32 v158, v158
	v_dual_fmac_f32 v88, v159, v158 :: v_dual_mul_f32 v159, v154, v171
	v_dot4_i32_iu8 v158, v162, v41, 0 neg_lo:[1,1,0]
	v_add_nc_u32_e32 v162, s10, v113
	s_delay_alu instid0(VALU_DEP_2) | instskip(NEXT) | instid1(VALU_DEP_1)
	v_dot4_i32_iu8 v158, v163, v42, v158 neg_lo:[1,1,0]
	v_dot4_i32_iu8 v158, v164, v43, v158 neg_lo:[1,1,0]
	s_delay_alu instid0(VALU_DEP_1) | instskip(NEXT) | instid1(VALU_DEP_1)
	v_dot4_i32_iu8 v158, v165, v44, v158 neg_lo:[1,1,0]
	v_dot4_i32_iu8 v158, v166, v39, v158 neg_lo:[1,1,0]
	s_delay_alu instid0(VALU_DEP_1) | instskip(NEXT) | instid1(VALU_DEP_1)
	;; [unrolled: 3-line block ×3, first 2 shown]
	v_dot4_i32_iu8 v158, v169, v38, v158 neg_lo:[1,1,0]
	v_cvt_f32_i32_e32 v158, v158
	s_delay_alu instid0(VALU_DEP_1)
	v_fmac_f32_e32 v85, v159, v158
	v_add_nc_u32_e32 v158, s11, v126
	ds_load_b32 v166, v158
	ds_load_b128 v[158:161], v162
	ds_load_b128 v[162:165], v162 offset:16
	s_wait_dscnt 0x2
	v_mul_f32_e32 v168, v155, v166
	s_wait_dscnt 0x1
	v_dot4_i32_iu8 v167, v27, v158, 0 neg_lo:[1,1,0]
	s_delay_alu instid0(VALU_DEP_1) | instskip(NEXT) | instid1(VALU_DEP_1)
	v_dot4_i32_iu8 v167, v28, v159, v167 neg_lo:[1,1,0]
	v_dot4_i32_iu8 v167, v25, v160, v167 neg_lo:[1,1,0]
	s_delay_alu instid0(VALU_DEP_1) | instskip(SKIP_1) | instid1(VALU_DEP_1)
	v_dot4_i32_iu8 v167, v26, v161, v167 neg_lo:[1,1,0]
	s_wait_dscnt 0x0
	v_dot4_i32_iu8 v167, v23, v162, v167 neg_lo:[1,1,0]
	s_delay_alu instid0(VALU_DEP_1) | instskip(NEXT) | instid1(VALU_DEP_1)
	v_dot4_i32_iu8 v167, v24, v163, v167 neg_lo:[1,1,0]
	v_dot4_i32_iu8 v167, v21, v164, v167 neg_lo:[1,1,0]
	s_delay_alu instid0(VALU_DEP_1) | instskip(NEXT) | instid1(VALU_DEP_1)
	v_dot4_i32_iu8 v167, v22, v165, v167 neg_lo:[1,1,0]
	v_cvt_f32_i32_e32 v167, v167
	s_delay_alu instid0(VALU_DEP_1) | instskip(SKIP_2) | instid1(VALU_DEP_2)
	v_fmac_f32_e32 v80, v168, v167
	v_dot4_i32_iu8 v167, v45, v158, 0 neg_lo:[1,1,0]
	v_mul_f32_e32 v168, v157, v166
	v_dot4_i32_iu8 v167, v46, v159, v167 neg_lo:[1,1,0]
	s_delay_alu instid0(VALU_DEP_1) | instskip(NEXT) | instid1(VALU_DEP_1)
	v_dot4_i32_iu8 v167, v47, v160, v167 neg_lo:[1,1,0]
	v_dot4_i32_iu8 v167, v48, v161, v167 neg_lo:[1,1,0]
	s_delay_alu instid0(VALU_DEP_1) | instskip(NEXT) | instid1(VALU_DEP_1)
	v_dot4_i32_iu8 v167, v49, v162, v167 neg_lo:[1,1,0]
	;; [unrolled: 3-line block ×3, first 2 shown]
	v_dot4_i32_iu8 v167, v52, v165, v167 neg_lo:[1,1,0]
	s_delay_alu instid0(VALU_DEP_1) | instskip(NEXT) | instid1(VALU_DEP_1)
	v_cvt_f32_i32_e32 v167, v167
	v_fmac_f32_e32 v78, v168, v167
	v_dot4_i32_iu8 v167, v158, v33, 0 neg_lo:[1,1,0]
	v_dot4_i32_iu8 v158, v158, v41, 0 neg_lo:[1,1,0]
	v_mul_f32_e32 v168, v156, v166
	s_delay_alu instid0(VALU_DEP_3) | instskip(NEXT) | instid1(VALU_DEP_3)
	v_dot4_i32_iu8 v167, v159, v34, v167 neg_lo:[1,1,0]
	v_dot4_i32_iu8 v158, v159, v42, v158 neg_lo:[1,1,0]
	v_mul_f32_e32 v159, v154, v166
	s_delay_alu instid0(VALU_DEP_3) | instskip(NEXT) | instid1(VALU_DEP_3)
	v_dot4_i32_iu8 v167, v160, v35, v167 neg_lo:[1,1,0]
	v_dot4_i32_iu8 v158, v160, v43, v158 neg_lo:[1,1,0]
	s_delay_alu instid0(VALU_DEP_2) | instskip(NEXT) | instid1(VALU_DEP_2)
	v_dot4_i32_iu8 v167, v161, v36, v167 neg_lo:[1,1,0]
	v_dot4_i32_iu8 v158, v161, v44, v158 neg_lo:[1,1,0]
	s_delay_alu instid0(VALU_DEP_2) | instskip(NEXT) | instid1(VALU_DEP_2)
	v_dot4_i32_iu8 v167, v162, v31, v167 neg_lo:[1,1,0]
	v_dot4_i32_iu8 v158, v162, v39, v158 neg_lo:[1,1,0]
	v_add_nc_u32_e32 v162, s10, v115
	s_delay_alu instid0(VALU_DEP_3) | instskip(NEXT) | instid1(VALU_DEP_3)
	v_dot4_i32_iu8 v167, v163, v32, v167 neg_lo:[1,1,0]
	v_dot4_i32_iu8 v158, v163, v40, v158 neg_lo:[1,1,0]
	s_delay_alu instid0(VALU_DEP_2) | instskip(NEXT) | instid1(VALU_DEP_2)
	v_dot4_i32_iu8 v167, v164, v29, v167 neg_lo:[1,1,0]
	v_dot4_i32_iu8 v158, v164, v37, v158 neg_lo:[1,1,0]
	s_delay_alu instid0(VALU_DEP_2) | instskip(NEXT) | instid1(VALU_DEP_2)
	;; [unrolled: 3-line block ×3, first 2 shown]
	v_cvt_f32_i32_e32 v167, v167
	v_cvt_f32_i32_e32 v158, v158
	s_delay_alu instid0(VALU_DEP_1)
	v_dual_fmac_f32 v77, v168, v167 :: v_dual_fmac_f32 v76, v159, v158
	v_add_nc_u32_e32 v158, s11, v127
	ds_load_b32 v166, v158
	ds_load_b128 v[158:161], v162
	ds_load_b128 v[162:165], v162 offset:16
	s_wait_dscnt 0x2
	v_mul_f32_e32 v168, v155, v166
	s_wait_dscnt 0x1
	v_dot4_i32_iu8 v167, v27, v158, 0 neg_lo:[1,1,0]
	s_delay_alu instid0(VALU_DEP_1) | instskip(NEXT) | instid1(VALU_DEP_1)
	v_dot4_i32_iu8 v167, v28, v159, v167 neg_lo:[1,1,0]
	v_dot4_i32_iu8 v167, v25, v160, v167 neg_lo:[1,1,0]
	s_delay_alu instid0(VALU_DEP_1) | instskip(SKIP_1) | instid1(VALU_DEP_1)
	v_dot4_i32_iu8 v167, v26, v161, v167 neg_lo:[1,1,0]
	s_wait_dscnt 0x0
	v_dot4_i32_iu8 v167, v23, v162, v167 neg_lo:[1,1,0]
	s_delay_alu instid0(VALU_DEP_1) | instskip(NEXT) | instid1(VALU_DEP_1)
	v_dot4_i32_iu8 v167, v24, v163, v167 neg_lo:[1,1,0]
	v_dot4_i32_iu8 v167, v21, v164, v167 neg_lo:[1,1,0]
	s_delay_alu instid0(VALU_DEP_1) | instskip(NEXT) | instid1(VALU_DEP_1)
	v_dot4_i32_iu8 v167, v22, v165, v167 neg_lo:[1,1,0]
	v_cvt_f32_i32_e32 v167, v167
	s_delay_alu instid0(VALU_DEP_1) | instskip(SKIP_2) | instid1(VALU_DEP_2)
	v_fmac_f32_e32 v74, v168, v167
	v_dot4_i32_iu8 v167, v45, v158, 0 neg_lo:[1,1,0]
	v_mul_f32_e32 v168, v157, v166
	v_dot4_i32_iu8 v167, v46, v159, v167 neg_lo:[1,1,0]
	s_delay_alu instid0(VALU_DEP_1) | instskip(NEXT) | instid1(VALU_DEP_1)
	v_dot4_i32_iu8 v167, v47, v160, v167 neg_lo:[1,1,0]
	v_dot4_i32_iu8 v167, v48, v161, v167 neg_lo:[1,1,0]
	s_delay_alu instid0(VALU_DEP_1) | instskip(NEXT) | instid1(VALU_DEP_1)
	v_dot4_i32_iu8 v167, v49, v162, v167 neg_lo:[1,1,0]
	;; [unrolled: 3-line block ×3, first 2 shown]
	v_dot4_i32_iu8 v167, v52, v165, v167 neg_lo:[1,1,0]
	s_delay_alu instid0(VALU_DEP_1) | instskip(NEXT) | instid1(VALU_DEP_1)
	v_cvt_f32_i32_e32 v167, v167
	v_fmac_f32_e32 v71, v168, v167
	v_dot4_i32_iu8 v167, v158, v33, 0 neg_lo:[1,1,0]
	v_dot4_i32_iu8 v158, v158, v41, 0 neg_lo:[1,1,0]
	v_mul_f32_e32 v168, v156, v166
	s_delay_alu instid0(VALU_DEP_3) | instskip(NEXT) | instid1(VALU_DEP_3)
	v_dot4_i32_iu8 v167, v159, v34, v167 neg_lo:[1,1,0]
	v_dot4_i32_iu8 v158, v159, v42, v158 neg_lo:[1,1,0]
	v_mul_f32_e32 v159, v154, v166
	s_delay_alu instid0(VALU_DEP_3) | instskip(NEXT) | instid1(VALU_DEP_3)
	v_dot4_i32_iu8 v167, v160, v35, v167 neg_lo:[1,1,0]
	v_dot4_i32_iu8 v158, v160, v43, v158 neg_lo:[1,1,0]
	s_delay_alu instid0(VALU_DEP_2) | instskip(NEXT) | instid1(VALU_DEP_2)
	v_dot4_i32_iu8 v167, v161, v36, v167 neg_lo:[1,1,0]
	v_dot4_i32_iu8 v158, v161, v44, v158 neg_lo:[1,1,0]
	s_delay_alu instid0(VALU_DEP_2) | instskip(NEXT) | instid1(VALU_DEP_2)
	v_dot4_i32_iu8 v167, v162, v31, v167 neg_lo:[1,1,0]
	v_dot4_i32_iu8 v158, v162, v39, v158 neg_lo:[1,1,0]
	v_add_nc_u32_e32 v162, s10, v117
	s_delay_alu instid0(VALU_DEP_3) | instskip(NEXT) | instid1(VALU_DEP_3)
	v_dot4_i32_iu8 v167, v163, v32, v167 neg_lo:[1,1,0]
	v_dot4_i32_iu8 v158, v163, v40, v158 neg_lo:[1,1,0]
	s_delay_alu instid0(VALU_DEP_2) | instskip(NEXT) | instid1(VALU_DEP_2)
	v_dot4_i32_iu8 v167, v164, v29, v167 neg_lo:[1,1,0]
	v_dot4_i32_iu8 v158, v164, v37, v158 neg_lo:[1,1,0]
	s_delay_alu instid0(VALU_DEP_2) | instskip(NEXT) | instid1(VALU_DEP_2)
	;; [unrolled: 3-line block ×3, first 2 shown]
	v_cvt_f32_i32_e32 v167, v167
	v_cvt_f32_i32_e32 v158, v158
	s_delay_alu instid0(VALU_DEP_1)
	v_dual_fmac_f32 v69, v159, v158 :: v_dual_add_nc_u32 v158, s11, v128
	ds_load_b32 v166, v158
	ds_load_b128 v[158:161], v162
	ds_load_b128 v[162:165], v162 offset:16
	v_fmac_f32_e32 v70, v168, v167
	s_wait_dscnt 0x2
	v_mul_f32_e32 v168, v155, v166
	s_wait_dscnt 0x1
	v_dot4_i32_iu8 v167, v27, v158, 0 neg_lo:[1,1,0]
	s_delay_alu instid0(VALU_DEP_1) | instskip(NEXT) | instid1(VALU_DEP_1)
	v_dot4_i32_iu8 v167, v28, v159, v167 neg_lo:[1,1,0]
	v_dot4_i32_iu8 v167, v25, v160, v167 neg_lo:[1,1,0]
	s_delay_alu instid0(VALU_DEP_1) | instskip(SKIP_1) | instid1(VALU_DEP_1)
	v_dot4_i32_iu8 v167, v26, v161, v167 neg_lo:[1,1,0]
	s_wait_dscnt 0x0
	v_dot4_i32_iu8 v167, v23, v162, v167 neg_lo:[1,1,0]
	s_delay_alu instid0(VALU_DEP_1) | instskip(NEXT) | instid1(VALU_DEP_1)
	v_dot4_i32_iu8 v167, v24, v163, v167 neg_lo:[1,1,0]
	v_dot4_i32_iu8 v167, v21, v164, v167 neg_lo:[1,1,0]
	s_delay_alu instid0(VALU_DEP_1) | instskip(NEXT) | instid1(VALU_DEP_1)
	v_dot4_i32_iu8 v167, v22, v165, v167 neg_lo:[1,1,0]
	v_cvt_f32_i32_e32 v167, v167
	s_delay_alu instid0(VALU_DEP_1) | instskip(SKIP_2) | instid1(VALU_DEP_2)
	v_fmac_f32_e32 v68, v168, v167
	v_dot4_i32_iu8 v167, v45, v158, 0 neg_lo:[1,1,0]
	v_mul_f32_e32 v168, v157, v166
	v_dot4_i32_iu8 v167, v46, v159, v167 neg_lo:[1,1,0]
	s_delay_alu instid0(VALU_DEP_1) | instskip(NEXT) | instid1(VALU_DEP_1)
	v_dot4_i32_iu8 v167, v47, v160, v167 neg_lo:[1,1,0]
	v_dot4_i32_iu8 v167, v48, v161, v167 neg_lo:[1,1,0]
	s_delay_alu instid0(VALU_DEP_1) | instskip(NEXT) | instid1(VALU_DEP_1)
	v_dot4_i32_iu8 v167, v49, v162, v167 neg_lo:[1,1,0]
	;; [unrolled: 3-line block ×3, first 2 shown]
	v_dot4_i32_iu8 v167, v52, v165, v167 neg_lo:[1,1,0]
	s_delay_alu instid0(VALU_DEP_1) | instskip(NEXT) | instid1(VALU_DEP_1)
	v_cvt_f32_i32_e32 v167, v167
	v_fmac_f32_e32 v67, v168, v167
	v_dot4_i32_iu8 v167, v158, v33, 0 neg_lo:[1,1,0]
	v_dot4_i32_iu8 v158, v158, v41, 0 neg_lo:[1,1,0]
	v_mul_f32_e32 v168, v156, v166
	s_delay_alu instid0(VALU_DEP_3) | instskip(NEXT) | instid1(VALU_DEP_3)
	v_dot4_i32_iu8 v167, v159, v34, v167 neg_lo:[1,1,0]
	v_dot4_i32_iu8 v158, v159, v42, v158 neg_lo:[1,1,0]
	v_mul_f32_e32 v159, v154, v166
	s_delay_alu instid0(VALU_DEP_3) | instskip(NEXT) | instid1(VALU_DEP_3)
	v_dot4_i32_iu8 v167, v160, v35, v167 neg_lo:[1,1,0]
	v_dot4_i32_iu8 v158, v160, v43, v158 neg_lo:[1,1,0]
	s_delay_alu instid0(VALU_DEP_2) | instskip(NEXT) | instid1(VALU_DEP_2)
	v_dot4_i32_iu8 v167, v161, v36, v167 neg_lo:[1,1,0]
	v_dot4_i32_iu8 v158, v161, v44, v158 neg_lo:[1,1,0]
	s_delay_alu instid0(VALU_DEP_2) | instskip(NEXT) | instid1(VALU_DEP_2)
	v_dot4_i32_iu8 v167, v162, v31, v167 neg_lo:[1,1,0]
	v_dot4_i32_iu8 v158, v162, v39, v158 neg_lo:[1,1,0]
	v_add_nc_u32_e32 v162, s10, v119
	s_delay_alu instid0(VALU_DEP_3) | instskip(NEXT) | instid1(VALU_DEP_3)
	v_dot4_i32_iu8 v167, v163, v32, v167 neg_lo:[1,1,0]
	v_dot4_i32_iu8 v158, v163, v40, v158 neg_lo:[1,1,0]
	s_delay_alu instid0(VALU_DEP_2) | instskip(NEXT) | instid1(VALU_DEP_2)
	v_dot4_i32_iu8 v167, v164, v29, v167 neg_lo:[1,1,0]
	v_dot4_i32_iu8 v158, v164, v37, v158 neg_lo:[1,1,0]
	s_delay_alu instid0(VALU_DEP_2) | instskip(NEXT) | instid1(VALU_DEP_2)
	v_dot4_i32_iu8 v167, v165, v30, v167 neg_lo:[1,1,0]
	v_dot4_i32_iu8 v158, v165, v38, v158 neg_lo:[1,1,0]
	s_delay_alu instid0(VALU_DEP_2) | instskip(NEXT) | instid1(VALU_DEP_2)
	v_cvt_f32_i32_e32 v167, v167
	v_cvt_f32_i32_e32 v158, v158
	s_delay_alu instid0(VALU_DEP_1)
	v_dual_fmac_f32 v65, v159, v158 :: v_dual_add_nc_u32 v158, s11, v129
	ds_load_b32 v166, v158
	ds_load_b128 v[158:161], v162
	ds_load_b128 v[162:165], v162 offset:16
	v_fmac_f32_e32 v66, v168, v167
	s_wait_dscnt 0x2
	v_mul_f32_e32 v168, v155, v166
	s_wait_dscnt 0x1
	v_dot4_i32_iu8 v167, v27, v158, 0 neg_lo:[1,1,0]
	s_delay_alu instid0(VALU_DEP_1) | instskip(NEXT) | instid1(VALU_DEP_1)
	v_dot4_i32_iu8 v167, v28, v159, v167 neg_lo:[1,1,0]
	v_dot4_i32_iu8 v167, v25, v160, v167 neg_lo:[1,1,0]
	s_delay_alu instid0(VALU_DEP_1) | instskip(SKIP_1) | instid1(VALU_DEP_1)
	v_dot4_i32_iu8 v167, v26, v161, v167 neg_lo:[1,1,0]
	s_wait_dscnt 0x0
	v_dot4_i32_iu8 v167, v23, v162, v167 neg_lo:[1,1,0]
	s_delay_alu instid0(VALU_DEP_1) | instskip(NEXT) | instid1(VALU_DEP_1)
	v_dot4_i32_iu8 v167, v24, v163, v167 neg_lo:[1,1,0]
	v_dot4_i32_iu8 v167, v21, v164, v167 neg_lo:[1,1,0]
	s_delay_alu instid0(VALU_DEP_1) | instskip(NEXT) | instid1(VALU_DEP_1)
	v_dot4_i32_iu8 v167, v22, v165, v167 neg_lo:[1,1,0]
	v_cvt_f32_i32_e32 v167, v167
	s_delay_alu instid0(VALU_DEP_1) | instskip(SKIP_2) | instid1(VALU_DEP_2)
	v_fmac_f32_e32 v64, v168, v167
	v_dot4_i32_iu8 v167, v45, v158, 0 neg_lo:[1,1,0]
	v_mul_f32_e32 v168, v157, v166
	v_dot4_i32_iu8 v167, v46, v159, v167 neg_lo:[1,1,0]
	s_delay_alu instid0(VALU_DEP_1) | instskip(NEXT) | instid1(VALU_DEP_1)
	v_dot4_i32_iu8 v167, v47, v160, v167 neg_lo:[1,1,0]
	v_dot4_i32_iu8 v167, v48, v161, v167 neg_lo:[1,1,0]
	s_delay_alu instid0(VALU_DEP_1) | instskip(NEXT) | instid1(VALU_DEP_1)
	v_dot4_i32_iu8 v167, v49, v162, v167 neg_lo:[1,1,0]
	;; [unrolled: 3-line block ×3, first 2 shown]
	v_dot4_i32_iu8 v167, v52, v165, v167 neg_lo:[1,1,0]
	s_delay_alu instid0(VALU_DEP_1) | instskip(NEXT) | instid1(VALU_DEP_1)
	v_cvt_f32_i32_e32 v167, v167
	v_fmac_f32_e32 v63, v168, v167
	v_dot4_i32_iu8 v167, v158, v33, 0 neg_lo:[1,1,0]
	v_dot4_i32_iu8 v158, v158, v41, 0 neg_lo:[1,1,0]
	v_mul_f32_e32 v168, v156, v166
	s_delay_alu instid0(VALU_DEP_3) | instskip(NEXT) | instid1(VALU_DEP_3)
	v_dot4_i32_iu8 v167, v159, v34, v167 neg_lo:[1,1,0]
	v_dot4_i32_iu8 v158, v159, v42, v158 neg_lo:[1,1,0]
	v_mul_f32_e32 v159, v154, v166
	s_delay_alu instid0(VALU_DEP_3) | instskip(NEXT) | instid1(VALU_DEP_3)
	v_dot4_i32_iu8 v167, v160, v35, v167 neg_lo:[1,1,0]
	v_dot4_i32_iu8 v158, v160, v43, v158 neg_lo:[1,1,0]
	s_delay_alu instid0(VALU_DEP_2) | instskip(NEXT) | instid1(VALU_DEP_2)
	v_dot4_i32_iu8 v167, v161, v36, v167 neg_lo:[1,1,0]
	v_dot4_i32_iu8 v158, v161, v44, v158 neg_lo:[1,1,0]
	s_delay_alu instid0(VALU_DEP_2) | instskip(NEXT) | instid1(VALU_DEP_2)
	v_dot4_i32_iu8 v167, v162, v31, v167 neg_lo:[1,1,0]
	v_dot4_i32_iu8 v158, v162, v39, v158 neg_lo:[1,1,0]
	v_add_nc_u32_e32 v162, s10, v121
	s_delay_alu instid0(VALU_DEP_3) | instskip(NEXT) | instid1(VALU_DEP_3)
	v_dot4_i32_iu8 v167, v163, v32, v167 neg_lo:[1,1,0]
	v_dot4_i32_iu8 v158, v163, v40, v158 neg_lo:[1,1,0]
	s_delay_alu instid0(VALU_DEP_2) | instskip(NEXT) | instid1(VALU_DEP_2)
	v_dot4_i32_iu8 v167, v164, v29, v167 neg_lo:[1,1,0]
	v_dot4_i32_iu8 v158, v164, v37, v158 neg_lo:[1,1,0]
	s_delay_alu instid0(VALU_DEP_2) | instskip(NEXT) | instid1(VALU_DEP_2)
	;; [unrolled: 3-line block ×3, first 2 shown]
	v_cvt_f32_i32_e32 v167, v167
	v_cvt_f32_i32_e32 v158, v158
	s_delay_alu instid0(VALU_DEP_1)
	v_dual_fmac_f32 v62, v168, v167 :: v_dual_fmac_f32 v61, v159, v158
	v_add_nc_u32_e32 v158, s11, v130
	ds_load_b32 v166, v158
	ds_load_b128 v[158:161], v162
	ds_load_b128 v[162:165], v162 offset:16
	s_wait_dscnt 0x2
	v_mul_f32_e32 v168, v155, v166
	s_wait_dscnt 0x1
	v_dot4_i32_iu8 v167, v27, v158, 0 neg_lo:[1,1,0]
	s_delay_alu instid0(VALU_DEP_1) | instskip(NEXT) | instid1(VALU_DEP_1)
	v_dot4_i32_iu8 v167, v28, v159, v167 neg_lo:[1,1,0]
	v_dot4_i32_iu8 v167, v25, v160, v167 neg_lo:[1,1,0]
	s_delay_alu instid0(VALU_DEP_1) | instskip(SKIP_1) | instid1(VALU_DEP_1)
	v_dot4_i32_iu8 v167, v26, v161, v167 neg_lo:[1,1,0]
	s_wait_dscnt 0x0
	v_dot4_i32_iu8 v167, v23, v162, v167 neg_lo:[1,1,0]
	s_delay_alu instid0(VALU_DEP_1) | instskip(NEXT) | instid1(VALU_DEP_1)
	v_dot4_i32_iu8 v167, v24, v163, v167 neg_lo:[1,1,0]
	v_dot4_i32_iu8 v167, v21, v164, v167 neg_lo:[1,1,0]
	s_delay_alu instid0(VALU_DEP_1) | instskip(NEXT) | instid1(VALU_DEP_1)
	v_dot4_i32_iu8 v167, v22, v165, v167 neg_lo:[1,1,0]
	v_cvt_f32_i32_e32 v167, v167
	s_delay_alu instid0(VALU_DEP_1) | instskip(SKIP_2) | instid1(VALU_DEP_2)
	v_fmac_f32_e32 v60, v168, v167
	v_dot4_i32_iu8 v167, v45, v158, 0 neg_lo:[1,1,0]
	v_mul_f32_e32 v168, v157, v166
	v_dot4_i32_iu8 v167, v46, v159, v167 neg_lo:[1,1,0]
	s_delay_alu instid0(VALU_DEP_1) | instskip(NEXT) | instid1(VALU_DEP_1)
	v_dot4_i32_iu8 v167, v47, v160, v167 neg_lo:[1,1,0]
	v_dot4_i32_iu8 v167, v48, v161, v167 neg_lo:[1,1,0]
	s_delay_alu instid0(VALU_DEP_1) | instskip(NEXT) | instid1(VALU_DEP_1)
	v_dot4_i32_iu8 v167, v49, v162, v167 neg_lo:[1,1,0]
	v_dot4_i32_iu8 v167, v50, v163, v167 neg_lo:[1,1,0]
	s_delay_alu instid0(VALU_DEP_1) | instskip(NEXT) | instid1(VALU_DEP_1)
	v_dot4_i32_iu8 v167, v51, v164, v167 neg_lo:[1,1,0]
	v_dot4_i32_iu8 v167, v52, v165, v167 neg_lo:[1,1,0]
	s_delay_alu instid0(VALU_DEP_1) | instskip(NEXT) | instid1(VALU_DEP_1)
	v_cvt_f32_i32_e32 v167, v167
	v_fmac_f32_e32 v59, v168, v167
	v_dot4_i32_iu8 v167, v158, v33, 0 neg_lo:[1,1,0]
	v_dot4_i32_iu8 v158, v158, v41, 0 neg_lo:[1,1,0]
	v_mul_f32_e32 v168, v156, v166
	s_delay_alu instid0(VALU_DEP_3) | instskip(NEXT) | instid1(VALU_DEP_3)
	v_dot4_i32_iu8 v167, v159, v34, v167 neg_lo:[1,1,0]
	v_dot4_i32_iu8 v158, v159, v42, v158 neg_lo:[1,1,0]
	v_mul_f32_e32 v159, v154, v166
	s_delay_alu instid0(VALU_DEP_3) | instskip(NEXT) | instid1(VALU_DEP_3)
	v_dot4_i32_iu8 v167, v160, v35, v167 neg_lo:[1,1,0]
	v_dot4_i32_iu8 v158, v160, v43, v158 neg_lo:[1,1,0]
	s_delay_alu instid0(VALU_DEP_2) | instskip(NEXT) | instid1(VALU_DEP_2)
	v_dot4_i32_iu8 v167, v161, v36, v167 neg_lo:[1,1,0]
	v_dot4_i32_iu8 v158, v161, v44, v158 neg_lo:[1,1,0]
	s_delay_alu instid0(VALU_DEP_2) | instskip(NEXT) | instid1(VALU_DEP_2)
	v_dot4_i32_iu8 v167, v162, v31, v167 neg_lo:[1,1,0]
	v_dot4_i32_iu8 v158, v162, v39, v158 neg_lo:[1,1,0]
	v_add_nc_u32_e32 v162, s10, v123
	s_add_co_i32 s10, s7, 8
	s_cmp_lt_u32 s7, 24
	v_dot4_i32_iu8 v167, v163, v32, v167 neg_lo:[1,1,0]
	v_dot4_i32_iu8 v158, v163, v40, v158 neg_lo:[1,1,0]
	s_wait_alu 0xfffe
	s_mov_b32 s7, s10
	s_delay_alu instid0(VALU_DEP_2) | instskip(NEXT) | instid1(VALU_DEP_2)
	v_dot4_i32_iu8 v167, v164, v29, v167 neg_lo:[1,1,0]
	v_dot4_i32_iu8 v158, v164, v37, v158 neg_lo:[1,1,0]
	s_delay_alu instid0(VALU_DEP_2) | instskip(NEXT) | instid1(VALU_DEP_2)
	v_dot4_i32_iu8 v167, v165, v30, v167 neg_lo:[1,1,0]
	v_dot4_i32_iu8 v158, v165, v38, v158 neg_lo:[1,1,0]
	s_delay_alu instid0(VALU_DEP_2) | instskip(NEXT) | instid1(VALU_DEP_2)
	v_cvt_f32_i32_e32 v167, v167
	v_cvt_f32_i32_e32 v158, v158
	s_delay_alu instid0(VALU_DEP_1)
	v_dual_fmac_f32 v58, v168, v167 :: v_dual_fmac_f32 v57, v159, v158
	v_add_nc_u32_e32 v158, s11, v131
	ds_load_b32 v166, v158
	ds_load_b128 v[158:161], v162
	ds_load_b128 v[162:165], v162 offset:16
	s_wait_dscnt 0x1
	v_dot4_i32_iu8 v27, v27, v158, 0 neg_lo:[1,1,0]
	s_delay_alu instid0(VALU_DEP_1) | instskip(NEXT) | instid1(VALU_DEP_1)
	v_dot4_i32_iu8 v27, v28, v159, v27 neg_lo:[1,1,0]
	v_dot4_i32_iu8 v25, v25, v160, v27 neg_lo:[1,1,0]
	s_delay_alu instid0(VALU_DEP_1) | instskip(SKIP_1) | instid1(VALU_DEP_1)
	v_dot4_i32_iu8 v25, v26, v161, v25 neg_lo:[1,1,0]
	s_wait_dscnt 0x0
	v_dot4_i32_iu8 v23, v23, v162, v25 neg_lo:[1,1,0]
	s_delay_alu instid0(VALU_DEP_1) | instskip(NEXT) | instid1(VALU_DEP_1)
	v_dot4_i32_iu8 v23, v24, v163, v23 neg_lo:[1,1,0]
	v_dot4_i32_iu8 v21, v21, v164, v23 neg_lo:[1,1,0]
	s_delay_alu instid0(VALU_DEP_1) | instskip(SKIP_1) | instid1(VALU_DEP_2)
	v_dot4_i32_iu8 v21, v22, v165, v21 neg_lo:[1,1,0]
	v_mul_f32_e32 v22, v155, v166
	v_cvt_f32_i32_e32 v21, v21
	s_delay_alu instid0(VALU_DEP_1) | instskip(SKIP_2) | instid1(VALU_DEP_2)
	v_fmac_f32_e32 v56, v22, v21
	v_dot4_i32_iu8 v21, v45, v158, 0 neg_lo:[1,1,0]
	v_mul_f32_e32 v22, v157, v166
	v_dot4_i32_iu8 v21, v46, v159, v21 neg_lo:[1,1,0]
	s_delay_alu instid0(VALU_DEP_1) | instskip(NEXT) | instid1(VALU_DEP_1)
	v_dot4_i32_iu8 v21, v47, v160, v21 neg_lo:[1,1,0]
	v_dot4_i32_iu8 v21, v48, v161, v21 neg_lo:[1,1,0]
	s_delay_alu instid0(VALU_DEP_1) | instskip(NEXT) | instid1(VALU_DEP_1)
	v_dot4_i32_iu8 v21, v49, v162, v21 neg_lo:[1,1,0]
	v_dot4_i32_iu8 v21, v50, v163, v21 neg_lo:[1,1,0]
	s_delay_alu instid0(VALU_DEP_1) | instskip(NEXT) | instid1(VALU_DEP_1)
	v_dot4_i32_iu8 v21, v51, v164, v21 neg_lo:[1,1,0]
	v_dot4_i32_iu8 v21, v52, v165, v21 neg_lo:[1,1,0]
	s_delay_alu instid0(VALU_DEP_1) | instskip(NEXT) | instid1(VALU_DEP_1)
	v_cvt_f32_i32_e32 v21, v21
	v_fmac_f32_e32 v55, v22, v21
	v_dot4_i32_iu8 v21, v158, v33, 0 neg_lo:[1,1,0]
	v_mul_f32_e32 v22, v156, v166
	s_delay_alu instid0(VALU_DEP_2) | instskip(NEXT) | instid1(VALU_DEP_1)
	v_dot4_i32_iu8 v21, v159, v34, v21 neg_lo:[1,1,0]
	v_dot4_i32_iu8 v21, v160, v35, v21 neg_lo:[1,1,0]
	s_delay_alu instid0(VALU_DEP_1) | instskip(NEXT) | instid1(VALU_DEP_1)
	v_dot4_i32_iu8 v21, v161, v36, v21 neg_lo:[1,1,0]
	v_dot4_i32_iu8 v21, v162, v31, v21 neg_lo:[1,1,0]
	s_delay_alu instid0(VALU_DEP_1) | instskip(NEXT) | instid1(VALU_DEP_1)
	;; [unrolled: 3-line block ×3, first 2 shown]
	v_dot4_i32_iu8 v21, v165, v30, v21 neg_lo:[1,1,0]
	v_cvt_f32_i32_e32 v21, v21
	s_delay_alu instid0(VALU_DEP_1) | instskip(SKIP_2) | instid1(VALU_DEP_2)
	v_fmac_f32_e32 v54, v22, v21
	v_dot4_i32_iu8 v21, v158, v41, 0 neg_lo:[1,1,0]
	v_mul_f32_e32 v22, v154, v166
	v_dot4_i32_iu8 v21, v159, v42, v21 neg_lo:[1,1,0]
	s_delay_alu instid0(VALU_DEP_1) | instskip(NEXT) | instid1(VALU_DEP_1)
	v_dot4_i32_iu8 v21, v160, v43, v21 neg_lo:[1,1,0]
	v_dot4_i32_iu8 v21, v161, v44, v21 neg_lo:[1,1,0]
	s_delay_alu instid0(VALU_DEP_1) | instskip(NEXT) | instid1(VALU_DEP_1)
	v_dot4_i32_iu8 v21, v162, v39, v21 neg_lo:[1,1,0]
	;; [unrolled: 3-line block ×3, first 2 shown]
	v_dot4_i32_iu8 v21, v165, v38, v21 neg_lo:[1,1,0]
	s_delay_alu instid0(VALU_DEP_1) | instskip(NEXT) | instid1(VALU_DEP_1)
	v_cvt_f32_i32_e32 v21, v21
	v_fmac_f32_e32 v53, v22, v21
	s_cbranch_scc1 .LBB166_6
; %bb.7:                                ;   in Loop: Header=BB166_5 Depth=1
	s_add_co_i32 s4, s4, 4
	s_wait_loadcnt 0x0
	s_wait_alu 0xfffe
	s_cmp_ge_i32 s4, s15
	s_barrier_signal -1
	s_barrier_wait -1
	global_inv scope:SCOPE_SE
	s_cbranch_scc0 .LBB166_5
; %bb.8:
	v_dual_mov_b32 v1, v72 :: v_dual_mov_b32 v2, v73
.LBB166_9:
	s_mov_b32 s0, exec_lo
	v_cmpx_gt_u32_e64 s6, v79
	s_cbranch_execz .LBB166_60
; %bb.10:
	s_delay_alu instid0(VALU_DEP_2) | instskip(SKIP_1) | instid1(VALU_DEP_2)
	v_add_nc_u32_e32 v0, s14, v2
	v_mul_lo_u32 v5, v79, s12
	v_cmp_gt_u32_e32 vcc_lo, s12, v0
	s_and_saveexec_b32 s1, vcc_lo
	s_cbranch_execz .LBB166_12
; %bb.11:
	v_bfe_u32 v3, v75, 16, 1
	s_delay_alu instid0(VALU_DEP_3) | instskip(SKIP_1) | instid1(VALU_DEP_3)
	v_add_nc_u32_e32 v2, v0, v5
	v_cmp_o_f32_e64 s0, v75, v75
	v_add3_u32 v4, v75, v3, 0x7fff
	v_mov_b32_e32 v3, 0
	s_delay_alu instid0(VALU_DEP_2) | instskip(NEXT) | instid1(VALU_DEP_2)
	v_lshrrev_b32_e32 v4, 16, v4
	v_lshlrev_b64_e32 v[2:3], 1, v[2:3]
	s_delay_alu instid0(VALU_DEP_2) | instskip(SKIP_1) | instid1(VALU_DEP_2)
	v_cndmask_b32_e64 v4, 0x7fc0, v4, s0
	s_wait_kmcnt 0x0
	v_add_co_u32 v2, s0, s8, v2
	s_wait_alu 0xf1ff
	s_delay_alu instid0(VALU_DEP_3)
	v_add_co_ci_u32_e64 v3, null, s9, v3, s0
	global_store_b16 v[2:3], v4, off
.LBB166_12:
	s_or_b32 exec_lo, exec_lo, s1
	v_add_nc_u32_e32 v2, 32, v0
	s_delay_alu instid0(VALU_DEP_1)
	v_cmp_gt_u32_e64 s0, s12, v2
	s_and_saveexec_b32 s2, s0
	s_cbranch_execz .LBB166_14
; %bb.13:
	v_bfe_u32 v4, v97, 16, 1
	v_add_nc_u32_e32 v3, v2, v5
	v_cmp_o_f32_e64 s1, v97, v97
	s_delay_alu instid0(VALU_DEP_3) | instskip(SKIP_1) | instid1(VALU_DEP_2)
	v_add3_u32 v6, v97, v4, 0x7fff
	v_mov_b32_e32 v4, 0
	v_lshrrev_b32_e32 v6, 16, v6
	s_delay_alu instid0(VALU_DEP_2) | instskip(SKIP_1) | instid1(VALU_DEP_2)
	v_lshlrev_b64_e32 v[3:4], 1, v[3:4]
	s_wait_alu 0xf1ff
	v_cndmask_b32_e64 v6, 0x7fc0, v6, s1
	s_wait_kmcnt 0x0
	s_delay_alu instid0(VALU_DEP_2)
	v_add_co_u32 v3, s1, s8, v3
	s_wait_alu 0xf1ff
	v_add_co_ci_u32_e64 v4, null, s9, v4, s1
	global_store_b16 v[3:4], v6, off
.LBB166_14:
	s_wait_alu 0xfffe
	s_or_b32 exec_lo, exec_lo, s2
	v_add_nc_u32_e32 v3, 64, v0
	s_delay_alu instid0(VALU_DEP_1)
	v_cmp_gt_u32_e64 s1, s12, v3
	s_and_saveexec_b32 s3, s1
	s_cbranch_execz .LBB166_16
; %bb.15:
	v_bfe_u32 v4, v93, 16, 1
	v_dual_mov_b32 v7, 0 :: v_dual_add_nc_u32 v6, v3, v5
	v_cmp_o_f32_e64 s2, v93, v93
	s_delay_alu instid0(VALU_DEP_3) | instskip(NEXT) | instid1(VALU_DEP_3)
	v_add3_u32 v4, v93, v4, 0x7fff
	v_lshlrev_b64_e32 v[6:7], 1, v[6:7]
	s_delay_alu instid0(VALU_DEP_2) | instskip(SKIP_1) | instid1(VALU_DEP_1)
	v_lshrrev_b32_e32 v4, 16, v4
	s_wait_alu 0xf1ff
	v_cndmask_b32_e64 v4, 0x7fc0, v4, s2
	s_wait_kmcnt 0x0
	s_delay_alu instid0(VALU_DEP_3)
	v_add_co_u32 v6, s2, s8, v6
	s_wait_alu 0xf1ff
	v_add_co_ci_u32_e64 v7, null, s9, v7, s2
	global_store_b16 v[6:7], v4, off
.LBB166_16:
	s_wait_alu 0xfffe
	s_or_b32 exec_lo, exec_lo, s3
	v_add_nc_u32_e32 v4, 0x60, v0
	s_delay_alu instid0(VALU_DEP_1)
	v_cmp_gt_u32_e64 s2, s12, v4
	s_and_saveexec_b32 s4, s2
	s_cbranch_execz .LBB166_18
; %bb.17:
	v_bfe_u32 v6, v92, 16, 1
	v_add_nc_u32_e32 v5, v4, v5
	v_cmp_o_f32_e64 s3, v92, v92
	s_delay_alu instid0(VALU_DEP_3) | instskip(SKIP_1) | instid1(VALU_DEP_2)
	v_add3_u32 v7, v92, v6, 0x7fff
	v_mov_b32_e32 v6, 0
	v_lshrrev_b32_e32 v7, 16, v7
	s_delay_alu instid0(VALU_DEP_2) | instskip(SKIP_1) | instid1(VALU_DEP_2)
	v_lshlrev_b64_e32 v[5:6], 1, v[5:6]
	s_wait_alu 0xf1ff
	v_cndmask_b32_e64 v7, 0x7fc0, v7, s3
	s_wait_kmcnt 0x0
	s_delay_alu instid0(VALU_DEP_2)
	v_add_co_u32 v5, s3, s8, v5
	s_wait_alu 0xf1ff
	v_add_co_ci_u32_e64 v6, null, s9, v6, s3
	global_store_b16 v[5:6], v7, off
.LBB166_18:
	s_wait_alu 0xfffe
	s_or_b32 exec_lo, exec_lo, s4
	v_add3_u32 v5, v1, s13, 8
	s_delay_alu instid0(VALU_DEP_1)
	v_cmp_gt_u32_e64 s3, s6, v5
	s_and_b32 exec_lo, exec_lo, s3
	s_cbranch_execz .LBB166_60
; %bb.19:
	v_mul_lo_u32 v5, v5, s12
	s_and_saveexec_b32 s4, vcc_lo
	s_cbranch_execnz .LBB166_61
; %bb.20:
	s_wait_alu 0xfffe
	s_or_b32 exec_lo, exec_lo, s4
	s_and_saveexec_b32 s4, s0
	s_cbranch_execnz .LBB166_62
.LBB166_21:
	s_wait_alu 0xfffe
	s_or_b32 exec_lo, exec_lo, s4
	s_and_saveexec_b32 s4, s1
	s_cbranch_execnz .LBB166_63
.LBB166_22:
	s_wait_alu 0xfffe
	s_or_b32 exec_lo, exec_lo, s4
	s_and_saveexec_b32 s4, s2
	s_cbranch_execz .LBB166_24
.LBB166_23:
	v_bfe_u32 v6, v85, 16, 1
	v_add_nc_u32_e32 v5, v5, v4
	v_cmp_o_f32_e64 s3, v85, v85
	s_delay_alu instid0(VALU_DEP_3) | instskip(SKIP_1) | instid1(VALU_DEP_2)
	v_add3_u32 v7, v85, v6, 0x7fff
	v_mov_b32_e32 v6, 0
	v_lshrrev_b32_e32 v7, 16, v7
	s_delay_alu instid0(VALU_DEP_2) | instskip(SKIP_1) | instid1(VALU_DEP_2)
	v_lshlrev_b64_e32 v[5:6], 1, v[5:6]
	s_wait_alu 0xf1ff
	v_cndmask_b32_e64 v7, 0x7fc0, v7, s3
	s_wait_kmcnt 0x0
	s_delay_alu instid0(VALU_DEP_2)
	v_add_co_u32 v5, s3, s8, v5
	s_wait_alu 0xf1ff
	v_add_co_ci_u32_e64 v6, null, s9, v6, s3
	global_store_b16 v[5:6], v7, off
.LBB166_24:
	s_wait_alu 0xfffe
	s_or_b32 exec_lo, exec_lo, s4
	v_add3_u32 v5, v1, s13, 16
	s_delay_alu instid0(VALU_DEP_1)
	v_cmp_gt_u32_e64 s3, s6, v5
	s_and_b32 exec_lo, exec_lo, s3
	s_cbranch_execz .LBB166_60
; %bb.25:
	v_mul_lo_u32 v5, v5, s12
	s_and_saveexec_b32 s4, vcc_lo
	s_cbranch_execnz .LBB166_64
; %bb.26:
	s_wait_alu 0xfffe
	s_or_b32 exec_lo, exec_lo, s4
	s_and_saveexec_b32 s4, s0
	s_cbranch_execnz .LBB166_65
.LBB166_27:
	s_wait_alu 0xfffe
	s_or_b32 exec_lo, exec_lo, s4
	s_and_saveexec_b32 s4, s1
	s_cbranch_execnz .LBB166_66
.LBB166_28:
	s_wait_alu 0xfffe
	s_or_b32 exec_lo, exec_lo, s4
	s_and_saveexec_b32 s4, s2
	s_cbranch_execz .LBB166_30
.LBB166_29:
	v_bfe_u32 v6, v76, 16, 1
	v_add_nc_u32_e32 v5, v5, v4
	v_cmp_o_f32_e64 s3, v76, v76
	s_delay_alu instid0(VALU_DEP_3) | instskip(SKIP_1) | instid1(VALU_DEP_2)
	v_add3_u32 v7, v76, v6, 0x7fff
	v_mov_b32_e32 v6, 0
	v_lshrrev_b32_e32 v7, 16, v7
	s_delay_alu instid0(VALU_DEP_2) | instskip(SKIP_1) | instid1(VALU_DEP_2)
	v_lshlrev_b64_e32 v[5:6], 1, v[5:6]
	s_wait_alu 0xf1ff
	v_cndmask_b32_e64 v7, 0x7fc0, v7, s3
	s_wait_kmcnt 0x0
	s_delay_alu instid0(VALU_DEP_2)
	v_add_co_u32 v5, s3, s8, v5
	s_wait_alu 0xf1ff
	v_add_co_ci_u32_e64 v6, null, s9, v6, s3
	global_store_b16 v[5:6], v7, off
.LBB166_30:
	s_wait_alu 0xfffe
	s_or_b32 exec_lo, exec_lo, s4
	v_add3_u32 v5, v1, s13, 24
	s_delay_alu instid0(VALU_DEP_1)
	v_cmp_gt_u32_e64 s3, s6, v5
	s_and_b32 exec_lo, exec_lo, s3
	s_cbranch_execz .LBB166_60
; %bb.31:
	v_mul_lo_u32 v5, v5, s12
	s_and_saveexec_b32 s4, vcc_lo
	s_cbranch_execnz .LBB166_67
; %bb.32:
	s_wait_alu 0xfffe
	s_or_b32 exec_lo, exec_lo, s4
	s_and_saveexec_b32 s4, s0
	s_cbranch_execnz .LBB166_68
.LBB166_33:
	s_wait_alu 0xfffe
	s_or_b32 exec_lo, exec_lo, s4
	s_and_saveexec_b32 s4, s1
	s_cbranch_execnz .LBB166_69
.LBB166_34:
	s_wait_alu 0xfffe
	s_or_b32 exec_lo, exec_lo, s4
	s_and_saveexec_b32 s4, s2
	s_cbranch_execz .LBB166_36
.LBB166_35:
	v_bfe_u32 v6, v69, 16, 1
	v_add_nc_u32_e32 v5, v5, v4
	v_cmp_o_f32_e64 s3, v69, v69
	s_delay_alu instid0(VALU_DEP_3) | instskip(SKIP_1) | instid1(VALU_DEP_2)
	v_add3_u32 v7, v69, v6, 0x7fff
	v_mov_b32_e32 v6, 0
	v_lshrrev_b32_e32 v7, 16, v7
	s_delay_alu instid0(VALU_DEP_2) | instskip(SKIP_1) | instid1(VALU_DEP_2)
	v_lshlrev_b64_e32 v[5:6], 1, v[5:6]
	s_wait_alu 0xf1ff
	v_cndmask_b32_e64 v7, 0x7fc0, v7, s3
	s_wait_kmcnt 0x0
	s_delay_alu instid0(VALU_DEP_2)
	v_add_co_u32 v5, s3, s8, v5
	s_wait_alu 0xf1ff
	v_add_co_ci_u32_e64 v6, null, s9, v6, s3
	global_store_b16 v[5:6], v7, off
.LBB166_36:
	s_wait_alu 0xfffe
	s_or_b32 exec_lo, exec_lo, s4
	v_add3_u32 v5, v1, s13, 32
	s_delay_alu instid0(VALU_DEP_1)
	v_cmp_gt_u32_e64 s3, s6, v5
	s_and_b32 exec_lo, exec_lo, s3
	s_cbranch_execz .LBB166_60
; %bb.37:
	v_mul_lo_u32 v5, v5, s12
	s_and_saveexec_b32 s4, vcc_lo
	s_cbranch_execnz .LBB166_70
; %bb.38:
	s_wait_alu 0xfffe
	s_or_b32 exec_lo, exec_lo, s4
	s_and_saveexec_b32 s4, s0
	s_cbranch_execnz .LBB166_71
.LBB166_39:
	s_wait_alu 0xfffe
	s_or_b32 exec_lo, exec_lo, s4
	s_and_saveexec_b32 s4, s1
	s_cbranch_execnz .LBB166_72
.LBB166_40:
	s_wait_alu 0xfffe
	s_or_b32 exec_lo, exec_lo, s4
	s_and_saveexec_b32 s4, s2
	s_cbranch_execz .LBB166_42
.LBB166_41:
	v_bfe_u32 v6, v65, 16, 1
	v_add_nc_u32_e32 v5, v5, v4
	v_cmp_o_f32_e64 s3, v65, v65
	s_delay_alu instid0(VALU_DEP_3) | instskip(SKIP_1) | instid1(VALU_DEP_2)
	v_add3_u32 v7, v65, v6, 0x7fff
	v_mov_b32_e32 v6, 0
	v_lshrrev_b32_e32 v7, 16, v7
	s_delay_alu instid0(VALU_DEP_2) | instskip(SKIP_1) | instid1(VALU_DEP_2)
	v_lshlrev_b64_e32 v[5:6], 1, v[5:6]
	s_wait_alu 0xf1ff
	v_cndmask_b32_e64 v7, 0x7fc0, v7, s3
	s_wait_kmcnt 0x0
	s_delay_alu instid0(VALU_DEP_2)
	v_add_co_u32 v5, s3, s8, v5
	s_wait_alu 0xf1ff
	v_add_co_ci_u32_e64 v6, null, s9, v6, s3
	global_store_b16 v[5:6], v7, off
.LBB166_42:
	s_wait_alu 0xfffe
	s_or_b32 exec_lo, exec_lo, s4
	v_add3_u32 v5, v1, s13, 40
	s_delay_alu instid0(VALU_DEP_1)
	v_cmp_gt_u32_e64 s3, s6, v5
	s_and_b32 exec_lo, exec_lo, s3
	s_cbranch_execz .LBB166_60
; %bb.43:
	v_mul_lo_u32 v5, v5, s12
	s_and_saveexec_b32 s4, vcc_lo
	s_cbranch_execnz .LBB166_73
; %bb.44:
	s_wait_alu 0xfffe
	s_or_b32 exec_lo, exec_lo, s4
	s_and_saveexec_b32 s4, s0
	s_cbranch_execnz .LBB166_74
.LBB166_45:
	s_wait_alu 0xfffe
	s_or_b32 exec_lo, exec_lo, s4
	s_and_saveexec_b32 s4, s1
	s_cbranch_execnz .LBB166_75
.LBB166_46:
	s_wait_alu 0xfffe
	s_or_b32 exec_lo, exec_lo, s4
	s_and_saveexec_b32 s4, s2
	s_cbranch_execz .LBB166_48
.LBB166_47:
	v_bfe_u32 v6, v61, 16, 1
	v_add_nc_u32_e32 v5, v5, v4
	v_cmp_o_f32_e64 s3, v61, v61
	s_delay_alu instid0(VALU_DEP_3) | instskip(SKIP_1) | instid1(VALU_DEP_2)
	v_add3_u32 v7, v61, v6, 0x7fff
	v_mov_b32_e32 v6, 0
	v_lshrrev_b32_e32 v7, 16, v7
	s_delay_alu instid0(VALU_DEP_2) | instskip(SKIP_1) | instid1(VALU_DEP_2)
	v_lshlrev_b64_e32 v[5:6], 1, v[5:6]
	s_wait_alu 0xf1ff
	v_cndmask_b32_e64 v7, 0x7fc0, v7, s3
	s_wait_kmcnt 0x0
	s_delay_alu instid0(VALU_DEP_2)
	v_add_co_u32 v5, s3, s8, v5
	s_wait_alu 0xf1ff
	v_add_co_ci_u32_e64 v6, null, s9, v6, s3
	global_store_b16 v[5:6], v7, off
.LBB166_48:
	s_wait_alu 0xfffe
	s_or_b32 exec_lo, exec_lo, s4
	v_add3_u32 v5, v1, s13, 48
	s_delay_alu instid0(VALU_DEP_1)
	v_cmp_gt_u32_e64 s3, s6, v5
	s_and_b32 exec_lo, exec_lo, s3
	s_cbranch_execz .LBB166_60
; %bb.49:
	v_mul_lo_u32 v5, v5, s12
	s_and_saveexec_b32 s4, vcc_lo
	s_cbranch_execnz .LBB166_76
; %bb.50:
	s_wait_alu 0xfffe
	s_or_b32 exec_lo, exec_lo, s4
	s_and_saveexec_b32 s4, s0
	s_cbranch_execnz .LBB166_77
.LBB166_51:
	s_wait_alu 0xfffe
	s_or_b32 exec_lo, exec_lo, s4
	s_and_saveexec_b32 s4, s1
	s_cbranch_execnz .LBB166_78
.LBB166_52:
	s_wait_alu 0xfffe
	s_or_b32 exec_lo, exec_lo, s4
	s_and_saveexec_b32 s4, s2
	s_cbranch_execz .LBB166_54
.LBB166_53:
	v_bfe_u32 v6, v57, 16, 1
	v_add_nc_u32_e32 v5, v5, v4
	v_cmp_o_f32_e64 s3, v57, v57
	s_delay_alu instid0(VALU_DEP_3) | instskip(SKIP_1) | instid1(VALU_DEP_2)
	v_add3_u32 v7, v57, v6, 0x7fff
	v_mov_b32_e32 v6, 0
	v_lshrrev_b32_e32 v7, 16, v7
	s_delay_alu instid0(VALU_DEP_2) | instskip(SKIP_1) | instid1(VALU_DEP_2)
	v_lshlrev_b64_e32 v[5:6], 1, v[5:6]
	s_wait_alu 0xf1ff
	v_cndmask_b32_e64 v7, 0x7fc0, v7, s3
	s_wait_kmcnt 0x0
	s_delay_alu instid0(VALU_DEP_2)
	v_add_co_u32 v5, s3, s8, v5
	s_wait_alu 0xf1ff
	v_add_co_ci_u32_e64 v6, null, s9, v6, s3
	global_store_b16 v[5:6], v7, off
.LBB166_54:
	s_wait_alu 0xfffe
	s_or_b32 exec_lo, exec_lo, s4
	v_add3_u32 v1, v1, s13, 56
	s_delay_alu instid0(VALU_DEP_1)
	v_cmp_gt_u32_e64 s3, s6, v1
	s_and_b32 exec_lo, exec_lo, s3
	s_cbranch_execz .LBB166_60
; %bb.55:
	v_mul_lo_u32 v1, v1, s12
	s_and_saveexec_b32 s3, vcc_lo
	s_cbranch_execnz .LBB166_79
; %bb.56:
	s_wait_alu 0xfffe
	s_or_b32 exec_lo, exec_lo, s3
	s_and_saveexec_b32 s3, s0
	s_cbranch_execnz .LBB166_80
.LBB166_57:
	s_wait_alu 0xfffe
	s_or_b32 exec_lo, exec_lo, s3
	s_and_saveexec_b32 s0, s1
	s_cbranch_execnz .LBB166_81
.LBB166_58:
	s_wait_alu 0xfffe
	s_or_b32 exec_lo, exec_lo, s0
	s_delay_alu instid0(SALU_CYCLE_1)
	s_and_b32 exec_lo, exec_lo, s2
	s_cbranch_execz .LBB166_60
.LBB166_59:
	v_bfe_u32 v2, v53, 16, 1
	v_dual_mov_b32 v1, 0 :: v_dual_add_nc_u32 v0, v1, v4
	v_cmp_o_f32_e32 vcc_lo, v53, v53
	s_delay_alu instid0(VALU_DEP_3) | instskip(NEXT) | instid1(VALU_DEP_3)
	v_add3_u32 v2, v53, v2, 0x7fff
	v_lshlrev_b64_e32 v[0:1], 1, v[0:1]
	s_delay_alu instid0(VALU_DEP_2) | instskip(SKIP_1) | instid1(VALU_DEP_1)
	v_lshrrev_b32_e32 v2, 16, v2
	s_wait_alu 0xfffd
	v_cndmask_b32_e32 v2, 0x7fc0, v2, vcc_lo
	s_wait_kmcnt 0x0
	s_delay_alu instid0(VALU_DEP_3)
	v_add_co_u32 v0, vcc_lo, s8, v0
	s_wait_alu 0xfffd
	v_add_co_ci_u32_e64 v1, null, s9, v1, vcc_lo
	global_store_b16 v[0:1], v2, off
.LBB166_60:
	s_nop 0
	s_sendmsg sendmsg(MSG_DEALLOC_VGPRS)
	s_endpgm
.LBB166_61:
	v_bfe_u32 v7, v90, 16, 1
	s_delay_alu instid0(VALU_DEP_2) | instskip(SKIP_1) | instid1(VALU_DEP_3)
	v_add_nc_u32_e32 v6, v5, v0
	v_cmp_o_f32_e64 s3, v90, v90
	v_add3_u32 v8, v90, v7, 0x7fff
	v_mov_b32_e32 v7, 0
	s_delay_alu instid0(VALU_DEP_2) | instskip(NEXT) | instid1(VALU_DEP_2)
	v_lshrrev_b32_e32 v8, 16, v8
	v_lshlrev_b64_e32 v[6:7], 1, v[6:7]
	s_wait_alu 0xf1ff
	s_delay_alu instid0(VALU_DEP_2) | instskip(SKIP_1) | instid1(VALU_DEP_2)
	v_cndmask_b32_e64 v8, 0x7fc0, v8, s3
	s_wait_kmcnt 0x0
	v_add_co_u32 v6, s3, s8, v6
	s_wait_alu 0xf1ff
	v_add_co_ci_u32_e64 v7, null, s9, v7, s3
	global_store_b16 v[6:7], v8, off
	s_wait_alu 0xfffe
	s_or_b32 exec_lo, exec_lo, s4
	s_and_saveexec_b32 s4, s0
	s_cbranch_execz .LBB166_21
.LBB166_62:
	v_bfe_u32 v7, v89, 16, 1
	v_add_nc_u32_e32 v6, v5, v2
	v_cmp_o_f32_e64 s3, v89, v89
	s_delay_alu instid0(VALU_DEP_3) | instskip(SKIP_1) | instid1(VALU_DEP_2)
	v_add3_u32 v8, v89, v7, 0x7fff
	v_mov_b32_e32 v7, 0
	v_lshrrev_b32_e32 v8, 16, v8
	s_delay_alu instid0(VALU_DEP_2) | instskip(SKIP_1) | instid1(VALU_DEP_2)
	v_lshlrev_b64_e32 v[6:7], 1, v[6:7]
	s_wait_alu 0xf1ff
	v_cndmask_b32_e64 v8, 0x7fc0, v8, s3
	s_wait_kmcnt 0x0
	s_delay_alu instid0(VALU_DEP_2)
	v_add_co_u32 v6, s3, s8, v6
	s_wait_alu 0xf1ff
	v_add_co_ci_u32_e64 v7, null, s9, v7, s3
	global_store_b16 v[6:7], v8, off
	s_wait_alu 0xfffe
	s_or_b32 exec_lo, exec_lo, s4
	s_and_saveexec_b32 s4, s1
	s_cbranch_execz .LBB166_22
.LBB166_63:
	v_bfe_u32 v7, v88, 16, 1
	v_add_nc_u32_e32 v6, v5, v3
	v_cmp_o_f32_e64 s3, v88, v88
	s_delay_alu instid0(VALU_DEP_3) | instskip(SKIP_1) | instid1(VALU_DEP_2)
	v_add3_u32 v8, v88, v7, 0x7fff
	v_mov_b32_e32 v7, 0
	v_lshrrev_b32_e32 v8, 16, v8
	s_delay_alu instid0(VALU_DEP_2) | instskip(SKIP_1) | instid1(VALU_DEP_2)
	v_lshlrev_b64_e32 v[6:7], 1, v[6:7]
	s_wait_alu 0xf1ff
	v_cndmask_b32_e64 v8, 0x7fc0, v8, s3
	s_wait_kmcnt 0x0
	s_delay_alu instid0(VALU_DEP_2)
	v_add_co_u32 v6, s3, s8, v6
	s_wait_alu 0xf1ff
	v_add_co_ci_u32_e64 v7, null, s9, v7, s3
	global_store_b16 v[6:7], v8, off
	s_wait_alu 0xfffe
	s_or_b32 exec_lo, exec_lo, s4
	s_and_saveexec_b32 s4, s2
	s_cbranch_execnz .LBB166_23
	s_branch .LBB166_24
.LBB166_64:
	v_bfe_u32 v7, v80, 16, 1
	s_delay_alu instid0(VALU_DEP_2) | instskip(SKIP_1) | instid1(VALU_DEP_3)
	v_add_nc_u32_e32 v6, v5, v0
	v_cmp_o_f32_e64 s3, v80, v80
	v_add3_u32 v8, v80, v7, 0x7fff
	v_mov_b32_e32 v7, 0
	s_delay_alu instid0(VALU_DEP_2) | instskip(NEXT) | instid1(VALU_DEP_2)
	v_lshrrev_b32_e32 v8, 16, v8
	v_lshlrev_b64_e32 v[6:7], 1, v[6:7]
	s_wait_alu 0xf1ff
	s_delay_alu instid0(VALU_DEP_2) | instskip(SKIP_1) | instid1(VALU_DEP_2)
	v_cndmask_b32_e64 v8, 0x7fc0, v8, s3
	s_wait_kmcnt 0x0
	v_add_co_u32 v6, s3, s8, v6
	s_wait_alu 0xf1ff
	v_add_co_ci_u32_e64 v7, null, s9, v7, s3
	global_store_b16 v[6:7], v8, off
	s_wait_alu 0xfffe
	s_or_b32 exec_lo, exec_lo, s4
	s_and_saveexec_b32 s4, s0
	s_cbranch_execz .LBB166_27
.LBB166_65:
	v_bfe_u32 v7, v78, 16, 1
	v_add_nc_u32_e32 v6, v5, v2
	v_cmp_o_f32_e64 s3, v78, v78
	s_delay_alu instid0(VALU_DEP_3) | instskip(SKIP_1) | instid1(VALU_DEP_2)
	v_add3_u32 v8, v78, v7, 0x7fff
	v_mov_b32_e32 v7, 0
	v_lshrrev_b32_e32 v8, 16, v8
	s_delay_alu instid0(VALU_DEP_2) | instskip(SKIP_1) | instid1(VALU_DEP_2)
	v_lshlrev_b64_e32 v[6:7], 1, v[6:7]
	s_wait_alu 0xf1ff
	v_cndmask_b32_e64 v8, 0x7fc0, v8, s3
	s_wait_kmcnt 0x0
	s_delay_alu instid0(VALU_DEP_2)
	v_add_co_u32 v6, s3, s8, v6
	s_wait_alu 0xf1ff
	v_add_co_ci_u32_e64 v7, null, s9, v7, s3
	global_store_b16 v[6:7], v8, off
	s_wait_alu 0xfffe
	s_or_b32 exec_lo, exec_lo, s4
	s_and_saveexec_b32 s4, s1
	s_cbranch_execz .LBB166_28
.LBB166_66:
	v_bfe_u32 v7, v77, 16, 1
	v_add_nc_u32_e32 v6, v5, v3
	v_cmp_o_f32_e64 s3, v77, v77
	s_delay_alu instid0(VALU_DEP_3) | instskip(SKIP_1) | instid1(VALU_DEP_2)
	v_add3_u32 v8, v77, v7, 0x7fff
	v_mov_b32_e32 v7, 0
	v_lshrrev_b32_e32 v8, 16, v8
	s_delay_alu instid0(VALU_DEP_2) | instskip(SKIP_1) | instid1(VALU_DEP_2)
	v_lshlrev_b64_e32 v[6:7], 1, v[6:7]
	s_wait_alu 0xf1ff
	v_cndmask_b32_e64 v8, 0x7fc0, v8, s3
	s_wait_kmcnt 0x0
	s_delay_alu instid0(VALU_DEP_2)
	v_add_co_u32 v6, s3, s8, v6
	s_wait_alu 0xf1ff
	v_add_co_ci_u32_e64 v7, null, s9, v7, s3
	global_store_b16 v[6:7], v8, off
	s_wait_alu 0xfffe
	s_or_b32 exec_lo, exec_lo, s4
	s_and_saveexec_b32 s4, s2
	s_cbranch_execnz .LBB166_29
	s_branch .LBB166_30
.LBB166_67:
	v_bfe_u32 v7, v74, 16, 1
	s_delay_alu instid0(VALU_DEP_2) | instskip(SKIP_1) | instid1(VALU_DEP_3)
	v_add_nc_u32_e32 v6, v5, v0
	v_cmp_o_f32_e64 s3, v74, v74
	v_add3_u32 v8, v74, v7, 0x7fff
	v_mov_b32_e32 v7, 0
	s_delay_alu instid0(VALU_DEP_2) | instskip(NEXT) | instid1(VALU_DEP_2)
	v_lshrrev_b32_e32 v8, 16, v8
	v_lshlrev_b64_e32 v[6:7], 1, v[6:7]
	s_wait_alu 0xf1ff
	s_delay_alu instid0(VALU_DEP_2) | instskip(SKIP_1) | instid1(VALU_DEP_2)
	v_cndmask_b32_e64 v8, 0x7fc0, v8, s3
	s_wait_kmcnt 0x0
	v_add_co_u32 v6, s3, s8, v6
	s_wait_alu 0xf1ff
	v_add_co_ci_u32_e64 v7, null, s9, v7, s3
	global_store_b16 v[6:7], v8, off
	s_wait_alu 0xfffe
	s_or_b32 exec_lo, exec_lo, s4
	s_and_saveexec_b32 s4, s0
	s_cbranch_execz .LBB166_33
.LBB166_68:
	v_bfe_u32 v7, v71, 16, 1
	v_add_nc_u32_e32 v6, v5, v2
	v_cmp_o_f32_e64 s3, v71, v71
	s_delay_alu instid0(VALU_DEP_3) | instskip(SKIP_1) | instid1(VALU_DEP_2)
	v_add3_u32 v8, v71, v7, 0x7fff
	v_mov_b32_e32 v7, 0
	v_lshrrev_b32_e32 v8, 16, v8
	s_delay_alu instid0(VALU_DEP_2) | instskip(SKIP_1) | instid1(VALU_DEP_2)
	v_lshlrev_b64_e32 v[6:7], 1, v[6:7]
	s_wait_alu 0xf1ff
	v_cndmask_b32_e64 v8, 0x7fc0, v8, s3
	s_wait_kmcnt 0x0
	s_delay_alu instid0(VALU_DEP_2)
	v_add_co_u32 v6, s3, s8, v6
	s_wait_alu 0xf1ff
	v_add_co_ci_u32_e64 v7, null, s9, v7, s3
	global_store_b16 v[6:7], v8, off
	s_wait_alu 0xfffe
	s_or_b32 exec_lo, exec_lo, s4
	s_and_saveexec_b32 s4, s1
	s_cbranch_execz .LBB166_34
.LBB166_69:
	v_bfe_u32 v7, v70, 16, 1
	v_add_nc_u32_e32 v6, v5, v3
	v_cmp_o_f32_e64 s3, v70, v70
	s_delay_alu instid0(VALU_DEP_3) | instskip(SKIP_1) | instid1(VALU_DEP_2)
	v_add3_u32 v8, v70, v7, 0x7fff
	v_mov_b32_e32 v7, 0
	v_lshrrev_b32_e32 v8, 16, v8
	s_delay_alu instid0(VALU_DEP_2) | instskip(SKIP_1) | instid1(VALU_DEP_2)
	v_lshlrev_b64_e32 v[6:7], 1, v[6:7]
	s_wait_alu 0xf1ff
	v_cndmask_b32_e64 v8, 0x7fc0, v8, s3
	s_wait_kmcnt 0x0
	s_delay_alu instid0(VALU_DEP_2)
	v_add_co_u32 v6, s3, s8, v6
	s_wait_alu 0xf1ff
	v_add_co_ci_u32_e64 v7, null, s9, v7, s3
	global_store_b16 v[6:7], v8, off
	s_wait_alu 0xfffe
	s_or_b32 exec_lo, exec_lo, s4
	s_and_saveexec_b32 s4, s2
	s_cbranch_execnz .LBB166_35
	s_branch .LBB166_36
.LBB166_70:
	v_bfe_u32 v7, v68, 16, 1
	s_delay_alu instid0(VALU_DEP_2) | instskip(SKIP_1) | instid1(VALU_DEP_3)
	v_add_nc_u32_e32 v6, v5, v0
	v_cmp_o_f32_e64 s3, v68, v68
	v_add3_u32 v8, v68, v7, 0x7fff
	v_mov_b32_e32 v7, 0
	s_delay_alu instid0(VALU_DEP_2) | instskip(NEXT) | instid1(VALU_DEP_2)
	v_lshrrev_b32_e32 v8, 16, v8
	v_lshlrev_b64_e32 v[6:7], 1, v[6:7]
	s_wait_alu 0xf1ff
	s_delay_alu instid0(VALU_DEP_2) | instskip(SKIP_1) | instid1(VALU_DEP_2)
	v_cndmask_b32_e64 v8, 0x7fc0, v8, s3
	s_wait_kmcnt 0x0
	v_add_co_u32 v6, s3, s8, v6
	s_wait_alu 0xf1ff
	v_add_co_ci_u32_e64 v7, null, s9, v7, s3
	global_store_b16 v[6:7], v8, off
	s_wait_alu 0xfffe
	s_or_b32 exec_lo, exec_lo, s4
	s_and_saveexec_b32 s4, s0
	s_cbranch_execz .LBB166_39
.LBB166_71:
	v_bfe_u32 v7, v67, 16, 1
	v_add_nc_u32_e32 v6, v5, v2
	v_cmp_o_f32_e64 s3, v67, v67
	s_delay_alu instid0(VALU_DEP_3) | instskip(SKIP_1) | instid1(VALU_DEP_2)
	v_add3_u32 v8, v67, v7, 0x7fff
	v_mov_b32_e32 v7, 0
	v_lshrrev_b32_e32 v8, 16, v8
	s_delay_alu instid0(VALU_DEP_2) | instskip(SKIP_1) | instid1(VALU_DEP_2)
	v_lshlrev_b64_e32 v[6:7], 1, v[6:7]
	s_wait_alu 0xf1ff
	v_cndmask_b32_e64 v8, 0x7fc0, v8, s3
	s_wait_kmcnt 0x0
	s_delay_alu instid0(VALU_DEP_2)
	v_add_co_u32 v6, s3, s8, v6
	s_wait_alu 0xf1ff
	v_add_co_ci_u32_e64 v7, null, s9, v7, s3
	global_store_b16 v[6:7], v8, off
	s_wait_alu 0xfffe
	s_or_b32 exec_lo, exec_lo, s4
	s_and_saveexec_b32 s4, s1
	s_cbranch_execz .LBB166_40
.LBB166_72:
	v_bfe_u32 v7, v66, 16, 1
	v_add_nc_u32_e32 v6, v5, v3
	v_cmp_o_f32_e64 s3, v66, v66
	s_delay_alu instid0(VALU_DEP_3) | instskip(SKIP_1) | instid1(VALU_DEP_2)
	v_add3_u32 v8, v66, v7, 0x7fff
	v_mov_b32_e32 v7, 0
	v_lshrrev_b32_e32 v8, 16, v8
	s_delay_alu instid0(VALU_DEP_2) | instskip(SKIP_1) | instid1(VALU_DEP_2)
	v_lshlrev_b64_e32 v[6:7], 1, v[6:7]
	s_wait_alu 0xf1ff
	v_cndmask_b32_e64 v8, 0x7fc0, v8, s3
	s_wait_kmcnt 0x0
	s_delay_alu instid0(VALU_DEP_2)
	v_add_co_u32 v6, s3, s8, v6
	s_wait_alu 0xf1ff
	v_add_co_ci_u32_e64 v7, null, s9, v7, s3
	global_store_b16 v[6:7], v8, off
	s_wait_alu 0xfffe
	s_or_b32 exec_lo, exec_lo, s4
	s_and_saveexec_b32 s4, s2
	s_cbranch_execnz .LBB166_41
	s_branch .LBB166_42
.LBB166_73:
	v_bfe_u32 v7, v64, 16, 1
	s_delay_alu instid0(VALU_DEP_2) | instskip(SKIP_1) | instid1(VALU_DEP_3)
	v_add_nc_u32_e32 v6, v5, v0
	v_cmp_o_f32_e64 s3, v64, v64
	v_add3_u32 v8, v64, v7, 0x7fff
	v_mov_b32_e32 v7, 0
	s_delay_alu instid0(VALU_DEP_2) | instskip(NEXT) | instid1(VALU_DEP_2)
	v_lshrrev_b32_e32 v8, 16, v8
	v_lshlrev_b64_e32 v[6:7], 1, v[6:7]
	s_wait_alu 0xf1ff
	s_delay_alu instid0(VALU_DEP_2) | instskip(SKIP_1) | instid1(VALU_DEP_2)
	v_cndmask_b32_e64 v8, 0x7fc0, v8, s3
	s_wait_kmcnt 0x0
	v_add_co_u32 v6, s3, s8, v6
	s_wait_alu 0xf1ff
	v_add_co_ci_u32_e64 v7, null, s9, v7, s3
	global_store_b16 v[6:7], v8, off
	s_wait_alu 0xfffe
	s_or_b32 exec_lo, exec_lo, s4
	s_and_saveexec_b32 s4, s0
	s_cbranch_execz .LBB166_45
.LBB166_74:
	v_bfe_u32 v7, v63, 16, 1
	v_add_nc_u32_e32 v6, v5, v2
	v_cmp_o_f32_e64 s3, v63, v63
	s_delay_alu instid0(VALU_DEP_3) | instskip(SKIP_1) | instid1(VALU_DEP_2)
	v_add3_u32 v8, v63, v7, 0x7fff
	v_mov_b32_e32 v7, 0
	v_lshrrev_b32_e32 v8, 16, v8
	s_delay_alu instid0(VALU_DEP_2) | instskip(SKIP_1) | instid1(VALU_DEP_2)
	v_lshlrev_b64_e32 v[6:7], 1, v[6:7]
	s_wait_alu 0xf1ff
	v_cndmask_b32_e64 v8, 0x7fc0, v8, s3
	s_wait_kmcnt 0x0
	s_delay_alu instid0(VALU_DEP_2)
	v_add_co_u32 v6, s3, s8, v6
	s_wait_alu 0xf1ff
	v_add_co_ci_u32_e64 v7, null, s9, v7, s3
	global_store_b16 v[6:7], v8, off
	s_wait_alu 0xfffe
	s_or_b32 exec_lo, exec_lo, s4
	s_and_saveexec_b32 s4, s1
	s_cbranch_execz .LBB166_46
.LBB166_75:
	v_bfe_u32 v7, v62, 16, 1
	v_add_nc_u32_e32 v6, v5, v3
	v_cmp_o_f32_e64 s3, v62, v62
	s_delay_alu instid0(VALU_DEP_3) | instskip(SKIP_1) | instid1(VALU_DEP_2)
	v_add3_u32 v8, v62, v7, 0x7fff
	v_mov_b32_e32 v7, 0
	v_lshrrev_b32_e32 v8, 16, v8
	s_delay_alu instid0(VALU_DEP_2) | instskip(SKIP_1) | instid1(VALU_DEP_2)
	v_lshlrev_b64_e32 v[6:7], 1, v[6:7]
	s_wait_alu 0xf1ff
	v_cndmask_b32_e64 v8, 0x7fc0, v8, s3
	s_wait_kmcnt 0x0
	s_delay_alu instid0(VALU_DEP_2)
	v_add_co_u32 v6, s3, s8, v6
	s_wait_alu 0xf1ff
	v_add_co_ci_u32_e64 v7, null, s9, v7, s3
	global_store_b16 v[6:7], v8, off
	s_wait_alu 0xfffe
	s_or_b32 exec_lo, exec_lo, s4
	s_and_saveexec_b32 s4, s2
	s_cbranch_execnz .LBB166_47
	s_branch .LBB166_48
.LBB166_76:
	v_bfe_u32 v7, v60, 16, 1
	s_delay_alu instid0(VALU_DEP_2) | instskip(SKIP_1) | instid1(VALU_DEP_3)
	v_add_nc_u32_e32 v6, v5, v0
	v_cmp_o_f32_e64 s3, v60, v60
	v_add3_u32 v8, v60, v7, 0x7fff
	v_mov_b32_e32 v7, 0
	s_delay_alu instid0(VALU_DEP_2) | instskip(NEXT) | instid1(VALU_DEP_2)
	v_lshrrev_b32_e32 v8, 16, v8
	v_lshlrev_b64_e32 v[6:7], 1, v[6:7]
	s_wait_alu 0xf1ff
	s_delay_alu instid0(VALU_DEP_2) | instskip(SKIP_1) | instid1(VALU_DEP_2)
	v_cndmask_b32_e64 v8, 0x7fc0, v8, s3
	s_wait_kmcnt 0x0
	v_add_co_u32 v6, s3, s8, v6
	s_wait_alu 0xf1ff
	v_add_co_ci_u32_e64 v7, null, s9, v7, s3
	global_store_b16 v[6:7], v8, off
	s_wait_alu 0xfffe
	s_or_b32 exec_lo, exec_lo, s4
	s_and_saveexec_b32 s4, s0
	s_cbranch_execz .LBB166_51
.LBB166_77:
	v_bfe_u32 v7, v59, 16, 1
	v_add_nc_u32_e32 v6, v5, v2
	v_cmp_o_f32_e64 s3, v59, v59
	s_delay_alu instid0(VALU_DEP_3) | instskip(SKIP_1) | instid1(VALU_DEP_2)
	v_add3_u32 v8, v59, v7, 0x7fff
	v_mov_b32_e32 v7, 0
	v_lshrrev_b32_e32 v8, 16, v8
	s_delay_alu instid0(VALU_DEP_2) | instskip(SKIP_1) | instid1(VALU_DEP_2)
	v_lshlrev_b64_e32 v[6:7], 1, v[6:7]
	s_wait_alu 0xf1ff
	v_cndmask_b32_e64 v8, 0x7fc0, v8, s3
	s_wait_kmcnt 0x0
	s_delay_alu instid0(VALU_DEP_2)
	v_add_co_u32 v6, s3, s8, v6
	s_wait_alu 0xf1ff
	v_add_co_ci_u32_e64 v7, null, s9, v7, s3
	global_store_b16 v[6:7], v8, off
	s_wait_alu 0xfffe
	s_or_b32 exec_lo, exec_lo, s4
	s_and_saveexec_b32 s4, s1
	s_cbranch_execz .LBB166_52
.LBB166_78:
	v_bfe_u32 v7, v58, 16, 1
	v_add_nc_u32_e32 v6, v5, v3
	v_cmp_o_f32_e64 s3, v58, v58
	s_delay_alu instid0(VALU_DEP_3) | instskip(SKIP_1) | instid1(VALU_DEP_2)
	v_add3_u32 v8, v58, v7, 0x7fff
	v_mov_b32_e32 v7, 0
	v_lshrrev_b32_e32 v8, 16, v8
	s_delay_alu instid0(VALU_DEP_2) | instskip(SKIP_1) | instid1(VALU_DEP_2)
	v_lshlrev_b64_e32 v[6:7], 1, v[6:7]
	s_wait_alu 0xf1ff
	v_cndmask_b32_e64 v8, 0x7fc0, v8, s3
	s_wait_kmcnt 0x0
	s_delay_alu instid0(VALU_DEP_2)
	v_add_co_u32 v6, s3, s8, v6
	s_wait_alu 0xf1ff
	v_add_co_ci_u32_e64 v7, null, s9, v7, s3
	global_store_b16 v[6:7], v8, off
	s_wait_alu 0xfffe
	s_or_b32 exec_lo, exec_lo, s4
	s_and_saveexec_b32 s4, s2
	s_cbranch_execnz .LBB166_53
	s_branch .LBB166_54
.LBB166_79:
	v_bfe_u32 v6, v56, 16, 1
	s_delay_alu instid0(VALU_DEP_2) | instskip(SKIP_1) | instid1(VALU_DEP_3)
	v_add_nc_u32_e32 v5, v1, v0
	v_cmp_o_f32_e32 vcc_lo, v56, v56
	v_add3_u32 v0, v56, v6, 0x7fff
	v_mov_b32_e32 v6, 0
	s_delay_alu instid0(VALU_DEP_2) | instskip(NEXT) | instid1(VALU_DEP_2)
	v_lshrrev_b32_e32 v0, 16, v0
	v_lshlrev_b64_e32 v[5:6], 1, v[5:6]
	s_wait_alu 0xfffd
	s_delay_alu instid0(VALU_DEP_2) | instskip(SKIP_1) | instid1(VALU_DEP_2)
	v_cndmask_b32_e32 v0, 0x7fc0, v0, vcc_lo
	s_wait_kmcnt 0x0
	v_add_co_u32 v5, vcc_lo, s8, v5
	s_wait_alu 0xfffd
	v_add_co_ci_u32_e64 v6, null, s9, v6, vcc_lo
	global_store_b16 v[5:6], v0, off
	s_wait_alu 0xfffe
	s_or_b32 exec_lo, exec_lo, s3
	s_and_saveexec_b32 s3, s0
	s_cbranch_execz .LBB166_57
.LBB166_80:
	v_bfe_u32 v0, v55, 16, 1
	v_dual_mov_b32 v6, 0 :: v_dual_add_nc_u32 v5, v1, v2
	v_cmp_o_f32_e32 vcc_lo, v55, v55
	s_delay_alu instid0(VALU_DEP_3) | instskip(NEXT) | instid1(VALU_DEP_3)
	v_add3_u32 v0, v55, v0, 0x7fff
	v_lshlrev_b64_e32 v[5:6], 1, v[5:6]
	s_delay_alu instid0(VALU_DEP_2) | instskip(SKIP_1) | instid1(VALU_DEP_1)
	v_lshrrev_b32_e32 v0, 16, v0
	s_wait_alu 0xfffd
	v_cndmask_b32_e32 v0, 0x7fc0, v0, vcc_lo
	s_wait_kmcnt 0x0
	s_delay_alu instid0(VALU_DEP_3)
	v_add_co_u32 v5, vcc_lo, s8, v5
	s_wait_alu 0xfffd
	v_add_co_ci_u32_e64 v6, null, s9, v6, vcc_lo
	global_store_b16 v[5:6], v0, off
	s_wait_alu 0xfffe
	s_or_b32 exec_lo, exec_lo, s3
	s_and_saveexec_b32 s0, s1
	s_cbranch_execz .LBB166_58
.LBB166_81:
	v_bfe_u32 v0, v54, 16, 1
	v_dual_mov_b32 v3, 0 :: v_dual_add_nc_u32 v2, v1, v3
	v_cmp_o_f32_e32 vcc_lo, v54, v54
	s_delay_alu instid0(VALU_DEP_3) | instskip(NEXT) | instid1(VALU_DEP_3)
	v_add3_u32 v0, v54, v0, 0x7fff
	v_lshlrev_b64_e32 v[2:3], 1, v[2:3]
	s_delay_alu instid0(VALU_DEP_2) | instskip(SKIP_1) | instid1(VALU_DEP_1)
	v_lshrrev_b32_e32 v0, 16, v0
	s_wait_alu 0xfffd
	v_cndmask_b32_e32 v0, 0x7fc0, v0, vcc_lo
	s_wait_kmcnt 0x0
	s_delay_alu instid0(VALU_DEP_3)
	v_add_co_u32 v2, vcc_lo, s8, v2
	s_wait_alu 0xfffd
	v_add_co_ci_u32_e64 v3, null, s9, v3, vcc_lo
	global_store_b16 v[2:3], v0, off
	s_wait_alu 0xfffe
	s_or_b32 exec_lo, exec_lo, s0
	s_delay_alu instid0(SALU_CYCLE_1)
	s_and_b32 exec_lo, exec_lo, s2
	s_cbranch_execnz .LBB166_59
	s_branch .LBB166_60
	.section	.rodata,"a",@progbits
	.p2align	6, 0x0
	.amdhsa_kernel _ZL12mul_mat_q8_0IN3c108BFloat16ELb1EEvPKvS3_PT_iiiii
		.amdhsa_group_segment_fixed_size 28224
		.amdhsa_private_segment_fixed_size 0
		.amdhsa_kernarg_size 44
		.amdhsa_user_sgpr_count 2
		.amdhsa_user_sgpr_dispatch_ptr 0
		.amdhsa_user_sgpr_queue_ptr 0
		.amdhsa_user_sgpr_kernarg_segment_ptr 1
		.amdhsa_user_sgpr_dispatch_id 0
		.amdhsa_user_sgpr_private_segment_size 0
		.amdhsa_wavefront_size32 1
		.amdhsa_uses_dynamic_stack 0
		.amdhsa_enable_private_segment 0
		.amdhsa_system_sgpr_workgroup_id_x 1
		.amdhsa_system_sgpr_workgroup_id_y 1
		.amdhsa_system_sgpr_workgroup_id_z 0
		.amdhsa_system_sgpr_workgroup_info 0
		.amdhsa_system_vgpr_workitem_id 1
		.amdhsa_next_free_vgpr 174
		.amdhsa_next_free_sgpr 18
		.amdhsa_reserve_vcc 1
		.amdhsa_float_round_mode_32 0
		.amdhsa_float_round_mode_16_64 0
		.amdhsa_float_denorm_mode_32 3
		.amdhsa_float_denorm_mode_16_64 3
		.amdhsa_fp16_overflow 0
		.amdhsa_workgroup_processor_mode 1
		.amdhsa_memory_ordered 1
		.amdhsa_forward_progress 1
		.amdhsa_inst_pref_size 96
		.amdhsa_round_robin_scheduling 0
		.amdhsa_exception_fp_ieee_invalid_op 0
		.amdhsa_exception_fp_denorm_src 0
		.amdhsa_exception_fp_ieee_div_zero 0
		.amdhsa_exception_fp_ieee_overflow 0
		.amdhsa_exception_fp_ieee_underflow 0
		.amdhsa_exception_fp_ieee_inexact 0
		.amdhsa_exception_int_div_zero 0
	.end_amdhsa_kernel
	.section	.text._ZL12mul_mat_q8_0IN3c108BFloat16ELb1EEvPKvS3_PT_iiiii,"axG",@progbits,_ZL12mul_mat_q8_0IN3c108BFloat16ELb1EEvPKvS3_PT_iiiii,comdat
.Lfunc_end166:
	.size	_ZL12mul_mat_q8_0IN3c108BFloat16ELb1EEvPKvS3_PT_iiiii, .Lfunc_end166-_ZL12mul_mat_q8_0IN3c108BFloat16ELb1EEvPKvS3_PT_iiiii
                                        ; -- End function
	.set _ZL12mul_mat_q8_0IN3c108BFloat16ELb1EEvPKvS3_PT_iiiii.num_vgpr, 174
	.set _ZL12mul_mat_q8_0IN3c108BFloat16ELb1EEvPKvS3_PT_iiiii.num_agpr, 0
	.set _ZL12mul_mat_q8_0IN3c108BFloat16ELb1EEvPKvS3_PT_iiiii.numbered_sgpr, 18
	.set _ZL12mul_mat_q8_0IN3c108BFloat16ELb1EEvPKvS3_PT_iiiii.num_named_barrier, 0
	.set _ZL12mul_mat_q8_0IN3c108BFloat16ELb1EEvPKvS3_PT_iiiii.private_seg_size, 0
	.set _ZL12mul_mat_q8_0IN3c108BFloat16ELb1EEvPKvS3_PT_iiiii.uses_vcc, 1
	.set _ZL12mul_mat_q8_0IN3c108BFloat16ELb1EEvPKvS3_PT_iiiii.uses_flat_scratch, 0
	.set _ZL12mul_mat_q8_0IN3c108BFloat16ELb1EEvPKvS3_PT_iiiii.has_dyn_sized_stack, 0
	.set _ZL12mul_mat_q8_0IN3c108BFloat16ELb1EEvPKvS3_PT_iiiii.has_recursion, 0
	.set _ZL12mul_mat_q8_0IN3c108BFloat16ELb1EEvPKvS3_PT_iiiii.has_indirect_call, 0
	.section	.AMDGPU.csdata,"",@progbits
; Kernel info:
; codeLenInByte = 12228
; TotalNumSgprs: 20
; NumVgprs: 174
; ScratchSize: 0
; MemoryBound: 0
; FloatMode: 240
; IeeeMode: 1
; LDSByteSize: 28224 bytes/workgroup (compile time only)
; SGPRBlocks: 0
; VGPRBlocks: 21
; NumSGPRsForWavesPerEU: 20
; NumVGPRsForWavesPerEU: 174
; Occupancy: 8
; WaveLimiterHint : 0
; COMPUTE_PGM_RSRC2:SCRATCH_EN: 0
; COMPUTE_PGM_RSRC2:USER_SGPR: 2
; COMPUTE_PGM_RSRC2:TRAP_HANDLER: 0
; COMPUTE_PGM_RSRC2:TGID_X_EN: 1
; COMPUTE_PGM_RSRC2:TGID_Y_EN: 1
; COMPUTE_PGM_RSRC2:TGID_Z_EN: 0
; COMPUTE_PGM_RSRC2:TIDIG_COMP_CNT: 1
	.section	.text._ZL12mul_mat_q2_KIN3c108BFloat16ELb0EEvPKvS3_PT_iiiii,"axG",@progbits,_ZL12mul_mat_q2_KIN3c108BFloat16ELb0EEvPKvS3_PT_iiiii,comdat
	.globl	_ZL12mul_mat_q2_KIN3c108BFloat16ELb0EEvPKvS3_PT_iiiii ; -- Begin function _ZL12mul_mat_q2_KIN3c108BFloat16ELb0EEvPKvS3_PT_iiiii
	.p2align	8
	.type	_ZL12mul_mat_q2_KIN3c108BFloat16ELb0EEvPKvS3_PT_iiiii,@function
_ZL12mul_mat_q2_KIN3c108BFloat16ELb0EEvPKvS3_PT_iiiii: ; @_ZL12mul_mat_q2_KIN3c108BFloat16ELb0EEvPKvS3_PT_iiiii
; %bb.0:
	s_clause 0x1
	s_load_b32 s2, s[0:1], 0x18
	s_load_b96 s[4:6], s[0:1], 0x20
	v_bfe_u32 v1, v0, 10, 10
	s_lshl_b32 s7, ttmp7, 6
	scratch_store_b32 off, v1, off offset:216 ; 4-byte Folded Spill
	v_and_b32_e32 v1, 0x3ff, v0
	scratch_store_b32 off, v1, off offset:136 ; 4-byte Folded Spill
	s_wait_kmcnt 0x0
	s_cmp_gt_i32 s2, 0xff
	s_cbranch_scc1 .LBB167_2
; %bb.1:
	v_bfe_u32 v1, v0, 10, 10
	v_and_b32_e32 v2, 0x3ff, v0
	s_mov_b32 s3, 0
	s_delay_alu instid0(VALU_DEP_2)
	v_add_nc_u32_e32 v3, s7, v1
	scratch_store_b32 off, v3, off offset:352 ; 4-byte Folded Spill
	s_branch .LBB167_3
.LBB167_2:
	s_mov_b32 s3, -1
                                        ; implicit-def: $vgpr1
                                        ; implicit-def: $vgpr2
                                        ; implicit-def: $vgpr3
                                        ; kill: killed $vgpr3
.LBB167_3:
	s_load_b64 s[8:9], s[0:1], 0x10
	v_dual_mov_b32 v68, 0 :: v_dual_mov_b32 v29, 0
	v_dual_mov_b32 v110, 0 :: v_dual_mov_b32 v11, 0
	;; [unrolled: 1-line block ×12, first 2 shown]
	v_mov_b32_e32 v18, 0
	v_mov_b32_e32 v94, 0
	v_mov_b32_e32 v6, 0
	v_mov_b32_e32 v8, 0
	v_mov_b32_e32 v28, 0
	v_mov_b32_e32 v32, 0
	v_mov_b32_e32 v52, 0
	v_mov_b32_e32 v34, 0
	s_and_not1_b32 vcc_lo, exec_lo, s3
	s_lshl_b32 s14, ttmp9, 7
	s_cbranch_vccnz .LBB167_15
; %bb.4:
	s_ashr_i32 s3, s2, 31
	v_bfe_u32 v33, v0, 10, 10
	s_lshr_b32 s3, s3, 24
	s_add_co_i32 s10, s4, -1
	s_add_co_i32 s2, s2, s3
	v_cvt_f64_i32_e32 v[1:2], s10
	s_ashr_i32 s15, s2, 8
	v_lshlrev_b32_e32 v37, 5, v33
	s_lshl_b32 s11, s15, 3
	v_add_nc_u32_e32 v14, s7, v33
	s_wait_alu 0xfffe
	v_mad_i32_i24 v6, s15, v33, s11
	v_mov_b32_e32 v52, 0
	v_mov_b32_e32 v94, 0
	v_and_b32_e32 v36, 0x3ff, v0
	v_add_nc_u32_e32 v5, 8, v14
	v_add_nc_u32_e32 v7, 16, v14
	;; [unrolled: 1-line block ×5, first 2 shown]
	v_cvt_f64_u32_e32 v[3:4], v14
	v_add_nc_u32_e32 v13, 40, v14
	scratch_store_b32 off, v6, off offset:220 ; 4-byte Folded Spill
	v_cvt_f64_u32_e32 v[5:6], v5
	v_add_nc_u32_e32 v15, 48, v14
	v_cvt_f64_u32_e32 v[7:8], v7
	v_cvt_f64_u32_e32 v[9:10], v9
	v_dual_mov_b32 v45, 0 :: v_dual_add_nc_u32 v18, s11, v12
	scratch_store_b32 off, v12, off offset:224 ; 4-byte Folded Spill
	v_cvt_f64_u32_e32 v[11:12], v11
	v_add_nc_u32_e32 v17, 56, v14
	scratch_store_b32 off, v14, off offset:352 ; 4-byte Folded Spill
	v_cvt_f64_u32_e32 v[13:14], v13
	v_cvt_f64_u32_e32 v[15:16], v15
	v_add_nc_u32_e32 v19, s11, v18
	scratch_store_b32 off, v18, off offset:228 ; 4-byte Folded Spill
	v_cvt_f64_u32_e32 v[17:18], v17
	v_bfe_u32 v27, v0, 1, 9
	v_and_b32_e32 v30, 1, v0
	v_add_nc_u32_e32 v22, s11, v19
	scratch_store_b32 off, v19, off offset:232 ; 4-byte Folded Spill
	v_lshlrev_b32_e32 v19, 2, v36
	v_lshl_add_u32 v27, v33, 4, v27
	v_mov_b32_e32 v92, 0
	v_add_nc_u32_e32 v26, s11, v22
	s_clause 0x1
	scratch_store_b32 off, v22, off offset:240
	scratch_store_b32 off, v30, off offset:252
	v_and_b32_e32 v34, 60, v19
	v_lshlrev_b32_e32 v30, 2, v30
	v_add_nc_u32_e32 v29, s11, v26
	scratch_store_b32 off, v26, off offset:244 ; 4-byte Folded Spill
	v_bfe_u32 v28, v0, 3, 7
	v_mov_b32_e32 v62, 0
	s_ashr_i32 s12, s5, 31
	scratch_store_b32 off, v29, off offset:248 ; 4-byte Folded Spill
	v_add_nc_u32_e32 v32, s11, v29
	v_and_b32_e32 v29, 7, v0
	v_min_num_f64_e32 v[3:4], v[3:4], v[1:2]
	v_lshl_add_u32 v28, v33, 2, v28
	s_lshr_b32 s12, s12, 27
	v_min_num_f64_e32 v[5:6], v[5:6], v[1:2]
	v_cmp_lt_u32_e32 vcc_lo, 3, v29
	v_min_num_f64_e32 v[7:8], v[7:8], v[1:2]
	v_min_num_f64_e32 v[9:10], v[9:10], v[1:2]
	s_add_co_i32 s5, s5, s12
	v_bfe_u32 v31, v0, 4, 6
	s_ashr_i32 s5, s5, 5
	v_min_num_f64_e32 v[11:12], v[11:12], v[1:2]
	v_add_nc_u32_e32 v20, 8, v33
	v_add_nc_u32_e32 v21, 16, v33
	v_min_num_f64_e32 v[13:14], v[13:14], v[1:2]
	v_min_num_f64_e32 v[15:16], v[15:16], v[1:2]
	s_load_b128 s[0:3], s[0:1], 0x0
	v_dual_mov_b32 v93, 0 :: v_dual_add_nc_u32 v22, 24, v33
	v_min_num_f64_e32 v[1:2], v[17:18], v[1:2]
	v_and_b32_e32 v18, 0x7f, v27
	v_lshrrev_b32_e32 v27, 2, v27
	v_lshlrev_b32_e32 v17, 2, v29
	v_lshlrev_b32_e32 v29, 5, v28
	v_add_nc_u32_e32 v23, 32, v33
	v_lshl_or_b32 v30, v18, 3, v30
	v_mul_i32_i24_e32 v18, s15, v18
	v_and_b32_e32 v27, 28, v27
	v_lshlrev_b32_e32 v71, 5, v22
	v_dual_mov_b32 v41, 0 :: v_dual_add_nc_u32 v24, 40, v33
	v_add_nc_u32_e32 v25, 48, v33
	v_add_nc_u32_e32 v26, 56, v33
	s_mul_i32 s12, s15, s14
	s_delay_alu instid0(VALU_DEP_3)
	v_lshlrev_b32_e32 v73, 5, v24
	s_ashr_i32 s13, s12, 31
	v_lshlrev_b32_e32 v79, 2, v31
	s_mul_u64 s[12:13], s[12:13], 0x54
	v_mov_b32_e32 v68, 0
	v_cvt_i32_f64_e32 v3, v[3:4]
	s_wait_kmcnt 0x0
	s_add_nc_u64 s[0:1], s[0:1], s[12:13]
	s_clause 0x1
	scratch_store_b32 off, v34, off offset:264
	scratch_store_b32 off, v18, off offset:292
	v_cvt_i32_f64_e32 v4, v[5:6]
	v_cvt_i32_f64_e32 v6, v[7:8]
	;; [unrolled: 1-line block ×3, first 2 shown]
	v_mad_u32_u24 v34, 0x84, v33, v19
	v_add3_u32 v18, v30, v27, 0x7280
	v_add_nc_u32_e32 v27, 32, v28
	v_cvt_i32_f64_e32 v9, v[11:12]
	v_bfe_u32 v11, v0, 2, 8
	v_add_nc_u32_e32 v8, 64, v28
	v_cvt_i32_f64_e32 v10, v[13:14]
	v_add_nc_u32_e32 v14, 0x60, v28
	v_dual_mov_b32 v110, 0 :: v_dual_and_b32 v5, 0xffc, v27
	v_lshlrev_b32_e32 v78, 2, v11
	v_cvt_i32_f64_e32 v2, v[1:2]
	v_lshl_add_u32 v1, v33, 3, v11
	v_mov_b32_e32 v11, 0
	scratch_store_b32 off, v32, off offset:256 ; 4-byte Folded Spill
	v_add_nc_u32_e32 v32, s11, v32
	scratch_store_b32 off, v34, off offset:268 ; 4-byte Folded Spill
	v_cvt_i32_f64_e32 v12, v[15:16]
	v_and_b32_e32 v13, 0xffc, v8
	v_lshlrev_b32_e32 v15, 5, v27
	scratch_store_b32 off, v32, off offset:260 ; 4-byte Folded Spill
	v_add_nc_u32_e32 v32, s11, v32
	v_and_b32_e32 v16, 0xffc, v14
	v_and_b32_e32 v27, 63, v1
	;; [unrolled: 1-line block ×3, first 2 shown]
	v_add3_u32 v5, v5, v17, 0x6200
	scratch_store_b32 off, v32, off offset:272 ; 4-byte Folded Spill
	v_add_nc_u32_e32 v32, s11, v32
	v_add3_u32 v13, v13, v17, 0x6200
	v_add3_u32 v16, v16, v17, 0x6200
	v_and_b32_e32 v0, 31, v0
	v_lshlrev_b32_e32 v8, 5, v8
	scratch_store_b32 off, v32, off offset:276 ; 4-byte Folded Spill
	v_add_nc_u32_e32 v32, s11, v32
	v_lshlrev_b32_e32 v14, 5, v14
	v_lshl_or_b32 v0, v0, 2, 0x4200
	scratch_store_b32 off, v32, off offset:280 ; 4-byte Folded Spill
	v_add_nc_u32_e32 v32, s11, v32
	s_delay_alu instid0(VALU_DEP_1)
	v_add_nc_u32_e32 v34, s11, v32
	s_clause 0x2
	scratch_store_b32 off, v32, off offset:284
	scratch_store_b32 off, v18, off offset:296
	;; [unrolled: 1-line block ×3, first 2 shown]
	v_add_nc_u32_e32 v18, s11, v34
	s_lshl_b32 s11, s15, 5
	v_and_b32_e32 v32, 0x7fc, v28
	s_wait_alu 0xfffe
	v_mad_i32_i24 v30, s15, v28, s11
	s_clause 0x1
	scratch_store_b32 off, v31, off offset:236
	scratch_store_b32 off, v18, off offset:300
	v_cndmask_b32_e64 v18, 0, 1, vcc_lo
	v_mov_b32_e32 v31, 0
	scratch_store_b32 off, v18, off offset:304 ; 4-byte Folded Spill
	v_and_b32_e32 v18, 12, v19
	scratch_store_b32 off, v18, off offset:308 ; 4-byte Folded Spill
	v_mul_i32_i24_e32 v18, s15, v28
	v_add_nc_u32_e32 v28, s11, v30
	s_clause 0x1
	scratch_store_b32 off, v18, off offset:312
	scratch_store_b32 off, v28, off offset:320
	v_add_nc_u32_e32 v28, s11, v28
	v_add3_u32 v18, v32, v17, 0x6200
	v_or_b32_e32 v17, s7, v27
	s_mov_b32 s11, 0
	scratch_store_b32 off, v28, off offset:324 ; 4-byte Folded Spill
	v_lshlrev_b32_e32 v28, 2, v1
	v_min_i32_e32 v17, s10, v17
	s_wait_alu 0xfffe
	s_mov_b32 s10, s11
	s_delay_alu instid0(VALU_DEP_2) | instskip(NEXT) | instid1(VALU_DEP_2)
	v_lshl_or_b32 v27, v27, 4, v28
	v_mad_co_u64_u32 v[34:35], null, v17, s5, v[1:2]
	v_mul_lo_u32 v2, s5, v2
	s_delay_alu instid0(VALU_DEP_3)
	v_add_nc_u32_e32 v1, 0x76a0, v27
	v_add_nc_u32_e32 v27, 0x60, v36
	scratch_store_b32 off, v1, off offset:140 ; 4-byte Folded Spill
	v_mul_lo_u32 v1, s5, v3
	v_mul_lo_u32 v3, s5, v4
	;; [unrolled: 1-line block ×4, first 2 shown]
	v_lshlrev_b32_e32 v132, 5, v27
	v_lshlrev_b32_e32 v133, 3, v27
	v_mul_lo_u32 v7, s5, v9
	v_mul_lo_u32 v9, s5, v10
	s_clause 0x3
	scratch_store_b32 off, v1, off offset:144
	scratch_store_b32 off, v3, off offset:148
	;; [unrolled: 1-line block ×4, first 2 shown]
	v_lshlrev_b32_e32 v1, 7, v33
	v_lshlrev_b32_e32 v3, 7, v20
	;; [unrolled: 1-line block ×4, first 2 shown]
	s_delay_alu instid0(VALU_DEP_4)
	v_dual_mov_b32 v22, 0 :: v_dual_add_nc_u32 v1, v0, v1
	scratch_store_b32 off, v2, off offset:172 ; 4-byte Folded Spill
	v_and_b32_e32 v19, 28, v19
	scratch_store_b32 off, v7, off offset:160 ; 4-byte Folded Spill
	v_mul_lo_u32 v10, s5, v12
	scratch_store_b32 off, v1, off offset:184 ; 4-byte Folded Spill
	v_add_nc_u32_e32 v1, v0, v3
	scratch_store_b32 off, v30, off offset:316 ; 4-byte Folded Spill
	v_add_co_u32 v19, s5, s2, v19
	s_clause 0x1
	scratch_store_b32 off, v9, off offset:164
	scratch_store_b32 off, v1, off offset:188
	v_add_nc_u32_e32 v1, v0, v4
	scratch_store_b64 off, v[34:35], off offset:328 ; 8-byte Folded Spill
	v_lshrrev_b32_e32 v34, 2, v27
	v_lshrrev_b32_e32 v35, 4, v27
	v_dual_mov_b32 v27, 0 :: v_dual_add_nc_u32 v2, 32, v36
	scratch_store_b32 off, v1, off offset:192 ; 4-byte Folded Spill
	v_add_nc_u32_e32 v1, v0, v6
	v_lshlrev_b32_e32 v9, 7, v24
	v_add_nc_u32_e32 v17, 64, v36
	v_lshrrev_b32_e32 v30, 4, v2
	v_lshrrev_b32_e32 v28, 2, v2
	v_lshlrev_b32_e32 v122, 5, v2
	v_lshlrev_b32_e32 v123, 3, v2
	v_add_nc_u32_e32 v2, v18, v29
	v_dual_mov_b32 v30, 0 :: v_dual_lshlrev_b32 v125, 2, v30
	v_lshlrev_b32_e32 v7, 7, v23
	s_clause 0x1
	scratch_store_b32 off, v1, off offset:196
	scratch_store_b32 off, v2, off offset:336
	v_add_nc_u32_e32 v2, v5, v15
	v_lshrrev_b32_e32 v32, 2, v17
	v_add_nc_u32_e32 v1, v0, v7
	v_mov_b32_e32 v7, 0
	v_lshlrev_b32_e32 v69, 5, v20
	s_wait_alu 0xf1ff
	v_add_co_ci_u32_e64 v20, null, s3, 0, s5
	scratch_store_b32 off, v10, off offset:168 ; 4-byte Folded Spill
	v_lshrrev_b32_e32 v33, 4, v17
	s_clause 0x2
	scratch_store_b32 off, v2, off offset:340
	scratch_store_b32 off, v1, off offset:200
	scratch_store_b64 off, v[19:20], off offset:176
	v_add_nc_u32_e32 v2, v13, v8
	v_add_nc_u32_e32 v1, v0, v9
	v_dual_mov_b32 v19, 0 :: v_dual_lshlrev_b32 v12, 7, v26
	v_dual_mov_b32 v26, 0 :: v_dual_lshlrev_b32 v111, 5, v26
	v_lshlrev_b32_e32 v10, 7, v25
	v_lshlrev_b32_e32 v72, 5, v23
	v_mul_u32_u24_e32 v75, 0x84, v36
	v_lshlrev_b32_e32 v76, 5, v36
	v_lshlrev_b32_e32 v77, 3, v36
	v_lshlrev_b32_e32 v130, 5, v17
	v_lshlrev_b32_e32 v131, 3, v17
	s_clause 0x1
	scratch_store_b32 off, v2, off offset:344
	scratch_store_b32 off, v1, off offset:204
	v_add_nc_u32_e32 v2, v16, v14
	v_add_nc_u32_e32 v1, v0, v10
	;; [unrolled: 1-line block ×3, first 2 shown]
	v_lshlrev_b32_e32 v124, 2, v28
	v_lshlrev_b32_e32 v134, 2, v32
	;; [unrolled: 1-line block ×4, first 2 shown]
	v_dual_mov_b32 v34, 0 :: v_dual_lshlrev_b32 v137, 2, v35
	v_mov_b32_e32 v32, 0
	v_dual_mov_b32 v28, 0 :: v_dual_mov_b32 v23, 0
	v_mov_b32_e32 v8, 0
	v_mov_b32_e32 v6, 0
	v_dual_mov_b32 v18, 0 :: v_dual_mov_b32 v5, 0
	v_dual_mov_b32 v14, 0 :: v_dual_mov_b32 v15, 0
	;; [unrolled: 1-line block ×3, first 2 shown]
	v_mov_b32_e32 v24, 0
	v_mov_b32_e32 v16, 0
	;; [unrolled: 1-line block ×3, first 2 shown]
	v_lshlrev_b32_e32 v70, 5, v21
	v_dual_mov_b32 v13, v37 :: v_dual_lshlrev_b32 v74, 5, v25
	s_clause 0x1b
	scratch_store_b32 off, v1, off offset:208
	scratch_store_b32 off, v2, off offset:348
	;; [unrolled: 1-line block ×28, first 2 shown]
	s_branch .LBB167_6
.LBB167_5:                              ;   in Loop: Header=BB167_6 Depth=1
	s_add_co_i32 s10, s10, 2
	s_wait_alu 0xfffe
	s_cmp_ge_i32 s10, s15
	s_cbranch_scc1 .LBB167_14
.LBB167_6:                              ; =>This Loop Header: Depth=1
                                        ;     Child Loop BB167_8 Depth 2
                                        ;       Child Loop BB167_10 Depth 3
                                        ;       Child Loop BB167_12 Depth 3
	s_clause 0x2
	scratch_load_b32 v0, off, off offset:236
	scratch_load_b32 v2, off, off offset:216
	;; [unrolled: 1-line block ×3, first 2 shown]
	s_wait_alu 0xfffe
	s_mul_u64 s[12:13], s[10:11], 0x54
	s_lshl_b32 s5, s10, 3
	s_wait_alu 0xfffe
	s_add_nc_u64 s[12:13], s[0:1], s[12:13]
	scratch_load_b32 v9, off, off offset:264 ; 4-byte Folded Reload
	s_wait_loadcnt 0x3
	s_wait_alu 0xfffe
	v_mad_co_u64_u32 v[0:1], null, 0x54, v0, s[12:13]
	s_wait_loadcnt 0x2
	v_mul_i32_i24_e32 v2, s15, v2
	s_wait_loadcnt 0x1
	s_delay_alu instid0(VALU_DEP_2) | instskip(SKIP_3) | instid1(VALU_DEP_1)
	v_mad_co_u64_u32 v[20:21], null, 0x54, v4, v[0:1]
	scratch_load_b32 v4, off, off offset:224 ; 4-byte Folded Reload
	v_mad_co_u64_u32 v[2:3], null, 0x54, v2, v[0:1]
	s_wait_loadcnt 0x1
	v_add_co_u32 v2, vcc_lo, v2, v9
	s_wait_alu 0xfffd
	s_delay_alu instid0(VALU_DEP_2)
	v_add_co_ci_u32_e64 v3, null, 0, v3, vcc_lo
	v_add_co_u32 v20, vcc_lo, v20, v9
	s_wait_alu 0xfffd
	v_add_co_ci_u32_e64 v21, null, 0, v21, vcc_lo
	s_wait_loadcnt 0x0
	v_mad_co_u64_u32 v[37:38], null, 0x54, v4, v[0:1]
	scratch_load_b32 v4, off, off offset:228 ; 4-byte Folded Reload
	v_add_co_u32 v37, vcc_lo, v37, v9
	s_wait_alu 0xfffd
	v_add_co_ci_u32_e64 v38, null, 0, v38, vcc_lo
	s_wait_loadcnt 0x0
	v_mad_co_u64_u32 v[39:40], null, 0x54, v4, v[0:1]
	scratch_load_b32 v4, off, off offset:232 ; 4-byte Folded Reload
	;; [unrolled: 6-line block ×6, first 2 shown]
	v_add_co_u32 v50, vcc_lo, v50, v9
	s_wait_alu 0xfffd
	v_add_co_ci_u32_e64 v51, null, 0, v51, vcc_lo
	s_clause 0x7
	global_load_b32 v25, v[2:3], off offset:16
	global_load_b32 v33, v[20:21], off offset:16
	;; [unrolled: 1-line block ×8, first 2 shown]
	scratch_load_b32 v2, off, off offset:260 ; 4-byte Folded Reload
	s_wait_loadcnt 0x9
	v_mad_co_u64_u32 v[53:54], null, 0x54, v4, v[0:1]
	scratch_load_b32 v4, off, off offset:272 ; 4-byte Folded Reload
	v_add_co_u32 v20, vcc_lo, v53, v9
	s_wait_loadcnt 0x1
	v_mad_co_u64_u32 v[2:3], null, 0x54, v2, v[0:1]
	s_wait_alu 0xfffd
	v_add_co_ci_u32_e64 v21, null, 0, v54, vcc_lo
	s_delay_alu instid0(VALU_DEP_2) | instskip(SKIP_1) | instid1(VALU_DEP_3)
	v_add_co_u32 v2, vcc_lo, v2, v9
	s_wait_alu 0xfffd
	v_add_co_ci_u32_e64 v3, null, 0, v3, vcc_lo
	s_wait_loadcnt 0x0
	v_mad_co_u64_u32 v[37:38], null, 0x54, v4, v[0:1]
	scratch_load_b32 v4, off, off offset:276 ; 4-byte Folded Reload
	v_add_co_u32 v37, vcc_lo, v37, v9
	s_wait_alu 0xfffd
	v_add_co_ci_u32_e64 v38, null, 0, v38, vcc_lo
	s_wait_loadcnt 0x0
	v_mad_co_u64_u32 v[39:40], null, 0x54, v4, v[0:1]
	scratch_load_b32 v4, off, off offset:280 ; 4-byte Folded Reload
	;; [unrolled: 6-line block ×6, first 2 shown]
	s_wait_loadcnt 0x0
	v_mad_co_u64_u32 v[0:1], null, 0x54, v4, v[0:1]
	scratch_load_b32 v4, off, off offset:292 ; 4-byte Folded Reload
	s_wait_loadcnt 0x0
	v_mad_co_u64_u32 v[53:54], null, 0x54, v4, s[12:13]
	scratch_load_b32 v4, off, off offset:308 ; 4-byte Folded Reload
	s_mov_b32 s12, 0
	s_wait_loadcnt 0x0
	v_add_co_u32 v50, vcc_lo, v50, v4
	scratch_load_b32 v4, off, off offset:252 ; 4-byte Folded Reload
	s_wait_alu 0xfffd
	v_add_co_ci_u32_e64 v51, null, 0, v51, vcc_lo
	v_add_co_u32 v0, vcc_lo, v0, v9
	s_wait_alu 0xfffd
	v_add_co_ci_u32_e64 v1, null, 0, v1, vcc_lo
	s_wait_loadcnt 0x0
	v_mad_co_u64_u32 v[53:54], null, 0x54, v4, v[53:54]
	scratch_load_b32 v4, off, off offset:312 ; 4-byte Folded Reload
	s_wait_loadcnt 0x0
	v_mad_co_u64_u32 v[55:56], null, 0x54, v4, v[50:51]
	scratch_load_b32 v4, off, off offset:316 ; 4-byte Folded Reload
	;; [unrolled: 3-line block ×4, first 2 shown]
	s_wait_loadcnt 0x0
	v_mad_co_u64_u32 v[50:51], null, 0x54, v4, v[50:51]
	s_clause 0xc
	global_load_b32 v20, v[20:21], off offset:16
	global_load_b32 v2, v[2:3], off offset:16
	;; [unrolled: 1-line block ×9, first 2 shown]
	global_load_b32 v40, v[55:56], off
	global_load_b32 v42, v[57:58], off
	;; [unrolled: 1-line block ×4, first 2 shown]
	s_clause 0x1
	scratch_load_b32 v4, off, off offset:268
	scratch_load_b64 v[9:10], off, off offset:328
	s_wait_loadcnt 0x1
	v_add_nc_u32_e32 v47, 0x420, v4
	s_wait_loadcnt 0x0
	v_add_nc_u32_e32 v9, s5, v9
	v_add_nc_u32_e32 v48, 0x840, v4
	;; [unrolled: 1-line block ×15, first 2 shown]
	scratch_store_b32 off, v9, off offset:132 ; 4-byte Folded Spill
	ds_store_b32 v4, v25
	ds_store_b32 v47, v33
	;; [unrolled: 1-line block ×16, first 2 shown]
	scratch_load_b32 v0, off, off offset:296 ; 4-byte Folded Reload
	s_wait_loadcnt 0x0
	ds_store_b32 v0, v1
	scratch_load_b32 v0, off, off offset:336 ; 4-byte Folded Reload
	s_wait_loadcnt 0x0
	ds_store_b32 v0, v40
	;; [unrolled: 3-line block ×5, first 2 shown]
	s_branch .LBB167_8
.LBB167_7:                              ;   in Loop: Header=BB167_8 Depth=2
                                        ; implicit-def: $sgpr12
	s_wait_alu 0xfffe
	s_and_b32 vcc_lo, exec_lo, s13
	s_wait_alu 0xfffe
	s_cbranch_vccnz .LBB167_5
.LBB167_8:                              ;   Parent Loop BB167_6 Depth=1
                                        ; =>  This Loop Header: Depth=2
                                        ;       Child Loop BB167_10 Depth 3
                                        ;       Child Loop BB167_12 Depth 3
	s_wait_alu 0xfffe
	s_lshr_b32 s13, s12, 1
	s_wait_alu 0xfffe
	s_or_b32 s13, s13, s10
	s_wait_alu 0xfffe
	s_cmp_lt_i32 s13, s15
	s_mov_b32 s13, -1
	s_cbranch_scc0 .LBB167_7
; %bb.9:                                ;   in Loop: Header=BB167_8 Depth=2
	s_clause 0x3
	scratch_load_b32 v0, off, off offset:136
	scratch_load_b32 v2, off, off offset:148
	scratch_load_b64 v[9:10], off, off offset:176
	scratch_load_b32 v1, off, off offset:132
	s_or_b32 s16, s12, 1
	s_lshl_b32 s17, s12, 3
	s_wait_alu 0xfffe
	s_lshl_b32 s13, s16, 3
	scratch_load_b32 v3, off, off offset:152 ; 4-byte Folded Reload
	v_dual_mov_b32 v13, v18 :: v_dual_mov_b32 v18, v14
	v_mov_b32_e32 v14, v62
	v_mov_b32_e32 v62, v52
	v_dual_mov_b32 v52, v45 :: v_dual_mov_b32 v45, v41
	v_dual_mov_b32 v41, v36 :: v_dual_mov_b32 v36, v34
	v_mov_b32_e32 v34, v32
	v_dual_mov_b32 v32, v31 :: v_dual_mov_b32 v31, v30
	v_dual_mov_b32 v30, v29 :: v_dual_mov_b32 v29, v28
	v_dual_mov_b32 v28, v27 :: v_dual_mov_b32 v27, v26
	v_mov_b32_e32 v26, v24
	v_dual_mov_b32 v24, v23 :: v_dual_mov_b32 v23, v22
	v_dual_mov_b32 v22, v19 :: v_dual_mov_b32 v19, v16
	;; [unrolled: 1-line block ×3, first 2 shown]
	v_mov_b32_e32 v17, v7
	s_wait_loadcnt 0x4
	v_lshl_add_u32 v0, s12, 5, v0
	s_wait_loadcnt 0x1
	v_lshl_add_u32 v25, s12, 2, v1
	scratch_load_b32 v1, off, off offset:144 ; 4-byte Folded Reload
	v_lshrrev_b32_e32 v0, 3, v0
	v_mad_co_u64_u32 v[39:40], null, v25, 36, s[2:3]
	s_delay_alu instid0(VALU_DEP_2) | instskip(SKIP_1) | instid1(VALU_DEP_1)
	v_add_nc_u32_e32 v0, s5, v0
	s_wait_loadcnt 0x1
	v_add_nc_u32_e32 v20, v0, v3
	scratch_load_b32 v3, off, off offset:156 ; 4-byte Folded Reload
	v_add_nc_u32_e32 v2, v0, v2
	v_mad_co_i64_i32 v[20:21], null, v20, 36, v[9:10]
	s_wait_loadcnt 0x1
	v_add_nc_u32_e32 v1, v0, v1
	s_wait_loadcnt 0x0
	v_add_nc_u32_e32 v33, v0, v3
	scratch_load_b32 v3, off, off offset:160 ; 4-byte Folded Reload
	v_mad_co_i64_i32 v[37:38], null, v33, 36, v[9:10]
	s_wait_loadcnt 0x0
	v_add_nc_u32_e32 v35, v0, v3
	scratch_load_b32 v3, off, off offset:164 ; 4-byte Folded Reload
	v_mad_co_i64_i32 v[46:47], null, v35, 36, v[9:10]
	;; [unrolled: 4-line block ×4, first 2 shown]
	s_wait_loadcnt 0x0
	v_add_nc_u32_e32 v42, v0, v3
	v_mad_co_i64_i32 v[0:1], null, v1, 36, v[9:10]
	v_mad_co_i64_i32 v[2:3], null, v2, 36, v[9:10]
	s_delay_alu instid0(VALU_DEP_3)
	v_mad_co_i64_i32 v[42:43], null, v42, 36, v[9:10]
	s_clause 0x8
	global_load_b32 v25, v[39:40], off
	global_load_b32 v33, v[42:43], off offset:4
	global_load_b32 v0, v[0:1], off offset:4
	;; [unrolled: 1-line block ×8, first 2 shown]
	scratch_load_b32 v4, off, off offset:212 ; 4-byte Folded Reload
	s_wait_loadcnt 0x9
	v_cvt_f32_f16_e32 v25, v25
	s_wait_loadcnt 0x0
	ds_store_b32 v4, v33
	scratch_load_b32 v4, off, off offset:184 ; 4-byte Folded Reload
	s_wait_loadcnt 0x0
	ds_store_b32 v4, v0
	scratch_load_b32 v0, off, off offset:188 ; 4-byte Folded Reload
	;; [unrolled: 3-line block ×8, first 2 shown]
	s_wait_loadcnt 0x0
	ds_store_b32 v0, v25
	s_wait_storecnt_dscnt 0x0
	s_barrier_signal -1
	s_barrier_wait -1
	global_inv scope:SCOPE_SE
	s_clause 0x2
	scratch_store_b32 off, v5, off offset:8
	scratch_store_b32 off, v6, off
	scratch_store_b32 off, v8, off offset:4
.LBB167_10:                             ;   Parent Loop BB167_6 Depth=1
                                        ;     Parent Loop BB167_8 Depth=2
                                        ; =>    This Inner Loop Header: Depth=3
	s_clause 0x3
	scratch_store_b32 off, v94, off offset:24
	scratch_store_b32 off, v93, off offset:20
	;; [unrolled: 1-line block ×4, first 2 shown]
	scratch_load_b32 v0, off, off offset:128 ; 4-byte Folded Reload
	s_lshl_b32 s18, s17, 2
	s_and_b32 s20, s17, 0x3ffffff8
	s_wait_alu 0xfffe
	s_and_b32 s18, s18, 24
	v_lshl_add_u32 v2, s20, 2, v75
	s_and_b32 s19, s17, 6
	s_and_b32 s21, s17, 0x7ffffffe
	v_mov_b32_e32 v12, v11
	s_wait_alu 0xfffe
	s_add_co_i32 s20, s21, 0x6200
	ds_load_2addr_b32 v[20:21], v2 offset1:1
	s_lshr_b32 s21, s17, 2
	s_wait_alu 0xfffe
	v_add3_u32 v40, s20, v78, v76
	s_and_b32 s21, s21, 0x3ffffffc
	s_add_co_i32 s17, s17, 2
	s_wait_alu 0xfffe
	s_addk_co_i32 s21, 0x7280
	s_cmp_lt_u32 s17, s13
	v_mov_b32_e32 v11, v110
	s_wait_dscnt 0x0
	v_ashrrev_i32_e32 v25, s19, v20
	v_ashrrev_i32_e32 v33, s19, v21
	ds_load_2addr_b32 v[20:21], v2 offset0:2 offset1:3
	v_bfe_u32 v92, v25, 8, 2
	v_bfe_u32 v254, v25, 16, 2
	;; [unrolled: 1-line block ×6, first 2 shown]
	s_wait_dscnt 0x0
	v_ashrrev_i32_e32 v35, s19, v20
	v_ashrrev_i32_e32 v37, s19, v21
	ds_load_2addr_b32 v[20:21], v2 offset0:4 offset1:5
	v_and_b32_e32 v245, 3, v35
	v_bfe_u32 v246, v35, 8, 2
	v_bfe_u32 v247, v35, 16, 2
	;; [unrolled: 1-line block ×3, first 2 shown]
	v_and_b32_e32 v249, 3, v37
	v_bfe_u32 v250, v37, 8, 2
	v_bfe_u32 v251, v37, 16, 2
	;; [unrolled: 1-line block ×3, first 2 shown]
	s_wait_dscnt 0x0
	v_ashrrev_i32_e32 v38, s19, v20
	v_ashrrev_i32_e32 v39, s19, v21
	ds_load_2addr_b32 v[20:21], v2 offset0:6 offset1:7
	v_and_b32_e32 v60, 3, v38
	v_bfe_u32 v61, v38, 16, 2
	v_bfe_u32 v65, v38, 24, 2
	v_and_b32_e32 v35, 3, v39
	v_bfe_u32 v37, v39, 8, 2
	s_wait_dscnt 0x0
	v_ashrrev_i32_e32 v20, s19, v20
	v_ashrrev_i32_e32 v21, s19, v21
	s_delay_alu instid0(VALU_DEP_2) | instskip(NEXT) | instid1(VALU_DEP_2)
	v_bfe_u32 v44, v20, 24, 2
	v_bfe_u32 v57, v21, 8, 2
	;; [unrolled: 1-line block ×4, first 2 shown]
	s_wait_loadcnt 0x0
	v_or_b32_e32 v0, s18, v0
	s_delay_alu instid0(VALU_DEP_1)
	v_lshlrev_b32_e32 v3, 2, v0
	v_lshrrev_b32_e32 v0, 1, v0
	ds_load_b32 v1, v0 offset:30368
	s_wait_alu 0xfffe
	v_add3_u32 v0, s21, v79, v77
	ds_load_b32 v0, v0
	ds_load_u16 v40, v40
	ds_load_b128 v[78:81], v3 offset:16896
	ds_load_b128 v[82:85], v3 offset:16912
	v_and_b32_e32 v253, 3, v25
	v_and_b32_e32 v56, 3, v21
	v_and_b32_e32 v93, 3, v33
	s_wait_dscnt 0x2
	v_lshrrev_b16 v42, 8, v40
	v_bfe_u32 v43, v40, 4, 4
	v_and_b32_e32 v25, 15, v40
	v_and_b32_e32 v40, 3, v20
	s_wait_dscnt 0x0
	v_ashrrev_i32_e32 v21, 24, v82
	v_and_b32_e32 v63, 0xffff, v42
	v_mul_lo_u32 v47, 0x1010101, v43
	v_bfe_u32 v42, v20, 8, 2
	v_bfe_u32 v43, v20, 16, 2
	v_lshrrev_b16 v20, 8, v82
	v_ashrrev_i32_e32 v67, 24, v83
	v_bfe_i32 v77, v78, 0, 8
	v_bfe_i32 v76, v78, 16, 8
	;; [unrolled: 1-line block ×4, first 2 shown]
	v_lshrrev_b16 v20, 8, v83
	v_bfe_i32 v87, v79, 16, 8
	v_ashrrev_i32_e32 v71, 24, v84
	v_bfe_i32 v91, v85, 0, 8
	v_bfe_i32 v96, v85, 8, 8
	;; [unrolled: 1-line block ×3, first 2 shown]
	v_ashrrev_i32_e32 v85, 24, v85
	v_add_nc_u32_e32 v54, v67, v21
	v_ashrrev_i32_e32 v3, 24, v78
	v_bfe_i32 v49, v82, 16, 8
	v_bfe_i32 v66, v82, 0, 8
	;; [unrolled: 1-line block ×3, first 2 shown]
	v_ashrrev_i32_e32 v82, 24, v79
	v_bfe_i32 v68, v83, 16, 8
	v_bfe_i32 v70, v83, 0, 8
	;; [unrolled: 1-line block ×10, first 2 shown]
	v_add_nc_u32_e32 v55, v87, v76
	v_add_nc_u32_e32 v64, v86, v77
	;; [unrolled: 1-line block ×4, first 2 shown]
	v_lshrrev_b32_e32 v33, 4, v63
	v_add3_u32 v102, v55, v84, v98
	v_add3_u32 v101, v64, v89, v99
	v_mul_i32_i24_e32 v55, v95, v87
	v_mul_i32_i24_e32 v64, v244, v82
	v_add_nc_u32_e32 v53, v68, v49
	v_add3_u32 v107, v46, v75, v91
	v_mul_i32_i24_e32 v109, v247, v84
	v_mul_i32_i24_e32 v113, v249, v99
	;; [unrolled: 1-line block ×3, first 2 shown]
	v_add3_u32 v105, v53, v72, v97
	v_mul_i32_i24_e32 v53, v3, v255
	v_mul_i32_i24_e32 v117, v44, v71
	;; [unrolled: 1-line block ×6, first 2 shown]
	v_and_b32_e32 v63, 15, v63
	v_bfe_i32 v69, v20, 0, 8
	v_lshrrev_b16 v20, 8, v80
	v_add3_u32 v103, v54, v71, v85
	v_mul_i32_i24_e32 v54, v93, v86
	v_ashrrev_i32_e32 v80, 24, v80
	v_mul_i32_i24_e32 v46, v83, v92
	v_mul_lo_u32 v51, 0x1010101, v33
	v_bfe_u32 v33, v38, 8, 2
	v_bfe_u32 v38, v39, 16, 2
	;; [unrolled: 1-line block ×3, first 2 shown]
	v_bfe_i32 v88, v20, 0, 8
	v_lshrrev_b16 v20, 8, v81
	v_ashrrev_i32_e32 v81, 24, v81
	v_mad_i32_i24 v54, v94, v73, v54
	v_add_nc_u32_e32 v50, v69, v48
	v_mul_i32_i24_e32 v112, v248, v80
	v_bfe_i32 v90, v20, 0, 8
	v_add_nc_u32_e32 v20, v83, v73
	v_add3_u32 v100, v78, v80, v81
	v_mul_i32_i24_e32 v78, v245, v89
	v_add3_u32 v54, v54, v55, v64
	v_add3_u32 v106, v50, v74, v96
	v_mul_i32_i24_e32 v50, v76, v254
	v_add3_u32 v108, v20, v88, v90
	v_mul_i32_i24_e32 v20, v77, v253
	v_mul_i32_i24_e32 v79, v246, v88
	v_bfe_i32 v55, v51, 0, 8
	v_mul_i32_i24_e32 v114, v250, v90
	v_mul_i32_i24_e32 v116, v252, v81
	v_add3_u32 v20, v54, v78, v20
	v_lshrrev_b16 v78, 8, v47
	v_bfe_i32 v54, v51, 16, 8
	s_delay_alu instid0(VALU_DEP_3) | instskip(SKIP_2) | instid1(VALU_DEP_3)
	v_add3_u32 v20, v20, v46, v50
	v_lshrrev_b32_e32 v50, 24, v51
	v_lshrrev_b32_e32 v46, 24, v47
	v_add3_u32 v20, v20, v53, v79
	v_bfe_i32 v53, v51, 8, 8
	v_bfe_i32 v51, v78, 0, 8
	v_mul_i32_i24_e32 v78, v60, v66
	v_mul_i32_i24_e32 v79, v61, v49
	v_add3_u32 v20, v20, v109, v112
	v_mul_i32_i24_e32 v109, v65, v21
	v_mul_i32_i24_e32 v112, v38, v68
	v_mad_i32_i24 v78, v33, v48, v78
	s_delay_alu instid0(VALU_DEP_4) | instskip(SKIP_2) | instid1(VALU_DEP_4)
	v_add3_u32 v20, v20, v113, v114
	v_mul_i32_i24_e32 v113, v39, v67
	v_mul_i32_i24_e32 v114, v40, v75
	v_add3_u32 v78, v78, v79, v109
	v_mul_i32_i24_e32 v79, v35, v70
	v_mul_i32_i24_e32 v109, v37, v69
	v_add3_u32 v20, v20, v115, v116
	v_mul_i32_i24_e32 v115, v42, v74
	v_mul_i32_i24_e32 v116, v43, v72
	s_delay_alu instid0(VALU_DEP_4) | instskip(NEXT) | instid1(VALU_DEP_4)
	v_add3_u32 v78, v78, v79, v109
	v_mul_lo_u32 v64, v20, v25
	v_bfe_i32 v20, v47, 0, 8
	v_bfe_i32 v47, v47, 16, 8
	v_mul_i32_i24_e32 v79, v108, v51
	v_add3_u32 v78, v78, v112, v113
	v_mul_i32_i24_e32 v109, v107, v55
	v_mul_i32_i24_e32 v112, v106, v53
	;; [unrolled: 1-line block ×3, first 2 shown]
	s_delay_alu instid0(VALU_DEP_4) | instskip(SKIP_2) | instid1(VALU_DEP_4)
	v_add3_u32 v78, v78, v114, v115
	v_mul_i32_i24_e32 v114, v103, v50
	v_mad_i32_i24 v109, v101, v20, v109
	v_mad_i32_i24 v113, v102, v47, v113
	s_delay_alu instid0(VALU_DEP_4) | instskip(NEXT) | instid1(VALU_DEP_4)
	v_add3_u32 v78, v78, v116, v117
	v_mad_i32_i24 v114, v100, v46, v114
	s_delay_alu instid0(VALU_DEP_2) | instskip(NEXT) | instid1(VALU_DEP_2)
	v_add3_u32 v78, v78, v118, v119
	v_add3_u32 v79, v79, v112, v114
	;; [unrolled: 1-line block ×3, first 2 shown]
	s_delay_alu instid0(VALU_DEP_3) | instskip(NEXT) | instid1(VALU_DEP_3)
	v_add3_u32 v78, v78, v120, v121
	v_add3_u32 v109, v109, v113, v79
	s_delay_alu instid0(VALU_DEP_2) | instskip(SKIP_1) | instid1(VALU_DEP_3)
	v_mad_co_u64_u32 v[78:79], null, v78, v63, v[64:65]
	v_lshrrev_b32_e32 v64, 16, v0
	v_cvt_f32_i32_e32 v79, v109
	s_delay_alu instid0(VALU_DEP_2) | instskip(NEXT) | instid1(VALU_DEP_4)
	v_cvt_f32_f16_e32 v64, v64
	v_cvt_f32_i32_e32 v78, v78
	s_delay_alu instid0(VALU_DEP_2) | instskip(NEXT) | instid1(VALU_DEP_1)
	v_mul_f32_e32 v79, v64, v79
	v_fma_mix_f32 v78, v0, v78, -v79 op_sel_hi:[1,0,0]
	s_delay_alu instid0(VALU_DEP_1)
	v_fmac_f32_e32 v36, v1, v78
	v_add_nc_u32_e32 v78, 0x1080, v2
	ds_load_2addr_b32 v[78:79], v78 offset1:1
	s_wait_dscnt 0x0
	v_ashrrev_i32_e32 v109, s19, v78
	v_add_nc_u32_e32 v78, 0x1088, v2
	v_ashrrev_i32_e32 v112, s19, v79
	s_delay_alu instid0(VALU_DEP_3)
	v_and_b32_e32 v240, 3, v109
	ds_load_2addr_b32 v[78:79], v78 offset1:1
	v_and_b32_e32 v227, 3, v112
	v_bfe_u32 v228, v112, 8, 2
	v_bfe_u32 v229, v112, 16, 2
	;; [unrolled: 1-line block ×6, first 2 shown]
	v_mul_i32_i24_e32 v123, v229, v87
	v_mul_i32_i24_e32 v112, v230, v82
	;; [unrolled: 1-line block ×5, first 2 shown]
	s_wait_dscnt 0x0
	v_ashrrev_i32_e32 v113, s19, v78
	v_add_nc_u32_e32 v78, 0x1090, v2
	v_ashrrev_i32_e32 v114, s19, v79
	s_delay_alu instid0(VALU_DEP_3)
	v_and_b32_e32 v231, 3, v113
	ds_load_2addr_b32 v[78:79], v78 offset1:1
	v_bfe_u32 v233, v113, 8, 2
	v_bfe_u32 v234, v113, 16, 2
	;; [unrolled: 1-line block ×3, first 2 shown]
	v_and_b32_e32 v236, 3, v114
	v_bfe_u32 v237, v114, 8, 2
	v_mul_i32_i24_e32 v125, v233, v88
	v_mul_i32_i24_e32 v126, v234, v84
	;; [unrolled: 1-line block ×5, first 2 shown]
	v_bfe_u32 v238, v114, 16, 2
	v_bfe_u32 v239, v114, 24, 2
	s_delay_alu instid0(VALU_DEP_2) | instskip(NEXT) | instid1(VALU_DEP_2)
	v_mul_i32_i24_e32 v129, v238, v98
	v_mul_i32_i24_e32 v114, v239, v81
	s_wait_dscnt 0x0
	v_ashrrev_i32_e32 v115, s19, v78
	v_add_nc_u32_e32 v78, 0x1098, v2
	v_ashrrev_i32_e32 v116, s19, v79
	s_delay_alu instid0(VALU_DEP_3)
	v_and_b32_e32 v222, 3, v115
	ds_load_2addr_b32 v[78:79], v78 offset1:1
	v_bfe_u32 v212, v115, 8, 2
	v_bfe_u32 v225, v115, 16, 2
	;; [unrolled: 1-line block ×3, first 2 shown]
	v_and_b32_e32 v209, 3, v116
	v_bfe_u32 v210, v116, 8, 2
	v_bfe_u32 v211, v116, 16, 2
	;; [unrolled: 1-line block ×3, first 2 shown]
	s_delay_alu instid0(VALU_DEP_2) | instskip(NEXT) | instid1(VALU_DEP_2)
	v_mul_i32_i24_e32 v115, v211, v68
	v_mul_i32_i24_e32 v116, v213, v67
	s_wait_dscnt 0x0
	v_ashrrev_i32_e32 v117, s19, v78
	v_add3_u32 v78, s20, v124, v122
	ds_load_b32 v198, v118
	ds_load_u16 v78, v78
	v_mul_i32_i24_e32 v122, v227, v86
	v_mul_i32_i24_e32 v124, v231, v89
	v_and_b32_e32 v214, 3, v117
	v_bfe_u32 v215, v117, 8, 2
	v_ashrrev_i32_e32 v79, s19, v79
	v_mad_i32_i24 v122, v228, v73, v122
	v_bfe_u32 v216, v117, 16, 2
	v_bfe_u32 v217, v117, 24, 2
	s_delay_alu instid0(VALU_DEP_4) | instskip(NEXT) | instid1(VALU_DEP_4)
	v_and_b32_e32 v218, 3, v79
	v_add3_u32 v112, v122, v123, v112
	v_bfe_u32 v219, v79, 8, 2
	s_delay_alu instid0(VALU_DEP_4) | instskip(SKIP_2) | instid1(VALU_DEP_4)
	v_mul_i32_i24_e32 v117, v217, v71
	v_bfe_u32 v220, v79, 16, 2
	v_bfe_u32 v221, v79, 24, 2
	v_mul_i32_i24_e32 v122, v219, v96
	s_delay_alu instid0(VALU_DEP_3)
	v_mul_i32_i24_e32 v123, v220, v97
	s_wait_dscnt 0x0
	v_bfe_u32 v119, v78, 4, 4
	v_lshrrev_b16 v118, 8, v78
	v_and_b32_e32 v241, 15, v78
	v_mul_i32_i24_e32 v79, v221, v85
	s_delay_alu instid0(VALU_DEP_4) | instskip(NEXT) | instid1(VALU_DEP_1)
	v_mul_lo_u32 v119, 0x1010101, v119
	v_bfe_i32 v201, v119, 0, 8
	v_bfe_i32 v202, v119, 8, 8
	;; [unrolled: 1-line block ×3, first 2 shown]
	v_lshrrev_b32_e32 v204, 24, v119
	v_mul_i32_i24_e32 v119, v77, v240
	s_delay_alu instid0(VALU_DEP_1) | instskip(SKIP_1) | instid1(VALU_DEP_2)
	v_add3_u32 v112, v112, v124, v119
	v_mul_i32_i24_e32 v119, v215, v74
	v_add3_u32 v112, v112, v120, v121
	v_mul_i32_i24_e32 v120, v216, v72
	v_mul_i32_i24_e32 v121, v218, v91
	s_delay_alu instid0(VALU_DEP_3) | instskip(NEXT) | instid1(VALU_DEP_1)
	v_add3_u32 v109, v112, v109, v125
	v_add3_u32 v109, v109, v126, v113
	v_mul_i32_i24_e32 v113, v225, v49
	s_delay_alu instid0(VALU_DEP_2) | instskip(NEXT) | instid1(VALU_DEP_1)
	v_add3_u32 v109, v109, v127, v128
	v_add3_u32 v109, v109, v129, v114
	v_mul_i32_i24_e32 v114, v226, v21
	s_delay_alu instid0(VALU_DEP_2) | instskip(SKIP_2) | instid1(VALU_DEP_2)
	v_mul_lo_u32 v78, v109, v241
	v_and_b32_e32 v109, 0xffff, v118
	v_mul_i32_i24_e32 v118, v214, v75
	v_lshrrev_b32_e32 v112, 4, v109
	v_and_b32_e32 v223, 15, v109
	s_delay_alu instid0(VALU_DEP_2) | instskip(NEXT) | instid1(VALU_DEP_1)
	v_mul_lo_u32 v112, 0x1010101, v112
	v_bfe_i32 v205, v112, 0, 8
	v_bfe_i32 v206, v112, 8, 8
	;; [unrolled: 1-line block ×3, first 2 shown]
	v_lshrrev_b32_e32 v208, 24, v112
	v_mul_i32_i24_e32 v112, v222, v66
	s_delay_alu instid0(VALU_DEP_1) | instskip(NEXT) | instid1(VALU_DEP_1)
	v_mad_i32_i24 v112, v212, v48, v112
	v_add3_u32 v112, v112, v113, v114
	v_mul_i32_i24_e32 v113, v209, v70
	v_mul_i32_i24_e32 v114, v210, v69
	s_delay_alu instid0(VALU_DEP_1) | instskip(SKIP_2) | instid1(VALU_DEP_3)
	v_add3_u32 v112, v112, v113, v114
	v_mul_i32_i24_e32 v114, v107, v205
	v_mul_i32_i24_e32 v113, v105, v207
	v_add3_u32 v112, v112, v115, v116
	v_mul_i32_i24_e32 v116, v100, v204
	v_mul_i32_i24_e32 v115, v106, v206
	s_delay_alu instid0(VALU_DEP_3) | instskip(SKIP_1) | instid1(VALU_DEP_2)
	v_add3_u32 v112, v112, v118, v119
	v_mul_i32_i24_e32 v118, v101, v201
	v_add3_u32 v112, v112, v120, v117
	v_mul_i32_i24_e32 v117, v102, v203
	s_delay_alu instid0(VALU_DEP_3) | instskip(NEXT) | instid1(VALU_DEP_3)
	v_mad_i32_i24 v118, v108, v202, v118
	v_add3_u32 v112, v112, v121, v122
	s_delay_alu instid0(VALU_DEP_2) | instskip(SKIP_1) | instid1(VALU_DEP_3)
	v_add3_u32 v116, v118, v117, v116
	v_add3_u32 v118, s21, v135, v131
	;; [unrolled: 1-line block ×3, first 2 shown]
	v_mul_i32_i24_e32 v112, v103, v208
	s_delay_alu instid0(VALU_DEP_4) | instskip(NEXT) | instid1(VALU_DEP_3)
	v_add3_u32 v114, v116, v114, v115
	v_mad_co_u64_u32 v[78:79], null, v79, v223, v[78:79]
	s_delay_alu instid0(VALU_DEP_2) | instskip(SKIP_1) | instid1(VALU_DEP_1)
	v_add3_u32 v112, v114, v113, v112
	v_lshrrev_b32_e32 v79, 16, v198
	v_cvt_f32_f16_e64 v224, v79
	s_delay_alu instid0(VALU_DEP_3) | instskip(SKIP_1) | instid1(VALU_DEP_2)
	v_cvt_f32_i32_e32 v79, v112
	v_cvt_f32_i32_e32 v78, v78
	v_mul_f32_e32 v79, v224, v79
	s_delay_alu instid0(VALU_DEP_1) | instskip(NEXT) | instid1(VALU_DEP_1)
	v_fma_mix_f32 v78, v198, v78, -v79 op_sel_hi:[1,0,0]
	v_fmac_f32_e32 v13, v1, v78
	v_add_nc_u32_e32 v78, 0x2100, v2
	ds_load_2addr_b32 v[78:79], v78 offset1:1
	s_wait_dscnt 0x0
	v_ashrrev_i32_e32 v109, s19, v78
	v_add_nc_u32_e32 v78, 0x2108, v2
	v_ashrrev_i32_e32 v112, s19, v79
	s_delay_alu instid0(VALU_DEP_3)
	v_and_b32_e32 v196, 3, v109
	ds_load_2addr_b32 v[78:79], v78 offset1:1
	v_and_b32_e32 v183, 3, v112
	v_bfe_u32 v184, v112, 8, 2
	v_bfe_u32 v185, v112, 16, 2
	;; [unrolled: 1-line block ×4, first 2 shown]
	v_mul_i32_i24_e32 v122, v183, v86
	v_bfe_u32 v199, v109, 16, 2
	v_mul_i32_i24_e32 v123, v185, v87
	v_mul_i32_i24_e32 v112, v186, v82
	;; [unrolled: 1-line block ×3, first 2 shown]
	v_mad_i32_i24 v122, v184, v73, v122
	v_mul_i32_i24_e32 v121, v76, v199
	v_bfe_u32 v200, v109, 24, 2
	s_delay_alu instid0(VALU_DEP_3) | instskip(NEXT) | instid1(VALU_DEP_2)
	v_add3_u32 v112, v122, v123, v112
	v_mul_i32_i24_e32 v109, v3, v200
	s_wait_dscnt 0x0
	v_ashrrev_i32_e32 v113, s19, v78
	v_add_nc_u32_e32 v78, 0x2110, v2
	v_ashrrev_i32_e32 v114, s19, v79
	s_delay_alu instid0(VALU_DEP_3)
	v_and_b32_e32 v187, 3, v113
	ds_load_2addr_b32 v[78:79], v78 offset1:1
	v_bfe_u32 v189, v113, 8, 2
	v_bfe_u32 v190, v113, 16, 2
	;; [unrolled: 1-line block ×3, first 2 shown]
	v_mul_i32_i24_e32 v124, v187, v89
	v_and_b32_e32 v192, 3, v114
	v_mul_i32_i24_e32 v125, v189, v88
	v_mul_i32_i24_e32 v126, v190, v84
	;; [unrolled: 1-line block ×3, first 2 shown]
	v_bfe_u32 v193, v114, 8, 2
	v_mul_i32_i24_e32 v127, v192, v99
	v_bfe_u32 v194, v114, 16, 2
	v_bfe_u32 v195, v114, 24, 2
	s_delay_alu instid0(VALU_DEP_4) | instskip(NEXT) | instid1(VALU_DEP_3)
	v_mul_i32_i24_e32 v128, v193, v90
	v_mul_i32_i24_e32 v129, v194, v98
	s_delay_alu instid0(VALU_DEP_3) | instskip(SKIP_4) | instid1(VALU_DEP_3)
	v_mul_i32_i24_e32 v114, v195, v81
	s_wait_dscnt 0x0
	v_ashrrev_i32_e32 v115, s19, v78
	v_add_nc_u32_e32 v78, 0x2118, v2
	v_ashrrev_i32_e32 v116, s19, v79
	v_and_b32_e32 v178, 3, v115
	ds_load_2addr_b32 v[78:79], v78 offset1:1
	v_bfe_u32 v168, v115, 8, 2
	v_bfe_u32 v181, v115, 16, 2
	v_bfe_u32 v182, v115, 24, 2
	v_and_b32_e32 v165, 3, v116
	v_bfe_u32 v166, v116, 8, 2
	v_bfe_u32 v167, v116, 16, 2
	;; [unrolled: 1-line block ×3, first 2 shown]
	s_delay_alu instid0(VALU_DEP_2) | instskip(NEXT) | instid1(VALU_DEP_2)
	v_mul_i32_i24_e32 v115, v167, v68
	v_mul_i32_i24_e32 v116, v169, v67
	s_wait_dscnt 0x0
	v_ashrrev_i32_e32 v117, s19, v78
	v_add3_u32 v78, s20, v134, v130
	ds_load_b32 v154, v118
	ds_load_u16 v78, v78
	v_and_b32_e32 v170, 3, v117
	v_bfe_u32 v171, v117, 8, 2
	v_ashrrev_i32_e32 v79, s19, v79
	v_bfe_u32 v172, v117, 16, 2
	v_bfe_u32 v173, v117, 24, 2
	s_delay_alu instid0(VALU_DEP_3) | instskip(SKIP_1) | instid1(VALU_DEP_3)
	v_and_b32_e32 v174, 3, v79
	v_bfe_u32 v175, v79, 8, 2
	v_mul_i32_i24_e32 v117, v173, v71
	v_bfe_u32 v176, v79, 16, 2
	v_bfe_u32 v177, v79, 24, 2
	s_delay_alu instid0(VALU_DEP_4) | instskip(NEXT) | instid1(VALU_DEP_3)
	v_mul_i32_i24_e32 v122, v175, v96
	v_mul_i32_i24_e32 v123, v176, v97
	s_delay_alu instid0(VALU_DEP_3) | instskip(SKIP_4) | instid1(VALU_DEP_3)
	v_mul_i32_i24_e32 v79, v177, v85
	s_wait_dscnt 0x0
	v_bfe_u32 v119, v78, 4, 4
	v_lshrrev_b16 v118, 8, v78
	v_and_b32_e32 v197, 15, v78
	v_mul_lo_u32 v119, 0x1010101, v119
	s_delay_alu instid0(VALU_DEP_1) | instskip(SKIP_4) | instid1(VALU_DEP_1)
	v_bfe_i32 v157, v119, 0, 8
	v_bfe_i32 v158, v119, 8, 8
	;; [unrolled: 1-line block ×3, first 2 shown]
	v_lshrrev_b32_e32 v160, 24, v119
	v_mul_i32_i24_e32 v119, v77, v196
	v_add3_u32 v112, v112, v124, v119
	v_mul_i32_i24_e32 v119, v171, v74
	s_delay_alu instid0(VALU_DEP_2) | instskip(SKIP_2) | instid1(VALU_DEP_3)
	v_add3_u32 v112, v112, v120, v121
	v_mul_i32_i24_e32 v120, v172, v72
	v_mul_i32_i24_e32 v121, v174, v91
	v_add3_u32 v109, v112, v109, v125
	s_delay_alu instid0(VALU_DEP_1) | instskip(SKIP_1) | instid1(VALU_DEP_2)
	v_add3_u32 v109, v109, v126, v113
	v_mul_i32_i24_e32 v113, v181, v49
	v_add3_u32 v109, v109, v127, v128
	s_delay_alu instid0(VALU_DEP_1) | instskip(SKIP_1) | instid1(VALU_DEP_2)
	v_add3_u32 v109, v109, v129, v114
	v_mul_i32_i24_e32 v114, v182, v21
	v_mul_lo_u32 v78, v109, v197
	v_and_b32_e32 v109, 0xffff, v118
	v_mul_i32_i24_e32 v118, v170, v75
	s_delay_alu instid0(VALU_DEP_2) | instskip(SKIP_1) | instid1(VALU_DEP_2)
	v_lshrrev_b32_e32 v112, 4, v109
	v_and_b32_e32 v179, 15, v109
	v_mul_lo_u32 v112, 0x1010101, v112
	s_delay_alu instid0(VALU_DEP_1) | instskip(SKIP_4) | instid1(VALU_DEP_1)
	v_bfe_i32 v161, v112, 0, 8
	v_bfe_i32 v162, v112, 8, 8
	;; [unrolled: 1-line block ×3, first 2 shown]
	v_lshrrev_b32_e32 v164, 24, v112
	v_mul_i32_i24_e32 v112, v178, v66
	v_mad_i32_i24 v112, v168, v48, v112
	s_delay_alu instid0(VALU_DEP_1) | instskip(SKIP_2) | instid1(VALU_DEP_1)
	v_add3_u32 v112, v112, v113, v114
	v_mul_i32_i24_e32 v113, v165, v70
	v_mul_i32_i24_e32 v114, v166, v69
	v_add3_u32 v112, v112, v113, v114
	v_mul_i32_i24_e32 v114, v107, v161
	v_mul_i32_i24_e32 v113, v105, v163
	s_delay_alu instid0(VALU_DEP_3) | instskip(SKIP_2) | instid1(VALU_DEP_3)
	v_add3_u32 v112, v112, v115, v116
	v_mul_i32_i24_e32 v116, v100, v160
	v_mul_i32_i24_e32 v115, v106, v162
	v_add3_u32 v112, v112, v118, v119
	v_mul_i32_i24_e32 v118, v101, v157
	s_delay_alu instid0(VALU_DEP_2) | instskip(SKIP_1) | instid1(VALU_DEP_3)
	v_add3_u32 v112, v112, v120, v117
	v_mul_i32_i24_e32 v117, v102, v159
	v_mad_i32_i24 v118, v108, v158, v118
	s_delay_alu instid0(VALU_DEP_3) | instskip(NEXT) | instid1(VALU_DEP_2)
	v_add3_u32 v112, v112, v121, v122
	v_add3_u32 v116, v118, v117, v116
	s_delay_alu instid0(VALU_DEP_2) | instskip(SKIP_1) | instid1(VALU_DEP_3)
	v_add3_u32 v79, v112, v123, v79
	v_mul_i32_i24_e32 v112, v103, v164
	v_add3_u32 v114, v116, v114, v115
	s_delay_alu instid0(VALU_DEP_3) | instskip(NEXT) | instid1(VALU_DEP_2)
	v_mad_co_u64_u32 v[78:79], null, v79, v179, v[78:79]
	v_add3_u32 v112, v114, v113, v112
	v_lshrrev_b32_e32 v79, 16, v154
	v_add3_u32 v113, s21, v137, v133
	s_delay_alu instid0(VALU_DEP_2) | instskip(NEXT) | instid1(VALU_DEP_4)
	v_cvt_f32_f16_e64 v180, v79
	v_cvt_f32_i32_e32 v79, v112
	v_cvt_f32_i32_e32 v78, v78
	s_delay_alu instid0(VALU_DEP_2) | instskip(NEXT) | instid1(VALU_DEP_1)
	v_mul_f32_e32 v79, v180, v79
	v_fma_mix_f32 v78, v154, v78, -v79 op_sel_hi:[1,0,0]
	s_delay_alu instid0(VALU_DEP_1)
	v_fmac_f32_e32 v18, v1, v78
	v_add_nc_u32_e32 v78, 0x3180, v2
	ds_load_2addr_b32 v[78:79], v78 offset1:1
	s_wait_dscnt 0x0
	v_ashrrev_i32_e32 v109, s19, v78
	v_add_nc_u32_e32 v78, 0x3188, v2
	v_ashrrev_i32_e32 v112, s19, v79
	s_delay_alu instid0(VALU_DEP_3)
	v_bfe_u32 v156, v109, 24, 2
	ds_load_2addr_b32 v[78:79], v78 offset1:1
	v_and_b32_e32 v152, 3, v109
	v_bfe_u32 v144, v109, 8, 2
	v_bfe_u32 v155, v109, 16, 2
	v_mul_i32_i24_e32 v109, v3, v156
	v_and_b32_e32 v3, 3, v112
	v_bfe_u32 v140, v112, 8, 2
	v_bfe_u32 v141, v112, 16, 2
	;; [unrolled: 1-line block ×3, first 2 shown]
	v_mul_i32_i24_e32 v77, v77, v152
	v_mul_i32_i24_e32 v86, v3, v86
	;; [unrolled: 1-line block ×6, first 2 shown]
	v_mad_i32_i24 v73, v140, v73, v86
	s_wait_dscnt 0x0
	v_ashrrev_i32_e32 v114, s19, v78
	v_add_nc_u32_e32 v78, 0x3190, v2
	v_ashrrev_i32_e32 v115, s19, v79
	v_add3_u32 v73, v73, v87, v82
	v_add_nc_u32_e32 v2, 0x3198, v2
	v_and_b32_e32 v143, 3, v114
	ds_load_2addr_b32 v[78:79], v78 offset1:1
	v_bfe_u32 v145, v114, 8, 2
	v_bfe_u32 v146, v114, 16, 2
	;; [unrolled: 1-line block ×3, first 2 shown]
	v_mul_i32_i24_e32 v89, v143, v89
	v_and_b32_e32 v148, 3, v115
	v_mul_i32_i24_e32 v88, v145, v88
	v_mul_i32_i24_e32 v84, v146, v84
	;; [unrolled: 1-line block ×3, first 2 shown]
	v_add3_u32 v73, v73, v89, v77
	v_bfe_u32 v149, v115, 8, 2
	v_mul_i32_i24_e32 v99, v148, v99
	v_bfe_u32 v150, v115, 16, 2
	v_bfe_u32 v151, v115, 24, 2
	v_add3_u32 v73, v73, v83, v76
	v_mul_i32_i24_e32 v90, v149, v90
	s_delay_alu instid0(VALU_DEP_4) | instskip(NEXT) | instid1(VALU_DEP_4)
	v_mul_i32_i24_e32 v98, v150, v98
	v_mul_i32_i24_e32 v81, v151, v81
	s_delay_alu instid0(VALU_DEP_4)
	v_add3_u32 v73, v73, v109, v88
	s_wait_dscnt 0x0
	v_ashrrev_i32_e32 v124, s19, v78
	v_ashrrev_i32_e32 v127, s19, v79
	ds_load_2addr_b32 v[78:79], v2 offset1:1
	v_add3_u32 v2, s20, v136, v132
	ds_load_b32 v113, v113
	ds_load_u16 v2, v2
	v_and_b32_e32 v137, 3, v124
	v_bfe_u32 v136, v124, 8, 2
	v_bfe_u32 v138, v124, 16, 2
	v_bfe_u32 v139, v124, 24, 2
	v_add3_u32 v73, v73, v84, v80
	v_mul_i32_i24_e32 v66, v137, v66
	v_and_b32_e32 v124, 3, v127
	v_mul_i32_i24_e32 v49, v138, v49
	v_mul_i32_i24_e32 v21, v139, v21
	v_bfe_u32 v125, v127, 8, 2
	v_mad_i32_i24 v48, v136, v48, v66
	v_add3_u32 v73, v73, v99, v90
	v_bfe_u32 v126, v127, 16, 2
	v_bfe_u32 v127, v127, 24, 2
	s_wait_dscnt 0x2
	v_ashrrev_i32_e32 v78, s19, v78
	v_add3_u32 v21, v48, v49, v21
	v_mul_i32_i24_e32 v48, v124, v70
	v_mul_i32_i24_e32 v49, v125, v69
	v_add3_u32 v73, v73, v98, v81
	s_wait_dscnt 0x0
	v_lshrrev_b16 v120, 8, v2
	v_bfe_u32 v116, v2, 4, 4
	v_and_b32_e32 v153, 15, v2
	v_mul_i32_i24_e32 v66, v126, v68
	v_mul_i32_i24_e32 v67, v127, v67
	v_and_b32_e32 v128, 3, v78
	v_bfe_u32 v129, v78, 8, 2
	v_add3_u32 v21, v21, v48, v49
	v_mul_lo_u32 v119, 0x1010101, v116
	v_mul_lo_u32 v2, v73, v153
	v_and_b32_e32 v73, 0xffff, v120
	v_mul_i32_i24_e32 v68, v128, v75
	v_mul_i32_i24_e32 v69, v129, v74
	v_bfe_u32 v130, v78, 16, 2
	v_bfe_u32 v131, v78, 24, 2
	v_add3_u32 v21, v21, v66, v67
	v_lshrrev_b32_e32 v76, 4, v73
	v_ashrrev_i32_e32 v79, s19, v79
	v_bfe_i32 v116, v119, 0, 8
	v_mul_i32_i24_e32 v70, v130, v72
	v_mul_i32_i24_e32 v71, v131, v71
	v_add3_u32 v21, v21, v68, v69
	v_mul_lo_u32 v76, 0x1010101, v76
	v_bfe_i32 v117, v119, 8, 8
	v_bfe_i32 v118, v119, 16, 8
	v_lshrrev_b32_e32 v119, 24, v119
	v_and_b32_e32 v132, 3, v79
	v_bfe_u32 v133, v79, 8, 2
	v_add3_u32 v21, v21, v70, v71
	v_mul_i32_i24_e32 v70, v101, v116
	v_bfe_i32 v120, v76, 0, 8
	v_bfe_i32 v121, v76, 8, 8
	v_mul_i32_i24_e32 v72, v132, v91
	v_mul_i32_i24_e32 v74, v133, v96
	v_bfe_u32 v134, v79, 16, 2
	v_bfe_u32 v135, v79, 24, 2
	v_mul_i32_i24_e32 v68, v100, v119
	v_mul_i32_i24_e32 v69, v102, v118
	v_mad_i32_i24 v70, v108, v117, v70
	v_bfe_i32 v122, v76, 16, 8
	v_lshrrev_b32_e32 v123, 24, v76
	v_mul_i32_i24_e32 v75, v134, v97
	v_mul_i32_i24_e32 v76, v135, v85
	v_add3_u32 v21, v21, v72, v74
	v_mul_i32_i24_e32 v66, v107, v120
	v_mul_i32_i24_e32 v67, v106, v121
	v_add3_u32 v68, v70, v69, v68
	v_mul_i32_i24_e32 v48, v103, v123
	v_add3_u32 v21, v21, v75, v76
	v_mul_i32_i24_e32 v49, v105, v122
	v_and_b32_e32 v115, 15, v73
	v_add3_u32 v66, v68, v66, v67
	s_delay_alu instid0(VALU_DEP_1) | instskip(NEXT) | instid1(VALU_DEP_3)
	v_add3_u32 v66, v66, v49, v48
	v_mad_co_u64_u32 v[48:49], null, v21, v115, v[2:3]
	v_lshrrev_b32_e32 v2, 16, v113
	s_delay_alu instid0(VALU_DEP_3) | instskip(NEXT) | instid1(VALU_DEP_2)
	v_cvt_f32_i32_e32 v21, v66
	v_cvt_f32_f16_e32 v114, v2
	s_delay_alu instid0(VALU_DEP_4) | instskip(NEXT) | instid1(VALU_DEP_2)
	v_cvt_f32_i32_e32 v2, v48
	v_mul_f32_e32 v21, v114, v21
	s_delay_alu instid0(VALU_DEP_1) | instskip(NEXT) | instid1(VALU_DEP_1)
	v_fma_mix_f32 v2, v113, v2, -v21 op_sel_hi:[1,0,0]
	v_fmac_f32_e32 v14, v1, v2
	scratch_load_b32 v1, off, off offset:48 ; 4-byte Folded Reload
	s_wait_loadcnt 0x0
	v_or_b32_e32 v1, s18, v1
	s_delay_alu instid0(VALU_DEP_1)
	v_lshlrev_b32_e32 v2, 2, v1
	v_lshrrev_b32_e32 v1, 1, v1
	ds_load_b32 v21, v1 offset:30368
	ds_load_b128 v[66:69], v2 offset:16896
	ds_load_b128 v[70:73], v2 offset:16912
	s_wait_dscnt 0x1
	v_ashrrev_i32_e32 v48, 24, v66
	s_wait_dscnt 0x0
	v_lshrrev_b16 v1, 8, v70
	v_bfe_i32 v49, v66, 0, 8
	v_bfe_i32 v74, v66, 16, 8
	;; [unrolled: 1-line block ×5, first 2 shown]
	v_lshrrev_b16 v1, 8, v71
	v_ashrrev_i32_e32 v75, 24, v70
	v_bfe_i32 v76, v70, 16, 8
	v_bfe_i32 v70, v70, 0, 8
	v_ashrrev_i32_e32 v81, 24, v71
	v_bfe_i32 v83, v1, 0, 8
	v_lshrrev_b16 v1, 8, v68
	v_bfe_i32 v82, v71, 16, 8
	v_bfe_i32 v71, v71, 0, 8
	;; [unrolled: 1-line block ×5, first 2 shown]
	v_lshrrev_b16 v1, 8, v69
	v_add_nc_u32_e32 v2, v71, v70
	v_bfe_i32 v80, v67, 0, 8
	v_mul_i32_i24_e32 v109, v48, v255
	v_ashrrev_i32_e32 v79, 24, v67
	v_bfe_i32 v90, v1, 0, 8
	v_add_nc_u32_e32 v1, v66, v78
	v_add3_u32 v107, v2, v85, v91
	v_mul_i32_i24_e32 v2, v74, v254
	v_bfe_i32 v67, v67, 16, 8
	v_bfe_i32 v89, v68, 0, 8
	v_add3_u32 v108, v1, v84, v90
	v_mul_i32_i24_e32 v1, v49, v253
	v_mul_i32_i24_e32 v104, v244, v79
	;; [unrolled: 1-line block ×3, first 2 shown]
	v_bfe_i32 v88, v68, 16, 8
	v_ashrrev_i32_e32 v68, 24, v68
	v_mad_i32_i24 v1, v66, v92, v1
	v_mul_i32_i24_e32 v110, v245, v89
	v_mul_i32_i24_e32 v111, v246, v84
	;; [unrolled: 1-line block ×4, first 2 shown]
	v_add3_u32 v1, v1, v2, v109
	v_mul_i32_i24_e32 v2, v93, v80
	v_mul_i32_i24_e32 v109, v94, v78
	v_bfe_i32 v99, v69, 0, 8
	v_bfe_i32 v98, v69, 16, 8
	v_ashrrev_i32_e32 v69, 24, v69
	v_mul_i32_i24_e32 v7, v250, v90
	v_add3_u32 v1, v1, v2, v109
	v_mul_i32_i24_e32 v2, v60, v70
	v_mul_i32_i24_e32 v6, v249, v99
	v_bfe_i32 v86, v72, 8, 8
	v_mul_i32_i24_e32 v8, v251, v98
	v_add3_u32 v1, v1, v112, v104
	v_mad_i32_i24 v2, v33, v77, v2
	v_mul_i32_i24_e32 v9, v252, v69
	v_bfe_i32 v87, v72, 16, 8
	v_ashrrev_i32_e32 v72, 24, v72
	v_add3_u32 v1, v1, v110, v111
	v_bfe_i32 v96, v73, 8, 8
	v_bfe_i32 v97, v73, 16, 8
	v_ashrrev_i32_e32 v73, 24, v73
	v_add_nc_u32_e32 v102, v81, v75
	v_add3_u32 v1, v1, v4, v5
	v_mul_i32_i24_e32 v4, v61, v76
	v_mul_i32_i24_e32 v5, v65, v75
	v_add_nc_u32_e32 v100, v83, v77
	v_add_nc_u32_e32 v101, v82, v76
	v_add3_u32 v1, v1, v6, v7
	v_mul_i32_i24_e32 v6, v38, v82
	v_add3_u32 v2, v2, v4, v5
	v_mul_i32_i24_e32 v4, v35, v71
	v_mul_i32_i24_e32 v5, v37, v83
	;; [unrolled: 1-line block ×3, first 2 shown]
	v_add3_u32 v1, v1, v8, v9
	v_mul_i32_i24_e32 v8, v40, v85
	v_mul_i32_i24_e32 v9, v42, v86
	v_add3_u32 v2, v2, v4, v5
	v_add_nc_u32_e32 v106, v79, v48
	v_add3_u32 v102, v102, v72, v73
	v_mul_i32_i24_e32 v104, v43, v87
	v_mul_i32_i24_e32 v109, v44, v72
	v_add3_u32 v2, v2, v6, v7
	v_add_nc_u32_e32 v103, v67, v74
	v_add_nc_u32_e32 v105, v80, v49
	v_add3_u32 v106, v106, v68, v69
	v_add3_u32 v101, v101, v87, v97
	;; [unrolled: 1-line block ×4, first 2 shown]
	v_mul_i32_i24_e32 v8, v102, v50
	v_mul_i32_i24_e32 v110, v56, v91
	;; [unrolled: 1-line block ×3, first 2 shown]
	v_add3_u32 v2, v2, v104, v109
	v_add3_u32 v105, v105, v89, v99
	v_add3_u32 v103, v103, v88, v98
	v_mul_i32_i24_e32 v4, v108, v51
	v_mul_i32_i24_e32 v5, v107, v55
	;; [unrolled: 1-line block ×4, first 2 shown]
	v_mad_i32_i24 v8, v106, v46, v8
	v_mul_i32_i24_e32 v112, v58, v97
	v_mul_i32_i24_e32 v10, v59, v73
	v_add3_u32 v2, v2, v110, v111
	v_mul_lo_u32 v1, v1, v25
	v_mad_i32_i24 v7, v103, v47, v7
	v_mad_i32_i24 v5, v105, v20, v5
	v_add3_u32 v4, v4, v6, v8
	v_add3_u32 v2, v2, v112, v10
	v_mul_i32_i24_e32 v6, v230, v79
	v_mul_i32_i24_e32 v8, v233, v84
	;; [unrolled: 1-line block ×3, first 2 shown]
	v_add3_u32 v4, v5, v7, v4
	v_mad_co_u64_u32 v[1:2], null, v2, v63, v[1:2]
	v_mul_i32_i24_e32 v5, v229, v67
	v_mul_i32_i24_e32 v7, v231, v89
	s_delay_alu instid0(VALU_DEP_4)
	v_cvt_f32_i32_e32 v2, v4
	v_mul_i32_i24_e32 v4, v48, v243
	v_mul_i32_i24_e32 v10, v235, v68
	;; [unrolled: 1-line block ×3, first 2 shown]
	v_cvt_f32_i32_e32 v1, v1
	v_mul_f32_e32 v2, v64, v2
	v_mul_i32_i24_e32 v109, v237, v90
	v_mul_i32_i24_e32 v110, v238, v98
	;; [unrolled: 1-line block ×4, first 2 shown]
	v_fma_mix_f32 v1, v0, v1, -v2 op_sel_hi:[1,0,0]
	v_mul_i32_i24_e32 v2, v74, v242
	s_delay_alu instid0(VALU_DEP_2) | instskip(SKIP_1) | instid1(VALU_DEP_1)
	v_fmac_f32_e32 v62, v21, v1
	v_mul_i32_i24_e32 v1, v49, v240
	v_mad_i32_i24 v1, v66, v232, v1
	s_delay_alu instid0(VALU_DEP_1) | instskip(SKIP_2) | instid1(VALU_DEP_1)
	v_add3_u32 v1, v1, v2, v4
	v_mul_i32_i24_e32 v2, v227, v80
	v_mul_i32_i24_e32 v4, v228, v78
	v_add3_u32 v1, v1, v2, v4
	v_mul_i32_i24_e32 v2, v222, v70
	v_mul_i32_i24_e32 v4, v225, v76
	s_delay_alu instid0(VALU_DEP_3) | instskip(SKIP_1) | instid1(VALU_DEP_4)
	v_add3_u32 v1, v1, v5, v6
	v_mul_i32_i24_e32 v5, v226, v75
	v_mad_i32_i24 v2, v212, v77, v2
	v_mul_i32_i24_e32 v6, v211, v82
	s_delay_alu instid0(VALU_DEP_4) | instskip(SKIP_1) | instid1(VALU_DEP_4)
	v_add3_u32 v1, v1, v7, v8
	v_mul_i32_i24_e32 v7, v213, v81
	v_add3_u32 v2, v2, v4, v5
	v_mul_i32_i24_e32 v4, v209, v71
	v_mul_i32_i24_e32 v5, v210, v83
	v_add3_u32 v1, v1, v9, v10
	v_mul_i32_i24_e32 v8, v214, v85
	v_mul_i32_i24_e32 v9, v215, v86
	v_mul_i32_i24_e32 v10, v216, v87
	v_add3_u32 v2, v2, v4, v5
	v_add3_u32 v1, v1, v104, v109
	v_mul_i32_i24_e32 v104, v217, v72
	v_mul_i32_i24_e32 v109, v218, v91
	v_mul_i32_i24_e32 v4, v102, v208
	v_add3_u32 v2, v2, v6, v7
	;; [unrolled: 5-line block ×3, first 2 shown]
	v_mul_i32_i24_e32 v8, v106, v204
	v_mul_i32_i24_e32 v9, v103, v203
	;; [unrolled: 1-line block ×3, first 2 shown]
	v_mul_lo_u32 v1, v1, v241
	v_add3_u32 v2, v2, v10, v104
	v_mul_i32_i24_e32 v10, v105, v201
	v_mul_i32_i24_e32 v5, v101, v207
	;; [unrolled: 1-line block ×3, first 2 shown]
	s_delay_alu instid0(VALU_DEP_4) | instskip(NEXT) | instid1(VALU_DEP_4)
	v_add3_u32 v2, v2, v109, v110
	v_mad_i32_i24 v10, v108, v202, v10
	v_mul_i32_i24_e32 v109, v193, v90
	v_mul_i32_i24_e32 v110, v194, v98
	s_delay_alu instid0(VALU_DEP_4) | instskip(NEXT) | instid1(VALU_DEP_4)
	v_add3_u32 v2, v2, v111, v112
	v_add3_u32 v8, v10, v9, v8
	v_mul_i32_i24_e32 v9, v190, v88
	v_mul_i32_i24_e32 v10, v191, v68
	;; [unrolled: 1-line block ×3, first 2 shown]
	v_mad_co_u64_u32 v[1:2], null, v2, v223, v[1:2]
	v_add3_u32 v6, v8, v6, v7
	v_mul_i32_i24_e32 v7, v187, v89
	v_mul_i32_i24_e32 v8, v189, v84
	;; [unrolled: 1-line block ×3, first 2 shown]
	s_delay_alu instid0(VALU_DEP_4) | instskip(SKIP_3) | instid1(VALU_DEP_4)
	v_add3_u32 v4, v6, v5, v4
	v_cvt_f32_i32_e32 v1, v1
	v_mul_i32_i24_e32 v5, v185, v67
	v_mul_i32_i24_e32 v6, v186, v79
	v_cvt_f32_i32_e32 v2, v4
	v_mul_i32_i24_e32 v4, v48, v200
	s_delay_alu instid0(VALU_DEP_2) | instskip(NEXT) | instid1(VALU_DEP_1)
	v_mul_f32_e32 v2, v224, v2
	v_fma_mix_f32 v1, v198, v1, -v2 op_sel_hi:[1,0,0]
	v_mul_i32_i24_e32 v2, v74, v199
	s_delay_alu instid0(VALU_DEP_2) | instskip(SKIP_1) | instid1(VALU_DEP_1)
	v_fmac_f32_e32 v52, v21, v1
	v_mul_i32_i24_e32 v1, v49, v196
	v_mad_i32_i24 v1, v66, v188, v1
	s_delay_alu instid0(VALU_DEP_1) | instskip(SKIP_2) | instid1(VALU_DEP_1)
	v_add3_u32 v1, v1, v2, v4
	v_mul_i32_i24_e32 v2, v183, v80
	v_mul_i32_i24_e32 v4, v184, v78
	v_add3_u32 v1, v1, v2, v4
	v_mul_i32_i24_e32 v2, v178, v70
	v_mul_i32_i24_e32 v4, v181, v76
	s_delay_alu instid0(VALU_DEP_3) | instskip(SKIP_1) | instid1(VALU_DEP_4)
	v_add3_u32 v1, v1, v5, v6
	v_mul_i32_i24_e32 v5, v182, v75
	v_mad_i32_i24 v2, v168, v77, v2
	v_mul_i32_i24_e32 v6, v167, v82
	s_delay_alu instid0(VALU_DEP_4) | instskip(SKIP_1) | instid1(VALU_DEP_4)
	v_add3_u32 v1, v1, v7, v8
	v_mul_i32_i24_e32 v7, v169, v81
	v_add3_u32 v2, v2, v4, v5
	v_mul_i32_i24_e32 v4, v165, v71
	v_mul_i32_i24_e32 v5, v166, v83
	v_add3_u32 v1, v1, v9, v10
	v_mul_i32_i24_e32 v8, v170, v85
	v_mul_i32_i24_e32 v9, v171, v86
	v_mul_i32_i24_e32 v10, v172, v87
	v_add3_u32 v2, v2, v4, v5
	v_add3_u32 v1, v1, v104, v109
	v_mul_i32_i24_e32 v104, v173, v72
	v_mul_i32_i24_e32 v109, v174, v91
	v_mul_i32_i24_e32 v4, v102, v164
	v_add3_u32 v2, v2, v6, v7
	;; [unrolled: 5-line block ×3, first 2 shown]
	v_mul_i32_i24_e32 v8, v106, v160
	v_mul_i32_i24_e32 v9, v103, v159
	;; [unrolled: 1-line block ×3, first 2 shown]
	v_mul_lo_u32 v1, v1, v197
	v_add3_u32 v2, v2, v10, v104
	v_mul_i32_i24_e32 v10, v105, v157
	v_mul_i32_i24_e32 v5, v101, v163
	s_delay_alu instid0(VALU_DEP_3) | instskip(NEXT) | instid1(VALU_DEP_3)
	v_add3_u32 v2, v2, v109, v110
	v_mad_i32_i24 v10, v108, v158, v10
	s_delay_alu instid0(VALU_DEP_2) | instskip(NEXT) | instid1(VALU_DEP_2)
	v_add3_u32 v2, v2, v111, v112
	v_add3_u32 v8, v10, v9, v8
	v_mul_i32_i24_e32 v9, v146, v88
	v_mul_i32_i24_e32 v10, v147, v68
	;; [unrolled: 1-line block ×3, first 2 shown]
	v_mad_co_u64_u32 v[1:2], null, v2, v179, v[1:2]
	v_add3_u32 v6, v8, v6, v7
	v_mul_i32_i24_e32 v7, v143, v89
	v_mul_i32_i24_e32 v8, v145, v84
	s_delay_alu instid0(VALU_DEP_3)
	v_add3_u32 v4, v6, v5, v4
	v_cvt_f32_i32_e32 v1, v1
	v_mul_i32_i24_e32 v5, v141, v67
	v_mul_i32_i24_e32 v6, v142, v79
	;; [unrolled: 1-line block ×3, first 2 shown]
	v_cvt_f32_i32_e32 v2, v4
	v_mul_i32_i24_e32 v4, v48, v156
	v_mul_i32_i24_e32 v48, v148, v99
	s_delay_alu instid0(VALU_DEP_3) | instskip(NEXT) | instid1(VALU_DEP_1)
	v_mul_f32_e32 v2, v180, v2
	v_fma_mix_f32 v1, v154, v1, -v2 op_sel_hi:[1,0,0]
	v_mul_i32_i24_e32 v2, v74, v155
	s_delay_alu instid0(VALU_DEP_2) | instskip(SKIP_2) | instid1(VALU_DEP_2)
	v_fmac_f32_e32 v45, v21, v1
	v_mul_i32_i24_e32 v1, v49, v152
	v_mul_i32_i24_e32 v49, v149, v90
	v_mad_i32_i24 v1, v66, v144, v1
	v_mul_i32_i24_e32 v66, v150, v98
	s_delay_alu instid0(VALU_DEP_2) | instskip(SKIP_2) | instid1(VALU_DEP_1)
	v_add3_u32 v1, v1, v2, v4
	v_mul_i32_i24_e32 v2, v3, v80
	v_mul_i32_i24_e32 v4, v140, v78
	v_add3_u32 v1, v1, v2, v4
	v_mul_i32_i24_e32 v2, v137, v70
	v_mul_i32_i24_e32 v4, v138, v76
	s_delay_alu instid0(VALU_DEP_3) | instskip(SKIP_1) | instid1(VALU_DEP_4)
	v_add3_u32 v1, v1, v5, v6
	v_mul_i32_i24_e32 v5, v139, v75
	v_mad_i32_i24 v2, v136, v77, v2
	v_mul_i32_i24_e32 v6, v126, v82
	s_delay_alu instid0(VALU_DEP_4) | instskip(SKIP_1) | instid1(VALU_DEP_4)
	v_add3_u32 v1, v1, v7, v8
	v_mul_i32_i24_e32 v7, v127, v81
	v_add3_u32 v2, v2, v4, v5
	v_mul_i32_i24_e32 v4, v124, v71
	v_mul_i32_i24_e32 v5, v125, v83
	v_add3_u32 v1, v1, v9, v10
	v_mul_i32_i24_e32 v8, v128, v85
	v_mul_i32_i24_e32 v9, v129, v86
	v_mul_i32_i24_e32 v10, v130, v87
	v_add3_u32 v2, v2, v4, v5
	v_add3_u32 v1, v1, v48, v49
	v_mul_i32_i24_e32 v48, v131, v72
	v_mul_i32_i24_e32 v49, v132, v91
	v_mul_i32_i24_e32 v4, v102, v123
	v_add3_u32 v2, v2, v6, v7
	v_add3_u32 v1, v1, v66, v67
	v_mul_i32_i24_e32 v66, v133, v96
	v_mul_i32_i24_e32 v6, v107, v120
	v_mul_i32_i24_e32 v7, v100, v121
	v_add3_u32 v2, v2, v8, v9
	v_mul_i32_i24_e32 v8, v106, v119
	v_mul_i32_i24_e32 v9, v103, v118
	;; [unrolled: 1-line block ×3, first 2 shown]
	v_mul_lo_u32 v1, v1, v153
	v_add3_u32 v2, v2, v10, v48
	v_mul_i32_i24_e32 v10, v105, v116
	v_mul_i32_i24_e32 v5, v101, v122
	s_delay_alu instid0(VALU_DEP_3) | instskip(NEXT) | instid1(VALU_DEP_3)
	v_add3_u32 v2, v2, v49, v66
	v_mad_i32_i24 v10, v108, v117, v10
	s_delay_alu instid0(VALU_DEP_2) | instskip(NEXT) | instid1(VALU_DEP_2)
	v_add3_u32 v2, v2, v67, v68
	v_add3_u32 v8, v10, v9, v8
	s_delay_alu instid0(VALU_DEP_2) | instskip(NEXT) | instid1(VALU_DEP_2)
	v_mad_co_u64_u32 v[1:2], null, v2, v115, v[1:2]
	v_add3_u32 v6, v8, v6, v7
	s_delay_alu instid0(VALU_DEP_1) | instskip(NEXT) | instid1(VALU_DEP_3)
	v_add3_u32 v4, v6, v5, v4
	v_cvt_f32_i32_e32 v1, v1
	s_delay_alu instid0(VALU_DEP_2) | instskip(NEXT) | instid1(VALU_DEP_1)
	v_cvt_f32_i32_e32 v2, v4
	v_mul_f32_e32 v2, v114, v2
	s_delay_alu instid0(VALU_DEP_1) | instskip(NEXT) | instid1(VALU_DEP_1)
	v_fma_mix_f32 v1, v113, v1, -v2 op_sel_hi:[1,0,0]
	v_fmac_f32_e32 v41, v21, v1
	scratch_load_b32 v1, off, off offset:44 ; 4-byte Folded Reload
	s_wait_loadcnt 0x0
	v_or_b32_e32 v1, s18, v1
	s_delay_alu instid0(VALU_DEP_1)
	v_lshlrev_b32_e32 v2, 2, v1
	v_lshrrev_b32_e32 v1, 1, v1
	ds_load_b32 v4, v1 offset:30368
	ds_load_b128 v[66:69], v2 offset:16896
	ds_load_b128 v[70:73], v2 offset:16912
	s_wait_dscnt 0x1
	v_ashrrev_i32_e32 v5, 24, v66
	s_wait_dscnt 0x0
	v_lshrrev_b16 v1, 8, v70
	v_bfe_i32 v6, v66, 0, 8
	v_bfe_i32 v7, v66, 16, 8
	;; [unrolled: 1-line block ×5, first 2 shown]
	v_lshrrev_b16 v1, 8, v71
	v_bfe_i32 v21, v70, 0, 8
	v_ashrrev_i32_e32 v74, 24, v71
	v_bfe_i32 v75, v71, 16, 8
	v_bfe_i32 v71, v71, 0, 8
	;; [unrolled: 1-line block ×3, first 2 shown]
	v_lshrrev_b16 v1, 8, v68
	v_bfe_i32 v78, v72, 0, 8
	v_bfe_i32 v84, v73, 0, 8
	v_add_nc_u32_e32 v2, v71, v21
	v_ashrrev_i32_e32 v8, 24, v70
	v_bfe_i32 v77, v1, 0, 8
	v_lshrrev_b16 v1, 8, v69
	v_bfe_i32 v9, v70, 16, 8
	v_bfe_i32 v70, v67, 0, 8
	v_add3_u32 v99, v2, v78, v84
	v_mul_i32_i24_e32 v2, v7, v254
	v_bfe_i32 v83, v1, 0, 8
	v_add_nc_u32_e32 v1, v66, v48
	v_mul_i32_i24_e32 v101, v5, v255
	v_ashrrev_i32_e32 v49, 24, v67
	v_bfe_i32 v67, v67, 16, 8
	v_bfe_i32 v82, v68, 0, 8
	v_add3_u32 v100, v1, v77, v83
	v_mul_i32_i24_e32 v1, v6, v253
	v_mul_i32_i24_e32 v103, v244, v49
	;; [unrolled: 1-line block ×3, first 2 shown]
	v_bfe_i32 v81, v68, 16, 8
	v_ashrrev_i32_e32 v68, 24, v68
	v_mad_i32_i24 v1, v66, v92, v1
	v_mul_i32_i24_e32 v104, v245, v82
	v_mul_i32_i24_e32 v105, v246, v77
	v_bfe_i32 v79, v72, 8, 8
	v_bfe_i32 v88, v69, 0, 8
	v_add3_u32 v1, v1, v2, v101
	v_mul_i32_i24_e32 v2, v93, v70
	v_mul_i32_i24_e32 v101, v94, v48
	;; [unrolled: 1-line block ×4, first 2 shown]
	v_bfe_i32 v80, v72, 16, 8
	v_ashrrev_i32_e32 v72, 24, v72
	v_add3_u32 v1, v1, v2, v101
	v_mul_i32_i24_e32 v2, v60, v21
	v_mul_i32_i24_e32 v101, v61, v9
	v_bfe_i32 v85, v73, 8, 8
	v_bfe_i32 v86, v73, 16, 8
	v_add3_u32 v1, v1, v102, v103
	v_mul_i32_i24_e32 v102, v65, v8
	v_mad_i32_i24 v2, v33, v10, v2
	v_mul_i32_i24_e32 v103, v38, v75
	v_ashrrev_i32_e32 v73, 24, v73
	v_add3_u32 v1, v1, v104, v105
	v_mul_i32_i24_e32 v104, v39, v74
	v_add3_u32 v2, v2, v101, v102
	v_mul_i32_i24_e32 v101, v35, v71
	v_mul_i32_i24_e32 v102, v37, v76
	v_add_nc_u32_e32 v91, v74, v8
	v_bfe_i32 v87, v69, 16, 8
	v_ashrrev_i32_e32 v69, 24, v69
	v_mul_i32_i24_e32 v108, v249, v88
	v_add3_u32 v2, v2, v101, v102
	v_mul_i32_i24_e32 v109, v250, v83
	v_add3_u32 v1, v1, v106, v107
	v_mul_i32_i24_e32 v105, v40, v78
	v_mul_i32_i24_e32 v106, v42, v79
	v_add3_u32 v2, v2, v103, v104
	v_add_nc_u32_e32 v89, v76, v10
	v_add_nc_u32_e32 v90, v75, v9
	;; [unrolled: 1-line block ×3, first 2 shown]
	v_add3_u32 v91, v91, v72, v73
	v_mul_i32_i24_e32 v110, v251, v87
	v_mul_i32_i24_e32 v111, v252, v69
	v_add3_u32 v1, v1, v108, v109
	v_mul_i32_i24_e32 v107, v43, v80
	v_mul_i32_i24_e32 v108, v44, v72
	v_add3_u32 v2, v2, v105, v106
	v_add_nc_u32_e32 v96, v67, v7
	v_add_nc_u32_e32 v97, v70, v6
	v_add3_u32 v98, v98, v68, v69
	v_add3_u32 v90, v90, v80, v86
	;; [unrolled: 1-line block ×3, first 2 shown]
	v_mul_i32_i24_e32 v105, v91, v50
	v_add3_u32 v1, v1, v110, v111
	v_mul_i32_i24_e32 v109, v56, v84
	v_mul_i32_i24_e32 v110, v57, v85
	v_add3_u32 v2, v2, v107, v108
	v_add3_u32 v97, v97, v82, v88
	;; [unrolled: 1-line block ×3, first 2 shown]
	v_mul_i32_i24_e32 v101, v100, v51
	v_mul_i32_i24_e32 v102, v99, v55
	;; [unrolled: 1-line block ×4, first 2 shown]
	v_mad_i32_i24 v105, v98, v46, v105
	v_mul_i32_i24_e32 v111, v58, v86
	v_mul_i32_i24_e32 v112, v59, v73
	v_add3_u32 v2, v2, v109, v110
	v_mul_lo_u32 v1, v1, v25
	v_mad_i32_i24 v104, v96, v47, v104
	v_mad_i32_i24 v102, v97, v20, v102
	v_add3_u32 v101, v101, v103, v105
	v_add3_u32 v2, v2, v111, v112
	v_mul_i32_i24_e32 v103, v230, v49
	v_mul_i32_i24_e32 v105, v233, v77
	;; [unrolled: 1-line block ×3, first 2 shown]
	v_add3_u32 v101, v102, v104, v101
	v_mad_co_u64_u32 v[1:2], null, v2, v63, v[1:2]
	v_mul_i32_i24_e32 v102, v229, v67
	v_mul_i32_i24_e32 v104, v231, v82
	s_delay_alu instid0(VALU_DEP_4)
	v_cvt_f32_i32_e32 v2, v101
	v_mul_i32_i24_e32 v101, v5, v243
	v_mul_i32_i24_e32 v107, v235, v68
	;; [unrolled: 1-line block ×3, first 2 shown]
	v_cvt_f32_i32_e32 v1, v1
	v_mul_f32_e32 v2, v64, v2
	v_mul_i32_i24_e32 v109, v237, v83
	v_mul_i32_i24_e32 v110, v238, v87
	v_mul_i32_i24_e32 v111, v239, v69
	v_mul_i32_i24_e32 v112, v221, v73
	v_fma_mix_f32 v1, v0, v1, -v2 op_sel_hi:[1,0,0]
	v_mul_i32_i24_e32 v2, v7, v242
	s_delay_alu instid0(VALU_DEP_2) | instskip(SKIP_1) | instid1(VALU_DEP_1)
	v_fmac_f32_e32 v34, v4, v1
	v_mul_i32_i24_e32 v1, v6, v240
	v_mad_i32_i24 v1, v66, v232, v1
	s_delay_alu instid0(VALU_DEP_1) | instskip(SKIP_2) | instid1(VALU_DEP_1)
	v_add3_u32 v1, v1, v2, v101
	v_mul_i32_i24_e32 v2, v227, v70
	v_mul_i32_i24_e32 v101, v228, v48
	v_add3_u32 v1, v1, v2, v101
	v_mul_i32_i24_e32 v2, v222, v21
	v_mul_i32_i24_e32 v101, v225, v9
	s_delay_alu instid0(VALU_DEP_3) | instskip(SKIP_1) | instid1(VALU_DEP_4)
	v_add3_u32 v1, v1, v102, v103
	v_mul_i32_i24_e32 v102, v226, v8
	v_mad_i32_i24 v2, v212, v10, v2
	v_mul_i32_i24_e32 v103, v211, v75
	s_delay_alu instid0(VALU_DEP_4) | instskip(SKIP_1) | instid1(VALU_DEP_4)
	v_add3_u32 v1, v1, v104, v105
	v_mul_i32_i24_e32 v104, v213, v74
	v_add3_u32 v2, v2, v101, v102
	v_mul_i32_i24_e32 v101, v209, v71
	v_mul_i32_i24_e32 v102, v210, v76
	v_add3_u32 v1, v1, v106, v107
	v_mul_i32_i24_e32 v105, v214, v78
	v_mul_i32_i24_e32 v106, v215, v79
	v_mul_i32_i24_e32 v107, v216, v80
	v_add3_u32 v2, v2, v101, v102
	v_add3_u32 v1, v1, v108, v109
	v_mul_i32_i24_e32 v108, v217, v72
	v_mul_i32_i24_e32 v109, v218, v84
	v_mul_i32_i24_e32 v101, v91, v208
	v_add3_u32 v2, v2, v103, v104
	;; [unrolled: 5-line block ×3, first 2 shown]
	v_mul_i32_i24_e32 v105, v98, v204
	v_mul_i32_i24_e32 v106, v96, v203
	;; [unrolled: 1-line block ×3, first 2 shown]
	v_mul_lo_u32 v1, v1, v241
	v_add3_u32 v2, v2, v107, v108
	v_mul_i32_i24_e32 v107, v97, v201
	v_mul_i32_i24_e32 v102, v90, v207
	;; [unrolled: 1-line block ×3, first 2 shown]
	s_delay_alu instid0(VALU_DEP_4) | instskip(NEXT) | instid1(VALU_DEP_4)
	v_add3_u32 v2, v2, v109, v110
	v_mad_i32_i24 v107, v100, v202, v107
	v_mul_i32_i24_e32 v109, v193, v83
	v_mul_i32_i24_e32 v110, v194, v87
	s_delay_alu instid0(VALU_DEP_4) | instskip(NEXT) | instid1(VALU_DEP_4)
	v_add3_u32 v2, v2, v111, v112
	v_add3_u32 v105, v107, v106, v105
	v_mul_i32_i24_e32 v106, v190, v81
	v_mul_i32_i24_e32 v107, v191, v68
	;; [unrolled: 1-line block ×3, first 2 shown]
	v_mad_co_u64_u32 v[1:2], null, v2, v223, v[1:2]
	v_add3_u32 v103, v105, v103, v104
	v_mul_i32_i24_e32 v104, v187, v82
	v_mul_i32_i24_e32 v105, v189, v77
	;; [unrolled: 1-line block ×4, first 2 shown]
	v_add3_u32 v101, v103, v102, v101
	v_cvt_f32_i32_e32 v1, v1
	v_mul_i32_i24_e32 v102, v185, v67
	v_mul_i32_i24_e32 v103, v186, v49
	s_delay_alu instid0(VALU_DEP_4) | instskip(SKIP_2) | instid1(VALU_DEP_3)
	v_cvt_f32_i32_e32 v2, v101
	v_mul_i32_i24_e32 v101, v5, v200
	v_mul_i32_i24_e32 v5, v5, v156
	v_mul_f32_e32 v2, v224, v2
	s_delay_alu instid0(VALU_DEP_1) | instskip(SKIP_1) | instid1(VALU_DEP_2)
	v_fma_mix_f32 v1, v198, v1, -v2 op_sel_hi:[1,0,0]
	v_mul_i32_i24_e32 v2, v7, v199
	v_fmac_f32_e32 v32, v4, v1
	v_mul_i32_i24_e32 v1, v6, v196
	s_delay_alu instid0(VALU_DEP_1) | instskip(NEXT) | instid1(VALU_DEP_1)
	v_mad_i32_i24 v1, v66, v188, v1
	v_add3_u32 v1, v1, v2, v101
	v_mul_i32_i24_e32 v2, v183, v70
	v_mul_i32_i24_e32 v101, v184, v48
	s_delay_alu instid0(VALU_DEP_1) | instskip(SKIP_2) | instid1(VALU_DEP_3)
	v_add3_u32 v1, v1, v2, v101
	v_mul_i32_i24_e32 v2, v178, v21
	v_mul_i32_i24_e32 v101, v181, v9
	v_add3_u32 v1, v1, v102, v103
	v_mul_i32_i24_e32 v102, v182, v8
	s_delay_alu instid0(VALU_DEP_4) | instskip(SKIP_1) | instid1(VALU_DEP_4)
	v_mad_i32_i24 v2, v168, v10, v2
	v_mul_i32_i24_e32 v103, v167, v75
	v_add3_u32 v1, v1, v104, v105
	v_mul_i32_i24_e32 v104, v169, v74
	s_delay_alu instid0(VALU_DEP_4)
	v_add3_u32 v2, v2, v101, v102
	v_mul_i32_i24_e32 v101, v165, v71
	v_mul_i32_i24_e32 v102, v166, v76
	v_add3_u32 v1, v1, v106, v107
	v_mul_i32_i24_e32 v105, v170, v78
	v_mul_i32_i24_e32 v106, v171, v79
	v_mul_i32_i24_e32 v107, v172, v80
	v_add3_u32 v2, v2, v101, v102
	v_add3_u32 v1, v1, v108, v109
	v_mul_i32_i24_e32 v108, v173, v72
	v_mul_i32_i24_e32 v109, v174, v84
	v_mul_i32_i24_e32 v101, v91, v164
	v_add3_u32 v2, v2, v103, v104
	v_add3_u32 v1, v1, v110, v111
	v_mul_i32_i24_e32 v110, v175, v85
	v_mul_i32_i24_e32 v103, v99, v161
	v_mul_i32_i24_e32 v104, v89, v162
	v_add3_u32 v2, v2, v105, v106
	v_mul_i32_i24_e32 v105, v98, v160
	v_mul_i32_i24_e32 v106, v96, v159
	;; [unrolled: 1-line block ×3, first 2 shown]
	v_mul_lo_u32 v1, v1, v197
	v_add3_u32 v2, v2, v107, v108
	v_mul_i32_i24_e32 v107, v97, v157
	v_mul_i32_i24_e32 v102, v90, v163
	s_delay_alu instid0(VALU_DEP_3) | instskip(NEXT) | instid1(VALU_DEP_3)
	v_add3_u32 v2, v2, v109, v110
	v_mad_i32_i24 v107, v100, v158, v107
	s_delay_alu instid0(VALU_DEP_2) | instskip(NEXT) | instid1(VALU_DEP_2)
	v_add3_u32 v2, v2, v111, v112
	v_add3_u32 v105, v107, v106, v105
	s_delay_alu instid0(VALU_DEP_2) | instskip(NEXT) | instid1(VALU_DEP_2)
	v_mad_co_u64_u32 v[1:2], null, v2, v179, v[1:2]
	v_add3_u32 v103, v105, v103, v104
	s_delay_alu instid0(VALU_DEP_1) | instskip(NEXT) | instid1(VALU_DEP_3)
	v_add3_u32 v101, v103, v102, v101
	v_cvt_f32_i32_e32 v1, v1
	s_delay_alu instid0(VALU_DEP_2) | instskip(NEXT) | instid1(VALU_DEP_1)
	v_cvt_f32_i32_e32 v2, v101
	v_mul_f32_e32 v2, v180, v2
	s_delay_alu instid0(VALU_DEP_1)
	v_fma_mix_f32 v1, v154, v1, -v2 op_sel_hi:[1,0,0]
	v_mul_i32_i24_e32 v2, v7, v155
	v_mul_i32_i24_e32 v7, v142, v49
	;; [unrolled: 1-line block ×4, first 2 shown]
	v_fmac_f32_e32 v31, v4, v1
	v_mul_i32_i24_e32 v1, v6, v152
	v_mul_i32_i24_e32 v6, v141, v67
	;; [unrolled: 1-line block ×4, first 2 shown]
	s_delay_alu instid0(VALU_DEP_4) | instskip(SKIP_1) | instid1(VALU_DEP_2)
	v_mad_i32_i24 v1, v66, v144, v1
	v_mul_i32_i24_e32 v66, v146, v81
	v_add3_u32 v1, v1, v2, v5
	v_mul_i32_i24_e32 v2, v3, v70
	v_mul_i32_i24_e32 v5, v140, v48
	;; [unrolled: 1-line block ×4, first 2 shown]
	s_delay_alu instid0(VALU_DEP_3)
	v_add3_u32 v1, v1, v2, v5
	v_mul_i32_i24_e32 v2, v137, v21
	v_mul_i32_i24_e32 v5, v138, v9
	;; [unrolled: 1-line block ×4, first 2 shown]
	v_add3_u32 v1, v1, v6, v7
	v_mul_i32_i24_e32 v6, v139, v8
	v_mad_i32_i24 v2, v136, v10, v2
	v_mul_i32_i24_e32 v7, v126, v75
	v_mul_i32_i24_e32 v8, v127, v74
	;; [unrolled: 1-line block ×3, first 2 shown]
	v_add3_u32 v1, v1, v48, v49
	v_add3_u32 v2, v2, v5, v6
	v_mul_i32_i24_e32 v5, v124, v71
	v_mul_i32_i24_e32 v6, v125, v76
	;; [unrolled: 1-line block ×3, first 2 shown]
	v_add3_u32 v1, v1, v66, v67
	v_mul_i32_i24_e32 v49, v132, v84
	v_mul_i32_i24_e32 v66, v133, v85
	v_add3_u32 v2, v2, v5, v6
	v_mul_i32_i24_e32 v67, v134, v86
	v_add3_u32 v1, v1, v68, v70
	v_mul_i32_i24_e32 v68, v135, v73
	v_mul_i32_i24_e32 v5, v91, v123
	v_add3_u32 v2, v2, v7, v8
	v_mul_i32_i24_e32 v7, v99, v120
	;; [unrolled: 5-line block ×3, first 2 shown]
	v_mul_i32_i24_e32 v10, v96, v118
	v_mul_lo_u32 v1, v1, v153
	s_delay_alu instid0(VALU_DEP_4) | instskip(SKIP_1) | instid1(VALU_DEP_2)
	v_add3_u32 v2, v2, v21, v48
	v_mul_i32_i24_e32 v21, v97, v116
	v_add3_u32 v2, v2, v49, v66
	s_delay_alu instid0(VALU_DEP_2) | instskip(NEXT) | instid1(VALU_DEP_2)
	v_mad_i32_i24 v21, v100, v117, v21
	v_add3_u32 v2, v2, v67, v68
	s_delay_alu instid0(VALU_DEP_2) | instskip(NEXT) | instid1(VALU_DEP_2)
	v_add3_u32 v9, v21, v10, v9
	v_mad_co_u64_u32 v[1:2], null, v2, v115, v[1:2]
	s_delay_alu instid0(VALU_DEP_2) | instskip(NEXT) | instid1(VALU_DEP_1)
	v_add3_u32 v7, v9, v7, v8
	v_add3_u32 v5, v7, v6, v5
	s_delay_alu instid0(VALU_DEP_3) | instskip(NEXT) | instid1(VALU_DEP_2)
	v_cvt_f32_i32_e32 v1, v1
	v_cvt_f32_i32_e32 v2, v5
	s_delay_alu instid0(VALU_DEP_1) | instskip(NEXT) | instid1(VALU_DEP_1)
	v_mul_f32_e32 v2, v114, v2
	v_fma_mix_f32 v1, v113, v1, -v2 op_sel_hi:[1,0,0]
	s_delay_alu instid0(VALU_DEP_1) | instskip(SKIP_3) | instid1(VALU_DEP_1)
	v_fmac_f32_e32 v30, v4, v1
	scratch_load_b32 v1, off, off offset:40 ; 4-byte Folded Reload
	s_wait_loadcnt 0x0
	v_or_b32_e32 v1, s18, v1
	v_lshlrev_b32_e32 v2, 2, v1
	v_lshrrev_b32_e32 v1, 1, v1
	ds_load_b32 v4, v1 offset:30368
	ds_load_b128 v[66:69], v2 offset:16896
	ds_load_b128 v[70:73], v2 offset:16912
	s_wait_dscnt 0x1
	v_ashrrev_i32_e32 v8, 24, v66
	s_wait_dscnt 0x0
	v_bfe_i32 v77, v70, 0, 8
	v_bfe_i32 v78, v70, 8, 8
	v_bfe_i32 v79, v70, 16, 8
	v_ashrrev_i32_e32 v70, 24, v70
	v_bfe_i32 v80, v71, 0, 8
	v_bfe_i32 v81, v71, 8, 8
	v_bfe_i32 v82, v71, 16, 8
	v_ashrrev_i32_e32 v71, 24, v71
	;; [unrolled: 4-line block ×4, first 2 shown]
	v_add_nc_u32_e32 v1, v71, v70
	v_ashrrev_i32_e32 v48, 24, v67
	v_bfe_i32 v5, v66, 0, 8
	v_bfe_i32 v6, v66, 8, 8
	;; [unrolled: 1-line block ×3, first 2 shown]
	v_add3_u32 v89, v1, v72, v73
	v_add_nc_u32_e32 v1, v82, v79
	v_bfe_i32 v9, v67, 0, 8
	v_bfe_i32 v10, v67, 8, 8
	;; [unrolled: 1-line block ×4, first 2 shown]
	v_add3_u32 v90, v1, v85, v88
	v_add_nc_u32_e32 v1, v80, v77
	v_bfe_i32 v66, v68, 8, 8
	v_bfe_i32 v67, v68, 16, 8
	v_ashrrev_i32_e32 v68, 24, v68
	v_bfe_i32 v74, v69, 0, 8
	v_add3_u32 v91, v1, v83, v86
	v_add_nc_u32_e32 v1, v81, v78
	v_bfe_i32 v75, v69, 8, 8
	v_bfe_i32 v76, v69, 16, 8
	v_ashrrev_i32_e32 v69, 24, v69
	v_mul_i32_i24_e32 v2, v7, v254
	v_add3_u32 v96, v1, v84, v87
	v_add_nc_u32_e32 v1, v48, v8
	v_mul_i32_i24_e32 v101, v8, v255
	v_mul_i32_i24_e32 v102, v95, v21
	v_mul_i32_i24_e32 v103, v244, v48
	v_mul_i32_i24_e32 v104, v245, v49
	v_add3_u32 v97, v1, v68, v69
	v_add_nc_u32_e32 v1, v21, v7
	v_mul_i32_i24_e32 v105, v246, v66
	v_mul_i32_i24_e32 v106, v247, v67
	v_mul_i32_i24_e32 v107, v248, v68
	;; [unrolled: 6-line block ×3, first 2 shown]
	v_mul_i32_i24_e32 v112, v59, v73
	v_add3_u32 v99, v1, v66, v75
	v_add_nc_u32_e32 v1, v9, v5
	s_delay_alu instid0(VALU_DEP_1) | instskip(SKIP_1) | instid1(VALU_DEP_1)
	v_add3_u32 v100, v1, v49, v74
	v_mul_i32_i24_e32 v1, v5, v253
	v_mad_i32_i24 v1, v6, v92, v1
	s_delay_alu instid0(VALU_DEP_1) | instskip(SKIP_2) | instid1(VALU_DEP_1)
	v_add3_u32 v1, v1, v2, v101
	v_mul_i32_i24_e32 v2, v93, v9
	v_mul_i32_i24_e32 v101, v94, v10
	v_add3_u32 v1, v1, v2, v101
	v_mul_i32_i24_e32 v2, v60, v77
	v_mul_i32_i24_e32 v101, v61, v79
	s_delay_alu instid0(VALU_DEP_3) | instskip(SKIP_1) | instid1(VALU_DEP_4)
	v_add3_u32 v1, v1, v102, v103
	v_mul_i32_i24_e32 v102, v65, v70
	v_mad_i32_i24 v2, v33, v78, v2
	v_mul_i32_i24_e32 v103, v38, v82
	s_delay_alu instid0(VALU_DEP_4) | instskip(SKIP_1) | instid1(VALU_DEP_4)
	v_add3_u32 v1, v1, v104, v105
	v_mul_i32_i24_e32 v104, v39, v71
	v_add3_u32 v2, v2, v101, v102
	v_mul_i32_i24_e32 v101, v35, v80
	v_mul_i32_i24_e32 v102, v37, v81
	v_add3_u32 v1, v1, v106, v107
	v_mul_i32_i24_e32 v105, v40, v83
	v_mul_i32_i24_e32 v106, v42, v84
	v_mul_i32_i24_e32 v107, v43, v85
	v_add3_u32 v2, v2, v101, v102
	v_add3_u32 v1, v1, v108, v109
	v_mul_i32_i24_e32 v108, v44, v72
	v_mul_i32_i24_e32 v109, v56, v86
	v_mul_i32_i24_e32 v101, v89, v50
	v_add3_u32 v2, v2, v103, v104
	;; [unrolled: 5-line block ×3, first 2 shown]
	v_mul_i32_i24_e32 v105, v97, v46
	v_mul_i32_i24_e32 v106, v98, v47
	;; [unrolled: 1-line block ×3, first 2 shown]
	v_mul_lo_u32 v1, v1, v25
	v_add3_u32 v2, v2, v107, v108
	v_mul_i32_i24_e32 v107, v100, v20
	v_mul_i32_i24_e32 v102, v90, v54
	;; [unrolled: 1-line block ×3, first 2 shown]
	s_delay_alu instid0(VALU_DEP_4) | instskip(NEXT) | instid1(VALU_DEP_4)
	v_add3_u32 v2, v2, v109, v110
	v_mad_i32_i24 v107, v99, v51, v107
	v_mul_i32_i24_e32 v109, v237, v75
	v_mul_i32_i24_e32 v110, v238, v76
	s_delay_alu instid0(VALU_DEP_4) | instskip(NEXT) | instid1(VALU_DEP_4)
	v_add3_u32 v2, v2, v111, v112
	v_add3_u32 v105, v107, v106, v105
	v_mul_i32_i24_e32 v106, v234, v67
	v_mul_i32_i24_e32 v107, v235, v68
	;; [unrolled: 1-line block ×3, first 2 shown]
	v_mad_co_u64_u32 v[1:2], null, v2, v63, v[1:2]
	v_add3_u32 v103, v105, v103, v104
	v_mul_i32_i24_e32 v104, v231, v49
	v_mul_i32_i24_e32 v105, v233, v66
	;; [unrolled: 1-line block ×3, first 2 shown]
	s_delay_alu instid0(VALU_DEP_4) | instskip(SKIP_3) | instid1(VALU_DEP_4)
	v_add3_u32 v101, v103, v102, v101
	v_cvt_f32_i32_e32 v1, v1
	v_mul_i32_i24_e32 v102, v229, v21
	v_mul_i32_i24_e32 v103, v230, v48
	v_cvt_f32_i32_e32 v2, v101
	v_mul_i32_i24_e32 v101, v8, v243
	s_delay_alu instid0(VALU_DEP_2) | instskip(NEXT) | instid1(VALU_DEP_1)
	v_mul_f32_e32 v2, v64, v2
	v_fma_mix_f32 v1, v0, v1, -v2 op_sel_hi:[1,0,0]
	v_mul_i32_i24_e32 v2, v7, v242
	s_delay_alu instid0(VALU_DEP_2) | instskip(SKIP_1) | instid1(VALU_DEP_1)
	v_fmac_f32_e32 v29, v4, v1
	v_mul_i32_i24_e32 v1, v5, v240
	v_mad_i32_i24 v1, v6, v232, v1
	s_delay_alu instid0(VALU_DEP_1) | instskip(SKIP_2) | instid1(VALU_DEP_1)
	v_add3_u32 v1, v1, v2, v101
	v_mul_i32_i24_e32 v2, v227, v9
	v_mul_i32_i24_e32 v101, v228, v10
	v_add3_u32 v1, v1, v2, v101
	v_mul_i32_i24_e32 v2, v222, v77
	v_mul_i32_i24_e32 v101, v225, v79
	s_delay_alu instid0(VALU_DEP_3) | instskip(SKIP_1) | instid1(VALU_DEP_4)
	v_add3_u32 v1, v1, v102, v103
	v_mul_i32_i24_e32 v102, v226, v70
	v_mad_i32_i24 v2, v212, v78, v2
	v_mul_i32_i24_e32 v103, v211, v82
	s_delay_alu instid0(VALU_DEP_4) | instskip(SKIP_1) | instid1(VALU_DEP_4)
	v_add3_u32 v1, v1, v104, v105
	v_mul_i32_i24_e32 v104, v213, v71
	v_add3_u32 v2, v2, v101, v102
	v_mul_i32_i24_e32 v101, v209, v80
	v_mul_i32_i24_e32 v102, v210, v81
	v_add3_u32 v1, v1, v106, v107
	v_mul_i32_i24_e32 v105, v214, v83
	v_mul_i32_i24_e32 v106, v215, v84
	v_mul_i32_i24_e32 v107, v216, v85
	v_add3_u32 v2, v2, v101, v102
	v_add3_u32 v1, v1, v108, v109
	v_mul_i32_i24_e32 v108, v217, v72
	v_mul_i32_i24_e32 v109, v218, v86
	v_mul_i32_i24_e32 v101, v89, v208
	v_add3_u32 v2, v2, v103, v104
	;; [unrolled: 5-line block ×3, first 2 shown]
	v_mul_i32_i24_e32 v105, v97, v204
	v_mul_i32_i24_e32 v106, v98, v203
	;; [unrolled: 1-line block ×3, first 2 shown]
	v_mul_lo_u32 v1, v1, v241
	v_add3_u32 v2, v2, v107, v108
	v_mul_i32_i24_e32 v107, v100, v201
	v_mul_i32_i24_e32 v102, v90, v207
	;; [unrolled: 1-line block ×3, first 2 shown]
	s_delay_alu instid0(VALU_DEP_4) | instskip(NEXT) | instid1(VALU_DEP_4)
	v_add3_u32 v2, v2, v109, v110
	v_mad_i32_i24 v107, v99, v202, v107
	v_mul_i32_i24_e32 v109, v193, v75
	v_mul_i32_i24_e32 v110, v194, v76
	s_delay_alu instid0(VALU_DEP_4) | instskip(NEXT) | instid1(VALU_DEP_4)
	v_add3_u32 v2, v2, v111, v112
	v_add3_u32 v105, v107, v106, v105
	v_mul_i32_i24_e32 v106, v190, v67
	v_mul_i32_i24_e32 v107, v191, v68
	;; [unrolled: 1-line block ×3, first 2 shown]
	v_mad_co_u64_u32 v[1:2], null, v2, v223, v[1:2]
	v_add3_u32 v103, v105, v103, v104
	v_mul_i32_i24_e32 v105, v189, v66
	v_mul_i32_i24_e32 v112, v177, v73
	s_delay_alu instid0(VALU_DEP_3) | instskip(SKIP_3) | instid1(VALU_DEP_4)
	v_add3_u32 v101, v103, v102, v101
	v_cvt_f32_i32_e32 v1, v1
	v_mul_i32_i24_e32 v102, v185, v21
	v_mul_i32_i24_e32 v103, v186, v48
	v_cvt_f32_i32_e32 v2, v101
	v_mul_i32_i24_e32 v101, v8, v200
	s_delay_alu instid0(VALU_DEP_2) | instskip(SKIP_1) | instid1(VALU_DEP_2)
	v_mul_f32_e32 v2, v224, v2
	v_mul_i32_i24_e32 v104, v187, v49
	v_fma_mix_f32 v1, v198, v1, -v2 op_sel_hi:[1,0,0]
	v_mul_i32_i24_e32 v2, v7, v199
	s_delay_alu instid0(VALU_DEP_2) | instskip(SKIP_1) | instid1(VALU_DEP_1)
	v_fmac_f32_e32 v28, v4, v1
	v_mul_i32_i24_e32 v1, v5, v196
	v_mad_i32_i24 v1, v6, v188, v1
	s_delay_alu instid0(VALU_DEP_1) | instskip(SKIP_2) | instid1(VALU_DEP_1)
	v_add3_u32 v1, v1, v2, v101
	v_mul_i32_i24_e32 v2, v183, v9
	v_mul_i32_i24_e32 v101, v184, v10
	v_add3_u32 v1, v1, v2, v101
	v_mul_i32_i24_e32 v2, v178, v77
	v_mul_i32_i24_e32 v101, v181, v79
	s_delay_alu instid0(VALU_DEP_3) | instskip(SKIP_1) | instid1(VALU_DEP_4)
	v_add3_u32 v1, v1, v102, v103
	v_mul_i32_i24_e32 v102, v182, v70
	v_mad_i32_i24 v2, v168, v78, v2
	v_mul_i32_i24_e32 v103, v167, v82
	s_delay_alu instid0(VALU_DEP_4) | instskip(SKIP_1) | instid1(VALU_DEP_4)
	v_add3_u32 v1, v1, v104, v105
	v_mul_i32_i24_e32 v104, v169, v71
	v_add3_u32 v2, v2, v101, v102
	v_mul_i32_i24_e32 v101, v165, v80
	v_mul_i32_i24_e32 v102, v166, v81
	v_add3_u32 v1, v1, v106, v107
	v_mul_i32_i24_e32 v105, v170, v83
	v_mul_i32_i24_e32 v106, v171, v84
	v_mul_i32_i24_e32 v107, v172, v85
	v_add3_u32 v2, v2, v101, v102
	v_add3_u32 v1, v1, v108, v109
	v_mul_i32_i24_e32 v108, v173, v72
	v_mul_i32_i24_e32 v109, v174, v86
	v_mul_i32_i24_e32 v101, v89, v164
	v_add3_u32 v2, v2, v103, v104
	;; [unrolled: 5-line block ×3, first 2 shown]
	v_mul_i32_i24_e32 v105, v97, v160
	v_mul_i32_i24_e32 v106, v98, v159
	;; [unrolled: 1-line block ×3, first 2 shown]
	v_mul_lo_u32 v1, v1, v197
	v_add3_u32 v2, v2, v107, v108
	v_mul_i32_i24_e32 v107, v100, v157
	v_mul_i32_i24_e32 v102, v90, v163
	s_delay_alu instid0(VALU_DEP_3) | instskip(NEXT) | instid1(VALU_DEP_3)
	v_add3_u32 v2, v2, v109, v110
	v_mad_i32_i24 v107, v99, v158, v107
	s_delay_alu instid0(VALU_DEP_2) | instskip(NEXT) | instid1(VALU_DEP_2)
	v_add3_u32 v2, v2, v111, v112
	v_add3_u32 v105, v107, v106, v105
	s_delay_alu instid0(VALU_DEP_2) | instskip(NEXT) | instid1(VALU_DEP_2)
	v_mad_co_u64_u32 v[1:2], null, v2, v179, v[1:2]
	v_add3_u32 v103, v105, v103, v104
	s_delay_alu instid0(VALU_DEP_1) | instskip(NEXT) | instid1(VALU_DEP_3)
	v_add3_u32 v101, v103, v102, v101
	v_cvt_f32_i32_e32 v1, v1
	s_delay_alu instid0(VALU_DEP_2) | instskip(NEXT) | instid1(VALU_DEP_1)
	v_cvt_f32_i32_e32 v2, v101
	v_mul_f32_e32 v2, v180, v2
	s_delay_alu instid0(VALU_DEP_1) | instskip(SKIP_3) | instid1(VALU_DEP_4)
	v_fma_mix_f32 v1, v154, v1, -v2 op_sel_hi:[1,0,0]
	v_mul_i32_i24_e32 v2, v7, v155
	v_mul_i32_i24_e32 v7, v142, v48
	v_mul_i32_i24_e32 v48, v148, v74
	v_fmac_f32_e32 v27, v4, v1
	v_mul_i32_i24_e32 v1, v5, v152
	v_mul_i32_i24_e32 v5, v8, v156
	;; [unrolled: 1-line block ×4, first 2 shown]
	s_delay_alu instid0(VALU_DEP_4) | instskip(SKIP_3) | instid1(VALU_DEP_4)
	v_mad_i32_i24 v1, v6, v144, v1
	v_mul_i32_i24_e32 v6, v141, v21
	v_mul_i32_i24_e32 v21, v147, v68
	v_mul_i32_i24_e32 v68, v135, v73
	v_add3_u32 v1, v1, v2, v5
	v_mul_i32_i24_e32 v2, v3, v9
	v_mul_i32_i24_e32 v5, v140, v10
	;; [unrolled: 1-line block ×6, first 2 shown]
	v_add3_u32 v1, v1, v2, v5
	v_mul_i32_i24_e32 v2, v137, v77
	v_mul_i32_i24_e32 v5, v138, v79
	s_delay_alu instid0(VALU_DEP_3) | instskip(SKIP_1) | instid1(VALU_DEP_4)
	v_add3_u32 v1, v1, v6, v7
	v_mul_i32_i24_e32 v6, v139, v70
	v_mad_i32_i24 v2, v136, v78, v2
	v_mul_i32_i24_e32 v7, v126, v82
	s_delay_alu instid0(VALU_DEP_4) | instskip(SKIP_1) | instid1(VALU_DEP_4)
	v_add3_u32 v1, v1, v8, v9
	v_mul_i32_i24_e32 v8, v127, v71
	v_add3_u32 v2, v2, v5, v6
	v_mul_i32_i24_e32 v5, v124, v80
	v_mul_i32_i24_e32 v6, v125, v81
	v_add3_u32 v1, v1, v10, v21
	v_mul_i32_i24_e32 v9, v128, v83
	v_mul_i32_i24_e32 v10, v129, v84
	v_mul_i32_i24_e32 v21, v130, v85
	v_add3_u32 v2, v2, v5, v6
	v_add3_u32 v1, v1, v48, v49
	v_mul_i32_i24_e32 v48, v131, v72
	v_mul_i32_i24_e32 v49, v132, v86
	v_mul_i32_i24_e32 v5, v89, v123
	v_add3_u32 v2, v2, v7, v8
	;; [unrolled: 5-line block ×3, first 2 shown]
	v_mul_i32_i24_e32 v9, v97, v119
	v_mul_i32_i24_e32 v10, v98, v118
	;; [unrolled: 1-line block ×3, first 2 shown]
	v_mul_lo_u32 v1, v1, v153
	v_add3_u32 v2, v2, v21, v48
	v_mul_i32_i24_e32 v21, v100, v116
	v_mul_i32_i24_e32 v6, v90, v122
	s_delay_alu instid0(VALU_DEP_3) | instskip(NEXT) | instid1(VALU_DEP_3)
	v_add3_u32 v2, v2, v49, v66
	v_mad_i32_i24 v21, v99, v117, v21
	s_delay_alu instid0(VALU_DEP_2) | instskip(NEXT) | instid1(VALU_DEP_2)
	v_add3_u32 v2, v2, v67, v68
	v_add3_u32 v9, v21, v10, v9
	s_delay_alu instid0(VALU_DEP_2) | instskip(NEXT) | instid1(VALU_DEP_2)
	v_mad_co_u64_u32 v[1:2], null, v2, v115, v[1:2]
	v_add3_u32 v7, v9, v7, v8
	s_delay_alu instid0(VALU_DEP_1) | instskip(NEXT) | instid1(VALU_DEP_3)
	v_add3_u32 v5, v7, v6, v5
	v_cvt_f32_i32_e32 v1, v1
	s_delay_alu instid0(VALU_DEP_2) | instskip(NEXT) | instid1(VALU_DEP_1)
	v_cvt_f32_i32_e32 v2, v5
	v_mul_f32_e32 v2, v114, v2
	s_delay_alu instid0(VALU_DEP_1) | instskip(NEXT) | instid1(VALU_DEP_1)
	v_fma_mix_f32 v1, v113, v1, -v2 op_sel_hi:[1,0,0]
	v_fmac_f32_e32 v26, v4, v1
	scratch_load_b32 v1, off, off offset:36 ; 4-byte Folded Reload
	s_wait_loadcnt 0x0
	v_or_b32_e32 v1, s18, v1
	s_delay_alu instid0(VALU_DEP_1)
	v_lshlrev_b32_e32 v2, 2, v1
	v_lshrrev_b32_e32 v1, 1, v1
	ds_load_b32 v4, v1 offset:30368
	ds_load_b128 v[66:69], v2 offset:16896
	ds_load_b128 v[70:73], v2 offset:16912
	s_wait_dscnt 0x1
	v_ashrrev_i32_e32 v8, 24, v66
	s_wait_dscnt 0x0
	v_bfe_i32 v77, v70, 0, 8
	v_bfe_i32 v78, v70, 8, 8
	v_bfe_i32 v79, v70, 16, 8
	v_ashrrev_i32_e32 v70, 24, v70
	v_bfe_i32 v80, v71, 0, 8
	v_bfe_i32 v81, v71, 8, 8
	v_bfe_i32 v82, v71, 16, 8
	v_ashrrev_i32_e32 v71, 24, v71
	;; [unrolled: 4-line block ×4, first 2 shown]
	v_add_nc_u32_e32 v1, v71, v70
	v_ashrrev_i32_e32 v48, 24, v67
	v_bfe_i32 v5, v66, 0, 8
	v_bfe_i32 v6, v66, 8, 8
	;; [unrolled: 1-line block ×3, first 2 shown]
	v_add3_u32 v89, v1, v72, v73
	v_add_nc_u32_e32 v1, v82, v79
	v_bfe_i32 v9, v67, 0, 8
	v_bfe_i32 v10, v67, 8, 8
	;; [unrolled: 1-line block ×4, first 2 shown]
	v_add3_u32 v90, v1, v85, v88
	v_add_nc_u32_e32 v1, v80, v77
	v_bfe_i32 v66, v68, 8, 8
	v_bfe_i32 v67, v68, 16, 8
	v_ashrrev_i32_e32 v68, 24, v68
	v_bfe_i32 v74, v69, 0, 8
	v_add3_u32 v91, v1, v83, v86
	v_add_nc_u32_e32 v1, v81, v78
	v_bfe_i32 v75, v69, 8, 8
	v_bfe_i32 v76, v69, 16, 8
	v_ashrrev_i32_e32 v69, 24, v69
	v_mul_i32_i24_e32 v2, v7, v254
	v_add3_u32 v96, v1, v84, v87
	v_add_nc_u32_e32 v1, v48, v8
	v_mul_i32_i24_e32 v101, v8, v255
	v_mul_i32_i24_e32 v102, v95, v21
	v_mul_i32_i24_e32 v103, v244, v48
	v_mul_i32_i24_e32 v104, v245, v49
	v_add3_u32 v97, v1, v68, v69
	v_add_nc_u32_e32 v1, v21, v7
	v_mul_i32_i24_e32 v105, v246, v66
	v_mul_i32_i24_e32 v106, v247, v67
	v_mul_i32_i24_e32 v107, v248, v68
	;; [unrolled: 6-line block ×3, first 2 shown]
	v_mul_i32_i24_e32 v112, v59, v73
	v_add3_u32 v99, v1, v66, v75
	v_add_nc_u32_e32 v1, v9, v5
	s_delay_alu instid0(VALU_DEP_1) | instskip(SKIP_1) | instid1(VALU_DEP_1)
	v_add3_u32 v100, v1, v49, v74
	v_mul_i32_i24_e32 v1, v5, v253
	v_mad_i32_i24 v1, v6, v92, v1
	s_delay_alu instid0(VALU_DEP_1) | instskip(SKIP_2) | instid1(VALU_DEP_1)
	v_add3_u32 v1, v1, v2, v101
	v_mul_i32_i24_e32 v2, v93, v9
	v_mul_i32_i24_e32 v101, v94, v10
	v_add3_u32 v1, v1, v2, v101
	v_mul_i32_i24_e32 v2, v60, v77
	v_mul_i32_i24_e32 v101, v61, v79
	s_delay_alu instid0(VALU_DEP_3) | instskip(SKIP_1) | instid1(VALU_DEP_4)
	v_add3_u32 v1, v1, v102, v103
	v_mul_i32_i24_e32 v102, v65, v70
	v_mad_i32_i24 v2, v33, v78, v2
	v_mul_i32_i24_e32 v103, v38, v82
	s_delay_alu instid0(VALU_DEP_4) | instskip(SKIP_1) | instid1(VALU_DEP_4)
	v_add3_u32 v1, v1, v104, v105
	v_mul_i32_i24_e32 v104, v39, v71
	v_add3_u32 v2, v2, v101, v102
	v_mul_i32_i24_e32 v101, v35, v80
	v_mul_i32_i24_e32 v102, v37, v81
	v_add3_u32 v1, v1, v106, v107
	v_mul_i32_i24_e32 v105, v40, v83
	v_mul_i32_i24_e32 v106, v42, v84
	v_mul_i32_i24_e32 v107, v43, v85
	v_add3_u32 v2, v2, v101, v102
	v_add3_u32 v1, v1, v108, v109
	v_mul_i32_i24_e32 v108, v44, v72
	v_mul_i32_i24_e32 v109, v56, v86
	v_mul_i32_i24_e32 v101, v89, v50
	v_add3_u32 v2, v2, v103, v104
	;; [unrolled: 5-line block ×3, first 2 shown]
	v_mul_i32_i24_e32 v105, v97, v46
	v_mul_i32_i24_e32 v106, v98, v47
	;; [unrolled: 1-line block ×3, first 2 shown]
	v_mul_lo_u32 v1, v1, v25
	v_add3_u32 v2, v2, v107, v108
	v_mul_i32_i24_e32 v107, v100, v20
	v_mul_i32_i24_e32 v102, v90, v54
	;; [unrolled: 1-line block ×3, first 2 shown]
	s_delay_alu instid0(VALU_DEP_4) | instskip(NEXT) | instid1(VALU_DEP_4)
	v_add3_u32 v2, v2, v109, v110
	v_mad_i32_i24 v107, v99, v51, v107
	v_mul_i32_i24_e32 v109, v237, v75
	v_mul_i32_i24_e32 v110, v238, v76
	s_delay_alu instid0(VALU_DEP_4) | instskip(NEXT) | instid1(VALU_DEP_4)
	v_add3_u32 v2, v2, v111, v112
	v_add3_u32 v105, v107, v106, v105
	v_mul_i32_i24_e32 v106, v234, v67
	v_mul_i32_i24_e32 v107, v235, v68
	;; [unrolled: 1-line block ×3, first 2 shown]
	v_mad_co_u64_u32 v[1:2], null, v2, v63, v[1:2]
	v_add3_u32 v103, v105, v103, v104
	v_mul_i32_i24_e32 v104, v231, v49
	v_mul_i32_i24_e32 v105, v233, v66
	;; [unrolled: 1-line block ×3, first 2 shown]
	s_delay_alu instid0(VALU_DEP_4) | instskip(SKIP_3) | instid1(VALU_DEP_4)
	v_add3_u32 v101, v103, v102, v101
	v_cvt_f32_i32_e32 v1, v1
	v_mul_i32_i24_e32 v102, v229, v21
	v_mul_i32_i24_e32 v103, v230, v48
	v_cvt_f32_i32_e32 v2, v101
	v_mul_i32_i24_e32 v101, v8, v243
	s_delay_alu instid0(VALU_DEP_2) | instskip(NEXT) | instid1(VALU_DEP_1)
	v_mul_f32_e32 v2, v64, v2
	v_fma_mix_f32 v1, v0, v1, -v2 op_sel_hi:[1,0,0]
	v_mul_i32_i24_e32 v2, v7, v242
	s_delay_alu instid0(VALU_DEP_2) | instskip(SKIP_1) | instid1(VALU_DEP_1)
	v_fmac_f32_e32 v24, v4, v1
	v_mul_i32_i24_e32 v1, v5, v240
	v_mad_i32_i24 v1, v6, v232, v1
	s_delay_alu instid0(VALU_DEP_1) | instskip(SKIP_2) | instid1(VALU_DEP_1)
	v_add3_u32 v1, v1, v2, v101
	v_mul_i32_i24_e32 v2, v227, v9
	v_mul_i32_i24_e32 v101, v228, v10
	v_add3_u32 v1, v1, v2, v101
	v_mul_i32_i24_e32 v2, v222, v77
	v_mul_i32_i24_e32 v101, v225, v79
	s_delay_alu instid0(VALU_DEP_3) | instskip(SKIP_1) | instid1(VALU_DEP_4)
	v_add3_u32 v1, v1, v102, v103
	v_mul_i32_i24_e32 v102, v226, v70
	v_mad_i32_i24 v2, v212, v78, v2
	v_mul_i32_i24_e32 v103, v211, v82
	s_delay_alu instid0(VALU_DEP_4) | instskip(SKIP_1) | instid1(VALU_DEP_4)
	v_add3_u32 v1, v1, v104, v105
	v_mul_i32_i24_e32 v104, v213, v71
	v_add3_u32 v2, v2, v101, v102
	v_mul_i32_i24_e32 v101, v209, v80
	v_mul_i32_i24_e32 v102, v210, v81
	v_add3_u32 v1, v1, v106, v107
	v_mul_i32_i24_e32 v105, v214, v83
	v_mul_i32_i24_e32 v106, v215, v84
	v_mul_i32_i24_e32 v107, v216, v85
	v_add3_u32 v2, v2, v101, v102
	v_add3_u32 v1, v1, v108, v109
	v_mul_i32_i24_e32 v108, v217, v72
	v_mul_i32_i24_e32 v109, v218, v86
	v_mul_i32_i24_e32 v101, v89, v208
	v_add3_u32 v2, v2, v103, v104
	;; [unrolled: 5-line block ×3, first 2 shown]
	v_mul_i32_i24_e32 v105, v97, v204
	v_mul_i32_i24_e32 v106, v98, v203
	v_mul_i32_i24_e32 v111, v220, v88
	v_mul_lo_u32 v1, v1, v241
	v_add3_u32 v2, v2, v107, v108
	v_mul_i32_i24_e32 v107, v100, v201
	v_mul_i32_i24_e32 v102, v90, v207
	v_mul_i32_i24_e32 v108, v192, v74
	s_delay_alu instid0(VALU_DEP_4) | instskip(NEXT) | instid1(VALU_DEP_4)
	v_add3_u32 v2, v2, v109, v110
	v_mad_i32_i24 v107, v99, v202, v107
	v_mul_i32_i24_e32 v109, v193, v75
	v_mul_i32_i24_e32 v110, v194, v76
	s_delay_alu instid0(VALU_DEP_4) | instskip(NEXT) | instid1(VALU_DEP_4)
	v_add3_u32 v2, v2, v111, v112
	v_add3_u32 v105, v107, v106, v105
	v_mul_i32_i24_e32 v106, v190, v67
	v_mul_i32_i24_e32 v107, v191, v68
	;; [unrolled: 1-line block ×3, first 2 shown]
	v_mad_co_u64_u32 v[1:2], null, v2, v223, v[1:2]
	v_add3_u32 v103, v105, v103, v104
	v_mul_i32_i24_e32 v104, v187, v49
	v_mul_i32_i24_e32 v105, v189, v66
	;; [unrolled: 1-line block ×3, first 2 shown]
	s_delay_alu instid0(VALU_DEP_4) | instskip(SKIP_3) | instid1(VALU_DEP_4)
	v_add3_u32 v101, v103, v102, v101
	v_cvt_f32_i32_e32 v1, v1
	v_mul_i32_i24_e32 v102, v185, v21
	v_mul_i32_i24_e32 v103, v186, v48
	v_cvt_f32_i32_e32 v2, v101
	v_mul_i32_i24_e32 v101, v8, v200
	s_delay_alu instid0(VALU_DEP_2) | instskip(NEXT) | instid1(VALU_DEP_1)
	v_mul_f32_e32 v2, v224, v2
	v_fma_mix_f32 v1, v198, v1, -v2 op_sel_hi:[1,0,0]
	v_mul_i32_i24_e32 v2, v7, v199
	s_delay_alu instid0(VALU_DEP_2) | instskip(SKIP_1) | instid1(VALU_DEP_1)
	v_fmac_f32_e32 v23, v4, v1
	v_mul_i32_i24_e32 v1, v5, v196
	v_mad_i32_i24 v1, v6, v188, v1
	s_delay_alu instid0(VALU_DEP_1) | instskip(SKIP_2) | instid1(VALU_DEP_1)
	v_add3_u32 v1, v1, v2, v101
	v_mul_i32_i24_e32 v2, v183, v9
	v_mul_i32_i24_e32 v101, v184, v10
	v_add3_u32 v1, v1, v2, v101
	v_mul_i32_i24_e32 v2, v178, v77
	v_mul_i32_i24_e32 v101, v181, v79
	s_delay_alu instid0(VALU_DEP_3) | instskip(SKIP_1) | instid1(VALU_DEP_4)
	v_add3_u32 v1, v1, v102, v103
	v_mul_i32_i24_e32 v102, v182, v70
	v_mad_i32_i24 v2, v168, v78, v2
	v_mul_i32_i24_e32 v103, v167, v82
	s_delay_alu instid0(VALU_DEP_4) | instskip(SKIP_1) | instid1(VALU_DEP_4)
	v_add3_u32 v1, v1, v104, v105
	v_mul_i32_i24_e32 v104, v169, v71
	v_add3_u32 v2, v2, v101, v102
	v_mul_i32_i24_e32 v101, v165, v80
	v_mul_i32_i24_e32 v102, v166, v81
	v_add3_u32 v1, v1, v106, v107
	v_mul_i32_i24_e32 v105, v170, v83
	v_mul_i32_i24_e32 v106, v171, v84
	v_mul_i32_i24_e32 v107, v172, v85
	v_add3_u32 v2, v2, v101, v102
	v_add3_u32 v1, v1, v108, v109
	v_mul_i32_i24_e32 v108, v173, v72
	v_mul_i32_i24_e32 v109, v174, v86
	v_mul_i32_i24_e32 v101, v89, v164
	v_add3_u32 v2, v2, v103, v104
	v_add3_u32 v1, v1, v110, v111
	v_mul_i32_i24_e32 v110, v175, v87
	v_mul_i32_i24_e32 v103, v91, v161
	v_mul_i32_i24_e32 v104, v96, v162
	v_add3_u32 v2, v2, v105, v106
	v_mul_i32_i24_e32 v105, v97, v160
	v_mul_i32_i24_e32 v106, v98, v159
	;; [unrolled: 1-line block ×3, first 2 shown]
	v_mul_lo_u32 v1, v1, v197
	v_add3_u32 v2, v2, v107, v108
	v_mul_i32_i24_e32 v107, v100, v157
	v_mul_i32_i24_e32 v102, v90, v163
	s_delay_alu instid0(VALU_DEP_3) | instskip(NEXT) | instid1(VALU_DEP_3)
	v_add3_u32 v2, v2, v109, v110
	v_mad_i32_i24 v107, v99, v158, v107
	s_delay_alu instid0(VALU_DEP_2) | instskip(NEXT) | instid1(VALU_DEP_2)
	v_add3_u32 v2, v2, v111, v112
	v_add3_u32 v105, v107, v106, v105
	s_delay_alu instid0(VALU_DEP_2) | instskip(NEXT) | instid1(VALU_DEP_2)
	v_mad_co_u64_u32 v[1:2], null, v2, v179, v[1:2]
	v_add3_u32 v103, v105, v103, v104
	s_delay_alu instid0(VALU_DEP_1) | instskip(NEXT) | instid1(VALU_DEP_3)
	v_add3_u32 v101, v103, v102, v101
	v_cvt_f32_i32_e32 v1, v1
	s_delay_alu instid0(VALU_DEP_2) | instskip(NEXT) | instid1(VALU_DEP_1)
	v_cvt_f32_i32_e32 v2, v101
	v_mul_f32_e32 v2, v180, v2
	s_delay_alu instid0(VALU_DEP_1) | instskip(SKIP_3) | instid1(VALU_DEP_4)
	v_fma_mix_f32 v1, v154, v1, -v2 op_sel_hi:[1,0,0]
	v_mul_i32_i24_e32 v2, v7, v155
	v_mul_i32_i24_e32 v7, v142, v48
	;; [unrolled: 1-line block ×3, first 2 shown]
	v_fmac_f32_e32 v22, v4, v1
	v_mul_i32_i24_e32 v1, v5, v152
	v_mul_i32_i24_e32 v5, v8, v156
	;; [unrolled: 1-line block ×4, first 2 shown]
	s_delay_alu instid0(VALU_DEP_4) | instskip(SKIP_3) | instid1(VALU_DEP_4)
	v_mad_i32_i24 v1, v6, v144, v1
	v_mul_i32_i24_e32 v6, v141, v21
	v_mul_i32_i24_e32 v21, v147, v68
	;; [unrolled: 1-line block ×3, first 2 shown]
	v_add3_u32 v1, v1, v2, v5
	v_mul_i32_i24_e32 v2, v3, v9
	v_mul_i32_i24_e32 v5, v140, v10
	;; [unrolled: 1-line block ×6, first 2 shown]
	v_add3_u32 v1, v1, v2, v5
	v_mul_i32_i24_e32 v2, v137, v77
	v_mul_i32_i24_e32 v5, v138, v79
	s_delay_alu instid0(VALU_DEP_3) | instskip(SKIP_1) | instid1(VALU_DEP_4)
	v_add3_u32 v1, v1, v6, v7
	v_mul_i32_i24_e32 v6, v139, v70
	v_mad_i32_i24 v2, v136, v78, v2
	v_mul_i32_i24_e32 v7, v126, v82
	s_delay_alu instid0(VALU_DEP_4) | instskip(SKIP_1) | instid1(VALU_DEP_4)
	v_add3_u32 v1, v1, v8, v9
	v_mul_i32_i24_e32 v8, v127, v71
	v_add3_u32 v2, v2, v5, v6
	v_mul_i32_i24_e32 v5, v124, v80
	v_mul_i32_i24_e32 v6, v125, v81
	v_add3_u32 v1, v1, v10, v21
	v_mul_i32_i24_e32 v9, v128, v83
	v_mul_i32_i24_e32 v10, v129, v84
	v_mul_i32_i24_e32 v21, v130, v85
	v_add3_u32 v2, v2, v5, v6
	v_add3_u32 v1, v1, v48, v49
	v_mul_i32_i24_e32 v48, v131, v72
	v_mul_i32_i24_e32 v49, v132, v86
	v_mul_i32_i24_e32 v5, v89, v123
	v_add3_u32 v2, v2, v7, v8
	;; [unrolled: 5-line block ×3, first 2 shown]
	v_mul_i32_i24_e32 v9, v97, v119
	v_mul_i32_i24_e32 v10, v98, v118
	v_mul_i32_i24_e32 v67, v134, v88
	v_mul_lo_u32 v1, v1, v153
	v_add3_u32 v2, v2, v21, v48
	v_mul_i32_i24_e32 v21, v100, v116
	v_mul_i32_i24_e32 v6, v90, v122
	s_delay_alu instid0(VALU_DEP_3) | instskip(NEXT) | instid1(VALU_DEP_3)
	v_add3_u32 v2, v2, v49, v66
	v_mad_i32_i24 v21, v99, v117, v21
	s_delay_alu instid0(VALU_DEP_2) | instskip(NEXT) | instid1(VALU_DEP_2)
	v_add3_u32 v2, v2, v67, v68
	v_add3_u32 v9, v21, v10, v9
	s_delay_alu instid0(VALU_DEP_2) | instskip(NEXT) | instid1(VALU_DEP_2)
	v_mad_co_u64_u32 v[1:2], null, v2, v115, v[1:2]
	v_add3_u32 v7, v9, v7, v8
	s_delay_alu instid0(VALU_DEP_1) | instskip(NEXT) | instid1(VALU_DEP_3)
	v_add3_u32 v5, v7, v6, v5
	v_cvt_f32_i32_e32 v1, v1
	s_delay_alu instid0(VALU_DEP_2) | instskip(NEXT) | instid1(VALU_DEP_1)
	v_cvt_f32_i32_e32 v2, v5
	v_mul_f32_e32 v2, v114, v2
	s_delay_alu instid0(VALU_DEP_1) | instskip(NEXT) | instid1(VALU_DEP_1)
	v_fma_mix_f32 v1, v113, v1, -v2 op_sel_hi:[1,0,0]
	v_fmac_f32_e32 v19, v4, v1
	scratch_load_b32 v1, off, off offset:32 ; 4-byte Folded Reload
	s_wait_loadcnt 0x0
	v_or_b32_e32 v1, s18, v1
	s_delay_alu instid0(VALU_DEP_1)
	v_lshlrev_b32_e32 v2, 2, v1
	v_lshrrev_b32_e32 v1, 1, v1
	ds_load_b32 v4, v1 offset:30368
	ds_load_b128 v[66:69], v2 offset:16896
	ds_load_b128 v[70:73], v2 offset:16912
	s_wait_dscnt 0x1
	v_ashrrev_i32_e32 v8, 24, v66
	s_wait_dscnt 0x0
	v_bfe_i32 v77, v70, 0, 8
	v_bfe_i32 v78, v70, 8, 8
	v_bfe_i32 v79, v70, 16, 8
	v_ashrrev_i32_e32 v70, 24, v70
	v_bfe_i32 v80, v71, 0, 8
	v_bfe_i32 v81, v71, 8, 8
	v_bfe_i32 v82, v71, 16, 8
	v_ashrrev_i32_e32 v71, 24, v71
	;; [unrolled: 4-line block ×4, first 2 shown]
	v_add_nc_u32_e32 v1, v71, v70
	v_ashrrev_i32_e32 v48, 24, v67
	v_bfe_i32 v5, v66, 0, 8
	v_bfe_i32 v6, v66, 8, 8
	;; [unrolled: 1-line block ×3, first 2 shown]
	v_add3_u32 v89, v1, v72, v73
	v_add_nc_u32_e32 v1, v82, v79
	v_bfe_i32 v9, v67, 0, 8
	v_bfe_i32 v10, v67, 8, 8
	;; [unrolled: 1-line block ×4, first 2 shown]
	v_add3_u32 v90, v1, v85, v88
	v_add_nc_u32_e32 v1, v80, v77
	v_bfe_i32 v66, v68, 8, 8
	v_bfe_i32 v67, v68, 16, 8
	v_ashrrev_i32_e32 v68, 24, v68
	v_bfe_i32 v74, v69, 0, 8
	v_add3_u32 v91, v1, v83, v86
	v_add_nc_u32_e32 v1, v81, v78
	v_bfe_i32 v75, v69, 8, 8
	v_bfe_i32 v76, v69, 16, 8
	v_ashrrev_i32_e32 v69, 24, v69
	v_mul_i32_i24_e32 v2, v7, v254
	v_add3_u32 v96, v1, v84, v87
	v_add_nc_u32_e32 v1, v48, v8
	v_mul_i32_i24_e32 v101, v8, v255
	v_mul_i32_i24_e32 v102, v95, v21
	v_mul_i32_i24_e32 v103, v244, v48
	v_mul_i32_i24_e32 v104, v245, v49
	v_add3_u32 v97, v1, v68, v69
	v_add_nc_u32_e32 v1, v21, v7
	v_mul_i32_i24_e32 v105, v246, v66
	v_mul_i32_i24_e32 v106, v247, v67
	v_mul_i32_i24_e32 v107, v248, v68
	;; [unrolled: 6-line block ×3, first 2 shown]
	v_mul_i32_i24_e32 v112, v59, v73
	v_add3_u32 v99, v1, v66, v75
	v_add_nc_u32_e32 v1, v9, v5
	s_delay_alu instid0(VALU_DEP_1) | instskip(SKIP_1) | instid1(VALU_DEP_1)
	v_add3_u32 v100, v1, v49, v74
	v_mul_i32_i24_e32 v1, v5, v253
	v_mad_i32_i24 v1, v6, v92, v1
	s_delay_alu instid0(VALU_DEP_1) | instskip(SKIP_2) | instid1(VALU_DEP_1)
	v_add3_u32 v1, v1, v2, v101
	v_mul_i32_i24_e32 v2, v93, v9
	v_mul_i32_i24_e32 v101, v94, v10
	v_add3_u32 v1, v1, v2, v101
	v_mul_i32_i24_e32 v2, v60, v77
	v_mul_i32_i24_e32 v101, v61, v79
	s_delay_alu instid0(VALU_DEP_3) | instskip(SKIP_1) | instid1(VALU_DEP_4)
	v_add3_u32 v1, v1, v102, v103
	v_mul_i32_i24_e32 v102, v65, v70
	v_mad_i32_i24 v2, v33, v78, v2
	v_mul_i32_i24_e32 v103, v38, v82
	s_delay_alu instid0(VALU_DEP_4) | instskip(SKIP_1) | instid1(VALU_DEP_4)
	v_add3_u32 v1, v1, v104, v105
	v_mul_i32_i24_e32 v104, v39, v71
	v_add3_u32 v2, v2, v101, v102
	v_mul_i32_i24_e32 v101, v35, v80
	v_mul_i32_i24_e32 v102, v37, v81
	v_add3_u32 v1, v1, v106, v107
	v_mul_i32_i24_e32 v105, v40, v83
	v_mul_i32_i24_e32 v106, v42, v84
	v_mul_i32_i24_e32 v107, v43, v85
	v_add3_u32 v2, v2, v101, v102
	v_add3_u32 v1, v1, v108, v109
	v_mul_i32_i24_e32 v108, v44, v72
	v_mul_i32_i24_e32 v109, v56, v86
	v_mul_i32_i24_e32 v101, v89, v50
	v_add3_u32 v2, v2, v103, v104
	;; [unrolled: 5-line block ×3, first 2 shown]
	v_mul_i32_i24_e32 v105, v97, v46
	v_mul_i32_i24_e32 v106, v98, v47
	;; [unrolled: 1-line block ×3, first 2 shown]
	v_mul_lo_u32 v1, v1, v25
	v_add3_u32 v2, v2, v107, v108
	v_mul_i32_i24_e32 v107, v100, v20
	v_mul_i32_i24_e32 v102, v90, v54
	;; [unrolled: 1-line block ×3, first 2 shown]
	s_delay_alu instid0(VALU_DEP_4) | instskip(NEXT) | instid1(VALU_DEP_4)
	v_add3_u32 v2, v2, v109, v110
	v_mad_i32_i24 v107, v99, v51, v107
	v_mul_i32_i24_e32 v109, v237, v75
	v_mul_i32_i24_e32 v110, v238, v76
	s_delay_alu instid0(VALU_DEP_4) | instskip(NEXT) | instid1(VALU_DEP_4)
	v_add3_u32 v2, v2, v111, v112
	v_add3_u32 v105, v107, v106, v105
	v_mul_i32_i24_e32 v106, v234, v67
	v_mul_i32_i24_e32 v107, v235, v68
	;; [unrolled: 1-line block ×3, first 2 shown]
	v_mad_co_u64_u32 v[1:2], null, v2, v63, v[1:2]
	v_add3_u32 v103, v105, v103, v104
	v_mul_i32_i24_e32 v104, v231, v49
	v_mul_i32_i24_e32 v105, v233, v66
	;; [unrolled: 1-line block ×3, first 2 shown]
	s_delay_alu instid0(VALU_DEP_4) | instskip(SKIP_3) | instid1(VALU_DEP_4)
	v_add3_u32 v101, v103, v102, v101
	v_cvt_f32_i32_e32 v1, v1
	v_mul_i32_i24_e32 v102, v229, v21
	v_mul_i32_i24_e32 v103, v230, v48
	v_cvt_f32_i32_e32 v2, v101
	v_mul_i32_i24_e32 v101, v8, v243
	s_delay_alu instid0(VALU_DEP_2) | instskip(NEXT) | instid1(VALU_DEP_1)
	v_mul_f32_e32 v2, v64, v2
	v_fma_mix_f32 v1, v0, v1, -v2 op_sel_hi:[1,0,0]
	scratch_load_b32 v2, off, off offset:4  ; 4-byte Folded Reload
	s_wait_loadcnt 0x0
	v_fmac_f32_e32 v2, v4, v1
	v_mul_i32_i24_e32 v1, v5, v240
	scratch_store_b32 off, v2, off offset:4 ; 4-byte Folded Spill
	v_mul_i32_i24_e32 v2, v7, v242
	v_mad_i32_i24 v1, v6, v232, v1
	s_delay_alu instid0(VALU_DEP_1) | instskip(SKIP_2) | instid1(VALU_DEP_1)
	v_add3_u32 v1, v1, v2, v101
	v_mul_i32_i24_e32 v2, v227, v9
	v_mul_i32_i24_e32 v101, v228, v10
	v_add3_u32 v1, v1, v2, v101
	v_mul_i32_i24_e32 v2, v222, v77
	v_mul_i32_i24_e32 v101, v225, v79
	s_delay_alu instid0(VALU_DEP_3) | instskip(SKIP_1) | instid1(VALU_DEP_4)
	v_add3_u32 v1, v1, v102, v103
	v_mul_i32_i24_e32 v102, v226, v70
	v_mad_i32_i24 v2, v212, v78, v2
	v_mul_i32_i24_e32 v103, v211, v82
	s_delay_alu instid0(VALU_DEP_4) | instskip(SKIP_1) | instid1(VALU_DEP_4)
	v_add3_u32 v1, v1, v104, v105
	v_mul_i32_i24_e32 v104, v213, v71
	v_add3_u32 v2, v2, v101, v102
	v_mul_i32_i24_e32 v101, v209, v80
	v_mul_i32_i24_e32 v102, v210, v81
	v_add3_u32 v1, v1, v106, v107
	v_mul_i32_i24_e32 v105, v214, v83
	v_mul_i32_i24_e32 v106, v215, v84
	v_mul_i32_i24_e32 v107, v216, v85
	v_add3_u32 v2, v2, v101, v102
	v_add3_u32 v1, v1, v108, v109
	v_mul_i32_i24_e32 v108, v217, v72
	v_mul_i32_i24_e32 v109, v218, v86
	v_mul_i32_i24_e32 v101, v89, v208
	v_add3_u32 v2, v2, v103, v104
	;; [unrolled: 5-line block ×3, first 2 shown]
	v_mul_i32_i24_e32 v105, v97, v204
	v_mul_i32_i24_e32 v106, v98, v203
	;; [unrolled: 1-line block ×3, first 2 shown]
	v_mul_lo_u32 v1, v1, v241
	v_add3_u32 v2, v2, v107, v108
	v_mul_i32_i24_e32 v107, v100, v201
	v_mul_i32_i24_e32 v102, v90, v207
	;; [unrolled: 1-line block ×3, first 2 shown]
	s_delay_alu instid0(VALU_DEP_4) | instskip(NEXT) | instid1(VALU_DEP_4)
	v_add3_u32 v2, v2, v109, v110
	v_mad_i32_i24 v107, v99, v202, v107
	v_mul_i32_i24_e32 v109, v193, v75
	v_mul_i32_i24_e32 v110, v194, v76
	s_delay_alu instid0(VALU_DEP_4) | instskip(NEXT) | instid1(VALU_DEP_4)
	v_add3_u32 v2, v2, v111, v112
	v_add3_u32 v105, v107, v106, v105
	v_mul_i32_i24_e32 v106, v190, v67
	v_mul_i32_i24_e32 v107, v191, v68
	;; [unrolled: 1-line block ×3, first 2 shown]
	v_mad_co_u64_u32 v[1:2], null, v2, v223, v[1:2]
	v_add3_u32 v103, v105, v103, v104
	v_mul_i32_i24_e32 v104, v187, v49
	v_mul_i32_i24_e32 v105, v189, v66
	v_mul_i32_i24_e32 v112, v177, v73
	s_delay_alu instid0(VALU_DEP_4) | instskip(SKIP_3) | instid1(VALU_DEP_4)
	v_add3_u32 v101, v103, v102, v101
	v_cvt_f32_i32_e32 v1, v1
	v_mul_i32_i24_e32 v102, v185, v21
	v_mul_i32_i24_e32 v103, v186, v48
	v_cvt_f32_i32_e32 v2, v101
	v_mul_i32_i24_e32 v101, v8, v200
	s_delay_alu instid0(VALU_DEP_2) | instskip(NEXT) | instid1(VALU_DEP_1)
	v_mul_f32_e32 v2, v224, v2
	v_fma_mix_f32 v1, v198, v1, -v2 op_sel_hi:[1,0,0]
	v_mul_i32_i24_e32 v2, v7, v199
	s_delay_alu instid0(VALU_DEP_2) | instskip(SKIP_1) | instid1(VALU_DEP_1)
	v_fmac_f32_e32 v17, v4, v1
	v_mul_i32_i24_e32 v1, v5, v196
	v_mad_i32_i24 v1, v6, v188, v1
	s_delay_alu instid0(VALU_DEP_1) | instskip(SKIP_2) | instid1(VALU_DEP_1)
	v_add3_u32 v1, v1, v2, v101
	v_mul_i32_i24_e32 v2, v183, v9
	v_mul_i32_i24_e32 v101, v184, v10
	v_add3_u32 v1, v1, v2, v101
	v_mul_i32_i24_e32 v2, v178, v77
	v_mul_i32_i24_e32 v101, v181, v79
	s_delay_alu instid0(VALU_DEP_3) | instskip(SKIP_1) | instid1(VALU_DEP_4)
	v_add3_u32 v1, v1, v102, v103
	v_mul_i32_i24_e32 v102, v182, v70
	v_mad_i32_i24 v2, v168, v78, v2
	v_mul_i32_i24_e32 v103, v167, v82
	s_delay_alu instid0(VALU_DEP_4) | instskip(SKIP_1) | instid1(VALU_DEP_4)
	v_add3_u32 v1, v1, v104, v105
	v_mul_i32_i24_e32 v104, v169, v71
	v_add3_u32 v2, v2, v101, v102
	v_mul_i32_i24_e32 v101, v165, v80
	v_mul_i32_i24_e32 v102, v166, v81
	v_add3_u32 v1, v1, v106, v107
	v_mul_i32_i24_e32 v105, v170, v83
	v_mul_i32_i24_e32 v106, v171, v84
	v_mul_i32_i24_e32 v107, v172, v85
	v_add3_u32 v2, v2, v101, v102
	v_add3_u32 v1, v1, v108, v109
	v_mul_i32_i24_e32 v108, v173, v72
	v_mul_i32_i24_e32 v109, v174, v86
	v_mul_i32_i24_e32 v101, v89, v164
	v_add3_u32 v2, v2, v103, v104
	;; [unrolled: 5-line block ×3, first 2 shown]
	v_mul_i32_i24_e32 v105, v97, v160
	v_mul_i32_i24_e32 v106, v98, v159
	v_mul_i32_i24_e32 v111, v176, v88
	v_mul_lo_u32 v1, v1, v197
	v_add3_u32 v2, v2, v107, v108
	v_mul_i32_i24_e32 v107, v100, v157
	v_mul_i32_i24_e32 v102, v90, v163
	s_delay_alu instid0(VALU_DEP_3) | instskip(NEXT) | instid1(VALU_DEP_3)
	v_add3_u32 v2, v2, v109, v110
	v_mad_i32_i24 v107, v99, v158, v107
	s_delay_alu instid0(VALU_DEP_2) | instskip(NEXT) | instid1(VALU_DEP_2)
	v_add3_u32 v2, v2, v111, v112
	v_add3_u32 v105, v107, v106, v105
	s_delay_alu instid0(VALU_DEP_2) | instskip(NEXT) | instid1(VALU_DEP_2)
	v_mad_co_u64_u32 v[1:2], null, v2, v179, v[1:2]
	v_add3_u32 v103, v105, v103, v104
	s_delay_alu instid0(VALU_DEP_1) | instskip(NEXT) | instid1(VALU_DEP_3)
	v_add3_u32 v101, v103, v102, v101
	v_cvt_f32_i32_e32 v1, v1
	s_delay_alu instid0(VALU_DEP_2) | instskip(NEXT) | instid1(VALU_DEP_1)
	v_cvt_f32_i32_e32 v2, v101
	v_mul_f32_e32 v2, v180, v2
	s_delay_alu instid0(VALU_DEP_1) | instskip(SKIP_3) | instid1(VALU_DEP_4)
	v_fma_mix_f32 v1, v154, v1, -v2 op_sel_hi:[1,0,0]
	v_mul_i32_i24_e32 v2, v7, v155
	v_mul_i32_i24_e32 v7, v142, v48
	;; [unrolled: 1-line block ×3, first 2 shown]
	v_fmac_f32_e32 v16, v4, v1
	v_mul_i32_i24_e32 v1, v5, v152
	v_mul_i32_i24_e32 v5, v8, v156
	;; [unrolled: 1-line block ×4, first 2 shown]
	s_delay_alu instid0(VALU_DEP_4) | instskip(SKIP_3) | instid1(VALU_DEP_4)
	v_mad_i32_i24 v1, v6, v144, v1
	v_mul_i32_i24_e32 v6, v141, v21
	v_mul_i32_i24_e32 v21, v147, v68
	;; [unrolled: 1-line block ×3, first 2 shown]
	v_add3_u32 v1, v1, v2, v5
	v_mul_i32_i24_e32 v2, v3, v9
	v_mul_i32_i24_e32 v5, v140, v10
	;; [unrolled: 1-line block ×6, first 2 shown]
	v_add3_u32 v1, v1, v2, v5
	v_mul_i32_i24_e32 v2, v137, v77
	v_mul_i32_i24_e32 v5, v138, v79
	s_delay_alu instid0(VALU_DEP_3) | instskip(SKIP_1) | instid1(VALU_DEP_4)
	v_add3_u32 v1, v1, v6, v7
	v_mul_i32_i24_e32 v6, v139, v70
	v_mad_i32_i24 v2, v136, v78, v2
	v_mul_i32_i24_e32 v7, v126, v82
	s_delay_alu instid0(VALU_DEP_4) | instskip(SKIP_1) | instid1(VALU_DEP_4)
	v_add3_u32 v1, v1, v8, v9
	v_mul_i32_i24_e32 v8, v127, v71
	v_add3_u32 v2, v2, v5, v6
	v_mul_i32_i24_e32 v5, v124, v80
	v_mul_i32_i24_e32 v6, v125, v81
	v_add3_u32 v1, v1, v10, v21
	v_mul_i32_i24_e32 v9, v128, v83
	v_mul_i32_i24_e32 v10, v129, v84
	v_mul_i32_i24_e32 v21, v130, v85
	v_add3_u32 v2, v2, v5, v6
	v_add3_u32 v1, v1, v48, v49
	v_mul_i32_i24_e32 v48, v131, v72
	v_mul_i32_i24_e32 v49, v132, v86
	v_mul_i32_i24_e32 v5, v89, v123
	v_add3_u32 v2, v2, v7, v8
	;; [unrolled: 5-line block ×3, first 2 shown]
	v_mul_i32_i24_e32 v9, v97, v119
	v_mul_i32_i24_e32 v10, v98, v118
	v_mul_i32_i24_e32 v67, v134, v88
	v_mul_lo_u32 v1, v1, v153
	v_add3_u32 v2, v2, v21, v48
	v_mul_i32_i24_e32 v21, v100, v116
	v_mul_i32_i24_e32 v6, v90, v122
	s_delay_alu instid0(VALU_DEP_3) | instskip(NEXT) | instid1(VALU_DEP_3)
	v_add3_u32 v2, v2, v49, v66
	v_mad_i32_i24 v21, v99, v117, v21
	s_delay_alu instid0(VALU_DEP_2) | instskip(NEXT) | instid1(VALU_DEP_2)
	v_add3_u32 v2, v2, v67, v68
	v_add3_u32 v9, v21, v10, v9
	s_delay_alu instid0(VALU_DEP_2) | instskip(NEXT) | instid1(VALU_DEP_2)
	v_mad_co_u64_u32 v[1:2], null, v2, v115, v[1:2]
	v_add3_u32 v7, v9, v7, v8
	s_delay_alu instid0(VALU_DEP_1) | instskip(NEXT) | instid1(VALU_DEP_3)
	v_add3_u32 v5, v7, v6, v5
	v_cvt_f32_i32_e32 v1, v1
	s_delay_alu instid0(VALU_DEP_2) | instskip(NEXT) | instid1(VALU_DEP_1)
	v_cvt_f32_i32_e32 v2, v5
	v_mul_f32_e32 v2, v114, v2
	s_delay_alu instid0(VALU_DEP_1) | instskip(NEXT) | instid1(VALU_DEP_1)
	v_fma_mix_f32 v1, v113, v1, -v2 op_sel_hi:[1,0,0]
	v_fmac_f32_e32 v15, v4, v1
	scratch_load_b32 v1, off, off offset:28 ; 4-byte Folded Reload
	s_wait_loadcnt 0x0
	v_or_b32_e32 v1, s18, v1
	s_delay_alu instid0(VALU_DEP_1)
	v_lshlrev_b32_e32 v2, 2, v1
	v_lshrrev_b32_e32 v1, 1, v1
	ds_load_b32 v4, v1 offset:30368
	ds_load_b128 v[66:69], v2 offset:16896
	ds_load_b128 v[70:73], v2 offset:16912
	s_wait_dscnt 0x1
	v_ashrrev_i32_e32 v8, 24, v66
	s_wait_dscnt 0x0
	v_bfe_i32 v77, v70, 0, 8
	v_bfe_i32 v78, v70, 8, 8
	v_bfe_i32 v79, v70, 16, 8
	v_ashrrev_i32_e32 v70, 24, v70
	v_bfe_i32 v80, v71, 0, 8
	v_bfe_i32 v81, v71, 8, 8
	v_bfe_i32 v82, v71, 16, 8
	v_ashrrev_i32_e32 v71, 24, v71
	;; [unrolled: 4-line block ×4, first 2 shown]
	v_add_nc_u32_e32 v1, v71, v70
	v_ashrrev_i32_e32 v48, 24, v67
	v_bfe_i32 v5, v66, 0, 8
	v_bfe_i32 v6, v66, 8, 8
	;; [unrolled: 1-line block ×3, first 2 shown]
	v_add3_u32 v89, v1, v72, v73
	v_add_nc_u32_e32 v1, v82, v79
	v_bfe_i32 v9, v67, 0, 8
	v_bfe_i32 v10, v67, 8, 8
	;; [unrolled: 1-line block ×4, first 2 shown]
	v_add3_u32 v90, v1, v85, v88
	v_add_nc_u32_e32 v1, v80, v77
	v_bfe_i32 v66, v68, 8, 8
	v_bfe_i32 v67, v68, 16, 8
	v_ashrrev_i32_e32 v68, 24, v68
	v_bfe_i32 v74, v69, 0, 8
	v_add3_u32 v91, v1, v83, v86
	v_add_nc_u32_e32 v1, v81, v78
	v_bfe_i32 v75, v69, 8, 8
	v_bfe_i32 v76, v69, 16, 8
	v_ashrrev_i32_e32 v69, 24, v69
	v_mul_i32_i24_e32 v2, v7, v254
	v_add3_u32 v96, v1, v84, v87
	v_add_nc_u32_e32 v1, v48, v8
	v_mul_i32_i24_e32 v101, v8, v255
	v_mul_i32_i24_e32 v102, v95, v21
	v_mul_i32_i24_e32 v103, v244, v48
	v_mul_i32_i24_e32 v104, v245, v49
	v_add3_u32 v97, v1, v68, v69
	v_add_nc_u32_e32 v1, v21, v7
	v_mul_i32_i24_e32 v105, v246, v66
	v_mul_i32_i24_e32 v106, v247, v67
	v_mul_i32_i24_e32 v107, v248, v68
	;; [unrolled: 6-line block ×3, first 2 shown]
	v_mul_i32_i24_e32 v112, v59, v73
	v_add3_u32 v99, v1, v66, v75
	v_add_nc_u32_e32 v1, v9, v5
	s_delay_alu instid0(VALU_DEP_1) | instskip(SKIP_1) | instid1(VALU_DEP_1)
	v_add3_u32 v100, v1, v49, v74
	v_mul_i32_i24_e32 v1, v5, v253
	v_mad_i32_i24 v1, v6, v92, v1
	s_delay_alu instid0(VALU_DEP_1) | instskip(SKIP_2) | instid1(VALU_DEP_1)
	v_add3_u32 v1, v1, v2, v101
	v_mul_i32_i24_e32 v2, v93, v9
	v_mul_i32_i24_e32 v101, v94, v10
	v_add3_u32 v1, v1, v2, v101
	v_mul_i32_i24_e32 v2, v60, v77
	v_mul_i32_i24_e32 v101, v61, v79
	s_delay_alu instid0(VALU_DEP_3) | instskip(SKIP_1) | instid1(VALU_DEP_4)
	v_add3_u32 v1, v1, v102, v103
	v_mul_i32_i24_e32 v102, v65, v70
	v_mad_i32_i24 v2, v33, v78, v2
	v_mul_i32_i24_e32 v103, v38, v82
	s_delay_alu instid0(VALU_DEP_4) | instskip(SKIP_1) | instid1(VALU_DEP_4)
	v_add3_u32 v1, v1, v104, v105
	v_mul_i32_i24_e32 v104, v39, v71
	v_add3_u32 v2, v2, v101, v102
	v_mul_i32_i24_e32 v101, v35, v80
	v_mul_i32_i24_e32 v102, v37, v81
	v_add3_u32 v1, v1, v106, v107
	v_mul_i32_i24_e32 v105, v40, v83
	v_mul_i32_i24_e32 v106, v42, v84
	v_mul_i32_i24_e32 v107, v43, v85
	v_add3_u32 v2, v2, v101, v102
	v_add3_u32 v1, v1, v108, v109
	v_mul_i32_i24_e32 v108, v44, v72
	v_mul_i32_i24_e32 v109, v56, v86
	v_mul_i32_i24_e32 v101, v89, v50
	v_add3_u32 v2, v2, v103, v104
	;; [unrolled: 5-line block ×3, first 2 shown]
	v_mul_i32_i24_e32 v105, v97, v46
	v_mul_i32_i24_e32 v106, v98, v47
	v_mul_i32_i24_e32 v111, v58, v88
	v_mul_lo_u32 v1, v1, v25
	v_add3_u32 v2, v2, v107, v108
	v_mul_i32_i24_e32 v107, v100, v20
	v_mul_i32_i24_e32 v102, v90, v54
	;; [unrolled: 1-line block ×3, first 2 shown]
	s_delay_alu instid0(VALU_DEP_4) | instskip(NEXT) | instid1(VALU_DEP_4)
	v_add3_u32 v2, v2, v109, v110
	v_mad_i32_i24 v107, v99, v51, v107
	v_mul_i32_i24_e32 v109, v237, v75
	v_mul_i32_i24_e32 v110, v238, v76
	s_delay_alu instid0(VALU_DEP_4) | instskip(NEXT) | instid1(VALU_DEP_4)
	v_add3_u32 v2, v2, v111, v112
	v_add3_u32 v105, v107, v106, v105
	v_mul_i32_i24_e32 v106, v234, v67
	v_mul_i32_i24_e32 v107, v235, v68
	;; [unrolled: 1-line block ×3, first 2 shown]
	v_mad_co_u64_u32 v[1:2], null, v2, v63, v[1:2]
	v_add3_u32 v103, v105, v103, v104
	v_mul_i32_i24_e32 v104, v231, v49
	v_mul_i32_i24_e32 v105, v233, v66
	v_mul_i32_i24_e32 v112, v221, v73
	s_delay_alu instid0(VALU_DEP_4) | instskip(SKIP_3) | instid1(VALU_DEP_4)
	v_add3_u32 v101, v103, v102, v101
	v_cvt_f32_i32_e32 v1, v1
	v_mul_i32_i24_e32 v102, v229, v21
	v_mul_i32_i24_e32 v103, v230, v48
	v_cvt_f32_i32_e32 v2, v101
	v_mul_i32_i24_e32 v101, v8, v243
	s_delay_alu instid0(VALU_DEP_2) | instskip(NEXT) | instid1(VALU_DEP_1)
	v_mul_f32_e32 v2, v64, v2
	v_fma_mix_f32 v1, v0, v1, -v2 op_sel_hi:[1,0,0]
	scratch_load_b32 v2, off, off           ; 4-byte Folded Reload
	s_wait_loadcnt 0x0
	v_fmac_f32_e32 v2, v4, v1
	v_mul_i32_i24_e32 v1, v5, v240
	scratch_store_b32 off, v2, off          ; 4-byte Folded Spill
	v_mul_i32_i24_e32 v2, v7, v242
	v_mad_i32_i24 v1, v6, v232, v1
	s_delay_alu instid0(VALU_DEP_1) | instskip(SKIP_2) | instid1(VALU_DEP_1)
	v_add3_u32 v1, v1, v2, v101
	v_mul_i32_i24_e32 v2, v227, v9
	v_mul_i32_i24_e32 v101, v228, v10
	v_add3_u32 v1, v1, v2, v101
	v_mul_i32_i24_e32 v2, v222, v77
	v_mul_i32_i24_e32 v101, v225, v79
	s_delay_alu instid0(VALU_DEP_3) | instskip(SKIP_1) | instid1(VALU_DEP_4)
	v_add3_u32 v1, v1, v102, v103
	v_mul_i32_i24_e32 v102, v226, v70
	v_mad_i32_i24 v2, v212, v78, v2
	v_mul_i32_i24_e32 v103, v211, v82
	s_delay_alu instid0(VALU_DEP_4) | instskip(SKIP_1) | instid1(VALU_DEP_4)
	v_add3_u32 v1, v1, v104, v105
	v_mul_i32_i24_e32 v104, v213, v71
	v_add3_u32 v2, v2, v101, v102
	v_mul_i32_i24_e32 v101, v209, v80
	v_mul_i32_i24_e32 v102, v210, v81
	v_add3_u32 v1, v1, v106, v107
	v_mul_i32_i24_e32 v105, v214, v83
	v_mul_i32_i24_e32 v106, v215, v84
	v_mul_i32_i24_e32 v107, v216, v85
	v_add3_u32 v2, v2, v101, v102
	v_add3_u32 v1, v1, v108, v109
	v_mul_i32_i24_e32 v108, v217, v72
	v_mul_i32_i24_e32 v109, v218, v86
	v_mul_i32_i24_e32 v101, v89, v208
	v_add3_u32 v2, v2, v103, v104
	;; [unrolled: 5-line block ×3, first 2 shown]
	v_mul_i32_i24_e32 v105, v97, v204
	v_mul_i32_i24_e32 v106, v98, v203
	;; [unrolled: 1-line block ×3, first 2 shown]
	v_mul_lo_u32 v1, v1, v241
	v_add3_u32 v2, v2, v107, v108
	v_mul_i32_i24_e32 v107, v100, v201
	v_mul_i32_i24_e32 v102, v90, v207
	;; [unrolled: 1-line block ×3, first 2 shown]
	s_delay_alu instid0(VALU_DEP_4) | instskip(NEXT) | instid1(VALU_DEP_4)
	v_add3_u32 v2, v2, v109, v110
	v_mad_i32_i24 v107, v99, v202, v107
	v_mul_i32_i24_e32 v109, v193, v75
	v_mul_i32_i24_e32 v110, v194, v76
	s_delay_alu instid0(VALU_DEP_4) | instskip(NEXT) | instid1(VALU_DEP_4)
	v_add3_u32 v2, v2, v111, v112
	v_add3_u32 v105, v107, v106, v105
	v_mul_i32_i24_e32 v106, v190, v67
	v_mul_i32_i24_e32 v107, v191, v68
	;; [unrolled: 1-line block ×3, first 2 shown]
	v_mad_co_u64_u32 v[1:2], null, v2, v223, v[1:2]
	v_add3_u32 v103, v105, v103, v104
	v_mul_i32_i24_e32 v104, v187, v49
	v_mul_i32_i24_e32 v105, v189, v66
	v_mul_i32_i24_e32 v112, v177, v73
	s_delay_alu instid0(VALU_DEP_4) | instskip(SKIP_3) | instid1(VALU_DEP_4)
	v_add3_u32 v101, v103, v102, v101
	v_cvt_f32_i32_e32 v1, v1
	v_mul_i32_i24_e32 v102, v185, v21
	v_mul_i32_i24_e32 v103, v186, v48
	v_cvt_f32_i32_e32 v2, v101
	v_mul_i32_i24_e32 v101, v8, v200
	s_delay_alu instid0(VALU_DEP_2) | instskip(NEXT) | instid1(VALU_DEP_1)
	v_mul_f32_e32 v2, v224, v2
	v_fma_mix_f32 v1, v198, v1, -v2 op_sel_hi:[1,0,0]
	scratch_load_b32 v2, off, off offset:8  ; 4-byte Folded Reload
	s_wait_loadcnt 0x0
	v_fmac_f32_e32 v2, v4, v1
	v_mul_i32_i24_e32 v1, v5, v196
	scratch_store_b32 off, v2, off offset:8 ; 4-byte Folded Spill
	v_mul_i32_i24_e32 v2, v7, v199
	v_mad_i32_i24 v1, v6, v188, v1
	s_delay_alu instid0(VALU_DEP_1) | instskip(SKIP_2) | instid1(VALU_DEP_1)
	v_add3_u32 v1, v1, v2, v101
	v_mul_i32_i24_e32 v2, v183, v9
	v_mul_i32_i24_e32 v101, v184, v10
	v_add3_u32 v1, v1, v2, v101
	v_mul_i32_i24_e32 v2, v178, v77
	v_mul_i32_i24_e32 v101, v181, v79
	s_delay_alu instid0(VALU_DEP_3) | instskip(SKIP_1) | instid1(VALU_DEP_4)
	v_add3_u32 v1, v1, v102, v103
	v_mul_i32_i24_e32 v102, v182, v70
	v_mad_i32_i24 v2, v168, v78, v2
	v_mul_i32_i24_e32 v103, v167, v82
	s_delay_alu instid0(VALU_DEP_4) | instskip(SKIP_1) | instid1(VALU_DEP_4)
	v_add3_u32 v1, v1, v104, v105
	v_mul_i32_i24_e32 v104, v169, v71
	v_add3_u32 v2, v2, v101, v102
	v_mul_i32_i24_e32 v101, v165, v80
	v_mul_i32_i24_e32 v102, v166, v81
	v_add3_u32 v1, v1, v106, v107
	v_mul_i32_i24_e32 v105, v170, v83
	v_mul_i32_i24_e32 v106, v171, v84
	v_mul_i32_i24_e32 v107, v172, v85
	v_add3_u32 v2, v2, v101, v102
	v_add3_u32 v1, v1, v108, v109
	v_mul_i32_i24_e32 v108, v173, v72
	v_mul_i32_i24_e32 v109, v174, v86
	v_mul_i32_i24_e32 v101, v89, v164
	v_add3_u32 v2, v2, v103, v104
	;; [unrolled: 5-line block ×3, first 2 shown]
	v_mul_i32_i24_e32 v105, v97, v160
	v_mul_i32_i24_e32 v106, v98, v159
	;; [unrolled: 1-line block ×3, first 2 shown]
	v_mul_lo_u32 v1, v1, v197
	v_add3_u32 v2, v2, v107, v108
	v_mul_i32_i24_e32 v107, v100, v157
	v_mul_i32_i24_e32 v102, v90, v163
	s_delay_alu instid0(VALU_DEP_3) | instskip(NEXT) | instid1(VALU_DEP_3)
	v_add3_u32 v2, v2, v109, v110
	v_mad_i32_i24 v107, v99, v158, v107
	v_dual_mov_b32 v110, v11 :: v_dual_mov_b32 v11, v12
	s_delay_alu instid0(VALU_DEP_3) | instskip(SKIP_3) | instid1(VALU_DEP_2)
	v_add3_u32 v2, v2, v111, v112
	scratch_load_b32 v111, off, off offset:52 ; 4-byte Folded Reload
	v_add3_u32 v105, v107, v106, v105
	v_mad_co_u64_u32 v[1:2], null, v2, v179, v[1:2]
	v_add3_u32 v103, v105, v103, v104
	s_delay_alu instid0(VALU_DEP_1) | instskip(NEXT) | instid1(VALU_DEP_3)
	v_add3_u32 v101, v103, v102, v101
	v_cvt_f32_i32_e32 v1, v1
	s_delay_alu instid0(VALU_DEP_2) | instskip(NEXT) | instid1(VALU_DEP_1)
	v_cvt_f32_i32_e32 v2, v101
	v_mul_f32_e32 v2, v180, v2
	s_delay_alu instid0(VALU_DEP_1) | instskip(SKIP_3) | instid1(VALU_DEP_4)
	v_fma_mix_f32 v1, v154, v1, -v2 op_sel_hi:[1,0,0]
	v_mul_i32_i24_e32 v2, v7, v155
	v_mul_i32_i24_e32 v7, v142, v48
	;; [unrolled: 1-line block ×3, first 2 shown]
	v_fmac_f32_e32 v11, v4, v1
	v_mul_i32_i24_e32 v1, v5, v152
	v_mul_i32_i24_e32 v5, v8, v156
	;; [unrolled: 1-line block ×4, first 2 shown]
	s_delay_alu instid0(VALU_DEP_4) | instskip(SKIP_3) | instid1(VALU_DEP_4)
	v_mad_i32_i24 v1, v6, v144, v1
	v_mul_i32_i24_e32 v6, v141, v21
	v_mul_i32_i24_e32 v21, v147, v68
	;; [unrolled: 1-line block ×3, first 2 shown]
	v_add3_u32 v1, v1, v2, v5
	v_mul_i32_i24_e32 v2, v3, v9
	v_mul_i32_i24_e32 v5, v140, v10
	;; [unrolled: 1-line block ×6, first 2 shown]
	v_add3_u32 v1, v1, v2, v5
	v_mul_i32_i24_e32 v2, v137, v77
	v_mul_i32_i24_e32 v5, v138, v79
	s_delay_alu instid0(VALU_DEP_3) | instskip(SKIP_1) | instid1(VALU_DEP_4)
	v_add3_u32 v1, v1, v6, v7
	v_mul_i32_i24_e32 v6, v139, v70
	v_mad_i32_i24 v2, v136, v78, v2
	v_mul_i32_i24_e32 v7, v126, v82
	s_delay_alu instid0(VALU_DEP_4) | instskip(SKIP_1) | instid1(VALU_DEP_4)
	v_add3_u32 v1, v1, v8, v9
	v_mul_i32_i24_e32 v8, v127, v71
	v_add3_u32 v2, v2, v5, v6
	v_mul_i32_i24_e32 v5, v124, v80
	v_mul_i32_i24_e32 v6, v125, v81
	v_add3_u32 v1, v1, v10, v21
	v_mul_i32_i24_e32 v9, v128, v83
	v_mul_i32_i24_e32 v10, v129, v84
	v_mul_i32_i24_e32 v21, v130, v85
	v_add3_u32 v2, v2, v5, v6
	v_add3_u32 v1, v1, v48, v49
	v_mul_i32_i24_e32 v48, v131, v72
	v_mul_i32_i24_e32 v49, v132, v86
	v_mul_i32_i24_e32 v5, v89, v123
	v_add3_u32 v2, v2, v7, v8
	;; [unrolled: 5-line block ×3, first 2 shown]
	v_mul_i32_i24_e32 v9, v97, v119
	v_mul_i32_i24_e32 v10, v98, v118
	;; [unrolled: 1-line block ×3, first 2 shown]
	v_mul_lo_u32 v1, v1, v153
	v_add3_u32 v2, v2, v21, v48
	v_mul_i32_i24_e32 v21, v100, v116
	v_mul_i32_i24_e32 v6, v90, v122
	s_delay_alu instid0(VALU_DEP_3) | instskip(NEXT) | instid1(VALU_DEP_3)
	v_add3_u32 v2, v2, v49, v66
	v_mad_i32_i24 v21, v99, v117, v21
	s_delay_alu instid0(VALU_DEP_2) | instskip(NEXT) | instid1(VALU_DEP_2)
	v_add3_u32 v2, v2, v67, v68
	v_add3_u32 v9, v21, v10, v9
	s_delay_alu instid0(VALU_DEP_2) | instskip(NEXT) | instid1(VALU_DEP_2)
	v_mad_co_u64_u32 v[1:2], null, v2, v115, v[1:2]
	v_add3_u32 v7, v9, v7, v8
	s_delay_alu instid0(VALU_DEP_1) | instskip(NEXT) | instid1(VALU_DEP_3)
	v_add3_u32 v5, v7, v6, v5
	v_cvt_f32_i32_e32 v1, v1
	s_delay_alu instid0(VALU_DEP_2) | instskip(NEXT) | instid1(VALU_DEP_1)
	v_cvt_f32_i32_e32 v2, v5
	v_mul_f32_e32 v2, v114, v2
	s_delay_alu instid0(VALU_DEP_1) | instskip(NEXT) | instid1(VALU_DEP_1)
	v_fma_mix_f32 v1, v113, v1, -v2 op_sel_hi:[1,0,0]
	v_fmac_f32_e32 v110, v4, v1
	s_wait_loadcnt 0x0
	v_or_b32_e32 v1, s18, v111
	s_delay_alu instid0(VALU_DEP_1)
	v_lshlrev_b32_e32 v2, 2, v1
	v_lshrrev_b32_e32 v1, 1, v1
	ds_load_b32 v48, v1 offset:30368
	ds_load_b128 v[66:69], v2 offset:16896
	ds_load_b128 v[106:109], v2 offset:16912
	s_wait_dscnt 0x1
	v_bfe_i32 v76, v67, 0, 8
	s_wait_dscnt 0x0
	v_ashrrev_i32_e32 v83, 24, v106
	v_ashrrev_i32_e32 v96, 24, v107
	v_bfe_i32 v75, v106, 16, 8
	v_bfe_i32 v74, v107, 16, 8
	v_ashrrev_i32_e32 v100, 24, v108
	v_ashrrev_i32_e32 v112, 24, v109
	v_add_nc_u32_e32 v4, v96, v83
	v_bfe_i32 v77, v67, 8, 8
	v_bfe_i32 v78, v67, 16, 8
	v_ashrrev_i32_e32 v79, 24, v67
	v_bfe_i32 v2, v106, 0, 8
	v_bfe_i32 v21, v107, 0, 8
	;; [unrolled: 1-line block ×4, first 2 shown]
	v_add3_u32 v67, v4, v100, v112
	v_add_nc_u32_e32 v4, v74, v75
	v_bfe_i32 v80, v68, 0, 8
	v_bfe_i32 v81, v68, 8, 8
	;; [unrolled: 1-line block ×3, first 2 shown]
	v_ashrrev_i32_e32 v84, 24, v68
	v_bfe_i32 v1, v106, 8, 8
	v_bfe_i32 v73, v107, 8, 8
	;; [unrolled: 1-line block ×4, first 2 shown]
	v_add3_u32 v68, v4, v99, v103
	v_add_nc_u32_e32 v4, v21, v2
	v_ashrrev_i32_e32 v105, 24, v66
	v_bfe_i32 v85, v69, 0, 8
	v_bfe_i32 v86, v69, 8, 8
	;; [unrolled: 1-line block ×3, first 2 shown]
	v_ashrrev_i32_e32 v88, 24, v69
	v_bfe_i32 v98, v108, 8, 8
	v_bfe_i32 v102, v109, 8, 8
	v_add3_u32 v69, v4, v97, v101
	v_add_nc_u32_e32 v4, v73, v1
	v_bfe_i32 v91, v66, 16, 8
	v_bfe_i32 v89, v66, 8, 8
	;; [unrolled: 1-line block ×3, first 2 shown]
	v_mul_i32_i24_e32 v6, v105, v255
	v_add3_u32 v70, v4, v98, v102
	v_add_nc_u32_e32 v4, v79, v105
	v_mul_i32_i24_e32 v5, v91, v254
	v_mul_i32_i24_e32 v7, v95, v78
	;; [unrolled: 1-line block ×4, first 2 shown]
	v_add3_u32 v71, v4, v84, v88
	v_add_nc_u32_e32 v4, v78, v91
	v_mul_i32_i24_e32 v10, v246, v81
	v_mul_i32_i24_e32 v95, v250, v86
	;; [unrolled: 1-line block ×4, first 2 shown]
	v_add3_u32 v72, v4, v82, v87
	v_add_nc_u32_e32 v4, v77, v89
	v_mul_i32_i24_e32 v3, v3, v76
	s_delay_alu instid0(VALU_DEP_2) | instskip(SKIP_1) | instid1(VALU_DEP_1)
	v_add3_u32 v49, v4, v81, v86
	v_add_nc_u32_e32 v4, v76, v90
	v_add3_u32 v66, v4, v80, v85
	v_mul_i32_i24_e32 v4, v90, v253
	s_delay_alu instid0(VALU_DEP_2) | instskip(NEXT) | instid1(VALU_DEP_2)
	v_mul_i32_i24_e32 v20, v66, v20
	v_mad_i32_i24 v4, v89, v92, v4
	v_mul_i32_i24_e32 v92, v247, v82
	s_delay_alu instid0(VALU_DEP_3) | instskip(NEXT) | instid1(VALU_DEP_3)
	v_mad_i32_i24 v20, v49, v51, v20
	v_add3_u32 v4, v4, v5, v6
	v_mul_i32_i24_e32 v5, v93, v76
	v_mul_i32_i24_e32 v6, v94, v77
	;; [unrolled: 1-line block ×4, first 2 shown]
	s_delay_alu instid0(VALU_DEP_3) | instskip(SKIP_2) | instid1(VALU_DEP_3)
	v_add3_u32 v4, v4, v5, v6
	v_mul_i32_i24_e32 v5, v61, v75
	v_mul_i32_i24_e32 v6, v65, v83
	v_add3_u32 v4, v4, v7, v8
	v_mul_i32_i24_e32 v7, v38, v74
	v_mul_i32_i24_e32 v8, v39, v96
	;; [unrolled: 1-line block ×4, first 2 shown]
	v_add3_u32 v4, v4, v9, v10
	v_mul_i32_i24_e32 v9, v40, v97
	v_mul_i32_i24_e32 v10, v42, v98
	;; [unrolled: 1-line block ×3, first 2 shown]
	s_delay_alu instid0(VALU_DEP_4)
	v_add3_u32 v4, v4, v92, v93
	s_clause 0x1
	scratch_load_b32 v93, off, off offset:20 th:TH_LOAD_LU
	scratch_load_b32 v92, off, off offset:16 th:TH_LOAD_LU
	v_add3_u32 v4, v4, v94, v95
	scratch_load_b32 v94, off, off offset:24 th:TH_LOAD_LU ; 4-byte Folded Reload
	v_add3_u32 v4, v4, v104, v106
	s_delay_alu instid0(VALU_DEP_1) | instskip(SKIP_1) | instid1(VALU_DEP_1)
	v_mul_lo_u32 v25, v4, v25
	v_mul_i32_i24_e32 v4, v60, v2
	v_mad_i32_i24 v4, v33, v1, v4
	v_mul_i32_i24_e32 v33, v43, v99
	s_delay_alu instid0(VALU_DEP_2) | instskip(SKIP_4) | instid1(VALU_DEP_3)
	v_add3_u32 v4, v4, v5, v6
	v_mul_i32_i24_e32 v5, v35, v21
	v_mul_i32_i24_e32 v6, v37, v73
	;; [unrolled: 1-line block ×4, first 2 shown]
	v_add3_u32 v4, v4, v5, v6
	v_mul_i32_i24_e32 v5, v67, v50
	v_mul_i32_i24_e32 v6, v68, v54
	s_delay_alu instid0(VALU_DEP_3) | instskip(SKIP_2) | instid1(VALU_DEP_3)
	v_add3_u32 v4, v4, v7, v8
	v_mul_i32_i24_e32 v7, v69, v55
	v_mul_i32_i24_e32 v8, v70, v53
	v_add3_u32 v4, v4, v9, v10
	v_mul_i32_i24_e32 v9, v71, v46
	v_mul_i32_i24_e32 v10, v72, v47
	s_delay_alu instid0(VALU_DEP_3) | instskip(SKIP_1) | instid1(VALU_DEP_3)
	v_add3_u32 v4, v4, v33, v35
	v_mul_i32_i24_e32 v33, v237, v86
	v_add3_u32 v9, v20, v10, v9
	v_mul_i32_i24_e32 v10, v234, v82
	v_mul_i32_i24_e32 v20, v235, v84
	v_add3_u32 v4, v4, v37, v38
	v_mul_i32_i24_e32 v35, v238, v87
	v_add3_u32 v7, v9, v7, v8
	v_mul_i32_i24_e32 v8, v231, v80
	v_mul_i32_i24_e32 v9, v233, v81
	v_add3_u32 v4, v4, v39, v40
	s_delay_alu instid0(VALU_DEP_4) | instskip(SKIP_2) | instid1(VALU_DEP_4)
	v_add3_u32 v5, v7, v6, v5
	v_mul_i32_i24_e32 v6, v229, v78
	v_mul_i32_i24_e32 v7, v230, v79
	v_mad_co_u64_u32 v[37:38], null, v4, v63, v[25:26]
	s_delay_alu instid0(VALU_DEP_4) | instskip(SKIP_2) | instid1(VALU_DEP_3)
	v_cvt_f32_i32_e32 v5, v5
	v_mul_i32_i24_e32 v25, v236, v85
	v_mul_i32_i24_e32 v38, v221, v112
	v_mul_f32_e32 v5, v64, v5
	v_cvt_f32_i32_e32 v4, v37
	v_mul_i32_i24_e32 v37, v239, v88
	s_delay_alu instid0(VALU_DEP_2) | instskip(SKIP_3) | instid1(VALU_DEP_3)
	v_fma_mix_f32 v0, v0, v4, -v5 op_sel_hi:[1,0,0]
	v_mul_i32_i24_e32 v4, v91, v242
	v_mul_i32_i24_e32 v5, v105, v243
	s_wait_loadcnt 0x0
	v_fmac_f32_e32 v94, v48, v0
	v_mul_i32_i24_e32 v0, v90, v240
	s_delay_alu instid0(VALU_DEP_1) | instskip(NEXT) | instid1(VALU_DEP_1)
	v_mad_i32_i24 v0, v89, v232, v0
	v_add3_u32 v0, v0, v4, v5
	v_mul_i32_i24_e32 v4, v227, v76
	v_mul_i32_i24_e32 v5, v228, v77
	s_delay_alu instid0(VALU_DEP_1) | instskip(SKIP_2) | instid1(VALU_DEP_3)
	v_add3_u32 v0, v0, v4, v5
	v_mul_i32_i24_e32 v4, v222, v2
	v_mul_i32_i24_e32 v5, v225, v75
	v_add3_u32 v0, v0, v6, v7
	v_mul_i32_i24_e32 v6, v226, v83
	s_delay_alu instid0(VALU_DEP_4) | instskip(SKIP_1) | instid1(VALU_DEP_4)
	v_mad_i32_i24 v4, v212, v1, v4
	v_mul_i32_i24_e32 v7, v211, v74
	v_add3_u32 v0, v0, v8, v9
	v_mul_i32_i24_e32 v8, v213, v96
	s_delay_alu instid0(VALU_DEP_4)
	v_add3_u32 v4, v4, v5, v6
	v_mul_i32_i24_e32 v5, v209, v21
	v_mul_i32_i24_e32 v6, v210, v73
	v_add3_u32 v0, v0, v10, v20
	v_mul_i32_i24_e32 v9, v214, v97
	v_mul_i32_i24_e32 v10, v215, v98
	v_mul_i32_i24_e32 v20, v216, v99
	v_add3_u32 v4, v4, v5, v6
	v_add3_u32 v0, v0, v25, v33
	v_mul_i32_i24_e32 v25, v217, v100
	v_mul_i32_i24_e32 v33, v218, v101
	v_mul_i32_i24_e32 v5, v67, v208
	v_add3_u32 v4, v4, v7, v8
	;; [unrolled: 5-line block ×3, first 2 shown]
	v_mul_i32_i24_e32 v9, v71, v204
	v_mul_i32_i24_e32 v10, v72, v203
	;; [unrolled: 1-line block ×3, first 2 shown]
	v_mul_lo_u32 v0, v0, v241
	v_add3_u32 v4, v4, v20, v25
	v_mul_i32_i24_e32 v20, v66, v201
	v_mul_i32_i24_e32 v6, v68, v207
	;; [unrolled: 1-line block ×3, first 2 shown]
	s_delay_alu instid0(VALU_DEP_4) | instskip(NEXT) | instid1(VALU_DEP_4)
	v_add3_u32 v4, v4, v33, v35
	v_mad_i32_i24 v20, v49, v202, v20
	v_mul_i32_i24_e32 v33, v193, v86
	v_mul_i32_i24_e32 v35, v194, v87
	s_delay_alu instid0(VALU_DEP_4) | instskip(NEXT) | instid1(VALU_DEP_4)
	v_add3_u32 v4, v4, v37, v38
	v_add3_u32 v9, v20, v10, v9
	v_mul_i32_i24_e32 v10, v190, v82
	v_mul_i32_i24_e32 v20, v191, v84
	s_delay_alu instid0(VALU_DEP_4) | instskip(NEXT) | instid1(VALU_DEP_4)
	v_mad_co_u64_u32 v[37:38], null, v4, v223, v[0:1]
	v_add3_u32 v7, v9, v7, v8
	v_mul_i32_i24_e32 v8, v187, v80
	v_mul_i32_i24_e32 v9, v189, v81
	v_mul_i32_i24_e32 v38, v177, v112
	s_delay_alu instid0(VALU_DEP_4)
	v_add3_u32 v5, v7, v6, v5
	v_cvt_f32_i32_e32 v0, v37
	v_mul_i32_i24_e32 v6, v185, v78
	v_mul_i32_i24_e32 v7, v186, v79
	;; [unrolled: 1-line block ×3, first 2 shown]
	v_cvt_f32_i32_e32 v4, v5
	v_mul_i32_i24_e32 v5, v105, v200
	s_delay_alu instid0(VALU_DEP_2) | instskip(NEXT) | instid1(VALU_DEP_1)
	v_mul_f32_e32 v4, v224, v4
	v_fma_mix_f32 v0, v198, v0, -v4 op_sel_hi:[1,0,0]
	v_mul_i32_i24_e32 v4, v91, v199
	s_delay_alu instid0(VALU_DEP_2) | instskip(SKIP_1) | instid1(VALU_DEP_1)
	v_fmac_f32_e32 v93, v48, v0
	v_mul_i32_i24_e32 v0, v90, v196
	v_mad_i32_i24 v0, v89, v188, v0
	s_delay_alu instid0(VALU_DEP_1)
	v_add3_u32 v0, v0, v4, v5
	v_mul_i32_i24_e32 v4, v183, v76
	v_mul_i32_i24_e32 v5, v184, v77
	scratch_load_b32 v76, off, off offset:60 ; 4-byte Folded Reload
	v_add3_u32 v0, v0, v4, v5
	v_mul_i32_i24_e32 v4, v178, v2
	v_mul_i32_i24_e32 v5, v181, v75
	s_delay_alu instid0(VALU_DEP_3) | instskip(SKIP_1) | instid1(VALU_DEP_4)
	v_add3_u32 v0, v0, v6, v7
	v_mul_i32_i24_e32 v6, v182, v83
	v_mad_i32_i24 v4, v168, v1, v4
	v_mul_i32_i24_e32 v7, v167, v74
	s_delay_alu instid0(VALU_DEP_4) | instskip(SKIP_1) | instid1(VALU_DEP_4)
	v_add3_u32 v0, v0, v8, v9
	v_mul_i32_i24_e32 v8, v169, v96
	v_add3_u32 v4, v4, v5, v6
	v_mul_i32_i24_e32 v5, v165, v21
	v_mul_i32_i24_e32 v6, v166, v73
	v_add3_u32 v0, v0, v10, v20
	v_mul_i32_i24_e32 v9, v170, v97
	v_mul_i32_i24_e32 v10, v171, v98
	v_mul_i32_i24_e32 v20, v172, v99
	v_add3_u32 v4, v4, v5, v6
	v_add3_u32 v0, v0, v25, v33
	v_mul_i32_i24_e32 v25, v173, v100
	v_mul_i32_i24_e32 v33, v174, v101
	v_mul_i32_i24_e32 v5, v67, v164
	v_add3_u32 v4, v4, v7, v8
	;; [unrolled: 5-line block ×3, first 2 shown]
	v_mul_i32_i24_e32 v9, v71, v160
	v_mul_i32_i24_e32 v10, v72, v159
	;; [unrolled: 1-line block ×3, first 2 shown]
	v_mul_lo_u32 v0, v0, v197
	v_add3_u32 v4, v4, v20, v25
	v_mul_i32_i24_e32 v20, v66, v157
	v_mul_i32_i24_e32 v6, v68, v163
	;; [unrolled: 1-line block ×3, first 2 shown]
	s_delay_alu instid0(VALU_DEP_4) | instskip(NEXT) | instid1(VALU_DEP_4)
	v_add3_u32 v4, v4, v33, v35
	v_mad_i32_i24 v20, v49, v158, v20
	v_mul_i32_i24_e32 v33, v150, v87
	v_mul_i32_i24_e32 v35, v151, v88
	s_delay_alu instid0(VALU_DEP_4) | instskip(NEXT) | instid1(VALU_DEP_4)
	v_add3_u32 v4, v4, v37, v38
	v_add3_u32 v9, v20, v10, v9
	v_mul_i32_i24_e32 v10, v147, v84
	v_mul_i32_i24_e32 v20, v148, v85
	s_delay_alu instid0(VALU_DEP_4) | instskip(NEXT) | instid1(VALU_DEP_4)
	v_mad_co_u64_u32 v[37:38], null, v4, v179, v[0:1]
	v_add3_u32 v7, v9, v7, v8
	v_mul_i32_i24_e32 v8, v145, v81
	v_mul_i32_i24_e32 v9, v146, v82
	s_delay_alu instid0(VALU_DEP_3)
	v_add3_u32 v5, v7, v6, v5
	v_cvt_f32_i32_e32 v0, v37
	v_mul_i32_i24_e32 v6, v142, v79
	v_mul_i32_i24_e32 v7, v143, v80
	scratch_load_b32 v79, off, off offset:96 ; 4-byte Folded Reload
	v_cvt_f32_i32_e32 v4, v5
	v_mul_i32_i24_e32 v5, v105, v156
	s_delay_alu instid0(VALU_DEP_2) | instskip(NEXT) | instid1(VALU_DEP_1)
	v_mul_f32_e32 v4, v180, v4
	v_fma_mix_f32 v0, v154, v0, -v4 op_sel_hi:[1,0,0]
	v_mul_i32_i24_e32 v4, v91, v155
	s_delay_alu instid0(VALU_DEP_2) | instskip(SKIP_1) | instid1(VALU_DEP_1)
	v_fmac_f32_e32 v92, v48, v0
	v_mul_i32_i24_e32 v0, v90, v152
	v_mad_i32_i24 v0, v89, v144, v0
	s_delay_alu instid0(VALU_DEP_1)
	v_add3_u32 v0, v0, v4, v5
	v_mul_i32_i24_e32 v4, v140, v77
	v_mul_i32_i24_e32 v5, v141, v78
	s_clause 0x1
	scratch_load_b32 v77, off, off offset:64
	scratch_load_b32 v78, off, off offset:92
	v_add3_u32 v0, v0, v3, v4
	v_mul_i32_i24_e32 v4, v139, v83
	s_delay_alu instid0(VALU_DEP_2) | instskip(SKIP_2) | instid1(VALU_DEP_3)
	v_add3_u32 v0, v0, v5, v6
	v_mul_i32_i24_e32 v5, v127, v96
	v_mul_i32_i24_e32 v6, v128, v97
	v_add3_u32 v0, v0, v7, v8
	v_mul_i32_i24_e32 v7, v129, v98
	v_mul_i32_i24_e32 v8, v130, v99
	scratch_load_b32 v130, off, off offset:76 ; 4-byte Folded Reload
	v_add3_u32 v0, v0, v9, v10
	v_mul_i32_i24_e32 v9, v131, v100
	v_mul_i32_i24_e32 v10, v132, v101
	s_clause 0x1
	scratch_load_b32 v131, off, off offset:80
	scratch_load_b32 v132, off, off offset:84
	v_add3_u32 v0, v0, v20, v25
	v_mul_i32_i24_e32 v20, v133, v102
	v_mul_i32_i24_e32 v25, v135, v112
	s_clause 0x1
	scratch_load_b32 v133, off, off offset:88
	scratch_load_b32 v135, off, off offset:112
	v_add3_u32 v0, v0, v33, v35
	v_mul_i32_i24_e32 v33, v70, v121
	s_delay_alu instid0(VALU_DEP_2)
	v_mul_lo_u32 v3, v0, v153
	v_mul_i32_i24_e32 v0, v137, v2
	v_mul_i32_i24_e32 v2, v138, v75
	scratch_load_b32 v137, off, off offset:120 ; 4-byte Folded Reload
	v_mad_i32_i24 v0, v136, v1, v0
	v_mul_i32_i24_e32 v1, v124, v21
	v_mul_i32_i24_e32 v21, v134, v103
	s_clause 0x2
	scratch_load_b32 v136, off, off offset:116
	scratch_load_b32 v124, off, off offset:100
	;; [unrolled: 1-line block ×3, first 2 shown]
	v_add3_u32 v0, v0, v2, v4
	v_mul_i32_i24_e32 v2, v125, v73
	v_mul_i32_i24_e32 v4, v126, v74
	scratch_load_b32 v125, off, off offset:104 ; 4-byte Folded Reload
	v_add3_u32 v0, v0, v1, v2
	v_mul_i32_i24_e32 v1, v71, v119
	v_mul_i32_i24_e32 v2, v72, v118
	s_delay_alu instid0(VALU_DEP_3) | instskip(SKIP_1) | instid1(VALU_DEP_2)
	v_add3_u32 v0, v0, v4, v5
	v_mul_i32_i24_e32 v4, v66, v116
	v_add3_u32 v0, v0, v6, v7
	s_delay_alu instid0(VALU_DEP_2) | instskip(NEXT) | instid1(VALU_DEP_2)
	v_mad_i32_i24 v4, v49, v117, v4
	v_add3_u32 v0, v0, v8, v9
	s_delay_alu instid0(VALU_DEP_2) | instskip(NEXT) | instid1(VALU_DEP_2)
	v_add3_u32 v1, v4, v2, v1
	v_add3_u32 v0, v0, v10, v20
	v_mul_i32_i24_e32 v20, v67, v123
	s_clause 0x1
	scratch_load_b32 v123, off, off offset:72
	scratch_load_b32 v75, off, off offset:56
	v_add3_u32 v0, v0, v21, v25
	v_mul_i32_i24_e32 v25, v68, v122
	s_clause 0x1
	scratch_load_b32 v122, off, off offset:68
	scratch_load_b32 v68, off, off offset:12 th:TH_LOAD_LU
	v_mul_i32_i24_e32 v21, v69, v120
	v_mad_co_u64_u32 v[2:3], null, v0, v115, v[3:4]
	s_delay_alu instid0(VALU_DEP_2) | instskip(NEXT) | instid1(VALU_DEP_1)
	v_add3_u32 v1, v1, v21, v33
	v_add3_u32 v1, v1, v25, v20
	s_delay_alu instid0(VALU_DEP_3) | instskip(NEXT) | instid1(VALU_DEP_2)
	v_cvt_f32_i32_e32 v0, v2
	v_cvt_f32_i32_e32 v1, v1
	s_delay_alu instid0(VALU_DEP_1) | instskip(NEXT) | instid1(VALU_DEP_1)
	v_mul_f32_e32 v1, v114, v1
	v_fma_mix_f32 v0, v113, v0, -v1 op_sel_hi:[1,0,0]
	s_wait_loadcnt 0x0
	s_delay_alu instid0(VALU_DEP_1)
	v_fmac_f32_e32 v68, v48, v0
	s_cbranch_scc1 .LBB167_10
; %bb.11:                               ;   in Loop: Header=BB167_8 Depth=2
	scratch_load_b32 v0, off, off offset:136 ; 4-byte Folded Reload
	s_wait_loadcnt 0x0
	s_wait_storecnt 0x0
	s_barrier_signal -1
	s_barrier_wait -1
	global_inv scope:SCOPE_SE
	v_mov_b32_e32 v12, v15
	s_add_co_i32 s12, s12, 2
	s_clause 0x1
	scratch_load_b32 v1, off, off offset:148
	scratch_load_b32 v9, off, off offset:168
	v_dual_mov_b32 v15, v16 :: v_dual_mov_b32 v16, v19
	scratch_load_b64 v[50:51], off, off offset:176 ; 8-byte Folded Reload
	v_dual_mov_b32 v19, v22 :: v_dual_mov_b32 v22, v23
	v_dual_mov_b32 v23, v24 :: v_dual_mov_b32 v24, v26
	;; [unrolled: 1-line block ×5, first 2 shown]
	v_mov_b32_e32 v32, v34
	v_mov_b32_e32 v34, v36
	v_dual_mov_b32 v36, v41 :: v_dual_mov_b32 v41, v45
	v_dual_mov_b32 v45, v52 :: v_dual_mov_b32 v52, v62
	v_mov_b32_e32 v62, v14
	v_mov_b32_e32 v14, v18
	;; [unrolled: 1-line block ×3, first 2 shown]
	v_lshl_add_u32 v0, s16, 5, v0
	s_delay_alu instid0(VALU_DEP_1) | instskip(NEXT) | instid1(VALU_DEP_1)
	v_lshrrev_b32_e32 v0, 3, v0
	v_add_nc_u32_e32 v4, s5, v0
	scratch_load_b32 v0, off, off offset:132 ; 4-byte Folded Reload
	s_wait_loadcnt 0x3
	v_add_nc_u32_e32 v2, v4, v1
	scratch_load_b32 v1, off, off offset:152 ; 4-byte Folded Reload
	s_wait_loadcnt 0x2
	v_mad_co_i64_i32 v[2:3], null, v2, 36, v[50:51]
	s_wait_loadcnt 0x1
	v_lshl_add_u32 v5, s16, 2, v0
	scratch_load_b32 v0, off, off offset:144 ; 4-byte Folded Reload
	s_wait_alu 0xfffe
	s_lshl_b32 s16, s12, 3
	s_wait_loadcnt 0x1
	v_add_nc_u32_e32 v6, v4, v1
	scratch_load_b32 v1, off, off offset:156 ; 4-byte Folded Reload
	v_mad_co_u64_u32 v[39:40], null, v5, 36, s[2:3]
	v_mad_co_i64_i32 v[20:21], null, v6, 36, v[50:51]
	scratch_load_b32 v6, off, off offset:164 ; 4-byte Folded Reload
	s_wait_loadcnt 0x2
	v_add_nc_u32_e32 v0, v4, v0
	s_wait_loadcnt 0x1
	v_add_nc_u32_e32 v7, v4, v1
	scratch_load_b32 v1, off, off offset:160 ; 4-byte Folded Reload
	v_mad_co_i64_i32 v[37:38], null, v7, 36, v[50:51]
	scratch_load_b32 v7, off, off offset:172 ; 4-byte Folded Reload
	s_wait_loadcnt 0x2
	v_add_nc_u32_e32 v6, v4, v6
	s_delay_alu instid0(VALU_DEP_1) | instskip(SKIP_3) | instid1(VALU_DEP_2)
	v_mad_co_i64_i32 v[48:49], null, v6, 36, v[50:51]
	s_wait_loadcnt 0x1
	v_add_nc_u32_e32 v8, v4, v1
	v_mad_co_i64_i32 v[0:1], null, v0, 36, v[50:51]
	v_mad_co_i64_i32 v[46:47], null, v8, 36, v[50:51]
	s_wait_loadcnt 0x0
	v_add_nc_u32_e32 v7, v4, v7
	v_add_nc_u32_e32 v4, v4, v9
	s_delay_alu instid0(VALU_DEP_2) | instskip(NEXT) | instid1(VALU_DEP_2)
	v_mad_co_i64_i32 v[42:43], null, v7, 36, v[50:51]
	v_mad_co_i64_i32 v[50:51], null, v4, 36, v[50:51]
	s_clause 0x8
	global_load_b32 v4, v[39:40], off
	global_load_b32 v5, v[42:43], off offset:4
	global_load_b32 v0, v[0:1], off offset:4
	;; [unrolled: 1-line block ×8, first 2 shown]
	scratch_load_b32 v9, off, off offset:212 ; 4-byte Folded Reload
	s_wait_loadcnt 0x9
	v_cvt_f32_f16_e32 v4, v4
	s_wait_loadcnt 0x0
	ds_store_b32 v9, v5
	scratch_load_b32 v5, off, off offset:184 ; 4-byte Folded Reload
	s_wait_loadcnt 0x0
	ds_store_b32 v5, v0
	scratch_load_b32 v0, off, off offset:188 ; 4-byte Folded Reload
	;; [unrolled: 3-line block ×8, first 2 shown]
	s_wait_loadcnt 0x0
	ds_store_b32 v0, v4
	s_wait_dscnt 0x0
	s_barrier_signal -1
	s_barrier_wait -1
	global_inv scope:SCOPE_SE
	scratch_load_b32 v13, off, off offset:128 ; 4-byte Folded Reload
.LBB167_12:                             ;   Parent Loop BB167_6 Depth=1
                                        ;     Parent Loop BB167_8 Depth=2
                                        ; =>    This Inner Loop Header: Depth=3
	s_lshl_b32 s17, s13, 2
	s_and_b32 s19, s13, 0x3ffffff8
	s_wait_alu 0xfffe
	s_and_b32 s17, s17, 24
	v_lshl_add_u32 v2, s19, 2, v75
	s_wait_loadcnt 0x0
	s_wait_alu 0xfffe
	v_or_b32_e32 v0, s17, v13
	s_clause 0x4
	scratch_store_b32 off, v110, off offset:124
	scratch_store_b32 off, v94, off offset:24
	;; [unrolled: 1-line block ×5, first 2 shown]
	s_and_b32 s18, s13, 6
	s_and_b32 s20, s13, 0x7ffffffe
	ds_load_2addr_b32 v[20:21], v2 offset1:1
	v_lshlrev_b32_e32 v3, 2, v0
	v_lshrrev_b32_e32 v0, 1, v0
	s_wait_alu 0xfffe
	s_add_co_i32 s19, s20, 0x6200
	s_lshr_b32 s20, s13, 2
	s_add_co_i32 s13, s13, 2
	s_wait_alu 0xfffe
	s_and_b32 s20, s20, 0x3ffffffc
	ds_load_b32 v1, v0 offset:30368
	s_wait_alu 0xfffe
	s_addk_co_i32 s20, 0x7280
	s_cmp_lt_u32 s13, s16
	s_wait_dscnt 0x1
	v_ashrrev_i32_e32 v0, s18, v20
	v_ashrrev_i32_e32 v4, s18, v21
	ds_load_2addr_b32 v[20:21], v2 offset0:2 offset1:3
	v_and_b32_e32 v42, 3, v0
	v_bfe_u32 v61, v0, 8, 2
	v_bfe_u32 v43, v0, 16, 2
	;; [unrolled: 1-line block ×3, first 2 shown]
	v_and_b32_e32 v65, 3, v4
	v_bfe_u32 v0, v4, 8, 2
	v_bfe_u32 v92, v4, 16, 2
	;; [unrolled: 1-line block ×3, first 2 shown]
	s_wait_dscnt 0x0
	v_ashrrev_i32_e32 v5, s18, v20
	v_ashrrev_i32_e32 v6, s18, v21
	ds_load_2addr_b32 v[20:21], v2 offset0:4 offset1:5
	v_and_b32_e32 v94, 3, v5
	v_and_b32_e32 v37, 3, v6
	v_bfe_u32 v38, v6, 8, 2
	v_bfe_u32 v39, v6, 16, 2
	;; [unrolled: 1-line block ×6, first 2 shown]
	s_wait_dscnt 0x0
	v_ashrrev_i32_e32 v7, s18, v20
	v_ashrrev_i32_e32 v8, s18, v21
	ds_load_2addr_b32 v[20:21], v2 offset0:6 offset1:7
	v_and_b32_e32 v58, 3, v7
	v_and_b32_e32 v247, 3, v8
	v_bfe_u32 v248, v8, 8, 2
	v_bfe_u32 v249, v8, 16, 2
	;; [unrolled: 1-line block ×6, first 2 shown]
	s_wait_dscnt 0x0
	v_ashrrev_i32_e32 v10, s18, v21
	s_wait_alu 0xfffe
	v_add3_u32 v21, s20, v79, v77
	v_ashrrev_i32_e32 v9, s18, v20
	v_add3_u32 v20, s19, v78, v76
	ds_load_b32 v244, v21
	ds_load_u16 v20, v20
	ds_load_b128 v[78:81], v3 offset:16896
	ds_load_b128 v[82:85], v3 offset:16912
	v_and_b32_e32 v251, 3, v9
	v_bfe_u32 v252, v9, 8, 2
	v_bfe_u32 v253, v9, 16, 2
	v_bfe_u32 v254, v9, 24, 2
	v_and_b32_e32 v255, 3, v10
	v_bfe_u32 v56, v10, 16, 2
	v_bfe_u32 v57, v10, 24, 2
	s_wait_dscnt 0x1
	v_ashrrev_i32_e32 v3, 24, v78
	v_lshrrev_b16 v21, 8, v20
	s_wait_dscnt 0x0
	v_lshrrev_b16 v6, 8, v82
	v_ashrrev_i32_e32 v67, 24, v83
	v_bfe_u32 v25, v20, 4, 4
	v_bfe_i32 v77, v78, 0, 8
	v_and_b32_e32 v4, 0xffff, v21
	v_ashrrev_i32_e32 v21, 24, v82
	v_bfe_i32 v48, v6, 0, 8
	v_lshrrev_b16 v6, 8, v83
	v_bfe_i32 v76, v78, 16, 8
	v_bfe_i32 v8, v79, 0, 8
	;; [unrolled: 1-line block ×3, first 2 shown]
	v_ashrrev_i32_e32 v71, 24, v84
	v_bfe_i32 v69, v6, 0, 8
	v_bfe_i32 v6, v78, 8, 8
	v_ashrrev_i32_e32 v78, 24, v85
	v_add_nc_u32_e32 v53, v67, v21
	v_mul_lo_u32 v50, 0x1010101, v25
	v_and_b32_e32 v245, 15, v20
	v_bfe_u32 v25, v10, 8, 2
	v_bfe_i32 v73, v79, 8, 8
	v_ashrrev_i32_e32 v7, 24, v79
	v_bfe_i32 v68, v83, 16, 8
	v_bfe_i32 v70, v83, 0, 8
	v_lshrrev_b16 v10, 8, v80
	v_bfe_i32 v75, v84, 0, 8
	v_bfe_i32 v74, v84, 8, 8
	;; [unrolled: 1-line block ×5, first 2 shown]
	v_ashrrev_i32_e32 v86, 24, v80
	v_lshrrev_b16 v20, 8, v81
	v_bfe_i32 v88, v85, 0, 8
	v_bfe_i32 v80, v85, 8, 8
	;; [unrolled: 1-line block ×5, first 2 shown]
	v_add_nc_u32_e32 v54, v9, v76
	v_add_nc_u32_e32 v55, v8, v77
	v_add3_u32 v98, v53, v71, v78
	v_mul_i32_i24_e32 v53, v65, v8
	v_bfe_i32 v66, v82, 0, 8
	v_bfe_i32 v10, v10, 0, 8
	;; [unrolled: 1-line block ×3, first 2 shown]
	v_ashrrev_i32_e32 v90, 24, v81
	v_add_nc_u32_e32 v20, v6, v73
	v_add_nc_u32_e32 v63, v7, v3
	v_add3_u32 v96, v55, v84, v89
	v_add3_u32 v97, v54, v83, v85
	v_mul_i32_i24_e32 v54, v92, v9
	v_mul_i32_i24_e32 v55, v93, v7
	v_mad_i32_i24 v53, v0, v73, v53
	v_bfe_i32 v49, v82, 16, 8
	v_add_nc_u32_e32 v46, v70, v66
	v_add_nc_u32_e32 v47, v69, v48
	v_add3_u32 v91, v63, v86, v90
	v_add3_u32 v102, v20, v10, v87
	v_mul_i32_i24_e32 v20, v77, v42
	v_mul_i32_i24_e32 v63, v94, v84
	v_add3_u32 v53, v53, v54, v55
	v_lshrrev_b32_e32 v5, 4, v4
	v_add_nc_u32_e32 v51, v68, v49
	v_add3_u32 v100, v47, v74, v80
	v_add3_u32 v101, v46, v75, v88
	v_mul_i32_i24_e32 v46, v6, v61
	v_mul_i32_i24_e32 v47, v76, v43
	v_add3_u32 v20, v53, v63, v20
	v_mul_lo_u32 v5, 0x1010101, v5
	v_add3_u32 v99, v51, v72, v79
	v_mul_i32_i24_e32 v51, v3, v44
	v_mul_i32_i24_e32 v64, v95, v10
	v_add3_u32 v20, v20, v46, v47
	v_mul_i32_i24_e32 v81, v33, v83
	v_mul_i32_i24_e32 v82, v35, v86
	;; [unrolled: 1-line block ×3, first 2 shown]
	v_bfe_i32 v55, v5, 16, 8
	v_add3_u32 v20, v20, v51, v64
	v_lshrrev_b32_e32 v51, 24, v5
	v_bfe_i32 v54, v5, 8, 8
	v_bfe_i32 v63, v5, 0, 8
	v_mul_i32_i24_e32 v5, v58, v66
	v_add3_u32 v20, v20, v81, v82
	v_mul_i32_i24_e32 v64, v59, v49
	v_mul_i32_i24_e32 v81, v60, v21
	;; [unrolled: 1-line block ×3, first 2 shown]
	v_mad_i32_i24 v5, v246, v48, v5
	v_mul_i32_i24_e32 v105, v39, v85
	v_mul_i32_i24_e32 v106, v40, v90
	;; [unrolled: 1-line block ×3, first 2 shown]
	v_add3_u32 v20, v20, v103, v104
	v_add3_u32 v5, v5, v64, v81
	v_mul_i32_i24_e32 v64, v247, v70
	v_mul_i32_i24_e32 v81, v248, v69
	;; [unrolled: 1-line block ×3, first 2 shown]
	v_add3_u32 v20, v20, v105, v106
	v_lshrrev_b16 v53, 8, v50
	v_mul_i32_i24_e32 v104, v251, v75
	v_add3_u32 v5, v5, v64, v81
	v_mul_i32_i24_e32 v105, v252, v74
	v_lshrrev_b32_e32 v47, 24, v50
	v_bfe_i32 v53, v53, 0, 8
	v_mul_i32_i24_e32 v106, v253, v72
	v_add3_u32 v5, v5, v82, v103
	v_mul_i32_i24_e32 v107, v254, v71
	v_bfe_i32 v46, v50, 0, 8
	v_bfe_i32 v50, v50, 16, 8
	v_mul_i32_i24_e32 v108, v255, v88
	v_add3_u32 v5, v5, v104, v105
	v_mul_i32_i24_e32 v104, v98, v51
	v_mul_i32_i24_e32 v109, v25, v80
	;; [unrolled: 1-line block ×4, first 2 shown]
	v_add3_u32 v5, v5, v106, v107
	v_mul_i32_i24_e32 v82, v100, v54
	v_mul_i32_i24_e32 v103, v99, v55
	v_mad_i32_i24 v104, v91, v47, v104
	v_mul_i32_i24_e32 v110, v56, v79
	v_mul_i32_i24_e32 v111, v57, v78
	v_add3_u32 v5, v5, v108, v109
	v_mad_i32_i24 v103, v97, v50, v103
	v_mad_i32_i24 v81, v96, v46, v81
	v_add3_u32 v64, v64, v82, v104
	v_mul_lo_u32 v20, v20, v245
	v_add3_u32 v5, v5, v110, v111
	v_add3_u32 v108, s20, v125, v123
	s_delay_alu instid0(VALU_DEP_4) | instskip(SKIP_2) | instid1(VALU_DEP_2)
	v_add3_u32 v103, v81, v103, v64
	v_and_b32_e32 v64, 15, v4
	v_lshrrev_b32_e32 v4, 16, v244
	v_mad_co_u64_u32 v[81:82], null, v5, v64, v[20:21]
	s_delay_alu instid0(VALU_DEP_2) | instskip(SKIP_1) | instid1(VALU_DEP_3)
	v_cvt_f32_f16_e32 v20, v4
	v_cvt_f32_i32_e32 v5, v103
	v_cvt_f32_i32_e32 v4, v81
	s_delay_alu instid0(VALU_DEP_2) | instskip(NEXT) | instid1(VALU_DEP_1)
	v_mul_f32_e32 v5, v20, v5
	v_fma_mix_f32 v4, v244, v4, -v5 op_sel_hi:[1,0,0]
	s_delay_alu instid0(VALU_DEP_1)
	v_fmac_f32_e32 v34, v1, v4
	v_add_nc_u32_e32 v4, 0x1080, v2
	ds_load_2addr_b32 v[81:82], v4 offset1:1
	s_wait_dscnt 0x0
	v_ashrrev_i32_e32 v4, s18, v81
	v_add_nc_u32_e32 v81, 0x1088, v2
	v_ashrrev_i32_e32 v5, s18, v82
	s_delay_alu instid0(VALU_DEP_3)
	v_and_b32_e32 v240, 3, v4
	ds_load_2addr_b32 v[81:82], v81 offset1:1
	v_and_b32_e32 v227, 3, v5
	v_bfe_u32 v228, v5, 8, 2
	v_bfe_u32 v229, v5, 16, 2
	;; [unrolled: 1-line block ×4, first 2 shown]
	v_mul_i32_i24_e32 v112, v227, v8
	v_bfe_u32 v242, v4, 16, 2
	v_mul_i32_i24_e32 v113, v229, v9
	v_mul_i32_i24_e32 v5, v230, v7
	;; [unrolled: 1-line block ×3, first 2 shown]
	v_mad_i32_i24 v112, v228, v73, v112
	v_mul_i32_i24_e32 v111, v76, v242
	v_bfe_u32 v243, v4, 24, 2
	s_delay_alu instid0(VALU_DEP_3) | instskip(NEXT) | instid1(VALU_DEP_2)
	v_add3_u32 v5, v112, v113, v5
	v_mul_i32_i24_e32 v4, v3, v243
	s_wait_dscnt 0x0
	v_ashrrev_i32_e32 v103, s18, v81
	v_add_nc_u32_e32 v81, 0x1090, v2
	v_ashrrev_i32_e32 v104, s18, v82
	s_delay_alu instid0(VALU_DEP_3)
	v_and_b32_e32 v231, 3, v103
	ds_load_2addr_b32 v[81:82], v81 offset1:1
	v_bfe_u32 v233, v103, 8, 2
	v_bfe_u32 v234, v103, 16, 2
	;; [unrolled: 1-line block ×3, first 2 shown]
	v_mul_i32_i24_e32 v114, v231, v84
	v_and_b32_e32 v236, 3, v104
	v_mul_i32_i24_e32 v115, v233, v10
	v_mul_i32_i24_e32 v116, v234, v83
	;; [unrolled: 1-line block ×3, first 2 shown]
	v_bfe_u32 v237, v104, 8, 2
	v_mul_i32_i24_e32 v117, v236, v89
	v_bfe_u32 v238, v104, 16, 2
	v_bfe_u32 v239, v104, 24, 2
	s_delay_alu instid0(VALU_DEP_4) | instskip(NEXT) | instid1(VALU_DEP_3)
	v_mul_i32_i24_e32 v118, v237, v87
	v_mul_i32_i24_e32 v119, v238, v85
	s_delay_alu instid0(VALU_DEP_3) | instskip(SKIP_4) | instid1(VALU_DEP_3)
	v_mul_i32_i24_e32 v104, v239, v90
	s_wait_dscnt 0x0
	v_ashrrev_i32_e32 v105, s18, v81
	v_add_nc_u32_e32 v81, 0x1098, v2
	v_ashrrev_i32_e32 v106, s18, v82
	v_and_b32_e32 v223, 3, v105
	ds_load_2addr_b32 v[81:82], v81 offset1:1
	v_bfe_u32 v212, v105, 8, 2
	v_bfe_u32 v225, v105, 16, 2
	;; [unrolled: 1-line block ×3, first 2 shown]
	v_and_b32_e32 v209, 3, v106
	v_bfe_u32 v210, v106, 8, 2
	v_bfe_u32 v211, v106, 16, 2
	;; [unrolled: 1-line block ×3, first 2 shown]
	s_delay_alu instid0(VALU_DEP_2) | instskip(NEXT) | instid1(VALU_DEP_2)
	v_mul_i32_i24_e32 v105, v211, v68
	v_mul_i32_i24_e32 v106, v213, v67
	s_wait_dscnt 0x0
	v_ashrrev_i32_e32 v107, s18, v81
	v_add3_u32 v81, s19, v124, v122
	ds_load_b32 v199, v108
	ds_load_u16 v81, v81
	v_and_b32_e32 v214, 3, v107
	v_bfe_u32 v215, v107, 8, 2
	v_ashrrev_i32_e32 v82, s18, v82
	v_bfe_u32 v216, v107, 16, 2
	v_bfe_u32 v217, v107, 24, 2
	s_delay_alu instid0(VALU_DEP_3) | instskip(SKIP_1) | instid1(VALU_DEP_3)
	v_and_b32_e32 v218, 3, v82
	v_bfe_u32 v219, v82, 8, 2
	v_mul_i32_i24_e32 v107, v217, v71
	v_bfe_u32 v220, v82, 16, 2
	v_bfe_u32 v221, v82, 24, 2
	s_delay_alu instid0(VALU_DEP_4) | instskip(NEXT) | instid1(VALU_DEP_3)
	v_mul_i32_i24_e32 v112, v219, v80
	v_mul_i32_i24_e32 v113, v220, v79
	s_delay_alu instid0(VALU_DEP_3) | instskip(SKIP_4) | instid1(VALU_DEP_3)
	v_mul_i32_i24_e32 v82, v221, v78
	s_wait_dscnt 0x0
	v_bfe_u32 v109, v81, 4, 4
	v_lshrrev_b16 v108, 8, v81
	v_and_b32_e32 v241, 15, v81
	v_mul_lo_u32 v109, 0x1010101, v109
	s_delay_alu instid0(VALU_DEP_1) | instskip(SKIP_4) | instid1(VALU_DEP_1)
	v_bfe_i32 v201, v109, 0, 8
	v_bfe_i32 v202, v109, 8, 8
	;; [unrolled: 1-line block ×3, first 2 shown]
	v_lshrrev_b32_e32 v204, 24, v109
	v_mul_i32_i24_e32 v109, v77, v240
	v_add3_u32 v5, v5, v114, v109
	v_mul_i32_i24_e32 v109, v215, v74
	s_delay_alu instid0(VALU_DEP_2) | instskip(SKIP_2) | instid1(VALU_DEP_3)
	v_add3_u32 v5, v5, v110, v111
	v_mul_i32_i24_e32 v110, v216, v72
	v_mul_i32_i24_e32 v111, v218, v88
	v_add3_u32 v4, v5, v4, v115
	s_delay_alu instid0(VALU_DEP_1) | instskip(SKIP_1) | instid1(VALU_DEP_2)
	v_add3_u32 v4, v4, v116, v103
	v_mul_i32_i24_e32 v103, v225, v49
	v_add3_u32 v4, v4, v117, v118
	s_delay_alu instid0(VALU_DEP_1) | instskip(SKIP_1) | instid1(VALU_DEP_2)
	v_add3_u32 v4, v4, v119, v104
	v_mul_i32_i24_e32 v104, v226, v21
	v_mul_lo_u32 v81, v4, v241
	v_and_b32_e32 v4, 0xffff, v108
	v_mul_i32_i24_e32 v108, v214, v75
	s_delay_alu instid0(VALU_DEP_2) | instskip(SKIP_2) | instid1(VALU_DEP_3)
	v_lshrrev_b32_e32 v5, 4, v4
	v_and_b32_e32 v222, 15, v4
	v_lshrrev_b32_e32 v4, 16, v199
	v_mul_lo_u32 v5, 0x1010101, v5
	s_delay_alu instid0(VALU_DEP_2) | instskip(NEXT) | instid1(VALU_DEP_2)
	v_cvt_f32_f16_e64 v224, v4
	v_bfe_i32 v205, v5, 0, 8
	v_bfe_i32 v206, v5, 8, 8
	;; [unrolled: 1-line block ×3, first 2 shown]
	v_lshrrev_b32_e32 v208, 24, v5
	v_mul_i32_i24_e32 v5, v223, v66
	s_delay_alu instid0(VALU_DEP_1) | instskip(NEXT) | instid1(VALU_DEP_1)
	v_mad_i32_i24 v5, v212, v48, v5
	v_add3_u32 v5, v5, v103, v104
	v_mul_i32_i24_e32 v103, v209, v70
	v_mul_i32_i24_e32 v104, v210, v69
	s_delay_alu instid0(VALU_DEP_1) | instskip(SKIP_2) | instid1(VALU_DEP_3)
	v_add3_u32 v5, v5, v103, v104
	v_mul_i32_i24_e32 v104, v101, v205
	v_mul_i32_i24_e32 v103, v99, v207
	v_add3_u32 v5, v5, v105, v106
	v_mul_i32_i24_e32 v106, v91, v204
	v_mul_i32_i24_e32 v105, v100, v206
	s_delay_alu instid0(VALU_DEP_3) | instskip(SKIP_1) | instid1(VALU_DEP_2)
	v_add3_u32 v5, v5, v108, v109
	v_mul_i32_i24_e32 v108, v96, v201
	v_add3_u32 v5, v5, v110, v107
	v_mul_i32_i24_e32 v107, v97, v203
	s_delay_alu instid0(VALU_DEP_3) | instskip(NEXT) | instid1(VALU_DEP_3)
	v_mad_i32_i24 v108, v102, v202, v108
	v_add3_u32 v5, v5, v111, v112
	s_delay_alu instid0(VALU_DEP_2) | instskip(SKIP_1) | instid1(VALU_DEP_3)
	v_add3_u32 v106, v108, v107, v106
	v_add3_u32 v108, s20, v135, v131
	;; [unrolled: 1-line block ×3, first 2 shown]
	v_mul_i32_i24_e32 v82, v98, v208
	s_delay_alu instid0(VALU_DEP_4) | instskip(NEXT) | instid1(VALU_DEP_1)
	v_add3_u32 v104, v106, v104, v105
	v_add3_u32 v103, v104, v103, v82
	s_delay_alu instid0(VALU_DEP_4) | instskip(NEXT) | instid1(VALU_DEP_2)
	v_mad_co_u64_u32 v[81:82], null, v5, v222, v[81:82]
	v_cvt_f32_i32_e32 v5, v103
	s_delay_alu instid0(VALU_DEP_2) | instskip(NEXT) | instid1(VALU_DEP_2)
	v_cvt_f32_i32_e32 v4, v81
	v_mul_f32_e32 v5, v224, v5
	s_delay_alu instid0(VALU_DEP_1) | instskip(NEXT) | instid1(VALU_DEP_1)
	v_fma_mix_f32 v4, v199, v4, -v5 op_sel_hi:[1,0,0]
	v_fmac_f32_e32 v18, v1, v4
	v_add_nc_u32_e32 v4, 0x2100, v2
	ds_load_2addr_b32 v[81:82], v4 offset1:1
	s_wait_dscnt 0x0
	v_ashrrev_i32_e32 v4, s18, v81
	v_add_nc_u32_e32 v81, 0x2108, v2
	v_ashrrev_i32_e32 v5, s18, v82
	s_delay_alu instid0(VALU_DEP_3)
	v_and_b32_e32 v196, 3, v4
	ds_load_2addr_b32 v[81:82], v81 offset1:1
	v_and_b32_e32 v183, 3, v5
	v_bfe_u32 v184, v5, 8, 2
	v_bfe_u32 v185, v5, 16, 2
	v_bfe_u32 v186, v5, 24, 2
	v_bfe_u32 v188, v4, 8, 2
	v_mul_i32_i24_e32 v112, v183, v8
	v_bfe_u32 v198, v4, 16, 2
	v_mul_i32_i24_e32 v113, v185, v9
	v_mul_i32_i24_e32 v5, v186, v7
	;; [unrolled: 1-line block ×3, first 2 shown]
	v_mad_i32_i24 v112, v184, v73, v112
	v_mul_i32_i24_e32 v111, v76, v198
	v_bfe_u32 v200, v4, 24, 2
	s_delay_alu instid0(VALU_DEP_3) | instskip(NEXT) | instid1(VALU_DEP_2)
	v_add3_u32 v5, v112, v113, v5
	v_mul_i32_i24_e32 v4, v3, v200
	s_wait_dscnt 0x0
	v_ashrrev_i32_e32 v103, s18, v81
	v_add_nc_u32_e32 v81, 0x2110, v2
	v_ashrrev_i32_e32 v104, s18, v82
	s_delay_alu instid0(VALU_DEP_3)
	v_and_b32_e32 v187, 3, v103
	ds_load_2addr_b32 v[81:82], v81 offset1:1
	v_bfe_u32 v189, v103, 8, 2
	v_bfe_u32 v190, v103, 16, 2
	;; [unrolled: 1-line block ×3, first 2 shown]
	v_mul_i32_i24_e32 v114, v187, v84
	v_and_b32_e32 v192, 3, v104
	v_mul_i32_i24_e32 v115, v189, v10
	v_mul_i32_i24_e32 v116, v190, v83
	v_mul_i32_i24_e32 v103, v191, v86
	v_bfe_u32 v193, v104, 8, 2
	v_mul_i32_i24_e32 v117, v192, v89
	v_bfe_u32 v194, v104, 16, 2
	v_bfe_u32 v195, v104, 24, 2
	s_delay_alu instid0(VALU_DEP_4) | instskip(NEXT) | instid1(VALU_DEP_3)
	v_mul_i32_i24_e32 v118, v193, v87
	v_mul_i32_i24_e32 v119, v194, v85
	s_delay_alu instid0(VALU_DEP_3) | instskip(SKIP_4) | instid1(VALU_DEP_3)
	v_mul_i32_i24_e32 v104, v195, v90
	s_wait_dscnt 0x0
	v_ashrrev_i32_e32 v105, s18, v81
	v_add_nc_u32_e32 v81, 0x2118, v2
	v_ashrrev_i32_e32 v106, s18, v82
	v_and_b32_e32 v179, 3, v105
	ds_load_2addr_b32 v[81:82], v81 offset1:1
	v_bfe_u32 v168, v105, 8, 2
	v_bfe_u32 v181, v105, 16, 2
	;; [unrolled: 1-line block ×3, first 2 shown]
	v_and_b32_e32 v165, 3, v106
	v_bfe_u32 v166, v106, 8, 2
	v_bfe_u32 v167, v106, 16, 2
	;; [unrolled: 1-line block ×3, first 2 shown]
	s_delay_alu instid0(VALU_DEP_2) | instskip(NEXT) | instid1(VALU_DEP_2)
	v_mul_i32_i24_e32 v105, v167, v68
	v_mul_i32_i24_e32 v106, v169, v67
	s_wait_dscnt 0x0
	v_ashrrev_i32_e32 v107, s18, v81
	v_add3_u32 v81, s19, v134, v130
	ds_load_b32 v155, v108
	ds_load_u16 v81, v81
	v_and_b32_e32 v170, 3, v107
	v_bfe_u32 v171, v107, 8, 2
	v_ashrrev_i32_e32 v82, s18, v82
	v_bfe_u32 v172, v107, 16, 2
	v_bfe_u32 v173, v107, 24, 2
	s_delay_alu instid0(VALU_DEP_3) | instskip(SKIP_1) | instid1(VALU_DEP_3)
	v_and_b32_e32 v174, 3, v82
	v_bfe_u32 v175, v82, 8, 2
	v_mul_i32_i24_e32 v107, v173, v71
	v_bfe_u32 v176, v82, 16, 2
	v_bfe_u32 v177, v82, 24, 2
	s_delay_alu instid0(VALU_DEP_4) | instskip(NEXT) | instid1(VALU_DEP_3)
	v_mul_i32_i24_e32 v112, v175, v80
	v_mul_i32_i24_e32 v113, v176, v79
	s_delay_alu instid0(VALU_DEP_3) | instskip(SKIP_4) | instid1(VALU_DEP_3)
	v_mul_i32_i24_e32 v82, v177, v78
	s_wait_dscnt 0x0
	v_bfe_u32 v109, v81, 4, 4
	v_lshrrev_b16 v108, 8, v81
	v_and_b32_e32 v197, 15, v81
	v_mul_lo_u32 v109, 0x1010101, v109
	s_delay_alu instid0(VALU_DEP_1) | instskip(SKIP_4) | instid1(VALU_DEP_1)
	v_bfe_i32 v157, v109, 0, 8
	v_bfe_i32 v158, v109, 8, 8
	;; [unrolled: 1-line block ×3, first 2 shown]
	v_lshrrev_b32_e32 v160, 24, v109
	v_mul_i32_i24_e32 v109, v77, v196
	v_add3_u32 v5, v5, v114, v109
	v_mul_i32_i24_e32 v109, v171, v74
	s_delay_alu instid0(VALU_DEP_2) | instskip(SKIP_2) | instid1(VALU_DEP_3)
	v_add3_u32 v5, v5, v110, v111
	v_mul_i32_i24_e32 v110, v172, v72
	v_mul_i32_i24_e32 v111, v174, v88
	v_add3_u32 v4, v5, v4, v115
	s_delay_alu instid0(VALU_DEP_1) | instskip(SKIP_1) | instid1(VALU_DEP_2)
	v_add3_u32 v4, v4, v116, v103
	v_mul_i32_i24_e32 v103, v181, v49
	v_add3_u32 v4, v4, v117, v118
	s_delay_alu instid0(VALU_DEP_1) | instskip(SKIP_1) | instid1(VALU_DEP_2)
	v_add3_u32 v4, v4, v119, v104
	v_mul_i32_i24_e32 v104, v182, v21
	v_mul_lo_u32 v81, v4, v197
	v_and_b32_e32 v4, 0xffff, v108
	v_mul_i32_i24_e32 v108, v170, v75
	s_delay_alu instid0(VALU_DEP_2) | instskip(SKIP_2) | instid1(VALU_DEP_3)
	v_lshrrev_b32_e32 v5, 4, v4
	v_and_b32_e32 v178, 15, v4
	v_lshrrev_b32_e32 v4, 16, v155
	v_mul_lo_u32 v5, 0x1010101, v5
	s_delay_alu instid0(VALU_DEP_2) | instskip(NEXT) | instid1(VALU_DEP_2)
	v_cvt_f32_f16_e64 v180, v4
	v_bfe_i32 v161, v5, 0, 8
	v_bfe_i32 v162, v5, 8, 8
	;; [unrolled: 1-line block ×3, first 2 shown]
	v_lshrrev_b32_e32 v164, 24, v5
	v_mul_i32_i24_e32 v5, v179, v66
	s_delay_alu instid0(VALU_DEP_1) | instskip(NEXT) | instid1(VALU_DEP_1)
	v_mad_i32_i24 v5, v168, v48, v5
	v_add3_u32 v5, v5, v103, v104
	v_mul_i32_i24_e32 v103, v165, v70
	v_mul_i32_i24_e32 v104, v166, v69
	s_delay_alu instid0(VALU_DEP_1) | instskip(SKIP_2) | instid1(VALU_DEP_3)
	v_add3_u32 v5, v5, v103, v104
	v_mul_i32_i24_e32 v104, v101, v161
	v_mul_i32_i24_e32 v103, v99, v163
	v_add3_u32 v5, v5, v105, v106
	v_mul_i32_i24_e32 v106, v91, v160
	v_mul_i32_i24_e32 v105, v100, v162
	s_delay_alu instid0(VALU_DEP_3) | instskip(SKIP_1) | instid1(VALU_DEP_2)
	v_add3_u32 v5, v5, v108, v109
	v_mul_i32_i24_e32 v108, v96, v157
	v_add3_u32 v5, v5, v110, v107
	v_mul_i32_i24_e32 v107, v97, v159
	s_delay_alu instid0(VALU_DEP_3) | instskip(NEXT) | instid1(VALU_DEP_3)
	v_mad_i32_i24 v108, v102, v158, v108
	v_add3_u32 v5, v5, v111, v112
	s_delay_alu instid0(VALU_DEP_2) | instskip(SKIP_1) | instid1(VALU_DEP_3)
	v_add3_u32 v106, v108, v107, v106
	v_add3_u32 v107, s20, v137, v133
	;; [unrolled: 1-line block ×3, first 2 shown]
	v_mul_i32_i24_e32 v82, v98, v164
	s_delay_alu instid0(VALU_DEP_4) | instskip(NEXT) | instid1(VALU_DEP_1)
	v_add3_u32 v104, v106, v104, v105
	v_add3_u32 v103, v104, v103, v82
	s_delay_alu instid0(VALU_DEP_4) | instskip(NEXT) | instid1(VALU_DEP_2)
	v_mad_co_u64_u32 v[81:82], null, v5, v178, v[81:82]
	v_cvt_f32_i32_e32 v5, v103
	s_delay_alu instid0(VALU_DEP_2) | instskip(NEXT) | instid1(VALU_DEP_2)
	v_cvt_f32_i32_e32 v4, v81
	v_mul_f32_e32 v5, v180, v5
	s_delay_alu instid0(VALU_DEP_1) | instskip(NEXT) | instid1(VALU_DEP_1)
	v_fma_mix_f32 v4, v155, v4, -v5 op_sel_hi:[1,0,0]
	v_fmac_f32_e32 v14, v1, v4
	v_add_nc_u32_e32 v4, 0x3180, v2
	ds_load_2addr_b32 v[81:82], v4 offset1:1
	s_wait_dscnt 0x0
	v_ashrrev_i32_e32 v4, s18, v81
	v_add_nc_u32_e32 v81, 0x3188, v2
	v_ashrrev_i32_e32 v5, s18, v82
	s_delay_alu instid0(VALU_DEP_3)
	v_bfe_u32 v156, v4, 24, 2
	ds_load_2addr_b32 v[81:82], v81 offset1:1
	v_and_b32_e32 v152, 3, v4
	v_bfe_u32 v144, v4, 8, 2
	v_bfe_u32 v154, v4, 16, 2
	v_mul_i32_i24_e32 v4, v3, v156
	v_and_b32_e32 v3, 3, v5
	v_bfe_u32 v140, v5, 8, 2
	v_bfe_u32 v141, v5, 16, 2
	;; [unrolled: 1-line block ×3, first 2 shown]
	v_mul_i32_i24_e32 v77, v77, v152
	v_mul_i32_i24_e32 v8, v3, v8
	;; [unrolled: 1-line block ×6, first 2 shown]
	v_mad_i32_i24 v8, v140, v73, v8
	s_wait_dscnt 0x0
	v_ashrrev_i32_e32 v103, s18, v81
	v_add_nc_u32_e32 v81, 0x3190, v2
	v_ashrrev_i32_e32 v104, s18, v82
	v_add3_u32 v5, v8, v9, v5
	v_add_nc_u32_e32 v2, 0x3198, v2
	v_and_b32_e32 v143, 3, v103
	ds_load_2addr_b32 v[81:82], v81 offset1:1
	v_bfe_u32 v145, v103, 8, 2
	v_bfe_u32 v146, v103, 16, 2
	;; [unrolled: 1-line block ×3, first 2 shown]
	v_mul_i32_i24_e32 v7, v143, v84
	v_and_b32_e32 v148, 3, v104
	v_mul_i32_i24_e32 v10, v145, v10
	v_mul_i32_i24_e32 v83, v146, v83
	;; [unrolled: 1-line block ×3, first 2 shown]
	v_add3_u32 v5, v5, v7, v77
	v_bfe_u32 v149, v104, 8, 2
	v_mul_i32_i24_e32 v86, v148, v89
	v_bfe_u32 v150, v104, 16, 2
	v_bfe_u32 v151, v104, 24, 2
	v_add3_u32 v5, v5, v6, v76
	v_mul_i32_i24_e32 v87, v149, v87
	s_delay_alu instid0(VALU_DEP_4) | instskip(NEXT) | instid1(VALU_DEP_4)
	v_mul_i32_i24_e32 v85, v150, v85
	v_mul_i32_i24_e32 v89, v151, v90
	s_delay_alu instid0(VALU_DEP_4)
	v_add3_u32 v4, v5, v4, v10
	s_wait_dscnt 0x0
	v_ashrrev_i32_e32 v105, s18, v81
	v_ashrrev_i32_e32 v106, s18, v82
	ds_load_2addr_b32 v[81:82], v2 offset1:1
	v_add3_u32 v2, s19, v136, v132
	ds_load_b32 v113, v107
	ds_load_u16 v2, v2
	v_add3_u32 v4, v4, v83, v84
	v_and_b32_e32 v137, 3, v105
	v_bfe_u32 v136, v105, 8, 2
	v_bfe_u32 v138, v105, 16, 2
	;; [unrolled: 1-line block ×3, first 2 shown]
	v_add3_u32 v4, v4, v86, v87
	v_and_b32_e32 v124, 3, v106
	v_bfe_u32 v125, v106, 8, 2
	v_mul_i32_i24_e32 v6, v138, v49
	v_mul_i32_i24_e32 v7, v139, v21
	v_add3_u32 v4, v4, v85, v89
	v_bfe_u32 v126, v106, 16, 2
	v_bfe_u32 v127, v106, 24, 2
	s_wait_dscnt 0x2
	v_ashrrev_i32_e32 v81, s18, v81
	v_ashrrev_i32_e32 v82, s18, v82
	v_mul_i32_i24_e32 v8, v126, v68
	v_mul_i32_i24_e32 v9, v127, v67
	s_wait_dscnt 0x0
	v_lshrrev_b16 v107, 8, v2
	v_and_b32_e32 v153, 15, v2
	v_bfe_u32 v108, v2, 4, 4
	v_and_b32_e32 v128, 3, v81
	v_bfe_u32 v129, v81, 8, 2
	v_bfe_u32 v130, v81, 16, 2
	v_mul_lo_u32 v2, v4, v153
	v_and_b32_e32 v4, 0xffff, v107
	v_mul_lo_u32 v108, 0x1010101, v108
	v_mul_i32_i24_e32 v10, v128, v75
	v_mul_i32_i24_e32 v21, v129, v74
	v_bfe_u32 v131, v81, 24, 2
	v_lshrrev_b32_e32 v5, 4, v4
	v_and_b32_e32 v132, 3, v82
	v_bfe_u32 v133, v82, 8, 2
	v_bfe_u32 v134, v82, 16, 2
	v_bfe_i32 v116, v108, 0, 8
	v_mul_lo_u32 v5, 0x1010101, v5
	v_mul_i32_i24_e32 v49, v131, v71
	v_bfe_i32 v117, v108, 8, 8
	v_bfe_i32 v118, v108, 16, 8
	v_lshrrev_b32_e32 v119, 24, v108
	v_mul_i32_i24_e32 v67, v133, v80
	v_bfe_u32 v135, v82, 24, 2
	v_mul_i32_i24_e32 v68, v134, v79
	v_bfe_i32 v120, v5, 0, 8
	v_bfe_i32 v121, v5, 8, 8
	;; [unrolled: 1-line block ×3, first 2 shown]
	v_lshrrev_b32_e32 v123, 24, v5
	v_mul_i32_i24_e32 v5, v137, v66
	v_mul_i32_i24_e32 v66, v132, v88
	v_and_b32_e32 v115, 15, v4
	s_delay_alu instid0(VALU_DEP_3) | instskip(SKIP_1) | instid1(VALU_DEP_2)
	v_mad_i32_i24 v5, v136, v48, v5
	v_mul_i32_i24_e32 v48, v130, v72
	v_add3_u32 v5, v5, v6, v7
	v_mul_i32_i24_e32 v6, v124, v70
	v_mul_i32_i24_e32 v7, v125, v69
	;; [unrolled: 1-line block ×3, first 2 shown]
	s_delay_alu instid0(VALU_DEP_2) | instskip(SKIP_2) | instid1(VALU_DEP_3)
	v_add3_u32 v5, v5, v6, v7
	v_mul_i32_i24_e32 v6, v98, v123
	v_mul_i32_i24_e32 v7, v99, v122
	v_add3_u32 v5, v5, v8, v9
	v_mul_i32_i24_e32 v8, v101, v120
	v_mul_i32_i24_e32 v9, v100, v121
	s_delay_alu instid0(VALU_DEP_3) | instskip(SKIP_2) | instid1(VALU_DEP_3)
	v_add3_u32 v5, v5, v10, v21
	v_mul_i32_i24_e32 v10, v91, v119
	v_mul_i32_i24_e32 v21, v97, v118
	v_add3_u32 v5, v5, v48, v49
	v_mul_i32_i24_e32 v48, v96, v116
	s_delay_alu instid0(VALU_DEP_2) | instskip(NEXT) | instid1(VALU_DEP_2)
	v_add3_u32 v5, v5, v66, v67
	v_mad_i32_i24 v48, v102, v117, v48
	s_delay_alu instid0(VALU_DEP_2) | instskip(NEXT) | instid1(VALU_DEP_2)
	v_add3_u32 v5, v5, v68, v69
	v_add3_u32 v10, v48, v21, v10
	s_delay_alu instid0(VALU_DEP_2) | instskip(NEXT) | instid1(VALU_DEP_2)
	v_mad_co_u64_u32 v[48:49], null, v5, v115, v[2:3]
	v_add3_u32 v8, v10, v8, v9
	v_lshrrev_b32_e32 v2, 16, v113
	s_delay_alu instid0(VALU_DEP_2) | instskip(NEXT) | instid1(VALU_DEP_2)
	v_add3_u32 v6, v8, v7, v6
	v_cvt_f32_f16_e32 v114, v2
	v_cvt_f32_i32_e32 v2, v48
	s_delay_alu instid0(VALU_DEP_3) | instskip(NEXT) | instid1(VALU_DEP_1)
	v_cvt_f32_i32_e32 v4, v6
	v_mul_f32_e32 v4, v114, v4
	s_delay_alu instid0(VALU_DEP_1) | instskip(NEXT) | instid1(VALU_DEP_1)
	v_fma_mix_f32 v2, v113, v2, -v4 op_sel_hi:[1,0,0]
	v_fmac_f32_e32 v62, v1, v2
	scratch_load_b32 v1, off, off offset:48 ; 4-byte Folded Reload
	s_wait_loadcnt 0x0
	v_or_b32_e32 v1, s17, v1
	s_delay_alu instid0(VALU_DEP_1)
	v_lshlrev_b32_e32 v2, 2, v1
	v_lshrrev_b32_e32 v1, 1, v1
	ds_load_b32 v4, v1 offset:30368
	ds_load_b128 v[66:69], v2 offset:16896
	ds_load_b128 v[70:73], v2 offset:16912
	s_wait_dscnt 0x1
	v_ashrrev_i32_e32 v5, 24, v66
	s_wait_dscnt 0x0
	v_lshrrev_b16 v1, 8, v70
	v_bfe_i32 v6, v66, 0, 8
	v_bfe_i32 v7, v66, 16, 8
	;; [unrolled: 1-line block ×5, first 2 shown]
	v_lshrrev_b16 v1, 8, v71
	v_bfe_i32 v21, v70, 0, 8
	v_ashrrev_i32_e32 v74, 24, v71
	v_bfe_i32 v75, v71, 16, 8
	v_bfe_i32 v71, v71, 0, 8
	;; [unrolled: 1-line block ×3, first 2 shown]
	v_lshrrev_b16 v1, 8, v68
	v_bfe_i32 v78, v72, 0, 8
	v_bfe_i32 v84, v73, 0, 8
	v_add_nc_u32_e32 v2, v71, v21
	v_ashrrev_i32_e32 v8, 24, v70
	v_bfe_i32 v77, v1, 0, 8
	v_lshrrev_b16 v1, 8, v69
	v_bfe_i32 v9, v70, 16, 8
	v_bfe_i32 v70, v67, 0, 8
	v_add3_u32 v99, v2, v78, v84
	v_mul_i32_i24_e32 v2, v7, v43
	v_bfe_i32 v83, v1, 0, 8
	v_add_nc_u32_e32 v1, v66, v48
	v_mul_i32_i24_e32 v101, v5, v44
	v_ashrrev_i32_e32 v49, 24, v67
	v_bfe_i32 v67, v67, 16, 8
	v_bfe_i32 v82, v68, 0, 8
	v_add3_u32 v100, v1, v77, v83
	v_mul_i32_i24_e32 v1, v6, v42
	v_mul_i32_i24_e32 v103, v93, v49
	;; [unrolled: 1-line block ×3, first 2 shown]
	v_bfe_i32 v81, v68, 16, 8
	v_ashrrev_i32_e32 v68, 24, v68
	v_mad_i32_i24 v1, v66, v61, v1
	v_mul_i32_i24_e32 v104, v94, v82
	v_mul_i32_i24_e32 v105, v95, v77
	v_bfe_i32 v79, v72, 8, 8
	v_bfe_i32 v88, v69, 0, 8
	v_add3_u32 v1, v1, v2, v101
	v_mul_i32_i24_e32 v2, v65, v70
	v_mul_i32_i24_e32 v101, v0, v48
	;; [unrolled: 1-line block ×4, first 2 shown]
	v_bfe_i32 v80, v72, 16, 8
	v_ashrrev_i32_e32 v72, 24, v72
	v_add3_u32 v1, v1, v2, v101
	v_mul_i32_i24_e32 v2, v58, v21
	v_mul_i32_i24_e32 v101, v59, v9
	v_bfe_i32 v85, v73, 8, 8
	v_bfe_i32 v86, v73, 16, 8
	v_add3_u32 v1, v1, v102, v103
	v_mul_i32_i24_e32 v102, v60, v8
	v_mad_i32_i24 v2, v246, v10, v2
	v_mul_i32_i24_e32 v103, v249, v75
	v_ashrrev_i32_e32 v73, 24, v73
	v_add3_u32 v1, v1, v104, v105
	v_mul_i32_i24_e32 v104, v250, v74
	v_add3_u32 v2, v2, v101, v102
	v_mul_i32_i24_e32 v101, v247, v71
	v_mul_i32_i24_e32 v102, v248, v76
	v_add_nc_u32_e32 v91, v74, v8
	v_bfe_i32 v87, v69, 16, 8
	v_ashrrev_i32_e32 v69, 24, v69
	v_mul_i32_i24_e32 v108, v37, v88
	v_add3_u32 v2, v2, v101, v102
	v_mul_i32_i24_e32 v109, v38, v83
	v_add3_u32 v1, v1, v106, v107
	v_mul_i32_i24_e32 v105, v251, v78
	v_mul_i32_i24_e32 v106, v252, v79
	v_add3_u32 v2, v2, v103, v104
	v_add_nc_u32_e32 v89, v76, v10
	v_add_nc_u32_e32 v90, v75, v9
	;; [unrolled: 1-line block ×3, first 2 shown]
	v_add3_u32 v91, v91, v72, v73
	v_mul_i32_i24_e32 v110, v39, v87
	v_mul_i32_i24_e32 v111, v40, v69
	v_add3_u32 v1, v1, v108, v109
	v_mul_i32_i24_e32 v107, v253, v80
	v_mul_i32_i24_e32 v108, v254, v72
	v_add3_u32 v2, v2, v105, v106
	v_add_nc_u32_e32 v96, v67, v7
	v_add_nc_u32_e32 v97, v70, v6
	v_add3_u32 v98, v98, v68, v69
	v_add3_u32 v90, v90, v80, v86
	;; [unrolled: 1-line block ×3, first 2 shown]
	v_mul_i32_i24_e32 v105, v91, v51
	v_add3_u32 v1, v1, v110, v111
	v_mul_i32_i24_e32 v109, v255, v84
	v_mul_i32_i24_e32 v110, v25, v85
	v_add3_u32 v2, v2, v107, v108
	v_add3_u32 v97, v97, v82, v88
	;; [unrolled: 1-line block ×3, first 2 shown]
	v_mul_i32_i24_e32 v101, v100, v53
	v_mul_i32_i24_e32 v102, v99, v63
	;; [unrolled: 1-line block ×4, first 2 shown]
	v_mad_i32_i24 v105, v98, v47, v105
	v_mul_i32_i24_e32 v111, v56, v86
	v_mul_i32_i24_e32 v112, v57, v73
	v_add3_u32 v2, v2, v109, v110
	v_mul_lo_u32 v1, v1, v245
	v_mad_i32_i24 v104, v96, v50, v104
	v_mad_i32_i24 v102, v97, v46, v102
	v_add3_u32 v101, v101, v103, v105
	v_add3_u32 v2, v2, v111, v112
	v_mul_i32_i24_e32 v103, v230, v49
	v_mul_i32_i24_e32 v105, v233, v77
	;; [unrolled: 1-line block ×3, first 2 shown]
	v_add3_u32 v101, v102, v104, v101
	v_mad_co_u64_u32 v[1:2], null, v2, v64, v[1:2]
	v_mul_i32_i24_e32 v102, v229, v67
	v_mul_i32_i24_e32 v104, v231, v82
	s_delay_alu instid0(VALU_DEP_4)
	v_cvt_f32_i32_e32 v2, v101
	v_mul_i32_i24_e32 v101, v5, v243
	v_mul_i32_i24_e32 v107, v235, v68
	;; [unrolled: 1-line block ×3, first 2 shown]
	v_cvt_f32_i32_e32 v1, v1
	v_mul_f32_e32 v2, v20, v2
	v_mul_i32_i24_e32 v109, v237, v83
	v_mul_i32_i24_e32 v110, v238, v87
	;; [unrolled: 1-line block ×4, first 2 shown]
	v_fma_mix_f32 v1, v244, v1, -v2 op_sel_hi:[1,0,0]
	v_mul_i32_i24_e32 v2, v7, v242
	s_delay_alu instid0(VALU_DEP_2) | instskip(SKIP_1) | instid1(VALU_DEP_1)
	v_fmac_f32_e32 v52, v4, v1
	v_mul_i32_i24_e32 v1, v6, v240
	v_mad_i32_i24 v1, v66, v232, v1
	s_delay_alu instid0(VALU_DEP_1) | instskip(SKIP_2) | instid1(VALU_DEP_1)
	v_add3_u32 v1, v1, v2, v101
	v_mul_i32_i24_e32 v2, v227, v70
	v_mul_i32_i24_e32 v101, v228, v48
	v_add3_u32 v1, v1, v2, v101
	v_mul_i32_i24_e32 v2, v223, v21
	v_mul_i32_i24_e32 v101, v225, v9
	s_delay_alu instid0(VALU_DEP_3) | instskip(SKIP_1) | instid1(VALU_DEP_4)
	v_add3_u32 v1, v1, v102, v103
	v_mul_i32_i24_e32 v102, v226, v8
	v_mad_i32_i24 v2, v212, v10, v2
	v_mul_i32_i24_e32 v103, v211, v75
	s_delay_alu instid0(VALU_DEP_4) | instskip(SKIP_1) | instid1(VALU_DEP_4)
	v_add3_u32 v1, v1, v104, v105
	v_mul_i32_i24_e32 v104, v213, v74
	v_add3_u32 v2, v2, v101, v102
	v_mul_i32_i24_e32 v101, v209, v71
	v_mul_i32_i24_e32 v102, v210, v76
	v_add3_u32 v1, v1, v106, v107
	v_mul_i32_i24_e32 v105, v214, v78
	v_mul_i32_i24_e32 v106, v215, v79
	v_mul_i32_i24_e32 v107, v216, v80
	v_add3_u32 v2, v2, v101, v102
	v_add3_u32 v1, v1, v108, v109
	v_mul_i32_i24_e32 v108, v217, v72
	v_mul_i32_i24_e32 v109, v218, v84
	v_mul_i32_i24_e32 v101, v91, v208
	v_add3_u32 v2, v2, v103, v104
	;; [unrolled: 5-line block ×3, first 2 shown]
	v_mul_i32_i24_e32 v105, v98, v204
	v_mul_i32_i24_e32 v106, v96, v203
	;; [unrolled: 1-line block ×3, first 2 shown]
	v_mul_lo_u32 v1, v1, v241
	v_add3_u32 v2, v2, v107, v108
	v_mul_i32_i24_e32 v107, v97, v201
	v_mul_i32_i24_e32 v102, v90, v207
	;; [unrolled: 1-line block ×3, first 2 shown]
	s_delay_alu instid0(VALU_DEP_4) | instskip(NEXT) | instid1(VALU_DEP_4)
	v_add3_u32 v2, v2, v109, v110
	v_mad_i32_i24 v107, v100, v202, v107
	v_mul_i32_i24_e32 v109, v193, v83
	v_mul_i32_i24_e32 v110, v194, v87
	s_delay_alu instid0(VALU_DEP_4) | instskip(NEXT) | instid1(VALU_DEP_4)
	v_add3_u32 v2, v2, v111, v112
	v_add3_u32 v105, v107, v106, v105
	v_mul_i32_i24_e32 v106, v190, v81
	v_mul_i32_i24_e32 v107, v191, v68
	;; [unrolled: 1-line block ×3, first 2 shown]
	v_mad_co_u64_u32 v[1:2], null, v2, v222, v[1:2]
	v_add3_u32 v103, v105, v103, v104
	v_mul_i32_i24_e32 v104, v187, v82
	v_mul_i32_i24_e32 v105, v189, v77
	;; [unrolled: 1-line block ×4, first 2 shown]
	v_add3_u32 v101, v103, v102, v101
	v_cvt_f32_i32_e32 v1, v1
	v_mul_i32_i24_e32 v102, v185, v67
	v_mul_i32_i24_e32 v103, v186, v49
	s_delay_alu instid0(VALU_DEP_4) | instskip(SKIP_2) | instid1(VALU_DEP_3)
	v_cvt_f32_i32_e32 v2, v101
	v_mul_i32_i24_e32 v101, v5, v200
	v_mul_i32_i24_e32 v5, v5, v156
	v_mul_f32_e32 v2, v224, v2
	s_delay_alu instid0(VALU_DEP_1) | instskip(SKIP_1) | instid1(VALU_DEP_2)
	v_fma_mix_f32 v1, v199, v1, -v2 op_sel_hi:[1,0,0]
	v_mul_i32_i24_e32 v2, v7, v198
	v_fmac_f32_e32 v45, v4, v1
	v_mul_i32_i24_e32 v1, v6, v196
	s_delay_alu instid0(VALU_DEP_1) | instskip(NEXT) | instid1(VALU_DEP_1)
	v_mad_i32_i24 v1, v66, v188, v1
	v_add3_u32 v1, v1, v2, v101
	v_mul_i32_i24_e32 v2, v183, v70
	v_mul_i32_i24_e32 v101, v184, v48
	s_delay_alu instid0(VALU_DEP_1) | instskip(SKIP_2) | instid1(VALU_DEP_3)
	v_add3_u32 v1, v1, v2, v101
	v_mul_i32_i24_e32 v2, v179, v21
	v_mul_i32_i24_e32 v101, v181, v9
	v_add3_u32 v1, v1, v102, v103
	v_mul_i32_i24_e32 v102, v182, v8
	s_delay_alu instid0(VALU_DEP_4) | instskip(SKIP_1) | instid1(VALU_DEP_4)
	v_mad_i32_i24 v2, v168, v10, v2
	v_mul_i32_i24_e32 v103, v167, v75
	v_add3_u32 v1, v1, v104, v105
	v_mul_i32_i24_e32 v104, v169, v74
	s_delay_alu instid0(VALU_DEP_4)
	v_add3_u32 v2, v2, v101, v102
	v_mul_i32_i24_e32 v101, v165, v71
	v_mul_i32_i24_e32 v102, v166, v76
	v_add3_u32 v1, v1, v106, v107
	v_mul_i32_i24_e32 v105, v170, v78
	v_mul_i32_i24_e32 v106, v171, v79
	v_mul_i32_i24_e32 v107, v172, v80
	v_add3_u32 v2, v2, v101, v102
	v_add3_u32 v1, v1, v108, v109
	v_mul_i32_i24_e32 v108, v173, v72
	v_mul_i32_i24_e32 v109, v174, v84
	v_mul_i32_i24_e32 v101, v91, v164
	v_add3_u32 v2, v2, v103, v104
	;; [unrolled: 5-line block ×3, first 2 shown]
	v_mul_i32_i24_e32 v105, v98, v160
	v_mul_i32_i24_e32 v106, v96, v159
	;; [unrolled: 1-line block ×3, first 2 shown]
	v_mul_lo_u32 v1, v1, v197
	v_add3_u32 v2, v2, v107, v108
	v_mul_i32_i24_e32 v107, v97, v157
	v_mul_i32_i24_e32 v102, v90, v163
	s_delay_alu instid0(VALU_DEP_3) | instskip(NEXT) | instid1(VALU_DEP_3)
	v_add3_u32 v2, v2, v109, v110
	v_mad_i32_i24 v107, v100, v158, v107
	s_delay_alu instid0(VALU_DEP_2) | instskip(NEXT) | instid1(VALU_DEP_2)
	v_add3_u32 v2, v2, v111, v112
	v_add3_u32 v105, v107, v106, v105
	s_delay_alu instid0(VALU_DEP_2) | instskip(NEXT) | instid1(VALU_DEP_2)
	v_mad_co_u64_u32 v[1:2], null, v2, v178, v[1:2]
	v_add3_u32 v103, v105, v103, v104
	s_delay_alu instid0(VALU_DEP_1) | instskip(NEXT) | instid1(VALU_DEP_3)
	v_add3_u32 v101, v103, v102, v101
	v_cvt_f32_i32_e32 v1, v1
	s_delay_alu instid0(VALU_DEP_2) | instskip(NEXT) | instid1(VALU_DEP_1)
	v_cvt_f32_i32_e32 v2, v101
	v_mul_f32_e32 v2, v180, v2
	s_delay_alu instid0(VALU_DEP_1)
	v_fma_mix_f32 v1, v155, v1, -v2 op_sel_hi:[1,0,0]
	v_mul_i32_i24_e32 v2, v7, v154
	v_mul_i32_i24_e32 v7, v142, v49
	;; [unrolled: 1-line block ×4, first 2 shown]
	v_fmac_f32_e32 v41, v4, v1
	v_mul_i32_i24_e32 v1, v6, v152
	v_mul_i32_i24_e32 v6, v141, v67
	;; [unrolled: 1-line block ×4, first 2 shown]
	s_delay_alu instid0(VALU_DEP_4) | instskip(SKIP_1) | instid1(VALU_DEP_2)
	v_mad_i32_i24 v1, v66, v144, v1
	v_mul_i32_i24_e32 v66, v146, v81
	v_add3_u32 v1, v1, v2, v5
	v_mul_i32_i24_e32 v2, v3, v70
	v_mul_i32_i24_e32 v5, v140, v48
	v_mul_i32_i24_e32 v48, v143, v82
	v_mul_i32_i24_e32 v70, v149, v83
	s_delay_alu instid0(VALU_DEP_3)
	v_add3_u32 v1, v1, v2, v5
	v_mul_i32_i24_e32 v2, v137, v21
	v_mul_i32_i24_e32 v5, v138, v9
	;; [unrolled: 1-line block ×4, first 2 shown]
	v_add3_u32 v1, v1, v6, v7
	v_mul_i32_i24_e32 v6, v139, v8
	v_mad_i32_i24 v2, v136, v10, v2
	v_mul_i32_i24_e32 v7, v126, v75
	v_mul_i32_i24_e32 v8, v127, v74
	;; [unrolled: 1-line block ×3, first 2 shown]
	v_add3_u32 v1, v1, v48, v49
	v_add3_u32 v2, v2, v5, v6
	v_mul_i32_i24_e32 v5, v124, v71
	v_mul_i32_i24_e32 v6, v125, v76
	;; [unrolled: 1-line block ×3, first 2 shown]
	v_add3_u32 v1, v1, v66, v67
	v_mul_i32_i24_e32 v49, v132, v84
	v_mul_i32_i24_e32 v66, v133, v85
	v_add3_u32 v2, v2, v5, v6
	v_mul_i32_i24_e32 v67, v134, v86
	v_add3_u32 v1, v1, v68, v70
	v_mul_i32_i24_e32 v68, v135, v73
	v_mul_i32_i24_e32 v5, v91, v123
	v_add3_u32 v2, v2, v7, v8
	v_mul_i32_i24_e32 v7, v99, v120
	;; [unrolled: 5-line block ×3, first 2 shown]
	v_mul_i32_i24_e32 v10, v96, v118
	v_mul_lo_u32 v1, v1, v153
	s_delay_alu instid0(VALU_DEP_4) | instskip(SKIP_1) | instid1(VALU_DEP_2)
	v_add3_u32 v2, v2, v21, v48
	v_mul_i32_i24_e32 v21, v97, v116
	v_add3_u32 v2, v2, v49, v66
	s_delay_alu instid0(VALU_DEP_2) | instskip(NEXT) | instid1(VALU_DEP_2)
	v_mad_i32_i24 v21, v100, v117, v21
	v_add3_u32 v2, v2, v67, v68
	s_delay_alu instid0(VALU_DEP_2) | instskip(NEXT) | instid1(VALU_DEP_2)
	v_add3_u32 v9, v21, v10, v9
	v_mad_co_u64_u32 v[1:2], null, v2, v115, v[1:2]
	s_delay_alu instid0(VALU_DEP_2) | instskip(NEXT) | instid1(VALU_DEP_1)
	v_add3_u32 v7, v9, v7, v8
	v_add3_u32 v5, v7, v6, v5
	s_delay_alu instid0(VALU_DEP_3) | instskip(NEXT) | instid1(VALU_DEP_2)
	v_cvt_f32_i32_e32 v1, v1
	v_cvt_f32_i32_e32 v2, v5
	s_delay_alu instid0(VALU_DEP_1) | instskip(NEXT) | instid1(VALU_DEP_1)
	v_mul_f32_e32 v2, v114, v2
	v_fma_mix_f32 v1, v113, v1, -v2 op_sel_hi:[1,0,0]
	s_delay_alu instid0(VALU_DEP_1) | instskip(SKIP_3) | instid1(VALU_DEP_1)
	v_fmac_f32_e32 v36, v4, v1
	scratch_load_b32 v1, off, off offset:44 ; 4-byte Folded Reload
	s_wait_loadcnt 0x0
	v_or_b32_e32 v1, s17, v1
	v_lshlrev_b32_e32 v2, 2, v1
	v_lshrrev_b32_e32 v1, 1, v1
	ds_load_b32 v4, v1 offset:30368
	ds_load_b128 v[66:69], v2 offset:16896
	ds_load_b128 v[70:73], v2 offset:16912
	s_wait_dscnt 0x1
	v_ashrrev_i32_e32 v5, 24, v66
	s_wait_dscnt 0x0
	v_lshrrev_b16 v1, 8, v70
	v_bfe_i32 v6, v66, 0, 8
	v_bfe_i32 v7, v66, 16, 8
	;; [unrolled: 1-line block ×5, first 2 shown]
	v_lshrrev_b16 v1, 8, v71
	v_bfe_i32 v21, v70, 0, 8
	v_ashrrev_i32_e32 v74, 24, v71
	v_bfe_i32 v75, v71, 16, 8
	v_bfe_i32 v71, v71, 0, 8
	;; [unrolled: 1-line block ×3, first 2 shown]
	v_lshrrev_b16 v1, 8, v68
	v_bfe_i32 v78, v72, 0, 8
	v_bfe_i32 v84, v73, 0, 8
	v_add_nc_u32_e32 v2, v71, v21
	v_ashrrev_i32_e32 v8, 24, v70
	v_bfe_i32 v77, v1, 0, 8
	v_lshrrev_b16 v1, 8, v69
	v_bfe_i32 v9, v70, 16, 8
	v_bfe_i32 v70, v67, 0, 8
	v_add3_u32 v99, v2, v78, v84
	v_mul_i32_i24_e32 v2, v7, v43
	v_bfe_i32 v83, v1, 0, 8
	v_add_nc_u32_e32 v1, v66, v48
	v_mul_i32_i24_e32 v101, v5, v44
	v_ashrrev_i32_e32 v49, 24, v67
	v_bfe_i32 v67, v67, 16, 8
	v_bfe_i32 v82, v68, 0, 8
	v_add3_u32 v100, v1, v77, v83
	v_mul_i32_i24_e32 v1, v6, v42
	v_mul_i32_i24_e32 v103, v93, v49
	;; [unrolled: 1-line block ×3, first 2 shown]
	v_bfe_i32 v81, v68, 16, 8
	v_ashrrev_i32_e32 v68, 24, v68
	v_mad_i32_i24 v1, v66, v61, v1
	v_mul_i32_i24_e32 v104, v94, v82
	v_mul_i32_i24_e32 v105, v95, v77
	v_bfe_i32 v79, v72, 8, 8
	v_bfe_i32 v88, v69, 0, 8
	v_add3_u32 v1, v1, v2, v101
	v_mul_i32_i24_e32 v2, v65, v70
	v_mul_i32_i24_e32 v101, v0, v48
	;; [unrolled: 1-line block ×4, first 2 shown]
	v_bfe_i32 v80, v72, 16, 8
	v_ashrrev_i32_e32 v72, 24, v72
	v_add3_u32 v1, v1, v2, v101
	v_mul_i32_i24_e32 v2, v58, v21
	v_mul_i32_i24_e32 v101, v59, v9
	v_bfe_i32 v85, v73, 8, 8
	v_bfe_i32 v86, v73, 16, 8
	v_add3_u32 v1, v1, v102, v103
	v_mul_i32_i24_e32 v102, v60, v8
	v_mad_i32_i24 v2, v246, v10, v2
	v_mul_i32_i24_e32 v103, v249, v75
	v_ashrrev_i32_e32 v73, 24, v73
	v_add3_u32 v1, v1, v104, v105
	v_mul_i32_i24_e32 v104, v250, v74
	v_add3_u32 v2, v2, v101, v102
	v_mul_i32_i24_e32 v101, v247, v71
	v_mul_i32_i24_e32 v102, v248, v76
	v_add_nc_u32_e32 v91, v74, v8
	v_bfe_i32 v87, v69, 16, 8
	v_ashrrev_i32_e32 v69, 24, v69
	v_mul_i32_i24_e32 v108, v37, v88
	v_add3_u32 v2, v2, v101, v102
	v_mul_i32_i24_e32 v109, v38, v83
	v_add3_u32 v1, v1, v106, v107
	v_mul_i32_i24_e32 v105, v251, v78
	v_mul_i32_i24_e32 v106, v252, v79
	v_add3_u32 v2, v2, v103, v104
	v_add_nc_u32_e32 v89, v76, v10
	v_add_nc_u32_e32 v90, v75, v9
	;; [unrolled: 1-line block ×3, first 2 shown]
	v_add3_u32 v91, v91, v72, v73
	v_mul_i32_i24_e32 v110, v39, v87
	v_mul_i32_i24_e32 v111, v40, v69
	v_add3_u32 v1, v1, v108, v109
	v_mul_i32_i24_e32 v107, v253, v80
	v_mul_i32_i24_e32 v108, v254, v72
	v_add3_u32 v2, v2, v105, v106
	v_add_nc_u32_e32 v96, v67, v7
	v_add_nc_u32_e32 v97, v70, v6
	v_add3_u32 v98, v98, v68, v69
	v_add3_u32 v90, v90, v80, v86
	;; [unrolled: 1-line block ×3, first 2 shown]
	v_mul_i32_i24_e32 v105, v91, v51
	v_add3_u32 v1, v1, v110, v111
	v_mul_i32_i24_e32 v109, v255, v84
	v_mul_i32_i24_e32 v110, v25, v85
	v_add3_u32 v2, v2, v107, v108
	v_add3_u32 v97, v97, v82, v88
	;; [unrolled: 1-line block ×3, first 2 shown]
	v_mul_i32_i24_e32 v101, v100, v53
	v_mul_i32_i24_e32 v102, v99, v63
	;; [unrolled: 1-line block ×4, first 2 shown]
	v_mad_i32_i24 v105, v98, v47, v105
	v_mul_i32_i24_e32 v111, v56, v86
	v_mul_i32_i24_e32 v112, v57, v73
	v_add3_u32 v2, v2, v109, v110
	v_mul_lo_u32 v1, v1, v245
	v_mad_i32_i24 v104, v96, v50, v104
	v_mad_i32_i24 v102, v97, v46, v102
	v_add3_u32 v101, v101, v103, v105
	v_add3_u32 v2, v2, v111, v112
	v_mul_i32_i24_e32 v103, v230, v49
	v_mul_i32_i24_e32 v105, v233, v77
	;; [unrolled: 1-line block ×3, first 2 shown]
	v_add3_u32 v101, v102, v104, v101
	v_mad_co_u64_u32 v[1:2], null, v2, v64, v[1:2]
	v_mul_i32_i24_e32 v102, v229, v67
	v_mul_i32_i24_e32 v104, v231, v82
	s_delay_alu instid0(VALU_DEP_4)
	v_cvt_f32_i32_e32 v2, v101
	v_mul_i32_i24_e32 v101, v5, v243
	v_mul_i32_i24_e32 v107, v235, v68
	;; [unrolled: 1-line block ×3, first 2 shown]
	v_cvt_f32_i32_e32 v1, v1
	v_mul_f32_e32 v2, v20, v2
	v_mul_i32_i24_e32 v109, v237, v83
	v_mul_i32_i24_e32 v110, v238, v87
	;; [unrolled: 1-line block ×4, first 2 shown]
	v_fma_mix_f32 v1, v244, v1, -v2 op_sel_hi:[1,0,0]
	v_mul_i32_i24_e32 v2, v7, v242
	s_delay_alu instid0(VALU_DEP_2) | instskip(SKIP_1) | instid1(VALU_DEP_1)
	v_fmac_f32_e32 v32, v4, v1
	v_mul_i32_i24_e32 v1, v6, v240
	v_mad_i32_i24 v1, v66, v232, v1
	s_delay_alu instid0(VALU_DEP_1) | instskip(SKIP_2) | instid1(VALU_DEP_1)
	v_add3_u32 v1, v1, v2, v101
	v_mul_i32_i24_e32 v2, v227, v70
	v_mul_i32_i24_e32 v101, v228, v48
	v_add3_u32 v1, v1, v2, v101
	v_mul_i32_i24_e32 v2, v223, v21
	v_mul_i32_i24_e32 v101, v225, v9
	s_delay_alu instid0(VALU_DEP_3) | instskip(SKIP_1) | instid1(VALU_DEP_4)
	v_add3_u32 v1, v1, v102, v103
	v_mul_i32_i24_e32 v102, v226, v8
	v_mad_i32_i24 v2, v212, v10, v2
	v_mul_i32_i24_e32 v103, v211, v75
	s_delay_alu instid0(VALU_DEP_4) | instskip(SKIP_1) | instid1(VALU_DEP_4)
	v_add3_u32 v1, v1, v104, v105
	v_mul_i32_i24_e32 v104, v213, v74
	v_add3_u32 v2, v2, v101, v102
	v_mul_i32_i24_e32 v101, v209, v71
	v_mul_i32_i24_e32 v102, v210, v76
	v_add3_u32 v1, v1, v106, v107
	v_mul_i32_i24_e32 v105, v214, v78
	v_mul_i32_i24_e32 v106, v215, v79
	v_mul_i32_i24_e32 v107, v216, v80
	v_add3_u32 v2, v2, v101, v102
	v_add3_u32 v1, v1, v108, v109
	v_mul_i32_i24_e32 v108, v217, v72
	v_mul_i32_i24_e32 v109, v218, v84
	v_mul_i32_i24_e32 v101, v91, v208
	v_add3_u32 v2, v2, v103, v104
	;; [unrolled: 5-line block ×3, first 2 shown]
	v_mul_i32_i24_e32 v105, v98, v204
	v_mul_i32_i24_e32 v106, v96, v203
	;; [unrolled: 1-line block ×3, first 2 shown]
	v_mul_lo_u32 v1, v1, v241
	v_add3_u32 v2, v2, v107, v108
	v_mul_i32_i24_e32 v107, v97, v201
	v_mul_i32_i24_e32 v102, v90, v207
	;; [unrolled: 1-line block ×3, first 2 shown]
	s_delay_alu instid0(VALU_DEP_4) | instskip(NEXT) | instid1(VALU_DEP_4)
	v_add3_u32 v2, v2, v109, v110
	v_mad_i32_i24 v107, v100, v202, v107
	v_mul_i32_i24_e32 v109, v193, v83
	v_mul_i32_i24_e32 v110, v194, v87
	s_delay_alu instid0(VALU_DEP_4) | instskip(NEXT) | instid1(VALU_DEP_4)
	v_add3_u32 v2, v2, v111, v112
	v_add3_u32 v105, v107, v106, v105
	v_mul_i32_i24_e32 v106, v190, v81
	v_mul_i32_i24_e32 v107, v191, v68
	;; [unrolled: 1-line block ×3, first 2 shown]
	v_mad_co_u64_u32 v[1:2], null, v2, v222, v[1:2]
	v_add3_u32 v103, v105, v103, v104
	v_mul_i32_i24_e32 v104, v187, v82
	v_mul_i32_i24_e32 v105, v189, v77
	;; [unrolled: 1-line block ×4, first 2 shown]
	v_add3_u32 v101, v103, v102, v101
	v_cvt_f32_i32_e32 v1, v1
	v_mul_i32_i24_e32 v102, v185, v67
	v_mul_i32_i24_e32 v103, v186, v49
	s_delay_alu instid0(VALU_DEP_4) | instskip(SKIP_2) | instid1(VALU_DEP_3)
	v_cvt_f32_i32_e32 v2, v101
	v_mul_i32_i24_e32 v101, v5, v200
	v_mul_i32_i24_e32 v5, v5, v156
	v_mul_f32_e32 v2, v224, v2
	s_delay_alu instid0(VALU_DEP_1) | instskip(SKIP_1) | instid1(VALU_DEP_2)
	v_fma_mix_f32 v1, v199, v1, -v2 op_sel_hi:[1,0,0]
	v_mul_i32_i24_e32 v2, v7, v198
	v_fmac_f32_e32 v31, v4, v1
	v_mul_i32_i24_e32 v1, v6, v196
	s_delay_alu instid0(VALU_DEP_1) | instskip(NEXT) | instid1(VALU_DEP_1)
	v_mad_i32_i24 v1, v66, v188, v1
	v_add3_u32 v1, v1, v2, v101
	v_mul_i32_i24_e32 v2, v183, v70
	v_mul_i32_i24_e32 v101, v184, v48
	s_delay_alu instid0(VALU_DEP_1) | instskip(SKIP_2) | instid1(VALU_DEP_3)
	v_add3_u32 v1, v1, v2, v101
	v_mul_i32_i24_e32 v2, v179, v21
	v_mul_i32_i24_e32 v101, v181, v9
	v_add3_u32 v1, v1, v102, v103
	v_mul_i32_i24_e32 v102, v182, v8
	s_delay_alu instid0(VALU_DEP_4) | instskip(SKIP_1) | instid1(VALU_DEP_4)
	v_mad_i32_i24 v2, v168, v10, v2
	v_mul_i32_i24_e32 v103, v167, v75
	v_add3_u32 v1, v1, v104, v105
	v_mul_i32_i24_e32 v104, v169, v74
	s_delay_alu instid0(VALU_DEP_4)
	v_add3_u32 v2, v2, v101, v102
	v_mul_i32_i24_e32 v101, v165, v71
	v_mul_i32_i24_e32 v102, v166, v76
	v_add3_u32 v1, v1, v106, v107
	v_mul_i32_i24_e32 v105, v170, v78
	v_mul_i32_i24_e32 v106, v171, v79
	v_mul_i32_i24_e32 v107, v172, v80
	v_add3_u32 v2, v2, v101, v102
	v_add3_u32 v1, v1, v108, v109
	v_mul_i32_i24_e32 v108, v173, v72
	v_mul_i32_i24_e32 v109, v174, v84
	v_mul_i32_i24_e32 v101, v91, v164
	v_add3_u32 v2, v2, v103, v104
	;; [unrolled: 5-line block ×3, first 2 shown]
	v_mul_i32_i24_e32 v105, v98, v160
	v_mul_i32_i24_e32 v106, v96, v159
	;; [unrolled: 1-line block ×3, first 2 shown]
	v_mul_lo_u32 v1, v1, v197
	v_add3_u32 v2, v2, v107, v108
	v_mul_i32_i24_e32 v107, v97, v157
	v_mul_i32_i24_e32 v102, v90, v163
	s_delay_alu instid0(VALU_DEP_3) | instskip(NEXT) | instid1(VALU_DEP_3)
	v_add3_u32 v2, v2, v109, v110
	v_mad_i32_i24 v107, v100, v158, v107
	s_delay_alu instid0(VALU_DEP_2) | instskip(NEXT) | instid1(VALU_DEP_2)
	v_add3_u32 v2, v2, v111, v112
	v_add3_u32 v105, v107, v106, v105
	s_delay_alu instid0(VALU_DEP_2) | instskip(NEXT) | instid1(VALU_DEP_2)
	v_mad_co_u64_u32 v[1:2], null, v2, v178, v[1:2]
	v_add3_u32 v103, v105, v103, v104
	s_delay_alu instid0(VALU_DEP_1) | instskip(NEXT) | instid1(VALU_DEP_3)
	v_add3_u32 v101, v103, v102, v101
	v_cvt_f32_i32_e32 v1, v1
	s_delay_alu instid0(VALU_DEP_2) | instskip(NEXT) | instid1(VALU_DEP_1)
	v_cvt_f32_i32_e32 v2, v101
	v_mul_f32_e32 v2, v180, v2
	s_delay_alu instid0(VALU_DEP_1)
	v_fma_mix_f32 v1, v155, v1, -v2 op_sel_hi:[1,0,0]
	v_mul_i32_i24_e32 v2, v7, v154
	v_mul_i32_i24_e32 v7, v142, v49
	;; [unrolled: 1-line block ×4, first 2 shown]
	v_fmac_f32_e32 v30, v4, v1
	v_mul_i32_i24_e32 v1, v6, v152
	v_mul_i32_i24_e32 v6, v141, v67
	;; [unrolled: 1-line block ×4, first 2 shown]
	s_delay_alu instid0(VALU_DEP_4) | instskip(SKIP_1) | instid1(VALU_DEP_2)
	v_mad_i32_i24 v1, v66, v144, v1
	v_mul_i32_i24_e32 v66, v146, v81
	v_add3_u32 v1, v1, v2, v5
	v_mul_i32_i24_e32 v2, v3, v70
	v_mul_i32_i24_e32 v5, v140, v48
	;; [unrolled: 1-line block ×4, first 2 shown]
	s_delay_alu instid0(VALU_DEP_3)
	v_add3_u32 v1, v1, v2, v5
	v_mul_i32_i24_e32 v2, v137, v21
	v_mul_i32_i24_e32 v5, v138, v9
	;; [unrolled: 1-line block ×4, first 2 shown]
	v_add3_u32 v1, v1, v6, v7
	v_mul_i32_i24_e32 v6, v139, v8
	v_mad_i32_i24 v2, v136, v10, v2
	v_mul_i32_i24_e32 v7, v126, v75
	v_mul_i32_i24_e32 v8, v127, v74
	;; [unrolled: 1-line block ×3, first 2 shown]
	v_add3_u32 v1, v1, v48, v49
	v_add3_u32 v2, v2, v5, v6
	v_mul_i32_i24_e32 v5, v124, v71
	v_mul_i32_i24_e32 v6, v125, v76
	;; [unrolled: 1-line block ×3, first 2 shown]
	v_add3_u32 v1, v1, v66, v67
	v_mul_i32_i24_e32 v49, v132, v84
	v_mul_i32_i24_e32 v66, v133, v85
	v_add3_u32 v2, v2, v5, v6
	v_mul_i32_i24_e32 v67, v134, v86
	v_add3_u32 v1, v1, v68, v70
	v_mul_i32_i24_e32 v68, v135, v73
	v_mul_i32_i24_e32 v5, v91, v123
	v_add3_u32 v2, v2, v7, v8
	v_mul_i32_i24_e32 v7, v99, v120
	;; [unrolled: 5-line block ×3, first 2 shown]
	v_mul_i32_i24_e32 v10, v96, v118
	v_mul_lo_u32 v1, v1, v153
	s_delay_alu instid0(VALU_DEP_4) | instskip(SKIP_1) | instid1(VALU_DEP_2)
	v_add3_u32 v2, v2, v21, v48
	v_mul_i32_i24_e32 v21, v97, v116
	v_add3_u32 v2, v2, v49, v66
	s_delay_alu instid0(VALU_DEP_2) | instskip(NEXT) | instid1(VALU_DEP_2)
	v_mad_i32_i24 v21, v100, v117, v21
	v_add3_u32 v2, v2, v67, v68
	s_delay_alu instid0(VALU_DEP_2) | instskip(NEXT) | instid1(VALU_DEP_2)
	v_add3_u32 v9, v21, v10, v9
	v_mad_co_u64_u32 v[1:2], null, v2, v115, v[1:2]
	s_delay_alu instid0(VALU_DEP_2) | instskip(NEXT) | instid1(VALU_DEP_1)
	v_add3_u32 v7, v9, v7, v8
	v_add3_u32 v5, v7, v6, v5
	s_delay_alu instid0(VALU_DEP_3) | instskip(NEXT) | instid1(VALU_DEP_2)
	v_cvt_f32_i32_e32 v1, v1
	v_cvt_f32_i32_e32 v2, v5
	s_delay_alu instid0(VALU_DEP_1) | instskip(NEXT) | instid1(VALU_DEP_1)
	v_mul_f32_e32 v2, v114, v2
	v_fma_mix_f32 v1, v113, v1, -v2 op_sel_hi:[1,0,0]
	s_delay_alu instid0(VALU_DEP_1) | instskip(SKIP_3) | instid1(VALU_DEP_1)
	v_fmac_f32_e32 v29, v4, v1
	scratch_load_b32 v1, off, off offset:40 ; 4-byte Folded Reload
	s_wait_loadcnt 0x0
	v_or_b32_e32 v1, s17, v1
	v_lshlrev_b32_e32 v2, 2, v1
	v_lshrrev_b32_e32 v1, 1, v1
	ds_load_b32 v4, v1 offset:30368
	ds_load_b128 v[66:69], v2 offset:16896
	ds_load_b128 v[70:73], v2 offset:16912
	s_wait_dscnt 0x1
	v_ashrrev_i32_e32 v8, 24, v66
	s_wait_dscnt 0x0
	v_bfe_i32 v77, v70, 0, 8
	v_bfe_i32 v78, v70, 8, 8
	v_bfe_i32 v79, v70, 16, 8
	v_ashrrev_i32_e32 v70, 24, v70
	v_bfe_i32 v80, v71, 0, 8
	v_bfe_i32 v81, v71, 8, 8
	v_bfe_i32 v82, v71, 16, 8
	v_ashrrev_i32_e32 v71, 24, v71
	;; [unrolled: 4-line block ×4, first 2 shown]
	v_add_nc_u32_e32 v1, v71, v70
	v_ashrrev_i32_e32 v48, 24, v67
	v_bfe_i32 v5, v66, 0, 8
	v_bfe_i32 v6, v66, 8, 8
	;; [unrolled: 1-line block ×3, first 2 shown]
	v_add3_u32 v89, v1, v72, v73
	v_add_nc_u32_e32 v1, v82, v79
	v_bfe_i32 v9, v67, 0, 8
	v_bfe_i32 v10, v67, 8, 8
	;; [unrolled: 1-line block ×4, first 2 shown]
	v_add3_u32 v90, v1, v85, v88
	v_add_nc_u32_e32 v1, v80, v77
	v_bfe_i32 v66, v68, 8, 8
	v_bfe_i32 v67, v68, 16, 8
	v_ashrrev_i32_e32 v68, 24, v68
	v_bfe_i32 v74, v69, 0, 8
	v_add3_u32 v91, v1, v83, v86
	v_add_nc_u32_e32 v1, v81, v78
	v_bfe_i32 v75, v69, 8, 8
	v_bfe_i32 v76, v69, 16, 8
	v_ashrrev_i32_e32 v69, 24, v69
	v_mul_i32_i24_e32 v2, v7, v43
	v_add3_u32 v96, v1, v84, v87
	v_add_nc_u32_e32 v1, v48, v8
	v_mul_i32_i24_e32 v101, v8, v44
	v_mul_i32_i24_e32 v102, v92, v21
	v_mul_i32_i24_e32 v103, v93, v48
	v_mul_i32_i24_e32 v104, v94, v49
	v_add3_u32 v97, v1, v68, v69
	v_add_nc_u32_e32 v1, v21, v7
	v_mul_i32_i24_e32 v105, v95, v66
	v_mul_i32_i24_e32 v106, v33, v67
	v_mul_i32_i24_e32 v107, v35, v68
	;; [unrolled: 6-line block ×3, first 2 shown]
	v_mul_i32_i24_e32 v112, v57, v73
	v_add3_u32 v99, v1, v66, v75
	v_add_nc_u32_e32 v1, v9, v5
	s_delay_alu instid0(VALU_DEP_1) | instskip(SKIP_1) | instid1(VALU_DEP_1)
	v_add3_u32 v100, v1, v49, v74
	v_mul_i32_i24_e32 v1, v5, v42
	v_mad_i32_i24 v1, v6, v61, v1
	s_delay_alu instid0(VALU_DEP_1) | instskip(SKIP_2) | instid1(VALU_DEP_1)
	v_add3_u32 v1, v1, v2, v101
	v_mul_i32_i24_e32 v2, v65, v9
	v_mul_i32_i24_e32 v101, v0, v10
	v_add3_u32 v1, v1, v2, v101
	v_mul_i32_i24_e32 v2, v58, v77
	v_mul_i32_i24_e32 v101, v59, v79
	s_delay_alu instid0(VALU_DEP_3) | instskip(SKIP_1) | instid1(VALU_DEP_4)
	v_add3_u32 v1, v1, v102, v103
	v_mul_i32_i24_e32 v102, v60, v70
	v_mad_i32_i24 v2, v246, v78, v2
	v_mul_i32_i24_e32 v103, v249, v82
	s_delay_alu instid0(VALU_DEP_4) | instskip(SKIP_1) | instid1(VALU_DEP_4)
	v_add3_u32 v1, v1, v104, v105
	v_mul_i32_i24_e32 v104, v250, v71
	v_add3_u32 v2, v2, v101, v102
	v_mul_i32_i24_e32 v101, v247, v80
	v_mul_i32_i24_e32 v102, v248, v81
	v_add3_u32 v1, v1, v106, v107
	v_mul_i32_i24_e32 v105, v251, v83
	v_mul_i32_i24_e32 v106, v252, v84
	v_mul_i32_i24_e32 v107, v253, v85
	v_add3_u32 v2, v2, v101, v102
	v_add3_u32 v1, v1, v108, v109
	v_mul_i32_i24_e32 v108, v254, v72
	v_mul_i32_i24_e32 v109, v255, v86
	v_mul_i32_i24_e32 v101, v89, v51
	v_add3_u32 v2, v2, v103, v104
	;; [unrolled: 5-line block ×3, first 2 shown]
	v_mul_i32_i24_e32 v105, v97, v47
	v_mul_i32_i24_e32 v106, v98, v50
	;; [unrolled: 1-line block ×3, first 2 shown]
	v_mul_lo_u32 v1, v1, v245
	v_add3_u32 v2, v2, v107, v108
	v_mul_i32_i24_e32 v107, v100, v46
	v_mul_i32_i24_e32 v102, v90, v55
	v_mul_i32_i24_e32 v108, v236, v74
	s_delay_alu instid0(VALU_DEP_4) | instskip(NEXT) | instid1(VALU_DEP_4)
	v_add3_u32 v2, v2, v109, v110
	v_mad_i32_i24 v107, v99, v53, v107
	v_mul_i32_i24_e32 v109, v237, v75
	v_mul_i32_i24_e32 v110, v238, v76
	s_delay_alu instid0(VALU_DEP_4) | instskip(NEXT) | instid1(VALU_DEP_4)
	v_add3_u32 v2, v2, v111, v112
	v_add3_u32 v105, v107, v106, v105
	v_mul_i32_i24_e32 v106, v234, v67
	v_mul_i32_i24_e32 v107, v235, v68
	;; [unrolled: 1-line block ×3, first 2 shown]
	v_mad_co_u64_u32 v[1:2], null, v2, v64, v[1:2]
	v_add3_u32 v103, v105, v103, v104
	v_mul_i32_i24_e32 v104, v231, v49
	v_mul_i32_i24_e32 v105, v233, v66
	;; [unrolled: 1-line block ×3, first 2 shown]
	s_delay_alu instid0(VALU_DEP_4) | instskip(SKIP_3) | instid1(VALU_DEP_4)
	v_add3_u32 v101, v103, v102, v101
	v_cvt_f32_i32_e32 v1, v1
	v_mul_i32_i24_e32 v102, v229, v21
	v_mul_i32_i24_e32 v103, v230, v48
	v_cvt_f32_i32_e32 v2, v101
	v_mul_i32_i24_e32 v101, v8, v243
	s_delay_alu instid0(VALU_DEP_2) | instskip(NEXT) | instid1(VALU_DEP_1)
	v_mul_f32_e32 v2, v20, v2
	v_fma_mix_f32 v1, v244, v1, -v2 op_sel_hi:[1,0,0]
	v_mul_i32_i24_e32 v2, v7, v242
	s_delay_alu instid0(VALU_DEP_2) | instskip(SKIP_1) | instid1(VALU_DEP_1)
	v_fmac_f32_e32 v28, v4, v1
	v_mul_i32_i24_e32 v1, v5, v240
	v_mad_i32_i24 v1, v6, v232, v1
	s_delay_alu instid0(VALU_DEP_1) | instskip(SKIP_2) | instid1(VALU_DEP_1)
	v_add3_u32 v1, v1, v2, v101
	v_mul_i32_i24_e32 v2, v227, v9
	v_mul_i32_i24_e32 v101, v228, v10
	v_add3_u32 v1, v1, v2, v101
	v_mul_i32_i24_e32 v2, v223, v77
	v_mul_i32_i24_e32 v101, v225, v79
	s_delay_alu instid0(VALU_DEP_3) | instskip(SKIP_1) | instid1(VALU_DEP_4)
	v_add3_u32 v1, v1, v102, v103
	v_mul_i32_i24_e32 v102, v226, v70
	v_mad_i32_i24 v2, v212, v78, v2
	v_mul_i32_i24_e32 v103, v211, v82
	s_delay_alu instid0(VALU_DEP_4) | instskip(SKIP_1) | instid1(VALU_DEP_4)
	v_add3_u32 v1, v1, v104, v105
	v_mul_i32_i24_e32 v104, v213, v71
	v_add3_u32 v2, v2, v101, v102
	v_mul_i32_i24_e32 v101, v209, v80
	v_mul_i32_i24_e32 v102, v210, v81
	v_add3_u32 v1, v1, v106, v107
	v_mul_i32_i24_e32 v105, v214, v83
	v_mul_i32_i24_e32 v106, v215, v84
	v_mul_i32_i24_e32 v107, v216, v85
	v_add3_u32 v2, v2, v101, v102
	v_add3_u32 v1, v1, v108, v109
	v_mul_i32_i24_e32 v108, v217, v72
	v_mul_i32_i24_e32 v109, v218, v86
	v_mul_i32_i24_e32 v101, v89, v208
	v_add3_u32 v2, v2, v103, v104
	;; [unrolled: 5-line block ×3, first 2 shown]
	v_mul_i32_i24_e32 v105, v97, v204
	v_mul_i32_i24_e32 v106, v98, v203
	;; [unrolled: 1-line block ×3, first 2 shown]
	v_mul_lo_u32 v1, v1, v241
	v_add3_u32 v2, v2, v107, v108
	v_mul_i32_i24_e32 v107, v100, v201
	v_mul_i32_i24_e32 v102, v90, v207
	;; [unrolled: 1-line block ×3, first 2 shown]
	s_delay_alu instid0(VALU_DEP_4) | instskip(NEXT) | instid1(VALU_DEP_4)
	v_add3_u32 v2, v2, v109, v110
	v_mad_i32_i24 v107, v99, v202, v107
	v_mul_i32_i24_e32 v109, v193, v75
	v_mul_i32_i24_e32 v110, v194, v76
	s_delay_alu instid0(VALU_DEP_4) | instskip(NEXT) | instid1(VALU_DEP_4)
	v_add3_u32 v2, v2, v111, v112
	v_add3_u32 v105, v107, v106, v105
	v_mul_i32_i24_e32 v106, v190, v67
	v_mul_i32_i24_e32 v107, v191, v68
	;; [unrolled: 1-line block ×3, first 2 shown]
	v_mad_co_u64_u32 v[1:2], null, v2, v222, v[1:2]
	v_add3_u32 v103, v105, v103, v104
	v_mul_i32_i24_e32 v104, v187, v49
	v_mul_i32_i24_e32 v105, v189, v66
	;; [unrolled: 1-line block ×3, first 2 shown]
	s_delay_alu instid0(VALU_DEP_4) | instskip(SKIP_3) | instid1(VALU_DEP_4)
	v_add3_u32 v101, v103, v102, v101
	v_cvt_f32_i32_e32 v1, v1
	v_mul_i32_i24_e32 v102, v185, v21
	v_mul_i32_i24_e32 v103, v186, v48
	v_cvt_f32_i32_e32 v2, v101
	v_mul_i32_i24_e32 v101, v8, v200
	s_delay_alu instid0(VALU_DEP_2) | instskip(NEXT) | instid1(VALU_DEP_1)
	v_mul_f32_e32 v2, v224, v2
	v_fma_mix_f32 v1, v199, v1, -v2 op_sel_hi:[1,0,0]
	v_mul_i32_i24_e32 v2, v7, v198
	s_delay_alu instid0(VALU_DEP_2) | instskip(SKIP_1) | instid1(VALU_DEP_1)
	v_fmac_f32_e32 v27, v4, v1
	v_mul_i32_i24_e32 v1, v5, v196
	v_mad_i32_i24 v1, v6, v188, v1
	s_delay_alu instid0(VALU_DEP_1) | instskip(SKIP_2) | instid1(VALU_DEP_1)
	v_add3_u32 v1, v1, v2, v101
	v_mul_i32_i24_e32 v2, v183, v9
	v_mul_i32_i24_e32 v101, v184, v10
	v_add3_u32 v1, v1, v2, v101
	v_mul_i32_i24_e32 v2, v179, v77
	v_mul_i32_i24_e32 v101, v181, v79
	s_delay_alu instid0(VALU_DEP_3) | instskip(SKIP_1) | instid1(VALU_DEP_4)
	v_add3_u32 v1, v1, v102, v103
	v_mul_i32_i24_e32 v102, v182, v70
	v_mad_i32_i24 v2, v168, v78, v2
	v_mul_i32_i24_e32 v103, v167, v82
	s_delay_alu instid0(VALU_DEP_4) | instskip(SKIP_1) | instid1(VALU_DEP_4)
	v_add3_u32 v1, v1, v104, v105
	v_mul_i32_i24_e32 v104, v169, v71
	v_add3_u32 v2, v2, v101, v102
	v_mul_i32_i24_e32 v101, v165, v80
	v_mul_i32_i24_e32 v102, v166, v81
	v_add3_u32 v1, v1, v106, v107
	v_mul_i32_i24_e32 v105, v170, v83
	v_mul_i32_i24_e32 v106, v171, v84
	v_mul_i32_i24_e32 v107, v172, v85
	v_add3_u32 v2, v2, v101, v102
	v_add3_u32 v1, v1, v108, v109
	v_mul_i32_i24_e32 v108, v173, v72
	v_mul_i32_i24_e32 v109, v174, v86
	v_mul_i32_i24_e32 v101, v89, v164
	v_add3_u32 v2, v2, v103, v104
	;; [unrolled: 5-line block ×3, first 2 shown]
	v_mul_i32_i24_e32 v105, v97, v160
	v_mul_i32_i24_e32 v106, v98, v159
	v_mul_i32_i24_e32 v111, v176, v88
	v_mul_lo_u32 v1, v1, v197
	v_add3_u32 v2, v2, v107, v108
	v_mul_i32_i24_e32 v107, v100, v157
	v_mul_i32_i24_e32 v102, v90, v163
	s_delay_alu instid0(VALU_DEP_3) | instskip(NEXT) | instid1(VALU_DEP_3)
	v_add3_u32 v2, v2, v109, v110
	v_mad_i32_i24 v107, v99, v158, v107
	s_delay_alu instid0(VALU_DEP_2) | instskip(NEXT) | instid1(VALU_DEP_2)
	v_add3_u32 v2, v2, v111, v112
	v_add3_u32 v105, v107, v106, v105
	s_delay_alu instid0(VALU_DEP_2) | instskip(NEXT) | instid1(VALU_DEP_2)
	v_mad_co_u64_u32 v[1:2], null, v2, v178, v[1:2]
	v_add3_u32 v103, v105, v103, v104
	s_delay_alu instid0(VALU_DEP_1) | instskip(NEXT) | instid1(VALU_DEP_3)
	v_add3_u32 v101, v103, v102, v101
	v_cvt_f32_i32_e32 v1, v1
	s_delay_alu instid0(VALU_DEP_2) | instskip(NEXT) | instid1(VALU_DEP_1)
	v_cvt_f32_i32_e32 v2, v101
	v_mul_f32_e32 v2, v180, v2
	s_delay_alu instid0(VALU_DEP_1) | instskip(SKIP_3) | instid1(VALU_DEP_4)
	v_fma_mix_f32 v1, v155, v1, -v2 op_sel_hi:[1,0,0]
	v_mul_i32_i24_e32 v2, v7, v154
	v_mul_i32_i24_e32 v7, v142, v48
	;; [unrolled: 1-line block ×3, first 2 shown]
	v_fmac_f32_e32 v26, v4, v1
	v_mul_i32_i24_e32 v1, v5, v152
	v_mul_i32_i24_e32 v5, v8, v156
	;; [unrolled: 1-line block ×4, first 2 shown]
	s_delay_alu instid0(VALU_DEP_4) | instskip(SKIP_3) | instid1(VALU_DEP_4)
	v_mad_i32_i24 v1, v6, v144, v1
	v_mul_i32_i24_e32 v6, v141, v21
	v_mul_i32_i24_e32 v21, v147, v68
	;; [unrolled: 1-line block ×3, first 2 shown]
	v_add3_u32 v1, v1, v2, v5
	v_mul_i32_i24_e32 v2, v3, v9
	v_mul_i32_i24_e32 v5, v140, v10
	;; [unrolled: 1-line block ×6, first 2 shown]
	v_add3_u32 v1, v1, v2, v5
	v_mul_i32_i24_e32 v2, v137, v77
	v_mul_i32_i24_e32 v5, v138, v79
	s_delay_alu instid0(VALU_DEP_3) | instskip(SKIP_1) | instid1(VALU_DEP_4)
	v_add3_u32 v1, v1, v6, v7
	v_mul_i32_i24_e32 v6, v139, v70
	v_mad_i32_i24 v2, v136, v78, v2
	v_mul_i32_i24_e32 v7, v126, v82
	s_delay_alu instid0(VALU_DEP_4) | instskip(SKIP_1) | instid1(VALU_DEP_4)
	v_add3_u32 v1, v1, v8, v9
	v_mul_i32_i24_e32 v8, v127, v71
	v_add3_u32 v2, v2, v5, v6
	v_mul_i32_i24_e32 v5, v124, v80
	v_mul_i32_i24_e32 v6, v125, v81
	v_add3_u32 v1, v1, v10, v21
	v_mul_i32_i24_e32 v9, v128, v83
	v_mul_i32_i24_e32 v10, v129, v84
	v_mul_i32_i24_e32 v21, v130, v85
	v_add3_u32 v2, v2, v5, v6
	v_add3_u32 v1, v1, v48, v49
	v_mul_i32_i24_e32 v48, v131, v72
	v_mul_i32_i24_e32 v49, v132, v86
	v_mul_i32_i24_e32 v5, v89, v123
	v_add3_u32 v2, v2, v7, v8
	;; [unrolled: 5-line block ×3, first 2 shown]
	v_mul_i32_i24_e32 v9, v97, v119
	v_mul_i32_i24_e32 v10, v98, v118
	;; [unrolled: 1-line block ×3, first 2 shown]
	v_mul_lo_u32 v1, v1, v153
	v_add3_u32 v2, v2, v21, v48
	v_mul_i32_i24_e32 v21, v100, v116
	v_mul_i32_i24_e32 v6, v90, v122
	s_delay_alu instid0(VALU_DEP_3) | instskip(NEXT) | instid1(VALU_DEP_3)
	v_add3_u32 v2, v2, v49, v66
	v_mad_i32_i24 v21, v99, v117, v21
	s_delay_alu instid0(VALU_DEP_2) | instskip(NEXT) | instid1(VALU_DEP_2)
	v_add3_u32 v2, v2, v67, v68
	v_add3_u32 v9, v21, v10, v9
	s_delay_alu instid0(VALU_DEP_2) | instskip(NEXT) | instid1(VALU_DEP_2)
	v_mad_co_u64_u32 v[1:2], null, v2, v115, v[1:2]
	v_add3_u32 v7, v9, v7, v8
	s_delay_alu instid0(VALU_DEP_1) | instskip(NEXT) | instid1(VALU_DEP_3)
	v_add3_u32 v5, v7, v6, v5
	v_cvt_f32_i32_e32 v1, v1
	s_delay_alu instid0(VALU_DEP_2) | instskip(NEXT) | instid1(VALU_DEP_1)
	v_cvt_f32_i32_e32 v2, v5
	v_mul_f32_e32 v2, v114, v2
	s_delay_alu instid0(VALU_DEP_1) | instskip(NEXT) | instid1(VALU_DEP_1)
	v_fma_mix_f32 v1, v113, v1, -v2 op_sel_hi:[1,0,0]
	v_fmac_f32_e32 v24, v4, v1
	scratch_load_b32 v1, off, off offset:36 ; 4-byte Folded Reload
	s_wait_loadcnt 0x0
	v_or_b32_e32 v1, s17, v1
	s_delay_alu instid0(VALU_DEP_1)
	v_lshlrev_b32_e32 v2, 2, v1
	v_lshrrev_b32_e32 v1, 1, v1
	ds_load_b32 v4, v1 offset:30368
	ds_load_b128 v[66:69], v2 offset:16896
	ds_load_b128 v[70:73], v2 offset:16912
	s_wait_dscnt 0x1
	v_ashrrev_i32_e32 v8, 24, v66
	s_wait_dscnt 0x0
	v_bfe_i32 v77, v70, 0, 8
	v_bfe_i32 v78, v70, 8, 8
	v_bfe_i32 v79, v70, 16, 8
	v_ashrrev_i32_e32 v70, 24, v70
	v_bfe_i32 v80, v71, 0, 8
	v_bfe_i32 v81, v71, 8, 8
	v_bfe_i32 v82, v71, 16, 8
	v_ashrrev_i32_e32 v71, 24, v71
	;; [unrolled: 4-line block ×4, first 2 shown]
	v_add_nc_u32_e32 v1, v71, v70
	v_ashrrev_i32_e32 v48, 24, v67
	v_bfe_i32 v5, v66, 0, 8
	v_bfe_i32 v6, v66, 8, 8
	;; [unrolled: 1-line block ×3, first 2 shown]
	v_add3_u32 v89, v1, v72, v73
	v_add_nc_u32_e32 v1, v82, v79
	v_bfe_i32 v9, v67, 0, 8
	v_bfe_i32 v10, v67, 8, 8
	;; [unrolled: 1-line block ×4, first 2 shown]
	v_add3_u32 v90, v1, v85, v88
	v_add_nc_u32_e32 v1, v80, v77
	v_bfe_i32 v66, v68, 8, 8
	v_bfe_i32 v67, v68, 16, 8
	v_ashrrev_i32_e32 v68, 24, v68
	v_bfe_i32 v74, v69, 0, 8
	v_add3_u32 v91, v1, v83, v86
	v_add_nc_u32_e32 v1, v81, v78
	v_bfe_i32 v75, v69, 8, 8
	v_bfe_i32 v76, v69, 16, 8
	v_ashrrev_i32_e32 v69, 24, v69
	v_mul_i32_i24_e32 v2, v7, v43
	v_add3_u32 v96, v1, v84, v87
	v_add_nc_u32_e32 v1, v48, v8
	v_mul_i32_i24_e32 v101, v8, v44
	v_mul_i32_i24_e32 v102, v92, v21
	v_mul_i32_i24_e32 v103, v93, v48
	v_mul_i32_i24_e32 v104, v94, v49
	v_add3_u32 v97, v1, v68, v69
	v_add_nc_u32_e32 v1, v21, v7
	v_mul_i32_i24_e32 v105, v95, v66
	v_mul_i32_i24_e32 v106, v33, v67
	v_mul_i32_i24_e32 v107, v35, v68
	;; [unrolled: 6-line block ×3, first 2 shown]
	v_mul_i32_i24_e32 v112, v57, v73
	v_add3_u32 v99, v1, v66, v75
	v_add_nc_u32_e32 v1, v9, v5
	s_delay_alu instid0(VALU_DEP_1) | instskip(SKIP_1) | instid1(VALU_DEP_1)
	v_add3_u32 v100, v1, v49, v74
	v_mul_i32_i24_e32 v1, v5, v42
	v_mad_i32_i24 v1, v6, v61, v1
	s_delay_alu instid0(VALU_DEP_1) | instskip(SKIP_2) | instid1(VALU_DEP_1)
	v_add3_u32 v1, v1, v2, v101
	v_mul_i32_i24_e32 v2, v65, v9
	v_mul_i32_i24_e32 v101, v0, v10
	v_add3_u32 v1, v1, v2, v101
	v_mul_i32_i24_e32 v2, v58, v77
	v_mul_i32_i24_e32 v101, v59, v79
	s_delay_alu instid0(VALU_DEP_3) | instskip(SKIP_1) | instid1(VALU_DEP_4)
	v_add3_u32 v1, v1, v102, v103
	v_mul_i32_i24_e32 v102, v60, v70
	v_mad_i32_i24 v2, v246, v78, v2
	v_mul_i32_i24_e32 v103, v249, v82
	s_delay_alu instid0(VALU_DEP_4) | instskip(SKIP_1) | instid1(VALU_DEP_4)
	v_add3_u32 v1, v1, v104, v105
	v_mul_i32_i24_e32 v104, v250, v71
	v_add3_u32 v2, v2, v101, v102
	v_mul_i32_i24_e32 v101, v247, v80
	v_mul_i32_i24_e32 v102, v248, v81
	v_add3_u32 v1, v1, v106, v107
	v_mul_i32_i24_e32 v105, v251, v83
	v_mul_i32_i24_e32 v106, v252, v84
	v_mul_i32_i24_e32 v107, v253, v85
	v_add3_u32 v2, v2, v101, v102
	v_add3_u32 v1, v1, v108, v109
	v_mul_i32_i24_e32 v108, v254, v72
	v_mul_i32_i24_e32 v109, v255, v86
	v_mul_i32_i24_e32 v101, v89, v51
	v_add3_u32 v2, v2, v103, v104
	;; [unrolled: 5-line block ×3, first 2 shown]
	v_mul_i32_i24_e32 v105, v97, v47
	v_mul_i32_i24_e32 v106, v98, v50
	;; [unrolled: 1-line block ×3, first 2 shown]
	v_mul_lo_u32 v1, v1, v245
	v_add3_u32 v2, v2, v107, v108
	v_mul_i32_i24_e32 v107, v100, v46
	v_mul_i32_i24_e32 v102, v90, v55
	;; [unrolled: 1-line block ×3, first 2 shown]
	s_delay_alu instid0(VALU_DEP_4) | instskip(NEXT) | instid1(VALU_DEP_4)
	v_add3_u32 v2, v2, v109, v110
	v_mad_i32_i24 v107, v99, v53, v107
	v_mul_i32_i24_e32 v109, v237, v75
	v_mul_i32_i24_e32 v110, v238, v76
	s_delay_alu instid0(VALU_DEP_4) | instskip(NEXT) | instid1(VALU_DEP_4)
	v_add3_u32 v2, v2, v111, v112
	v_add3_u32 v105, v107, v106, v105
	v_mul_i32_i24_e32 v106, v234, v67
	v_mul_i32_i24_e32 v107, v235, v68
	;; [unrolled: 1-line block ×3, first 2 shown]
	v_mad_co_u64_u32 v[1:2], null, v2, v64, v[1:2]
	v_add3_u32 v103, v105, v103, v104
	v_mul_i32_i24_e32 v104, v231, v49
	v_mul_i32_i24_e32 v105, v233, v66
	;; [unrolled: 1-line block ×3, first 2 shown]
	s_delay_alu instid0(VALU_DEP_4) | instskip(SKIP_3) | instid1(VALU_DEP_4)
	v_add3_u32 v101, v103, v102, v101
	v_cvt_f32_i32_e32 v1, v1
	v_mul_i32_i24_e32 v102, v229, v21
	v_mul_i32_i24_e32 v103, v230, v48
	v_cvt_f32_i32_e32 v2, v101
	v_mul_i32_i24_e32 v101, v8, v243
	s_delay_alu instid0(VALU_DEP_2) | instskip(NEXT) | instid1(VALU_DEP_1)
	v_mul_f32_e32 v2, v20, v2
	v_fma_mix_f32 v1, v244, v1, -v2 op_sel_hi:[1,0,0]
	v_mul_i32_i24_e32 v2, v7, v242
	s_delay_alu instid0(VALU_DEP_2) | instskip(SKIP_1) | instid1(VALU_DEP_1)
	v_fmac_f32_e32 v23, v4, v1
	v_mul_i32_i24_e32 v1, v5, v240
	v_mad_i32_i24 v1, v6, v232, v1
	s_delay_alu instid0(VALU_DEP_1) | instskip(SKIP_2) | instid1(VALU_DEP_1)
	v_add3_u32 v1, v1, v2, v101
	v_mul_i32_i24_e32 v2, v227, v9
	v_mul_i32_i24_e32 v101, v228, v10
	v_add3_u32 v1, v1, v2, v101
	v_mul_i32_i24_e32 v2, v223, v77
	v_mul_i32_i24_e32 v101, v225, v79
	s_delay_alu instid0(VALU_DEP_3) | instskip(SKIP_1) | instid1(VALU_DEP_4)
	v_add3_u32 v1, v1, v102, v103
	v_mul_i32_i24_e32 v102, v226, v70
	v_mad_i32_i24 v2, v212, v78, v2
	v_mul_i32_i24_e32 v103, v211, v82
	s_delay_alu instid0(VALU_DEP_4) | instskip(SKIP_1) | instid1(VALU_DEP_4)
	v_add3_u32 v1, v1, v104, v105
	v_mul_i32_i24_e32 v104, v213, v71
	v_add3_u32 v2, v2, v101, v102
	v_mul_i32_i24_e32 v101, v209, v80
	v_mul_i32_i24_e32 v102, v210, v81
	v_add3_u32 v1, v1, v106, v107
	v_mul_i32_i24_e32 v105, v214, v83
	v_mul_i32_i24_e32 v106, v215, v84
	v_mul_i32_i24_e32 v107, v216, v85
	v_add3_u32 v2, v2, v101, v102
	v_add3_u32 v1, v1, v108, v109
	v_mul_i32_i24_e32 v108, v217, v72
	v_mul_i32_i24_e32 v109, v218, v86
	v_mul_i32_i24_e32 v101, v89, v208
	v_add3_u32 v2, v2, v103, v104
	;; [unrolled: 5-line block ×3, first 2 shown]
	v_mul_i32_i24_e32 v105, v97, v204
	v_mul_i32_i24_e32 v106, v98, v203
	;; [unrolled: 1-line block ×3, first 2 shown]
	v_mul_lo_u32 v1, v1, v241
	v_add3_u32 v2, v2, v107, v108
	v_mul_i32_i24_e32 v107, v100, v201
	v_mul_i32_i24_e32 v102, v90, v207
	;; [unrolled: 1-line block ×3, first 2 shown]
	s_delay_alu instid0(VALU_DEP_4) | instskip(NEXT) | instid1(VALU_DEP_4)
	v_add3_u32 v2, v2, v109, v110
	v_mad_i32_i24 v107, v99, v202, v107
	v_mul_i32_i24_e32 v109, v193, v75
	v_mul_i32_i24_e32 v110, v194, v76
	s_delay_alu instid0(VALU_DEP_4) | instskip(NEXT) | instid1(VALU_DEP_4)
	v_add3_u32 v2, v2, v111, v112
	v_add3_u32 v105, v107, v106, v105
	v_mul_i32_i24_e32 v106, v190, v67
	v_mul_i32_i24_e32 v107, v191, v68
	;; [unrolled: 1-line block ×3, first 2 shown]
	v_mad_co_u64_u32 v[1:2], null, v2, v222, v[1:2]
	v_add3_u32 v103, v105, v103, v104
	v_mul_i32_i24_e32 v104, v187, v49
	v_mul_i32_i24_e32 v105, v189, v66
	;; [unrolled: 1-line block ×3, first 2 shown]
	s_delay_alu instid0(VALU_DEP_4) | instskip(SKIP_3) | instid1(VALU_DEP_4)
	v_add3_u32 v101, v103, v102, v101
	v_cvt_f32_i32_e32 v1, v1
	v_mul_i32_i24_e32 v102, v185, v21
	v_mul_i32_i24_e32 v103, v186, v48
	v_cvt_f32_i32_e32 v2, v101
	v_mul_i32_i24_e32 v101, v8, v200
	s_delay_alu instid0(VALU_DEP_2) | instskip(NEXT) | instid1(VALU_DEP_1)
	v_mul_f32_e32 v2, v224, v2
	v_fma_mix_f32 v1, v199, v1, -v2 op_sel_hi:[1,0,0]
	v_mul_i32_i24_e32 v2, v7, v198
	s_delay_alu instid0(VALU_DEP_2) | instskip(SKIP_1) | instid1(VALU_DEP_1)
	v_fmac_f32_e32 v22, v4, v1
	v_mul_i32_i24_e32 v1, v5, v196
	v_mad_i32_i24 v1, v6, v188, v1
	s_delay_alu instid0(VALU_DEP_1) | instskip(SKIP_2) | instid1(VALU_DEP_1)
	v_add3_u32 v1, v1, v2, v101
	v_mul_i32_i24_e32 v2, v183, v9
	v_mul_i32_i24_e32 v101, v184, v10
	v_add3_u32 v1, v1, v2, v101
	v_mul_i32_i24_e32 v2, v179, v77
	v_mul_i32_i24_e32 v101, v181, v79
	s_delay_alu instid0(VALU_DEP_3) | instskip(SKIP_1) | instid1(VALU_DEP_4)
	v_add3_u32 v1, v1, v102, v103
	v_mul_i32_i24_e32 v102, v182, v70
	v_mad_i32_i24 v2, v168, v78, v2
	v_mul_i32_i24_e32 v103, v167, v82
	s_delay_alu instid0(VALU_DEP_4) | instskip(SKIP_1) | instid1(VALU_DEP_4)
	v_add3_u32 v1, v1, v104, v105
	v_mul_i32_i24_e32 v104, v169, v71
	v_add3_u32 v2, v2, v101, v102
	v_mul_i32_i24_e32 v101, v165, v80
	v_mul_i32_i24_e32 v102, v166, v81
	v_add3_u32 v1, v1, v106, v107
	v_mul_i32_i24_e32 v105, v170, v83
	v_mul_i32_i24_e32 v106, v171, v84
	v_mul_i32_i24_e32 v107, v172, v85
	v_add3_u32 v2, v2, v101, v102
	v_add3_u32 v1, v1, v108, v109
	v_mul_i32_i24_e32 v108, v173, v72
	v_mul_i32_i24_e32 v109, v174, v86
	v_mul_i32_i24_e32 v101, v89, v164
	v_add3_u32 v2, v2, v103, v104
	;; [unrolled: 5-line block ×3, first 2 shown]
	v_mul_i32_i24_e32 v105, v97, v160
	v_mul_i32_i24_e32 v106, v98, v159
	;; [unrolled: 1-line block ×3, first 2 shown]
	v_mul_lo_u32 v1, v1, v197
	v_add3_u32 v2, v2, v107, v108
	v_mul_i32_i24_e32 v107, v100, v157
	v_mul_i32_i24_e32 v102, v90, v163
	s_delay_alu instid0(VALU_DEP_3) | instskip(NEXT) | instid1(VALU_DEP_3)
	v_add3_u32 v2, v2, v109, v110
	v_mad_i32_i24 v107, v99, v158, v107
	s_delay_alu instid0(VALU_DEP_2) | instskip(NEXT) | instid1(VALU_DEP_2)
	v_add3_u32 v2, v2, v111, v112
	v_add3_u32 v105, v107, v106, v105
	s_delay_alu instid0(VALU_DEP_2) | instskip(NEXT) | instid1(VALU_DEP_2)
	v_mad_co_u64_u32 v[1:2], null, v2, v178, v[1:2]
	v_add3_u32 v103, v105, v103, v104
	s_delay_alu instid0(VALU_DEP_1) | instskip(NEXT) | instid1(VALU_DEP_3)
	v_add3_u32 v101, v103, v102, v101
	v_cvt_f32_i32_e32 v1, v1
	s_delay_alu instid0(VALU_DEP_2) | instskip(NEXT) | instid1(VALU_DEP_1)
	v_cvt_f32_i32_e32 v2, v101
	v_mul_f32_e32 v2, v180, v2
	s_delay_alu instid0(VALU_DEP_1) | instskip(SKIP_3) | instid1(VALU_DEP_4)
	v_fma_mix_f32 v1, v155, v1, -v2 op_sel_hi:[1,0,0]
	v_mul_i32_i24_e32 v2, v7, v154
	v_mul_i32_i24_e32 v7, v142, v48
	;; [unrolled: 1-line block ×3, first 2 shown]
	v_fmac_f32_e32 v19, v4, v1
	v_mul_i32_i24_e32 v1, v5, v152
	v_mul_i32_i24_e32 v5, v8, v156
	;; [unrolled: 1-line block ×4, first 2 shown]
	s_delay_alu instid0(VALU_DEP_4) | instskip(SKIP_3) | instid1(VALU_DEP_4)
	v_mad_i32_i24 v1, v6, v144, v1
	v_mul_i32_i24_e32 v6, v141, v21
	v_mul_i32_i24_e32 v21, v147, v68
	;; [unrolled: 1-line block ×3, first 2 shown]
	v_add3_u32 v1, v1, v2, v5
	v_mul_i32_i24_e32 v2, v3, v9
	v_mul_i32_i24_e32 v5, v140, v10
	;; [unrolled: 1-line block ×6, first 2 shown]
	v_add3_u32 v1, v1, v2, v5
	v_mul_i32_i24_e32 v2, v137, v77
	v_mul_i32_i24_e32 v5, v138, v79
	s_delay_alu instid0(VALU_DEP_3) | instskip(SKIP_1) | instid1(VALU_DEP_4)
	v_add3_u32 v1, v1, v6, v7
	v_mul_i32_i24_e32 v6, v139, v70
	v_mad_i32_i24 v2, v136, v78, v2
	v_mul_i32_i24_e32 v7, v126, v82
	s_delay_alu instid0(VALU_DEP_4) | instskip(SKIP_1) | instid1(VALU_DEP_4)
	v_add3_u32 v1, v1, v8, v9
	v_mul_i32_i24_e32 v8, v127, v71
	v_add3_u32 v2, v2, v5, v6
	v_mul_i32_i24_e32 v5, v124, v80
	v_mul_i32_i24_e32 v6, v125, v81
	v_add3_u32 v1, v1, v10, v21
	v_mul_i32_i24_e32 v9, v128, v83
	v_mul_i32_i24_e32 v10, v129, v84
	v_mul_i32_i24_e32 v21, v130, v85
	v_add3_u32 v2, v2, v5, v6
	v_add3_u32 v1, v1, v48, v49
	v_mul_i32_i24_e32 v48, v131, v72
	v_mul_i32_i24_e32 v49, v132, v86
	v_mul_i32_i24_e32 v5, v89, v123
	v_add3_u32 v2, v2, v7, v8
	;; [unrolled: 5-line block ×3, first 2 shown]
	v_mul_i32_i24_e32 v9, v97, v119
	v_mul_i32_i24_e32 v10, v98, v118
	;; [unrolled: 1-line block ×3, first 2 shown]
	v_mul_lo_u32 v1, v1, v153
	v_add3_u32 v2, v2, v21, v48
	v_mul_i32_i24_e32 v21, v100, v116
	v_mul_i32_i24_e32 v6, v90, v122
	s_delay_alu instid0(VALU_DEP_3) | instskip(NEXT) | instid1(VALU_DEP_3)
	v_add3_u32 v2, v2, v49, v66
	v_mad_i32_i24 v21, v99, v117, v21
	s_delay_alu instid0(VALU_DEP_2) | instskip(NEXT) | instid1(VALU_DEP_2)
	v_add3_u32 v2, v2, v67, v68
	v_add3_u32 v9, v21, v10, v9
	s_delay_alu instid0(VALU_DEP_2) | instskip(NEXT) | instid1(VALU_DEP_2)
	v_mad_co_u64_u32 v[1:2], null, v2, v115, v[1:2]
	v_add3_u32 v7, v9, v7, v8
	s_delay_alu instid0(VALU_DEP_1) | instskip(NEXT) | instid1(VALU_DEP_3)
	v_add3_u32 v5, v7, v6, v5
	v_cvt_f32_i32_e32 v1, v1
	s_delay_alu instid0(VALU_DEP_2) | instskip(NEXT) | instid1(VALU_DEP_1)
	v_cvt_f32_i32_e32 v2, v5
	v_mul_f32_e32 v2, v114, v2
	s_delay_alu instid0(VALU_DEP_1) | instskip(NEXT) | instid1(VALU_DEP_1)
	v_fma_mix_f32 v1, v113, v1, -v2 op_sel_hi:[1,0,0]
	v_fmac_f32_e32 v16, v4, v1
	scratch_load_b32 v1, off, off offset:32 ; 4-byte Folded Reload
	s_wait_loadcnt 0x0
	v_or_b32_e32 v1, s17, v1
	s_delay_alu instid0(VALU_DEP_1)
	v_lshlrev_b32_e32 v2, 2, v1
	v_lshrrev_b32_e32 v1, 1, v1
	ds_load_b32 v4, v1 offset:30368
	ds_load_b128 v[66:69], v2 offset:16896
	ds_load_b128 v[70:73], v2 offset:16912
	s_wait_dscnt 0x1
	v_ashrrev_i32_e32 v8, 24, v66
	s_wait_dscnt 0x0
	v_bfe_i32 v77, v70, 0, 8
	v_bfe_i32 v78, v70, 8, 8
	v_bfe_i32 v79, v70, 16, 8
	v_ashrrev_i32_e32 v70, 24, v70
	v_bfe_i32 v80, v71, 0, 8
	v_bfe_i32 v81, v71, 8, 8
	v_bfe_i32 v82, v71, 16, 8
	v_ashrrev_i32_e32 v71, 24, v71
	;; [unrolled: 4-line block ×4, first 2 shown]
	v_add_nc_u32_e32 v1, v71, v70
	v_ashrrev_i32_e32 v48, 24, v67
	v_bfe_i32 v5, v66, 0, 8
	v_bfe_i32 v6, v66, 8, 8
	;; [unrolled: 1-line block ×3, first 2 shown]
	v_add3_u32 v89, v1, v72, v73
	v_add_nc_u32_e32 v1, v82, v79
	v_bfe_i32 v9, v67, 0, 8
	v_bfe_i32 v10, v67, 8, 8
	;; [unrolled: 1-line block ×4, first 2 shown]
	v_add3_u32 v90, v1, v85, v88
	v_add_nc_u32_e32 v1, v80, v77
	v_bfe_i32 v66, v68, 8, 8
	v_bfe_i32 v67, v68, 16, 8
	v_ashrrev_i32_e32 v68, 24, v68
	v_bfe_i32 v74, v69, 0, 8
	v_add3_u32 v91, v1, v83, v86
	v_add_nc_u32_e32 v1, v81, v78
	v_bfe_i32 v75, v69, 8, 8
	v_bfe_i32 v76, v69, 16, 8
	v_ashrrev_i32_e32 v69, 24, v69
	v_mul_i32_i24_e32 v2, v7, v43
	v_add3_u32 v96, v1, v84, v87
	v_add_nc_u32_e32 v1, v48, v8
	v_mul_i32_i24_e32 v101, v8, v44
	v_mul_i32_i24_e32 v102, v92, v21
	v_mul_i32_i24_e32 v103, v93, v48
	v_mul_i32_i24_e32 v104, v94, v49
	v_add3_u32 v97, v1, v68, v69
	v_add_nc_u32_e32 v1, v21, v7
	v_mul_i32_i24_e32 v105, v95, v66
	v_mul_i32_i24_e32 v106, v33, v67
	v_mul_i32_i24_e32 v107, v35, v68
	;; [unrolled: 6-line block ×3, first 2 shown]
	v_mul_i32_i24_e32 v112, v57, v73
	v_add3_u32 v99, v1, v66, v75
	v_add_nc_u32_e32 v1, v9, v5
	s_delay_alu instid0(VALU_DEP_1) | instskip(SKIP_1) | instid1(VALU_DEP_1)
	v_add3_u32 v100, v1, v49, v74
	v_mul_i32_i24_e32 v1, v5, v42
	v_mad_i32_i24 v1, v6, v61, v1
	s_delay_alu instid0(VALU_DEP_1) | instskip(SKIP_2) | instid1(VALU_DEP_1)
	v_add3_u32 v1, v1, v2, v101
	v_mul_i32_i24_e32 v2, v65, v9
	v_mul_i32_i24_e32 v101, v0, v10
	v_add3_u32 v1, v1, v2, v101
	v_mul_i32_i24_e32 v2, v58, v77
	v_mul_i32_i24_e32 v101, v59, v79
	s_delay_alu instid0(VALU_DEP_3) | instskip(SKIP_1) | instid1(VALU_DEP_4)
	v_add3_u32 v1, v1, v102, v103
	v_mul_i32_i24_e32 v102, v60, v70
	v_mad_i32_i24 v2, v246, v78, v2
	v_mul_i32_i24_e32 v103, v249, v82
	s_delay_alu instid0(VALU_DEP_4) | instskip(SKIP_1) | instid1(VALU_DEP_4)
	v_add3_u32 v1, v1, v104, v105
	v_mul_i32_i24_e32 v104, v250, v71
	v_add3_u32 v2, v2, v101, v102
	v_mul_i32_i24_e32 v101, v247, v80
	v_mul_i32_i24_e32 v102, v248, v81
	v_add3_u32 v1, v1, v106, v107
	v_mul_i32_i24_e32 v105, v251, v83
	v_mul_i32_i24_e32 v106, v252, v84
	v_mul_i32_i24_e32 v107, v253, v85
	v_add3_u32 v2, v2, v101, v102
	v_add3_u32 v1, v1, v108, v109
	v_mul_i32_i24_e32 v108, v254, v72
	v_mul_i32_i24_e32 v109, v255, v86
	v_mul_i32_i24_e32 v101, v89, v51
	v_add3_u32 v2, v2, v103, v104
	;; [unrolled: 5-line block ×3, first 2 shown]
	v_mul_i32_i24_e32 v105, v97, v47
	v_mul_i32_i24_e32 v106, v98, v50
	;; [unrolled: 1-line block ×3, first 2 shown]
	v_mul_lo_u32 v1, v1, v245
	v_add3_u32 v2, v2, v107, v108
	v_mul_i32_i24_e32 v107, v100, v46
	v_mul_i32_i24_e32 v102, v90, v55
	;; [unrolled: 1-line block ×3, first 2 shown]
	s_delay_alu instid0(VALU_DEP_4) | instskip(NEXT) | instid1(VALU_DEP_4)
	v_add3_u32 v2, v2, v109, v110
	v_mad_i32_i24 v107, v99, v53, v107
	v_mul_i32_i24_e32 v109, v237, v75
	v_mul_i32_i24_e32 v110, v238, v76
	s_delay_alu instid0(VALU_DEP_4) | instskip(NEXT) | instid1(VALU_DEP_4)
	v_add3_u32 v2, v2, v111, v112
	v_add3_u32 v105, v107, v106, v105
	v_mul_i32_i24_e32 v106, v234, v67
	v_mul_i32_i24_e32 v107, v235, v68
	;; [unrolled: 1-line block ×3, first 2 shown]
	v_mad_co_u64_u32 v[1:2], null, v2, v64, v[1:2]
	v_add3_u32 v103, v105, v103, v104
	v_mul_i32_i24_e32 v104, v231, v49
	v_mul_i32_i24_e32 v105, v233, v66
	;; [unrolled: 1-line block ×3, first 2 shown]
	s_delay_alu instid0(VALU_DEP_4) | instskip(SKIP_3) | instid1(VALU_DEP_4)
	v_add3_u32 v101, v103, v102, v101
	v_cvt_f32_i32_e32 v1, v1
	v_mul_i32_i24_e32 v102, v229, v21
	v_mul_i32_i24_e32 v103, v230, v48
	v_cvt_f32_i32_e32 v2, v101
	v_mul_i32_i24_e32 v101, v8, v243
	s_delay_alu instid0(VALU_DEP_2) | instskip(NEXT) | instid1(VALU_DEP_1)
	v_mul_f32_e32 v2, v20, v2
	v_fma_mix_f32 v1, v244, v1, -v2 op_sel_hi:[1,0,0]
	scratch_load_b32 v2, off, off offset:4  ; 4-byte Folded Reload
	s_wait_loadcnt 0x0
	v_fmac_f32_e32 v2, v4, v1
	v_mul_i32_i24_e32 v1, v5, v240
	scratch_store_b32 off, v2, off offset:4 ; 4-byte Folded Spill
	v_mul_i32_i24_e32 v2, v7, v242
	v_mad_i32_i24 v1, v6, v232, v1
	s_delay_alu instid0(VALU_DEP_1) | instskip(SKIP_2) | instid1(VALU_DEP_1)
	v_add3_u32 v1, v1, v2, v101
	v_mul_i32_i24_e32 v2, v227, v9
	v_mul_i32_i24_e32 v101, v228, v10
	v_add3_u32 v1, v1, v2, v101
	v_mul_i32_i24_e32 v2, v223, v77
	v_mul_i32_i24_e32 v101, v225, v79
	s_delay_alu instid0(VALU_DEP_3) | instskip(SKIP_1) | instid1(VALU_DEP_4)
	v_add3_u32 v1, v1, v102, v103
	v_mul_i32_i24_e32 v102, v226, v70
	v_mad_i32_i24 v2, v212, v78, v2
	v_mul_i32_i24_e32 v103, v211, v82
	s_delay_alu instid0(VALU_DEP_4) | instskip(SKIP_1) | instid1(VALU_DEP_4)
	v_add3_u32 v1, v1, v104, v105
	v_mul_i32_i24_e32 v104, v213, v71
	v_add3_u32 v2, v2, v101, v102
	v_mul_i32_i24_e32 v101, v209, v80
	v_mul_i32_i24_e32 v102, v210, v81
	v_add3_u32 v1, v1, v106, v107
	v_mul_i32_i24_e32 v105, v214, v83
	v_mul_i32_i24_e32 v106, v215, v84
	v_mul_i32_i24_e32 v107, v216, v85
	v_add3_u32 v2, v2, v101, v102
	v_add3_u32 v1, v1, v108, v109
	v_mul_i32_i24_e32 v108, v217, v72
	v_mul_i32_i24_e32 v109, v218, v86
	v_mul_i32_i24_e32 v101, v89, v208
	v_add3_u32 v2, v2, v103, v104
	;; [unrolled: 5-line block ×3, first 2 shown]
	v_mul_i32_i24_e32 v105, v97, v204
	v_mul_i32_i24_e32 v106, v98, v203
	;; [unrolled: 1-line block ×3, first 2 shown]
	v_mul_lo_u32 v1, v1, v241
	v_add3_u32 v2, v2, v107, v108
	v_mul_i32_i24_e32 v107, v100, v201
	v_mul_i32_i24_e32 v102, v90, v207
	;; [unrolled: 1-line block ×3, first 2 shown]
	s_delay_alu instid0(VALU_DEP_4) | instskip(NEXT) | instid1(VALU_DEP_4)
	v_add3_u32 v2, v2, v109, v110
	v_mad_i32_i24 v107, v99, v202, v107
	v_mul_i32_i24_e32 v109, v193, v75
	v_mul_i32_i24_e32 v110, v194, v76
	s_delay_alu instid0(VALU_DEP_4) | instskip(NEXT) | instid1(VALU_DEP_4)
	v_add3_u32 v2, v2, v111, v112
	v_add3_u32 v105, v107, v106, v105
	v_mul_i32_i24_e32 v106, v190, v67
	v_mul_i32_i24_e32 v107, v191, v68
	;; [unrolled: 1-line block ×3, first 2 shown]
	v_mad_co_u64_u32 v[1:2], null, v2, v222, v[1:2]
	v_add3_u32 v103, v105, v103, v104
	v_mul_i32_i24_e32 v104, v187, v49
	v_mul_i32_i24_e32 v105, v189, v66
	;; [unrolled: 1-line block ×3, first 2 shown]
	s_delay_alu instid0(VALU_DEP_4) | instskip(SKIP_3) | instid1(VALU_DEP_4)
	v_add3_u32 v101, v103, v102, v101
	v_cvt_f32_i32_e32 v1, v1
	v_mul_i32_i24_e32 v102, v185, v21
	v_mul_i32_i24_e32 v103, v186, v48
	v_cvt_f32_i32_e32 v2, v101
	v_mul_i32_i24_e32 v101, v8, v200
	s_delay_alu instid0(VALU_DEP_2) | instskip(NEXT) | instid1(VALU_DEP_1)
	v_mul_f32_e32 v2, v224, v2
	v_fma_mix_f32 v1, v199, v1, -v2 op_sel_hi:[1,0,0]
	v_mul_i32_i24_e32 v2, v7, v198
	s_delay_alu instid0(VALU_DEP_2) | instskip(SKIP_1) | instid1(VALU_DEP_1)
	v_fmac_f32_e32 v17, v4, v1
	v_mul_i32_i24_e32 v1, v5, v196
	v_mad_i32_i24 v1, v6, v188, v1
	s_delay_alu instid0(VALU_DEP_1) | instskip(SKIP_2) | instid1(VALU_DEP_1)
	v_add3_u32 v1, v1, v2, v101
	v_mul_i32_i24_e32 v2, v183, v9
	v_mul_i32_i24_e32 v101, v184, v10
	v_add3_u32 v1, v1, v2, v101
	v_mul_i32_i24_e32 v2, v179, v77
	v_mul_i32_i24_e32 v101, v181, v79
	s_delay_alu instid0(VALU_DEP_3) | instskip(SKIP_1) | instid1(VALU_DEP_4)
	v_add3_u32 v1, v1, v102, v103
	v_mul_i32_i24_e32 v102, v182, v70
	v_mad_i32_i24 v2, v168, v78, v2
	v_mul_i32_i24_e32 v103, v167, v82
	s_delay_alu instid0(VALU_DEP_4) | instskip(SKIP_1) | instid1(VALU_DEP_4)
	v_add3_u32 v1, v1, v104, v105
	v_mul_i32_i24_e32 v104, v169, v71
	v_add3_u32 v2, v2, v101, v102
	v_mul_i32_i24_e32 v101, v165, v80
	v_mul_i32_i24_e32 v102, v166, v81
	v_add3_u32 v1, v1, v106, v107
	v_mul_i32_i24_e32 v105, v170, v83
	v_mul_i32_i24_e32 v106, v171, v84
	v_mul_i32_i24_e32 v107, v172, v85
	v_add3_u32 v2, v2, v101, v102
	v_add3_u32 v1, v1, v108, v109
	v_mul_i32_i24_e32 v108, v173, v72
	v_mul_i32_i24_e32 v109, v174, v86
	v_mul_i32_i24_e32 v101, v89, v164
	v_add3_u32 v2, v2, v103, v104
	;; [unrolled: 5-line block ×3, first 2 shown]
	v_mul_i32_i24_e32 v105, v97, v160
	v_mul_i32_i24_e32 v106, v98, v159
	;; [unrolled: 1-line block ×3, first 2 shown]
	v_mul_lo_u32 v1, v1, v197
	v_add3_u32 v2, v2, v107, v108
	v_mul_i32_i24_e32 v107, v100, v157
	v_mul_i32_i24_e32 v102, v90, v163
	s_delay_alu instid0(VALU_DEP_3) | instskip(NEXT) | instid1(VALU_DEP_3)
	v_add3_u32 v2, v2, v109, v110
	v_mad_i32_i24 v107, v99, v158, v107
	s_delay_alu instid0(VALU_DEP_2) | instskip(NEXT) | instid1(VALU_DEP_2)
	v_add3_u32 v2, v2, v111, v112
	v_add3_u32 v105, v107, v106, v105
	s_delay_alu instid0(VALU_DEP_2) | instskip(NEXT) | instid1(VALU_DEP_2)
	v_mad_co_u64_u32 v[1:2], null, v2, v178, v[1:2]
	v_add3_u32 v103, v105, v103, v104
	s_delay_alu instid0(VALU_DEP_1) | instskip(NEXT) | instid1(VALU_DEP_3)
	v_add3_u32 v101, v103, v102, v101
	v_cvt_f32_i32_e32 v1, v1
	s_delay_alu instid0(VALU_DEP_2) | instskip(NEXT) | instid1(VALU_DEP_1)
	v_cvt_f32_i32_e32 v2, v101
	v_mul_f32_e32 v2, v180, v2
	s_delay_alu instid0(VALU_DEP_1) | instskip(SKIP_3) | instid1(VALU_DEP_4)
	v_fma_mix_f32 v1, v155, v1, -v2 op_sel_hi:[1,0,0]
	v_mul_i32_i24_e32 v2, v7, v154
	v_mul_i32_i24_e32 v7, v142, v48
	;; [unrolled: 1-line block ×3, first 2 shown]
	v_fmac_f32_e32 v15, v4, v1
	v_mul_i32_i24_e32 v1, v5, v152
	v_mul_i32_i24_e32 v5, v8, v156
	v_mul_i32_i24_e32 v8, v143, v49
	v_mul_i32_i24_e32 v49, v149, v75
	s_delay_alu instid0(VALU_DEP_4) | instskip(SKIP_3) | instid1(VALU_DEP_4)
	v_mad_i32_i24 v1, v6, v144, v1
	v_mul_i32_i24_e32 v6, v141, v21
	v_mul_i32_i24_e32 v21, v147, v68
	;; [unrolled: 1-line block ×3, first 2 shown]
	v_add3_u32 v1, v1, v2, v5
	v_mul_i32_i24_e32 v2, v3, v9
	v_mul_i32_i24_e32 v5, v140, v10
	;; [unrolled: 1-line block ×6, first 2 shown]
	v_add3_u32 v1, v1, v2, v5
	v_mul_i32_i24_e32 v2, v137, v77
	v_mul_i32_i24_e32 v5, v138, v79
	s_delay_alu instid0(VALU_DEP_3) | instskip(SKIP_1) | instid1(VALU_DEP_4)
	v_add3_u32 v1, v1, v6, v7
	v_mul_i32_i24_e32 v6, v139, v70
	v_mad_i32_i24 v2, v136, v78, v2
	v_mul_i32_i24_e32 v7, v126, v82
	s_delay_alu instid0(VALU_DEP_4) | instskip(SKIP_1) | instid1(VALU_DEP_4)
	v_add3_u32 v1, v1, v8, v9
	v_mul_i32_i24_e32 v8, v127, v71
	v_add3_u32 v2, v2, v5, v6
	v_mul_i32_i24_e32 v5, v124, v80
	v_mul_i32_i24_e32 v6, v125, v81
	v_add3_u32 v1, v1, v10, v21
	v_mul_i32_i24_e32 v9, v128, v83
	v_mul_i32_i24_e32 v10, v129, v84
	v_mul_i32_i24_e32 v21, v130, v85
	v_add3_u32 v2, v2, v5, v6
	v_add3_u32 v1, v1, v48, v49
	v_mul_i32_i24_e32 v48, v131, v72
	v_mul_i32_i24_e32 v49, v132, v86
	v_mul_i32_i24_e32 v5, v89, v123
	v_add3_u32 v2, v2, v7, v8
	;; [unrolled: 5-line block ×3, first 2 shown]
	v_mul_i32_i24_e32 v9, v97, v119
	v_mul_i32_i24_e32 v10, v98, v118
	;; [unrolled: 1-line block ×3, first 2 shown]
	v_mul_lo_u32 v1, v1, v153
	v_add3_u32 v2, v2, v21, v48
	v_mul_i32_i24_e32 v21, v100, v116
	v_mul_i32_i24_e32 v6, v90, v122
	s_delay_alu instid0(VALU_DEP_3) | instskip(NEXT) | instid1(VALU_DEP_3)
	v_add3_u32 v2, v2, v49, v66
	v_mad_i32_i24 v21, v99, v117, v21
	s_delay_alu instid0(VALU_DEP_2) | instskip(NEXT) | instid1(VALU_DEP_2)
	v_add3_u32 v2, v2, v67, v68
	v_add3_u32 v9, v21, v10, v9
	s_delay_alu instid0(VALU_DEP_2) | instskip(NEXT) | instid1(VALU_DEP_2)
	v_mad_co_u64_u32 v[1:2], null, v2, v115, v[1:2]
	v_add3_u32 v7, v9, v7, v8
	s_delay_alu instid0(VALU_DEP_1) | instskip(NEXT) | instid1(VALU_DEP_3)
	v_add3_u32 v5, v7, v6, v5
	v_cvt_f32_i32_e32 v1, v1
	s_delay_alu instid0(VALU_DEP_2) | instskip(NEXT) | instid1(VALU_DEP_1)
	v_cvt_f32_i32_e32 v2, v5
	v_mul_f32_e32 v2, v114, v2
	s_delay_alu instid0(VALU_DEP_1) | instskip(NEXT) | instid1(VALU_DEP_1)
	v_fma_mix_f32 v1, v113, v1, -v2 op_sel_hi:[1,0,0]
	v_fmac_f32_e32 v12, v4, v1
	scratch_load_b32 v1, off, off offset:28 ; 4-byte Folded Reload
	s_wait_loadcnt 0x0
	v_or_b32_e32 v1, s17, v1
	s_delay_alu instid0(VALU_DEP_1)
	v_lshlrev_b32_e32 v2, 2, v1
	v_lshrrev_b32_e32 v1, 1, v1
	ds_load_b32 v4, v1 offset:30368
	ds_load_b128 v[66:69], v2 offset:16896
	ds_load_b128 v[70:73], v2 offset:16912
	s_wait_dscnt 0x1
	v_ashrrev_i32_e32 v8, 24, v66
	s_wait_dscnt 0x0
	v_bfe_i32 v77, v70, 0, 8
	v_bfe_i32 v78, v70, 8, 8
	v_bfe_i32 v79, v70, 16, 8
	v_ashrrev_i32_e32 v70, 24, v70
	v_bfe_i32 v80, v71, 0, 8
	v_bfe_i32 v81, v71, 8, 8
	v_bfe_i32 v82, v71, 16, 8
	v_ashrrev_i32_e32 v71, 24, v71
	;; [unrolled: 4-line block ×4, first 2 shown]
	v_add_nc_u32_e32 v1, v71, v70
	v_ashrrev_i32_e32 v48, 24, v67
	v_bfe_i32 v5, v66, 0, 8
	v_bfe_i32 v6, v66, 8, 8
	;; [unrolled: 1-line block ×3, first 2 shown]
	v_add3_u32 v89, v1, v72, v73
	v_add_nc_u32_e32 v1, v82, v79
	v_bfe_i32 v9, v67, 0, 8
	v_bfe_i32 v10, v67, 8, 8
	v_bfe_i32 v21, v67, 16, 8
	v_bfe_i32 v49, v68, 0, 8
	v_add3_u32 v90, v1, v85, v88
	v_add_nc_u32_e32 v1, v80, v77
	v_bfe_i32 v66, v68, 8, 8
	v_bfe_i32 v67, v68, 16, 8
	v_ashrrev_i32_e32 v68, 24, v68
	v_bfe_i32 v74, v69, 0, 8
	v_add3_u32 v91, v1, v83, v86
	v_add_nc_u32_e32 v1, v81, v78
	v_bfe_i32 v75, v69, 8, 8
	v_bfe_i32 v76, v69, 16, 8
	v_ashrrev_i32_e32 v69, 24, v69
	v_mul_i32_i24_e32 v2, v7, v43
	v_add3_u32 v96, v1, v84, v87
	v_add_nc_u32_e32 v1, v48, v8
	v_mul_i32_i24_e32 v101, v8, v44
	v_mul_i32_i24_e32 v102, v92, v21
	v_mul_i32_i24_e32 v103, v93, v48
	v_mul_i32_i24_e32 v104, v94, v49
	v_add3_u32 v97, v1, v68, v69
	v_add_nc_u32_e32 v1, v21, v7
	v_mul_i32_i24_e32 v105, v95, v66
	v_mul_i32_i24_e32 v106, v33, v67
	v_mul_i32_i24_e32 v107, v35, v68
	;; [unrolled: 6-line block ×3, first 2 shown]
	v_mul_i32_i24_e32 v112, v57, v73
	v_add3_u32 v99, v1, v66, v75
	v_add_nc_u32_e32 v1, v9, v5
	s_delay_alu instid0(VALU_DEP_1) | instskip(SKIP_1) | instid1(VALU_DEP_1)
	v_add3_u32 v100, v1, v49, v74
	v_mul_i32_i24_e32 v1, v5, v42
	v_mad_i32_i24 v1, v6, v61, v1
	s_delay_alu instid0(VALU_DEP_1) | instskip(SKIP_2) | instid1(VALU_DEP_1)
	v_add3_u32 v1, v1, v2, v101
	v_mul_i32_i24_e32 v2, v65, v9
	v_mul_i32_i24_e32 v101, v0, v10
	v_add3_u32 v1, v1, v2, v101
	v_mul_i32_i24_e32 v2, v58, v77
	v_mul_i32_i24_e32 v101, v59, v79
	s_delay_alu instid0(VALU_DEP_3) | instskip(SKIP_1) | instid1(VALU_DEP_4)
	v_add3_u32 v1, v1, v102, v103
	v_mul_i32_i24_e32 v102, v60, v70
	v_mad_i32_i24 v2, v246, v78, v2
	v_mul_i32_i24_e32 v103, v249, v82
	s_delay_alu instid0(VALU_DEP_4) | instskip(SKIP_1) | instid1(VALU_DEP_4)
	v_add3_u32 v1, v1, v104, v105
	v_mul_i32_i24_e32 v104, v250, v71
	v_add3_u32 v2, v2, v101, v102
	v_mul_i32_i24_e32 v101, v247, v80
	v_mul_i32_i24_e32 v102, v248, v81
	v_add3_u32 v1, v1, v106, v107
	v_mul_i32_i24_e32 v105, v251, v83
	v_mul_i32_i24_e32 v106, v252, v84
	v_mul_i32_i24_e32 v107, v253, v85
	v_add3_u32 v2, v2, v101, v102
	v_add3_u32 v1, v1, v108, v109
	v_mul_i32_i24_e32 v108, v254, v72
	v_mul_i32_i24_e32 v109, v255, v86
	v_mul_i32_i24_e32 v101, v89, v51
	v_add3_u32 v2, v2, v103, v104
	;; [unrolled: 5-line block ×3, first 2 shown]
	v_mul_i32_i24_e32 v105, v97, v47
	v_mul_i32_i24_e32 v106, v98, v50
	;; [unrolled: 1-line block ×3, first 2 shown]
	v_mul_lo_u32 v1, v1, v245
	v_add3_u32 v2, v2, v107, v108
	v_mul_i32_i24_e32 v107, v100, v46
	v_mul_i32_i24_e32 v102, v90, v55
	;; [unrolled: 1-line block ×3, first 2 shown]
	s_delay_alu instid0(VALU_DEP_4) | instskip(NEXT) | instid1(VALU_DEP_4)
	v_add3_u32 v2, v2, v109, v110
	v_mad_i32_i24 v107, v99, v53, v107
	v_mul_i32_i24_e32 v109, v237, v75
	v_mul_i32_i24_e32 v110, v238, v76
	s_delay_alu instid0(VALU_DEP_4) | instskip(NEXT) | instid1(VALU_DEP_4)
	v_add3_u32 v2, v2, v111, v112
	v_add3_u32 v105, v107, v106, v105
	v_mul_i32_i24_e32 v106, v234, v67
	v_mul_i32_i24_e32 v107, v235, v68
	;; [unrolled: 1-line block ×3, first 2 shown]
	v_mad_co_u64_u32 v[1:2], null, v2, v64, v[1:2]
	v_add3_u32 v103, v105, v103, v104
	v_mul_i32_i24_e32 v104, v231, v49
	v_mul_i32_i24_e32 v105, v233, v66
	;; [unrolled: 1-line block ×3, first 2 shown]
	s_delay_alu instid0(VALU_DEP_4) | instskip(SKIP_3) | instid1(VALU_DEP_4)
	v_add3_u32 v101, v103, v102, v101
	v_cvt_f32_i32_e32 v1, v1
	v_mul_i32_i24_e32 v102, v229, v21
	v_mul_i32_i24_e32 v103, v230, v48
	v_cvt_f32_i32_e32 v2, v101
	v_mul_i32_i24_e32 v101, v8, v243
	s_delay_alu instid0(VALU_DEP_2) | instskip(NEXT) | instid1(VALU_DEP_1)
	v_mul_f32_e32 v2, v20, v2
	v_fma_mix_f32 v1, v244, v1, -v2 op_sel_hi:[1,0,0]
	scratch_load_b32 v2, off, off           ; 4-byte Folded Reload
	s_wait_loadcnt 0x0
	v_fmac_f32_e32 v2, v4, v1
	v_mul_i32_i24_e32 v1, v5, v240
	scratch_store_b32 off, v2, off          ; 4-byte Folded Spill
	v_mul_i32_i24_e32 v2, v7, v242
	v_mad_i32_i24 v1, v6, v232, v1
	s_delay_alu instid0(VALU_DEP_1) | instskip(SKIP_2) | instid1(VALU_DEP_1)
	v_add3_u32 v1, v1, v2, v101
	v_mul_i32_i24_e32 v2, v227, v9
	v_mul_i32_i24_e32 v101, v228, v10
	v_add3_u32 v1, v1, v2, v101
	v_mul_i32_i24_e32 v2, v223, v77
	v_mul_i32_i24_e32 v101, v225, v79
	s_delay_alu instid0(VALU_DEP_3) | instskip(SKIP_1) | instid1(VALU_DEP_4)
	v_add3_u32 v1, v1, v102, v103
	v_mul_i32_i24_e32 v102, v226, v70
	v_mad_i32_i24 v2, v212, v78, v2
	v_mul_i32_i24_e32 v103, v211, v82
	s_delay_alu instid0(VALU_DEP_4) | instskip(SKIP_1) | instid1(VALU_DEP_4)
	v_add3_u32 v1, v1, v104, v105
	v_mul_i32_i24_e32 v104, v213, v71
	v_add3_u32 v2, v2, v101, v102
	v_mul_i32_i24_e32 v101, v209, v80
	v_mul_i32_i24_e32 v102, v210, v81
	v_add3_u32 v1, v1, v106, v107
	v_mul_i32_i24_e32 v105, v214, v83
	v_mul_i32_i24_e32 v106, v215, v84
	v_mul_i32_i24_e32 v107, v216, v85
	v_add3_u32 v2, v2, v101, v102
	v_add3_u32 v1, v1, v108, v109
	v_mul_i32_i24_e32 v108, v217, v72
	v_mul_i32_i24_e32 v109, v218, v86
	v_mul_i32_i24_e32 v101, v89, v208
	v_add3_u32 v2, v2, v103, v104
	;; [unrolled: 5-line block ×3, first 2 shown]
	v_mul_i32_i24_e32 v105, v97, v204
	v_mul_i32_i24_e32 v106, v98, v203
	;; [unrolled: 1-line block ×3, first 2 shown]
	v_mul_lo_u32 v1, v1, v241
	v_add3_u32 v2, v2, v107, v108
	v_mul_i32_i24_e32 v107, v100, v201
	v_mul_i32_i24_e32 v102, v90, v207
	;; [unrolled: 1-line block ×3, first 2 shown]
	s_delay_alu instid0(VALU_DEP_4) | instskip(NEXT) | instid1(VALU_DEP_4)
	v_add3_u32 v2, v2, v109, v110
	v_mad_i32_i24 v107, v99, v202, v107
	v_mul_i32_i24_e32 v109, v193, v75
	v_mul_i32_i24_e32 v110, v194, v76
	s_delay_alu instid0(VALU_DEP_4) | instskip(NEXT) | instid1(VALU_DEP_4)
	v_add3_u32 v2, v2, v111, v112
	v_add3_u32 v105, v107, v106, v105
	v_mul_i32_i24_e32 v106, v190, v67
	v_mul_i32_i24_e32 v107, v191, v68
	;; [unrolled: 1-line block ×3, first 2 shown]
	v_mad_co_u64_u32 v[1:2], null, v2, v222, v[1:2]
	v_add3_u32 v103, v105, v103, v104
	v_mul_i32_i24_e32 v104, v187, v49
	v_mul_i32_i24_e32 v105, v189, v66
	;; [unrolled: 1-line block ×3, first 2 shown]
	s_delay_alu instid0(VALU_DEP_4) | instskip(SKIP_3) | instid1(VALU_DEP_4)
	v_add3_u32 v101, v103, v102, v101
	v_cvt_f32_i32_e32 v1, v1
	v_mul_i32_i24_e32 v102, v185, v21
	v_mul_i32_i24_e32 v103, v186, v48
	v_cvt_f32_i32_e32 v2, v101
	v_mul_i32_i24_e32 v101, v8, v200
	s_delay_alu instid0(VALU_DEP_2) | instskip(NEXT) | instid1(VALU_DEP_1)
	v_mul_f32_e32 v2, v224, v2
	v_fma_mix_f32 v1, v199, v1, -v2 op_sel_hi:[1,0,0]
	scratch_load_b32 v2, off, off offset:8  ; 4-byte Folded Reload
	s_wait_loadcnt 0x0
	v_fmac_f32_e32 v2, v4, v1
	v_mul_i32_i24_e32 v1, v5, v196
	scratch_store_b32 off, v2, off offset:8 ; 4-byte Folded Spill
	v_mul_i32_i24_e32 v2, v7, v198
	v_mad_i32_i24 v1, v6, v188, v1
	s_delay_alu instid0(VALU_DEP_1) | instskip(SKIP_2) | instid1(VALU_DEP_1)
	v_add3_u32 v1, v1, v2, v101
	v_mul_i32_i24_e32 v2, v183, v9
	v_mul_i32_i24_e32 v101, v184, v10
	v_add3_u32 v1, v1, v2, v101
	v_mul_i32_i24_e32 v2, v179, v77
	v_mul_i32_i24_e32 v101, v181, v79
	s_delay_alu instid0(VALU_DEP_3) | instskip(SKIP_1) | instid1(VALU_DEP_4)
	v_add3_u32 v1, v1, v102, v103
	v_mul_i32_i24_e32 v102, v182, v70
	v_mad_i32_i24 v2, v168, v78, v2
	v_mul_i32_i24_e32 v103, v167, v82
	s_delay_alu instid0(VALU_DEP_4) | instskip(SKIP_1) | instid1(VALU_DEP_4)
	v_add3_u32 v1, v1, v104, v105
	v_mul_i32_i24_e32 v104, v169, v71
	v_add3_u32 v2, v2, v101, v102
	v_mul_i32_i24_e32 v101, v165, v80
	v_mul_i32_i24_e32 v102, v166, v81
	v_add3_u32 v1, v1, v106, v107
	v_mul_i32_i24_e32 v105, v170, v83
	v_mul_i32_i24_e32 v106, v171, v84
	v_mul_i32_i24_e32 v107, v172, v85
	v_add3_u32 v2, v2, v101, v102
	v_add3_u32 v1, v1, v108, v109
	v_mul_i32_i24_e32 v108, v173, v72
	v_mul_i32_i24_e32 v109, v174, v86
	v_mul_i32_i24_e32 v101, v89, v164
	v_add3_u32 v2, v2, v103, v104
	;; [unrolled: 5-line block ×3, first 2 shown]
	v_mul_i32_i24_e32 v105, v97, v160
	v_mul_i32_i24_e32 v106, v98, v159
	;; [unrolled: 1-line block ×3, first 2 shown]
	v_mul_lo_u32 v1, v1, v197
	v_add3_u32 v2, v2, v107, v108
	v_mul_i32_i24_e32 v107, v100, v157
	v_mul_i32_i24_e32 v102, v90, v163
	s_delay_alu instid0(VALU_DEP_3)
	v_add3_u32 v2, v2, v109, v110
	scratch_load_b32 v110, off, off offset:124 th:TH_LOAD_LU ; 4-byte Folded Reload
	v_mad_i32_i24 v107, v99, v158, v107
	v_add3_u32 v2, v2, v111, v112
	scratch_load_b32 v111, off, off offset:52 ; 4-byte Folded Reload
	v_add3_u32 v105, v107, v106, v105
	v_mad_co_u64_u32 v[1:2], null, v2, v178, v[1:2]
	s_delay_alu instid0(VALU_DEP_2) | instskip(NEXT) | instid1(VALU_DEP_1)
	v_add3_u32 v103, v105, v103, v104
	v_add3_u32 v101, v103, v102, v101
	s_delay_alu instid0(VALU_DEP_3) | instskip(NEXT) | instid1(VALU_DEP_2)
	v_cvt_f32_i32_e32 v1, v1
	v_cvt_f32_i32_e32 v2, v101
	s_delay_alu instid0(VALU_DEP_1) | instskip(NEXT) | instid1(VALU_DEP_1)
	v_mul_f32_e32 v2, v180, v2
	v_fma_mix_f32 v1, v155, v1, -v2 op_sel_hi:[1,0,0]
	v_mul_i32_i24_e32 v2, v7, v154
	v_mul_i32_i24_e32 v7, v142, v48
	v_mul_i32_i24_e32 v48, v148, v74
	s_delay_alu instid0(VALU_DEP_4) | instskip(SKIP_4) | instid1(VALU_DEP_4)
	v_fmac_f32_e32 v11, v4, v1
	v_mul_i32_i24_e32 v1, v5, v152
	v_mul_i32_i24_e32 v5, v8, v156
	;; [unrolled: 1-line block ×4, first 2 shown]
	v_mad_i32_i24 v1, v6, v144, v1
	v_mul_i32_i24_e32 v6, v141, v21
	v_mul_i32_i24_e32 v21, v147, v68
	;; [unrolled: 1-line block ×3, first 2 shown]
	s_delay_alu instid0(VALU_DEP_4)
	v_add3_u32 v1, v1, v2, v5
	v_mul_i32_i24_e32 v2, v3, v9
	v_mul_i32_i24_e32 v5, v140, v10
	;; [unrolled: 1-line block ×6, first 2 shown]
	v_add3_u32 v1, v1, v2, v5
	v_mul_i32_i24_e32 v2, v137, v77
	v_mul_i32_i24_e32 v5, v138, v79
	s_delay_alu instid0(VALU_DEP_3) | instskip(SKIP_1) | instid1(VALU_DEP_4)
	v_add3_u32 v1, v1, v6, v7
	v_mul_i32_i24_e32 v6, v139, v70
	v_mad_i32_i24 v2, v136, v78, v2
	v_mul_i32_i24_e32 v7, v126, v82
	s_delay_alu instid0(VALU_DEP_4) | instskip(SKIP_1) | instid1(VALU_DEP_4)
	v_add3_u32 v1, v1, v8, v9
	v_mul_i32_i24_e32 v8, v127, v71
	v_add3_u32 v2, v2, v5, v6
	v_mul_i32_i24_e32 v5, v124, v80
	v_mul_i32_i24_e32 v6, v125, v81
	v_add3_u32 v1, v1, v10, v21
	v_mul_i32_i24_e32 v9, v128, v83
	v_mul_i32_i24_e32 v10, v129, v84
	v_mul_i32_i24_e32 v21, v130, v85
	v_add3_u32 v2, v2, v5, v6
	v_add3_u32 v1, v1, v48, v49
	v_mul_i32_i24_e32 v48, v131, v72
	v_mul_i32_i24_e32 v49, v132, v86
	v_mul_i32_i24_e32 v5, v89, v123
	v_add3_u32 v2, v2, v7, v8
	;; [unrolled: 5-line block ×3, first 2 shown]
	v_mul_i32_i24_e32 v9, v97, v119
	v_mul_i32_i24_e32 v10, v98, v118
	;; [unrolled: 1-line block ×3, first 2 shown]
	v_mul_lo_u32 v1, v1, v153
	v_add3_u32 v2, v2, v21, v48
	v_mul_i32_i24_e32 v21, v100, v116
	v_mul_i32_i24_e32 v6, v90, v122
	s_delay_alu instid0(VALU_DEP_3) | instskip(NEXT) | instid1(VALU_DEP_3)
	v_add3_u32 v2, v2, v49, v66
	v_mad_i32_i24 v21, v99, v117, v21
	s_delay_alu instid0(VALU_DEP_2) | instskip(NEXT) | instid1(VALU_DEP_2)
	v_add3_u32 v2, v2, v67, v68
	v_add3_u32 v9, v21, v10, v9
	s_delay_alu instid0(VALU_DEP_2) | instskip(NEXT) | instid1(VALU_DEP_2)
	v_mad_co_u64_u32 v[1:2], null, v2, v115, v[1:2]
	v_add3_u32 v7, v9, v7, v8
	s_delay_alu instid0(VALU_DEP_1) | instskip(NEXT) | instid1(VALU_DEP_3)
	v_add3_u32 v5, v7, v6, v5
	v_cvt_f32_i32_e32 v1, v1
	s_delay_alu instid0(VALU_DEP_2) | instskip(NEXT) | instid1(VALU_DEP_1)
	v_cvt_f32_i32_e32 v2, v5
	v_mul_f32_e32 v2, v114, v2
	s_delay_alu instid0(VALU_DEP_1) | instskip(SKIP_1) | instid1(VALU_DEP_1)
	v_fma_mix_f32 v1, v113, v1, -v2 op_sel_hi:[1,0,0]
	s_wait_loadcnt 0x1
	v_fmac_f32_e32 v110, v4, v1
	s_wait_loadcnt 0x0
	v_or_b32_e32 v1, s17, v111
	s_delay_alu instid0(VALU_DEP_1)
	v_lshlrev_b32_e32 v2, 2, v1
	v_lshrrev_b32_e32 v1, 1, v1
	ds_load_b32 v48, v1 offset:30368
	ds_load_b128 v[66:69], v2 offset:16896
	ds_load_b128 v[106:109], v2 offset:16912
	s_wait_dscnt 0x1
	v_bfe_i32 v84, v67, 0, 8
	s_wait_dscnt 0x0
	v_ashrrev_i32_e32 v83, 24, v106
	v_ashrrev_i32_e32 v97, 24, v107
	v_bfe_i32 v75, v106, 16, 8
	v_bfe_i32 v96, v107, 16, 8
	v_ashrrev_i32_e32 v101, 24, v108
	v_ashrrev_i32_e32 v112, 24, v109
	v_add_nc_u32_e32 v4, v97, v83
	v_bfe_i32 v85, v67, 8, 8
	v_bfe_i32 v105, v67, 16, 8
	v_ashrrev_i32_e32 v76, 24, v67
	v_bfe_i32 v2, v106, 0, 8
	v_bfe_i32 v73, v107, 0, 8
	;; [unrolled: 1-line block ×4, first 2 shown]
	v_add3_u32 v67, v4, v101, v112
	v_add_nc_u32_e32 v4, v96, v75
	v_bfe_i32 v77, v68, 0, 8
	v_bfe_i32 v78, v68, 8, 8
	;; [unrolled: 1-line block ×3, first 2 shown]
	v_ashrrev_i32_e32 v80, 24, v68
	v_bfe_i32 v1, v106, 8, 8
	v_bfe_i32 v74, v107, 8, 8
	v_bfe_i32 v98, v108, 0, 8
	v_bfe_i32 v102, v109, 0, 8
	v_add3_u32 v68, v4, v100, v21
	v_add_nc_u32_e32 v4, v73, v2
	v_ashrrev_i32_e32 v91, 24, v66
	v_bfe_i32 v81, v69, 0, 8
	v_bfe_i32 v82, v69, 8, 8
	;; [unrolled: 1-line block ×3, first 2 shown]
	v_ashrrev_i32_e32 v87, 24, v69
	v_bfe_i32 v99, v108, 8, 8
	v_bfe_i32 v103, v109, 8, 8
	v_add3_u32 v69, v4, v98, v102
	v_add_nc_u32_e32 v4, v74, v1
	v_bfe_i32 v90, v66, 16, 8
	v_bfe_i32 v88, v66, 8, 8
	;; [unrolled: 1-line block ×3, first 2 shown]
	v_mul_i32_i24_e32 v6, v91, v44
	v_add3_u32 v70, v4, v99, v103
	v_add_nc_u32_e32 v4, v76, v91
	v_mul_i32_i24_e32 v5, v90, v43
	v_mul_i32_i24_e32 v7, v93, v76
	scratch_load_b32 v93, off, off offset:20 th:TH_LOAD_LU ; 4-byte Folded Reload
	v_mul_i32_i24_e32 v8, v94, v77
	v_add3_u32 v71, v4, v80, v87
	v_add_nc_u32_e32 v4, v105, v90
	scratch_load_b32 v94, off, off offset:24 th:TH_LOAD_LU ; 4-byte Folded Reload
	v_mul_i32_i24_e32 v0, v0, v85
	v_mul_i32_i24_e32 v9, v95, v78
	;; [unrolled: 1-line block ×3, first 2 shown]
	v_add3_u32 v72, v4, v79, v86
	v_add_nc_u32_e32 v4, v85, v88
	v_mul_i32_i24_e32 v33, v35, v80
	v_mul_i32_i24_e32 v35, v37, v81
	;; [unrolled: 1-line block ×4, first 2 shown]
	v_add3_u32 v49, v4, v78, v82
	v_add_nc_u32_e32 v4, v84, v89
	v_mul_i32_i24_e32 v38, v39, v86
	v_mul_i32_i24_e32 v39, v40, v87
	v_mul_i32_i24_e32 v3, v3, v84
	s_delay_alu instid0(VALU_DEP_4) | instskip(SKIP_1) | instid1(VALU_DEP_1)
	v_add3_u32 v66, v4, v77, v81
	v_mul_i32_i24_e32 v4, v89, v42
	v_mad_i32_i24 v4, v88, v61, v4
	s_delay_alu instid0(VALU_DEP_1) | instskip(SKIP_3) | instid1(VALU_DEP_1)
	v_add3_u32 v4, v4, v5, v6
	v_mul_i32_i24_e32 v6, v92, v105
	scratch_load_b32 v92, off, off offset:16 th:TH_LOAD_LU ; 4-byte Folded Reload
	v_mul_i32_i24_e32 v5, v65, v84
	v_add3_u32 v0, v4, v5, v0
	v_mul_i32_i24_e32 v4, v58, v2
	v_mul_i32_i24_e32 v5, v59, v75
	s_delay_alu instid0(VALU_DEP_3) | instskip(SKIP_1) | instid1(VALU_DEP_4)
	v_add3_u32 v0, v0, v6, v7
	v_mul_i32_i24_e32 v6, v60, v83
	v_mad_i32_i24 v4, v246, v1, v4
	v_mul_i32_i24_e32 v7, v249, v96
	s_delay_alu instid0(VALU_DEP_4) | instskip(SKIP_1) | instid1(VALU_DEP_4)
	v_add3_u32 v0, v0, v8, v9
	v_mul_i32_i24_e32 v8, v250, v97
	v_add3_u32 v4, v4, v5, v6
	v_mul_i32_i24_e32 v5, v247, v73
	v_mul_i32_i24_e32 v6, v248, v74
	v_add3_u32 v0, v0, v10, v33
	v_mul_i32_i24_e32 v9, v251, v98
	v_mul_i32_i24_e32 v10, v252, v99
	v_mul_i32_i24_e32 v33, v253, v100
	v_add3_u32 v4, v4, v5, v6
	v_add3_u32 v0, v0, v35, v37
	v_mul_i32_i24_e32 v35, v254, v101
	v_mul_i32_i24_e32 v37, v255, v102
	v_mul_i32_i24_e32 v5, v67, v51
	v_add3_u32 v4, v4, v7, v8
	;; [unrolled: 5-line block ×3, first 2 shown]
	v_mul_i32_i24_e32 v9, v71, v47
	v_mul_i32_i24_e32 v10, v72, v50
	;; [unrolled: 1-line block ×3, first 2 shown]
	v_mul_lo_u32 v0, v0, v245
	v_add3_u32 v4, v4, v33, v35
	v_mul_i32_i24_e32 v6, v68, v55
	v_mul_i32_i24_e32 v33, v237, v82
	;; [unrolled: 1-line block ×3, first 2 shown]
	s_delay_alu instid0(VALU_DEP_4) | instskip(SKIP_1) | instid1(VALU_DEP_2)
	v_add3_u32 v4, v4, v37, v25
	v_mul_i32_i24_e32 v25, v66, v46
	v_add3_u32 v4, v4, v38, v39
	s_delay_alu instid0(VALU_DEP_2) | instskip(NEXT) | instid1(VALU_DEP_2)
	v_mad_i32_i24 v25, v49, v53, v25
	v_mad_co_u64_u32 v[37:38], null, v4, v64, v[0:1]
	s_delay_alu instid0(VALU_DEP_2) | instskip(SKIP_3) | instid1(VALU_DEP_4)
	v_add3_u32 v9, v25, v10, v9
	v_mul_i32_i24_e32 v10, v234, v79
	v_mul_i32_i24_e32 v25, v236, v81
	;; [unrolled: 1-line block ×3, first 2 shown]
	v_add3_u32 v7, v9, v7, v8
	v_cvt_f32_i32_e32 v0, v37
	v_mul_i32_i24_e32 v8, v231, v77
	v_mul_i32_i24_e32 v9, v233, v78
	v_mul_i32_i24_e32 v37, v239, v87
	v_add3_u32 v5, v7, v6, v5
	v_mul_i32_i24_e32 v6, v229, v105
	v_mul_i32_i24_e32 v7, v230, v76
	s_delay_alu instid0(VALU_DEP_3) | instskip(SKIP_1) | instid1(VALU_DEP_2)
	v_cvt_f32_i32_e32 v4, v5
	v_mul_i32_i24_e32 v5, v91, v243
	v_mul_f32_e32 v4, v20, v4
	v_mul_i32_i24_e32 v20, v235, v80
	s_delay_alu instid0(VALU_DEP_2) | instskip(SKIP_2) | instid1(VALU_DEP_2)
	v_fma_mix_f32 v0, v244, v0, -v4 op_sel_hi:[1,0,0]
	v_mul_i32_i24_e32 v4, v90, v242
	s_wait_loadcnt 0x1
	v_fmac_f32_e32 v94, v48, v0
	v_mul_i32_i24_e32 v0, v89, v240
	s_delay_alu instid0(VALU_DEP_1) | instskip(NEXT) | instid1(VALU_DEP_1)
	v_mad_i32_i24 v0, v88, v232, v0
	v_add3_u32 v0, v0, v4, v5
	v_mul_i32_i24_e32 v4, v227, v84
	v_mul_i32_i24_e32 v5, v228, v85
	s_delay_alu instid0(VALU_DEP_1) | instskip(SKIP_2) | instid1(VALU_DEP_3)
	v_add3_u32 v0, v0, v4, v5
	v_mul_i32_i24_e32 v4, v223, v2
	v_mul_i32_i24_e32 v5, v225, v75
	v_add3_u32 v0, v0, v6, v7
	v_mul_i32_i24_e32 v6, v226, v83
	s_delay_alu instid0(VALU_DEP_4) | instskip(SKIP_1) | instid1(VALU_DEP_4)
	v_mad_i32_i24 v4, v212, v1, v4
	v_mul_i32_i24_e32 v7, v211, v96
	v_add3_u32 v0, v0, v8, v9
	v_mul_i32_i24_e32 v8, v213, v97
	s_delay_alu instid0(VALU_DEP_4)
	v_add3_u32 v4, v4, v5, v6
	v_mul_i32_i24_e32 v5, v209, v73
	v_mul_i32_i24_e32 v6, v210, v74
	v_add3_u32 v0, v0, v10, v20
	v_mul_i32_i24_e32 v9, v214, v98
	v_mul_i32_i24_e32 v10, v215, v99
	v_mul_i32_i24_e32 v20, v216, v100
	v_add3_u32 v4, v4, v5, v6
	v_add3_u32 v0, v0, v25, v33
	v_mul_i32_i24_e32 v25, v217, v101
	v_mul_i32_i24_e32 v33, v218, v102
	v_mul_i32_i24_e32 v5, v67, v208
	v_add3_u32 v4, v4, v7, v8
	;; [unrolled: 5-line block ×3, first 2 shown]
	v_mul_i32_i24_e32 v9, v71, v204
	v_mul_i32_i24_e32 v10, v72, v203
	;; [unrolled: 1-line block ×3, first 2 shown]
	v_mul_lo_u32 v0, v0, v241
	v_add3_u32 v4, v4, v20, v25
	v_mul_i32_i24_e32 v20, v66, v201
	v_mul_i32_i24_e32 v6, v68, v207
	;; [unrolled: 1-line block ×3, first 2 shown]
	s_delay_alu instid0(VALU_DEP_4) | instskip(NEXT) | instid1(VALU_DEP_4)
	v_add3_u32 v4, v4, v33, v35
	v_mad_i32_i24 v20, v49, v202, v20
	v_mul_i32_i24_e32 v33, v193, v82
	v_mul_i32_i24_e32 v35, v194, v86
	s_delay_alu instid0(VALU_DEP_4) | instskip(NEXT) | instid1(VALU_DEP_4)
	v_add3_u32 v4, v4, v37, v38
	v_add3_u32 v9, v20, v10, v9
	v_mul_i32_i24_e32 v10, v190, v79
	v_mul_i32_i24_e32 v20, v191, v80
	s_delay_alu instid0(VALU_DEP_4) | instskip(NEXT) | instid1(VALU_DEP_4)
	v_mad_co_u64_u32 v[37:38], null, v4, v222, v[0:1]
	v_add3_u32 v7, v9, v7, v8
	v_mul_i32_i24_e32 v8, v187, v77
	v_mul_i32_i24_e32 v9, v189, v78
	;; [unrolled: 1-line block ×3, first 2 shown]
	s_delay_alu instid0(VALU_DEP_4)
	v_add3_u32 v5, v7, v6, v5
	v_cvt_f32_i32_e32 v0, v37
	v_mul_i32_i24_e32 v6, v185, v105
	v_mul_i32_i24_e32 v7, v186, v76
	;; [unrolled: 1-line block ×3, first 2 shown]
	v_cvt_f32_i32_e32 v4, v5
	v_mul_i32_i24_e32 v5, v91, v200
	s_delay_alu instid0(VALU_DEP_2) | instskip(NEXT) | instid1(VALU_DEP_1)
	v_mul_f32_e32 v4, v224, v4
	v_fma_mix_f32 v0, v199, v0, -v4 op_sel_hi:[1,0,0]
	v_mul_i32_i24_e32 v4, v90, v198
	s_delay_alu instid0(VALU_DEP_2) | instskip(SKIP_1) | instid1(VALU_DEP_1)
	v_fmac_f32_e32 v93, v48, v0
	v_mul_i32_i24_e32 v0, v89, v196
	v_mad_i32_i24 v0, v88, v188, v0
	s_delay_alu instid0(VALU_DEP_1) | instskip(SKIP_2) | instid1(VALU_DEP_1)
	v_add3_u32 v0, v0, v4, v5
	v_mul_i32_i24_e32 v4, v183, v84
	v_mul_i32_i24_e32 v5, v184, v85
	v_add3_u32 v0, v0, v4, v5
	v_mul_i32_i24_e32 v4, v179, v2
	v_mul_i32_i24_e32 v5, v181, v75
	s_delay_alu instid0(VALU_DEP_3) | instskip(SKIP_1) | instid1(VALU_DEP_4)
	v_add3_u32 v0, v0, v6, v7
	v_mul_i32_i24_e32 v6, v182, v83
	v_mad_i32_i24 v4, v168, v1, v4
	v_mul_i32_i24_e32 v7, v167, v96
	s_delay_alu instid0(VALU_DEP_4) | instskip(SKIP_1) | instid1(VALU_DEP_4)
	v_add3_u32 v0, v0, v8, v9
	v_mul_i32_i24_e32 v8, v169, v97
	v_add3_u32 v4, v4, v5, v6
	v_mul_i32_i24_e32 v5, v165, v73
	v_mul_i32_i24_e32 v6, v166, v74
	v_add3_u32 v0, v0, v10, v20
	v_mul_i32_i24_e32 v9, v170, v98
	v_mul_i32_i24_e32 v10, v171, v99
	v_mul_i32_i24_e32 v20, v172, v100
	v_add3_u32 v4, v4, v5, v6
	v_add3_u32 v0, v0, v25, v33
	v_mul_i32_i24_e32 v25, v173, v101
	v_mul_i32_i24_e32 v33, v174, v102
	v_mul_i32_i24_e32 v5, v67, v164
	v_add3_u32 v4, v4, v7, v8
	;; [unrolled: 5-line block ×3, first 2 shown]
	v_mul_i32_i24_e32 v9, v71, v160
	v_mul_i32_i24_e32 v10, v72, v159
	;; [unrolled: 1-line block ×3, first 2 shown]
	v_mul_lo_u32 v0, v0, v197
	v_add3_u32 v4, v4, v20, v25
	v_mul_i32_i24_e32 v20, v66, v157
	v_mul_i32_i24_e32 v6, v68, v163
	;; [unrolled: 1-line block ×4, first 2 shown]
	v_add3_u32 v4, v4, v33, v35
	v_mad_i32_i24 v20, v49, v158, v20
	v_mul_i32_i24_e32 v33, v150, v86
	v_mul_i32_i24_e32 v35, v151, v87
	scratch_load_b32 v134, off, off offset:108 ; 4-byte Folded Reload
	v_add3_u32 v4, v4, v37, v38
	v_add3_u32 v9, v20, v10, v9
	v_mul_i32_i24_e32 v10, v147, v80
	v_mul_i32_i24_e32 v20, v148, v81
	s_delay_alu instid0(VALU_DEP_4) | instskip(NEXT) | instid1(VALU_DEP_4)
	v_mad_co_u64_u32 v[37:38], null, v4, v178, v[0:1]
	v_add3_u32 v7, v9, v7, v8
	v_mul_i32_i24_e32 v8, v145, v78
	v_mul_i32_i24_e32 v9, v146, v79
	s_clause 0x1
	scratch_load_b32 v78, off, off offset:92
	scratch_load_b32 v79, off, off offset:96
	v_add3_u32 v5, v7, v6, v5
	v_cvt_f32_i32_e32 v0, v37
	v_mul_i32_i24_e32 v6, v142, v76
	v_mul_i32_i24_e32 v7, v143, v77
	s_clause 0x1
	scratch_load_b32 v76, off, off offset:60
	scratch_load_b32 v77, off, off offset:64
	v_cvt_f32_i32_e32 v4, v5
	v_mul_i32_i24_e32 v5, v91, v156
	s_delay_alu instid0(VALU_DEP_2) | instskip(NEXT) | instid1(VALU_DEP_1)
	v_mul_f32_e32 v4, v180, v4
	v_fma_mix_f32 v0, v155, v0, -v4 op_sel_hi:[1,0,0]
	v_mul_i32_i24_e32 v4, v90, v154
	s_wait_loadcnt 0x5
	s_delay_alu instid0(VALU_DEP_2) | instskip(SKIP_1) | instid1(VALU_DEP_1)
	v_fmac_f32_e32 v92, v48, v0
	v_mul_i32_i24_e32 v0, v89, v152
	v_mad_i32_i24 v0, v88, v144, v0
	s_delay_alu instid0(VALU_DEP_1) | instskip(SKIP_2) | instid1(VALU_DEP_2)
	v_add3_u32 v0, v0, v4, v5
	v_mul_i32_i24_e32 v4, v140, v85
	v_mul_i32_i24_e32 v5, v141, v105
	v_add3_u32 v0, v0, v3, v4
	v_mul_i32_i24_e32 v4, v139, v83
	s_delay_alu instid0(VALU_DEP_2) | instskip(SKIP_2) | instid1(VALU_DEP_3)
	v_add3_u32 v0, v0, v5, v6
	v_mul_i32_i24_e32 v5, v127, v97
	v_mul_i32_i24_e32 v6, v128, v98
	v_add3_u32 v0, v0, v7, v8
	v_mul_i32_i24_e32 v7, v129, v99
	v_mul_i32_i24_e32 v8, v130, v100
	scratch_load_b32 v130, off, off offset:76 ; 4-byte Folded Reload
	v_add3_u32 v0, v0, v9, v10
	v_mul_i32_i24_e32 v9, v131, v101
	v_mul_i32_i24_e32 v10, v132, v102
	s_clause 0x1
	scratch_load_b32 v131, off, off offset:80
	scratch_load_b32 v132, off, off offset:84
	v_add3_u32 v0, v0, v20, v25
	v_mul_i32_i24_e32 v20, v133, v103
	v_mul_i32_i24_e32 v25, v135, v112
	s_clause 0x1
	scratch_load_b32 v133, off, off offset:88
	scratch_load_b32 v135, off, off offset:112
	v_add3_u32 v0, v0, v33, v35
	v_mul_i32_i24_e32 v33, v70, v121
	s_delay_alu instid0(VALU_DEP_2)
	v_mul_lo_u32 v3, v0, v153
	v_mul_i32_i24_e32 v0, v137, v2
	v_mul_i32_i24_e32 v2, v138, v75
	scratch_load_b32 v137, off, off offset:120 ; 4-byte Folded Reload
	v_mad_i32_i24 v0, v136, v1, v0
	v_mul_i32_i24_e32 v1, v124, v73
	s_clause 0x1
	scratch_load_b32 v136, off, off offset:116
	scratch_load_b32 v124, off, off offset:100
	v_add3_u32 v0, v0, v2, v4
	v_mul_i32_i24_e32 v2, v125, v74
	v_mul_i32_i24_e32 v4, v126, v96
	scratch_load_b32 v125, off, off offset:104 ; 4-byte Folded Reload
	v_add3_u32 v0, v0, v1, v2
	v_mul_i32_i24_e32 v1, v71, v119
	v_mul_i32_i24_e32 v2, v72, v118
	s_delay_alu instid0(VALU_DEP_3) | instskip(SKIP_1) | instid1(VALU_DEP_2)
	v_add3_u32 v0, v0, v4, v5
	v_mul_i32_i24_e32 v4, v66, v116
	v_add3_u32 v0, v0, v6, v7
	s_delay_alu instid0(VALU_DEP_2) | instskip(NEXT) | instid1(VALU_DEP_2)
	v_mad_i32_i24 v4, v49, v117, v4
	v_add3_u32 v0, v0, v8, v9
	s_delay_alu instid0(VALU_DEP_2) | instskip(NEXT) | instid1(VALU_DEP_2)
	v_add3_u32 v1, v4, v2, v1
	v_add3_u32 v0, v0, v10, v20
	v_mul_i32_i24_e32 v20, v67, v123
	s_clause 0x1
	scratch_load_b32 v123, off, off offset:72
	scratch_load_b32 v75, off, off offset:56
	v_add3_u32 v0, v0, v21, v25
	v_mul_i32_i24_e32 v25, v68, v122
	s_clause 0x1
	scratch_load_b32 v122, off, off offset:68
	scratch_load_b32 v68, off, off offset:12 th:TH_LOAD_LU
	v_mul_i32_i24_e32 v21, v69, v120
	s_delay_alu instid0(VALU_DEP_1) | instskip(NEXT) | instid1(VALU_DEP_1)
	v_add3_u32 v1, v1, v21, v33
	v_add3_u32 v20, v1, v25, v20
	v_mad_co_u64_u32 v[0:1], null, v0, v115, v[3:4]
	s_delay_alu instid0(VALU_DEP_2) | instskip(NEXT) | instid1(VALU_DEP_2)
	v_cvt_f32_i32_e32 v1, v20
	v_cvt_f32_i32_e32 v0, v0
	s_delay_alu instid0(VALU_DEP_2) | instskip(NEXT) | instid1(VALU_DEP_1)
	v_mul_f32_e32 v1, v114, v1
	v_fma_mix_f32 v0, v113, v0, -v1 op_sel_hi:[1,0,0]
	s_wait_loadcnt 0x0
	s_delay_alu instid0(VALU_DEP_1)
	v_fmac_f32_e32 v68, v48, v0
	s_cbranch_scc1 .LBB167_12
; %bb.13:                               ;   in Loop: Header=BB167_8 Depth=2
	scratch_load_b32 v5, off, off offset:8  ; 4-byte Folded Reload
	s_wait_loadcnt 0x0
	s_wait_storecnt 0x0
	s_barrier_signal -1
	s_barrier_wait -1
	global_inv scope:SCOPE_SE
	s_clause 0x7
	scratch_load_b32 v6, off, off
	scratch_load_b32 v8, off, off offset:4
	scratch_load_b32 v69, off, off offset:48
	;; [unrolled: 1-line block ×7, first 2 shown]
	s_cmp_eq_u32 s12, 4
	v_mov_b32_e32 v7, v17
	s_cselect_b32 s13, -1, 0
	s_wait_alu 0xfffe
	s_and_b32 vcc_lo, exec_lo, s13
	s_wait_alu 0xfffe
	s_cbranch_vccz .LBB167_8
	s_branch .LBB167_5
.LBB167_14:
	s_clause 0x1
	scratch_load_b32 v1, off, off offset:216 th:TH_LOAD_LU
	scratch_load_b32 v2, off, off offset:136 th:TH_LOAD_LU
.LBB167_15:
	scratch_load_b32 v0, off, off offset:352 ; 4-byte Folded Reload
	s_mov_b32 s0, exec_lo
	s_wait_loadcnt 0x0
	v_cmpx_gt_u32_e64 s4, v0
	s_cbranch_execz .LBB167_66
; %bb.16:
	v_dual_mov_b32 v3, v0 :: v_dual_add_nc_u32 v0, s14, v2
	s_delay_alu instid0(VALU_DEP_1) | instskip(NEXT) | instid1(VALU_DEP_2)
	v_mul_lo_u32 v21, v3, s6
	v_cmp_gt_u32_e32 vcc_lo, s6, v0
	s_and_saveexec_b32 s1, vcc_lo
	s_cbranch_execz .LBB167_18
; %bb.17:
	v_bfe_u32 v3, v34, 16, 1
	s_delay_alu instid0(VALU_DEP_3) | instskip(SKIP_1) | instid1(VALU_DEP_3)
	v_add_nc_u32_e32 v2, v0, v21
	v_cmp_o_f32_e64 s0, v34, v34
	v_add3_u32 v4, v34, v3, 0x7fff
	v_mov_b32_e32 v3, 0
	s_delay_alu instid0(VALU_DEP_2) | instskip(NEXT) | instid1(VALU_DEP_2)
	v_lshrrev_b32_e32 v4, 16, v4
	v_lshlrev_b64_e32 v[2:3], 1, v[2:3]
	s_delay_alu instid0(VALU_DEP_2) | instskip(SKIP_1) | instid1(VALU_DEP_2)
	v_cndmask_b32_e64 v4, 0x7fc0, v4, s0
	s_wait_kmcnt 0x0
	v_add_co_u32 v2, s0, s8, v2
	s_wait_alu 0xf1ff
	s_delay_alu instid0(VALU_DEP_3)
	v_add_co_ci_u32_e64 v3, null, s9, v3, s0
	global_store_b16 v[2:3], v4, off
.LBB167_18:
	s_or_b32 exec_lo, exec_lo, s1
	v_add_nc_u32_e32 v2, 32, v0
	s_delay_alu instid0(VALU_DEP_1)
	v_cmp_gt_u32_e64 s0, s6, v2
	s_and_saveexec_b32 s2, s0
	s_cbranch_execz .LBB167_20
; %bb.19:
	v_bfe_u32 v3, v18, 16, 1
	v_dual_mov_b32 v38, 0 :: v_dual_add_nc_u32 v37, v2, v21
	v_cmp_o_f32_e64 s1, v18, v18
	s_delay_alu instid0(VALU_DEP_3) | instskip(NEXT) | instid1(VALU_DEP_3)
	v_add3_u32 v3, v18, v3, 0x7fff
	v_lshlrev_b64_e32 v[37:38], 1, v[37:38]
	s_delay_alu instid0(VALU_DEP_2) | instskip(SKIP_1) | instid1(VALU_DEP_1)
	v_lshrrev_b32_e32 v3, 16, v3
	s_wait_alu 0xf1ff
	v_cndmask_b32_e64 v3, 0x7fc0, v3, s1
	s_wait_kmcnt 0x0
	s_delay_alu instid0(VALU_DEP_3)
	v_add_co_u32 v37, s1, s8, v37
	s_wait_alu 0xf1ff
	v_add_co_ci_u32_e64 v38, null, s9, v38, s1
	global_store_b16 v[37:38], v3, off
.LBB167_20:
	s_wait_alu 0xfffe
	s_or_b32 exec_lo, exec_lo, s2
	v_add_nc_u32_e32 v3, 64, v0
	s_delay_alu instid0(VALU_DEP_1)
	v_cmp_gt_u32_e64 s1, s6, v3
	s_and_saveexec_b32 s3, s1
	s_cbranch_execz .LBB167_22
; %bb.21:
	v_bfe_u32 v4, v14, 16, 1
	v_dual_mov_b32 v38, 0 :: v_dual_add_nc_u32 v37, v3, v21
	v_cmp_o_f32_e64 s2, v14, v14
	s_delay_alu instid0(VALU_DEP_3) | instskip(NEXT) | instid1(VALU_DEP_3)
	v_add3_u32 v4, v14, v4, 0x7fff
	v_lshlrev_b64_e32 v[37:38], 1, v[37:38]
	s_delay_alu instid0(VALU_DEP_2) | instskip(SKIP_1) | instid1(VALU_DEP_1)
	v_lshrrev_b32_e32 v4, 16, v4
	s_wait_alu 0xf1ff
	v_cndmask_b32_e64 v4, 0x7fc0, v4, s2
	s_wait_kmcnt 0x0
	s_delay_alu instid0(VALU_DEP_3)
	v_add_co_u32 v37, s2, s8, v37
	s_wait_alu 0xf1ff
	v_add_co_ci_u32_e64 v38, null, s9, v38, s2
	global_store_b16 v[37:38], v4, off
.LBB167_22:
	s_wait_alu 0xfffe
	;; [unrolled: 25-line block ×3, first 2 shown]
	s_or_b32 exec_lo, exec_lo, s5
	v_add3_u32 v21, v1, s7, 8
	s_delay_alu instid0(VALU_DEP_1)
	v_cmp_gt_u32_e64 s3, s4, v21
	s_and_b32 exec_lo, exec_lo, s3
	s_cbranch_execz .LBB167_66
; %bb.25:
	v_mul_lo_u32 v21, v21, s6
	s_and_saveexec_b32 s5, vcc_lo
	s_cbranch_execnz .LBB167_67
; %bb.26:
	s_wait_alu 0xfffe
	s_or_b32 exec_lo, exec_lo, s5
	s_and_saveexec_b32 s5, s0
	s_cbranch_execnz .LBB167_68
.LBB167_27:
	s_wait_alu 0xfffe
	s_or_b32 exec_lo, exec_lo, s5
	s_and_saveexec_b32 s5, s1
	s_cbranch_execnz .LBB167_69
.LBB167_28:
	s_wait_alu 0xfffe
	s_or_b32 exec_lo, exec_lo, s5
	s_and_saveexec_b32 s5, s2
	s_cbranch_execz .LBB167_30
.LBB167_29:
	v_bfe_u32 v4, v36, 16, 1
	v_dual_mov_b32 v34, 0 :: v_dual_add_nc_u32 v33, v21, v20
	v_cmp_o_f32_e64 s3, v36, v36
	v_dual_mov_b32 v9, v31 :: v_dual_mov_b32 v10, v32
	s_delay_alu instid0(VALU_DEP_4) | instskip(NEXT) | instid1(VALU_DEP_4)
	v_add3_u32 v4, v36, v4, 0x7fff
	v_lshlrev_b64_e32 v[33:34], 1, v[33:34]
	s_delay_alu instid0(VALU_DEP_2) | instskip(SKIP_1) | instid1(VALU_DEP_1)
	v_lshrrev_b32_e32 v4, 16, v4
	s_wait_alu 0xf1ff
	v_cndmask_b32_e64 v4, 0x7fc0, v4, s3
	s_wait_kmcnt 0x0
	s_delay_alu instid0(VALU_DEP_3)
	v_add_co_u32 v31, s3, s8, v33
	s_wait_alu 0xf1ff
	v_add_co_ci_u32_e64 v32, null, s9, v34, s3
	global_store_b16 v[31:32], v4, off
	v_dual_mov_b32 v32, v10 :: v_dual_mov_b32 v31, v9
.LBB167_30:
	s_wait_alu 0xfffe
	s_or_b32 exec_lo, exec_lo, s5
	v_add3_u32 v21, v1, s7, 16
	s_delay_alu instid0(VALU_DEP_1)
	v_cmp_gt_u32_e64 s3, s4, v21
	s_and_b32 exec_lo, exec_lo, s3
	s_cbranch_execz .LBB167_66
; %bb.31:
	v_mul_lo_u32 v21, v21, s6
	s_and_saveexec_b32 s5, vcc_lo
	s_cbranch_execnz .LBB167_70
; %bb.32:
	s_wait_alu 0xfffe
	s_or_b32 exec_lo, exec_lo, s5
	s_and_saveexec_b32 s5, s0
	s_cbranch_execnz .LBB167_71
.LBB167_33:
	s_wait_alu 0xfffe
	s_or_b32 exec_lo, exec_lo, s5
	s_and_saveexec_b32 s5, s1
	s_cbranch_execnz .LBB167_72
.LBB167_34:
	s_wait_alu 0xfffe
	s_or_b32 exec_lo, exec_lo, s5
	s_and_saveexec_b32 s5, s2
	s_cbranch_execz .LBB167_36
.LBB167_35:
	v_bfe_u32 v4, v29, 16, 1
	v_dual_mov_b32 v10, v28 :: v_dual_mov_b32 v9, v29
	v_add_nc_u32_e32 v28, v21, v20
	s_delay_alu instid0(VALU_DEP_3) | instskip(SKIP_1) | instid1(VALU_DEP_4)
	v_add3_u32 v4, v29, v4, 0x7fff
	v_mov_b32_e32 v29, 0
	v_cmp_o_f32_e64 s3, v9, v9
	v_mov_b32_e32 v9, v27
	s_delay_alu instid0(VALU_DEP_4) | instskip(NEXT) | instid1(VALU_DEP_4)
	v_lshrrev_b32_e32 v4, 16, v4
	v_lshlrev_b64_e32 v[28:29], 1, v[28:29]
	s_wait_alu 0xf1ff
	s_delay_alu instid0(VALU_DEP_2) | instskip(SKIP_1) | instid1(VALU_DEP_2)
	v_cndmask_b32_e64 v4, 0x7fc0, v4, s3
	s_wait_kmcnt 0x0
	v_add_co_u32 v27, s3, s8, v28
	s_wait_alu 0xf1ff
	v_add_co_ci_u32_e64 v28, null, s9, v29, s3
	global_store_b16 v[27:28], v4, off
	v_dual_mov_b32 v28, v10 :: v_dual_mov_b32 v27, v9
.LBB167_36:
	s_wait_alu 0xfffe
	s_or_b32 exec_lo, exec_lo, s5
	v_add3_u32 v21, v1, s7, 24
	s_delay_alu instid0(VALU_DEP_1)
	v_cmp_gt_u32_e64 s3, s4, v21
	s_and_b32 exec_lo, exec_lo, s3
	s_cbranch_execz .LBB167_66
; %bb.37:
	v_mul_lo_u32 v21, v21, s6
	s_and_saveexec_b32 s5, vcc_lo
	s_cbranch_execnz .LBB167_73
; %bb.38:
	s_wait_alu 0xfffe
	s_or_b32 exec_lo, exec_lo, s5
	v_mov_b32_e32 v10, v24
	s_and_saveexec_b32 s5, s0
	s_cbranch_execnz .LBB167_74
.LBB167_39:
	s_wait_alu 0xfffe
	s_or_b32 exec_lo, exec_lo, s5
	s_and_saveexec_b32 s5, s1
	s_cbranch_execnz .LBB167_75
.LBB167_40:
	s_wait_alu 0xfffe
	s_or_b32 exec_lo, exec_lo, s5
	s_and_saveexec_b32 s5, s2
	s_cbranch_execz .LBB167_42
.LBB167_41:
	v_bfe_u32 v4, v10, 16, 1
	v_dual_mov_b32 v9, v23 :: v_dual_mov_b32 v24, 0
	v_add_nc_u32_e32 v23, v21, v20
	v_cmp_o_f32_e64 s3, v10, v10
	s_delay_alu instid0(VALU_DEP_4) | instskip(NEXT) | instid1(VALU_DEP_3)
	v_add3_u32 v4, v10, v4, 0x7fff
	v_lshlrev_b64_e32 v[23:24], 1, v[23:24]
	s_delay_alu instid0(VALU_DEP_2) | instskip(SKIP_1) | instid1(VALU_DEP_1)
	v_lshrrev_b32_e32 v4, 16, v4
	s_wait_alu 0xf1ff
	v_cndmask_b32_e64 v4, 0x7fc0, v4, s3
	s_wait_kmcnt 0x0
	s_delay_alu instid0(VALU_DEP_3)
	v_add_co_u32 v21, s3, s8, v23
	v_mov_b32_e32 v23, v9
	v_mov_b32_e32 v9, v22
	s_wait_alu 0xf1ff
	v_add_co_ci_u32_e64 v22, null, s9, v24, s3
	global_store_b16 v[21:22], v4, off
	v_mov_b32_e32 v22, v9
.LBB167_42:
	s_wait_alu 0xfffe
	s_or_b32 exec_lo, exec_lo, s5
	v_add3_u32 v21, v1, s7, 32
	s_delay_alu instid0(VALU_DEP_1)
	v_cmp_gt_u32_e64 s3, s4, v21
	s_and_b32 exec_lo, exec_lo, s3
	s_cbranch_execz .LBB167_66
; %bb.43:
	v_mul_lo_u32 v21, v21, s6
	s_and_saveexec_b32 s5, vcc_lo
	s_cbranch_execnz .LBB167_76
; %bb.44:
	s_wait_alu 0xfffe
	s_or_b32 exec_lo, exec_lo, s5
	s_and_saveexec_b32 s5, s0
	s_cbranch_execnz .LBB167_77
.LBB167_45:
	s_wait_alu 0xfffe
	s_or_b32 exec_lo, exec_lo, s5
	s_and_saveexec_b32 s5, s1
	s_cbranch_execnz .LBB167_78
.LBB167_46:
	s_wait_alu 0xfffe
	s_or_b32 exec_lo, exec_lo, s5
	s_and_saveexec_b32 s5, s2
	s_cbranch_execz .LBB167_48
.LBB167_47:
	v_bfe_u32 v4, v16, 16, 1
	v_dual_mov_b32 v18, 0 :: v_dual_add_nc_u32 v17, v21, v20
	v_cmp_o_f32_e64 s3, v16, v16
	s_delay_alu instid0(VALU_DEP_3) | instskip(NEXT) | instid1(VALU_DEP_3)
	v_add3_u32 v4, v16, v4, 0x7fff
	v_lshlrev_b64_e32 v[17:18], 1, v[17:18]
	s_delay_alu instid0(VALU_DEP_2) | instskip(SKIP_1) | instid1(VALU_DEP_1)
	v_lshrrev_b32_e32 v4, 16, v4
	s_wait_alu 0xf1ff
	v_cndmask_b32_e64 v4, 0x7fc0, v4, s3
	s_wait_kmcnt 0x0
	s_delay_alu instid0(VALU_DEP_3)
	v_add_co_u32 v16, s3, s8, v17
	s_wait_alu 0xf1ff
	v_add_co_ci_u32_e64 v17, null, s9, v18, s3
	global_store_b16 v[16:17], v4, off
.LBB167_48:
	s_wait_alu 0xfffe
	s_or_b32 exec_lo, exec_lo, s5
	v_add3_u32 v16, v1, s7, 40
	s_delay_alu instid0(VALU_DEP_1)
	v_cmp_gt_u32_e64 s3, s4, v16
	s_and_b32 exec_lo, exec_lo, s3
	s_cbranch_execz .LBB167_66
; %bb.49:
	v_mul_lo_u32 v16, v16, s6
	s_and_saveexec_b32 s5, vcc_lo
	s_cbranch_execnz .LBB167_79
; %bb.50:
	s_wait_alu 0xfffe
	s_or_b32 exec_lo, exec_lo, s5
	s_and_saveexec_b32 s5, s0
	s_cbranch_execnz .LBB167_80
.LBB167_51:
	s_wait_alu 0xfffe
	s_or_b32 exec_lo, exec_lo, s5
	s_and_saveexec_b32 s5, s1
	s_cbranch_execnz .LBB167_81
.LBB167_52:
	s_wait_alu 0xfffe
	s_or_b32 exec_lo, exec_lo, s5
	s_and_saveexec_b32 s5, s2
	s_cbranch_execz .LBB167_54
.LBB167_53:
	v_bfe_u32 v4, v12, 16, 1
	v_dual_mov_b32 v14, 0 :: v_dual_add_nc_u32 v13, v16, v20
	v_cmp_o_f32_e64 s3, v12, v12
	s_delay_alu instid0(VALU_DEP_3) | instskip(NEXT) | instid1(VALU_DEP_3)
	v_add3_u32 v4, v12, v4, 0x7fff
	v_lshlrev_b64_e32 v[13:14], 1, v[13:14]
	s_delay_alu instid0(VALU_DEP_2) | instskip(SKIP_1) | instid1(VALU_DEP_1)
	v_lshrrev_b32_e32 v4, 16, v4
	s_wait_alu 0xf1ff
	v_cndmask_b32_e64 v4, 0x7fc0, v4, s3
	s_wait_kmcnt 0x0
	s_delay_alu instid0(VALU_DEP_3)
	v_add_co_u32 v12, s3, s8, v13
	s_wait_alu 0xf1ff
	v_add_co_ci_u32_e64 v13, null, s9, v14, s3
	global_store_b16 v[12:13], v4, off
.LBB167_54:
	s_wait_alu 0xfffe
	s_or_b32 exec_lo, exec_lo, s5
	v_add3_u32 v12, v1, s7, 48
	s_delay_alu instid0(VALU_DEP_1)
	v_cmp_gt_u32_e64 s3, s4, v12
	s_and_b32 exec_lo, exec_lo, s3
	s_cbranch_execz .LBB167_66
; %bb.55:
	v_mul_lo_u32 v12, v12, s6
	s_and_saveexec_b32 s5, vcc_lo
	s_cbranch_execnz .LBB167_82
; %bb.56:
	s_wait_alu 0xfffe
	s_or_b32 exec_lo, exec_lo, s5
	s_and_saveexec_b32 s5, s0
	s_cbranch_execnz .LBB167_83
.LBB167_57:
	s_wait_alu 0xfffe
	s_or_b32 exec_lo, exec_lo, s5
	s_and_saveexec_b32 s5, s1
	s_cbranch_execnz .LBB167_84
.LBB167_58:
	s_wait_alu 0xfffe
	s_or_b32 exec_lo, exec_lo, s5
	s_and_saveexec_b32 s5, s2
	s_cbranch_execz .LBB167_60
.LBB167_59:
	v_bfe_u32 v4, v110, 16, 1
	v_dual_mov_b32 v10, 0 :: v_dual_add_nc_u32 v9, v12, v20
	v_cmp_o_f32_e64 s3, v110, v110
	s_delay_alu instid0(VALU_DEP_3) | instskip(NEXT) | instid1(VALU_DEP_3)
	v_add3_u32 v4, v110, v4, 0x7fff
	v_lshlrev_b64_e32 v[9:10], 1, v[9:10]
	s_delay_alu instid0(VALU_DEP_2) | instskip(SKIP_1) | instid1(VALU_DEP_1)
	v_lshrrev_b32_e32 v4, 16, v4
	s_wait_alu 0xf1ff
	v_cndmask_b32_e64 v4, 0x7fc0, v4, s3
	s_wait_kmcnt 0x0
	s_delay_alu instid0(VALU_DEP_3)
	v_add_co_u32 v8, s3, s8, v9
	s_wait_alu 0xf1ff
	v_add_co_ci_u32_e64 v9, null, s9, v10, s3
	global_store_b16 v[8:9], v4, off
.LBB167_60:
	s_wait_alu 0xfffe
	s_or_b32 exec_lo, exec_lo, s5
	v_add3_u32 v1, v1, s7, 56
	s_delay_alu instid0(VALU_DEP_1)
	v_cmp_gt_u32_e64 s3, s4, v1
	s_and_b32 exec_lo, exec_lo, s3
	s_cbranch_execz .LBB167_66
; %bb.61:
	v_mul_lo_u32 v1, v1, s6
	s_and_saveexec_b32 s3, vcc_lo
	s_cbranch_execnz .LBB167_85
; %bb.62:
	s_wait_alu 0xfffe
	s_or_b32 exec_lo, exec_lo, s3
	s_and_saveexec_b32 s3, s0
	s_cbranch_execnz .LBB167_86
.LBB167_63:
	s_wait_alu 0xfffe
	s_or_b32 exec_lo, exec_lo, s3
	s_and_saveexec_b32 s0, s1
	s_cbranch_execnz .LBB167_87
.LBB167_64:
	s_wait_alu 0xfffe
	s_or_b32 exec_lo, exec_lo, s0
	s_delay_alu instid0(SALU_CYCLE_1)
	s_and_b32 exec_lo, exec_lo, s2
	s_cbranch_execz .LBB167_66
.LBB167_65:
	v_bfe_u32 v2, v68, 16, 1
	v_dual_mov_b32 v1, 0 :: v_dual_add_nc_u32 v0, v1, v20
	v_cmp_o_f32_e32 vcc_lo, v68, v68
	s_delay_alu instid0(VALU_DEP_3) | instskip(NEXT) | instid1(VALU_DEP_3)
	v_add3_u32 v2, v68, v2, 0x7fff
	v_lshlrev_b64_e32 v[0:1], 1, v[0:1]
	s_delay_alu instid0(VALU_DEP_2) | instskip(SKIP_1) | instid1(VALU_DEP_1)
	v_lshrrev_b32_e32 v2, 16, v2
	s_wait_alu 0xfffd
	v_cndmask_b32_e32 v2, 0x7fc0, v2, vcc_lo
	s_wait_kmcnt 0x0
	s_delay_alu instid0(VALU_DEP_3)
	v_add_co_u32 v0, vcc_lo, s8, v0
	s_wait_alu 0xfffd
	v_add_co_ci_u32_e64 v1, null, s9, v1, vcc_lo
	global_store_b16 v[0:1], v2, off
.LBB167_66:
	s_nop 0
	s_sendmsg sendmsg(MSG_DEALLOC_VGPRS)
	s_endpgm
.LBB167_67:
	v_bfe_u32 v4, v52, 16, 1
	s_delay_alu instid0(VALU_DEP_2) | instskip(SKIP_1) | instid1(VALU_DEP_3)
	v_dual_mov_b32 v38, 0 :: v_dual_add_nc_u32 v37, v21, v0
	v_cmp_o_f32_e64 s3, v52, v52
	v_add3_u32 v4, v52, v4, 0x7fff
	s_delay_alu instid0(VALU_DEP_3) | instskip(NEXT) | instid1(VALU_DEP_2)
	v_lshlrev_b64_e32 v[37:38], 1, v[37:38]
	v_lshrrev_b32_e32 v4, 16, v4
	s_wait_alu 0xf1ff
	s_delay_alu instid0(VALU_DEP_1) | instskip(SKIP_1) | instid1(VALU_DEP_3)
	v_cndmask_b32_e64 v4, 0x7fc0, v4, s3
	s_wait_kmcnt 0x0
	v_add_co_u32 v37, s3, s8, v37
	s_wait_alu 0xf1ff
	v_add_co_ci_u32_e64 v38, null, s9, v38, s3
	global_store_b16 v[37:38], v4, off
	s_wait_alu 0xfffe
	s_or_b32 exec_lo, exec_lo, s5
	s_and_saveexec_b32 s5, s0
	s_cbranch_execz .LBB167_27
.LBB167_68:
	v_bfe_u32 v4, v45, 16, 1
	v_dual_mov_b32 v38, 0 :: v_dual_add_nc_u32 v37, v21, v2
	v_cmp_o_f32_e64 s3, v45, v45
	v_mov_b32_e32 v9, v36
	s_delay_alu instid0(VALU_DEP_4) | instskip(NEXT) | instid1(VALU_DEP_4)
	v_add3_u32 v4, v45, v4, 0x7fff
	v_lshlrev_b64_e32 v[37:38], 1, v[37:38]
	s_delay_alu instid0(VALU_DEP_2) | instskip(SKIP_1) | instid1(VALU_DEP_1)
	v_lshrrev_b32_e32 v4, 16, v4
	s_wait_alu 0xf1ff
	v_cndmask_b32_e64 v4, 0x7fc0, v4, s3
	s_wait_kmcnt 0x0
	s_delay_alu instid0(VALU_DEP_3)
	v_add_co_u32 v35, s3, s8, v37
	s_wait_alu 0xf1ff
	v_add_co_ci_u32_e64 v36, null, s9, v38, s3
	global_store_b16 v[35:36], v4, off
	v_mov_b32_e32 v36, v9
	s_wait_alu 0xfffe
	s_or_b32 exec_lo, exec_lo, s5
	s_and_saveexec_b32 s5, s1
	s_cbranch_execz .LBB167_28
.LBB167_69:
	v_bfe_u32 v4, v41, 16, 1
	v_add_nc_u32_e32 v35, v21, v3
	v_dual_mov_b32 v9, v36 :: v_dual_mov_b32 v36, 0
	v_cmp_o_f32_e64 s3, v41, v41
	s_delay_alu instid0(VALU_DEP_4) | instskip(NEXT) | instid1(VALU_DEP_3)
	v_add3_u32 v4, v41, v4, 0x7fff
	v_lshlrev_b64_e32 v[35:36], 1, v[35:36]
	s_delay_alu instid0(VALU_DEP_2) | instskip(SKIP_1) | instid1(VALU_DEP_1)
	v_lshrrev_b32_e32 v4, 16, v4
	s_wait_alu 0xf1ff
	v_cndmask_b32_e64 v4, 0x7fc0, v4, s3
	s_wait_kmcnt 0x0
	s_delay_alu instid0(VALU_DEP_3)
	v_add_co_u32 v33, s3, s8, v35
	s_wait_alu 0xf1ff
	v_add_co_ci_u32_e64 v34, null, s9, v36, s3
	v_mov_b32_e32 v36, v9
	global_store_b16 v[33:34], v4, off
	s_wait_alu 0xfffe
	s_or_b32 exec_lo, exec_lo, s5
	s_and_saveexec_b32 s5, s2
	s_cbranch_execnz .LBB167_29
	s_branch .LBB167_30
.LBB167_70:
	v_bfe_u32 v4, v32, 16, 1
	s_delay_alu instid0(VALU_DEP_2) | instskip(SKIP_1) | instid1(VALU_DEP_3)
	v_dual_mov_b32 v10, v31 :: v_dual_add_nc_u32 v31, v21, v0
	v_mov_b32_e32 v9, v32
	v_add3_u32 v4, v32, v4, 0x7fff
	v_mov_b32_e32 v32, 0
	s_delay_alu instid0(VALU_DEP_3) | instskip(SKIP_1) | instid1(VALU_DEP_4)
	v_cmp_o_f32_e64 s3, v9, v9
	v_mov_b32_e32 v9, v30
	v_lshrrev_b32_e32 v4, 16, v4
	s_delay_alu instid0(VALU_DEP_4) | instskip(SKIP_1) | instid1(VALU_DEP_2)
	v_lshlrev_b64_e32 v[31:32], 1, v[31:32]
	s_wait_alu 0xf1ff
	v_cndmask_b32_e64 v4, 0x7fc0, v4, s3
	s_wait_kmcnt 0x0
	s_delay_alu instid0(VALU_DEP_2)
	v_add_co_u32 v30, s3, s8, v31
	s_wait_alu 0xf1ff
	v_add_co_ci_u32_e64 v31, null, s9, v32, s3
	global_store_b16 v[30:31], v4, off
	v_dual_mov_b32 v31, v10 :: v_dual_mov_b32 v30, v9
	s_wait_alu 0xfffe
	s_or_b32 exec_lo, exec_lo, s5
	s_and_saveexec_b32 s5, s0
	s_cbranch_execz .LBB167_33
.LBB167_71:
	v_bfe_u32 v4, v31, 16, 1
	v_dual_mov_b32 v10, v30 :: v_dual_mov_b32 v9, v31
	v_add_nc_u32_e32 v30, v21, v2
	s_delay_alu instid0(VALU_DEP_3) | instskip(SKIP_1) | instid1(VALU_DEP_4)
	v_add3_u32 v4, v31, v4, 0x7fff
	v_mov_b32_e32 v31, 0
	v_cmp_o_f32_e64 s3, v9, v9
	v_mov_b32_e32 v9, v29
	s_delay_alu instid0(VALU_DEP_4) | instskip(NEXT) | instid1(VALU_DEP_4)
	v_lshrrev_b32_e32 v4, 16, v4
	v_lshlrev_b64_e32 v[30:31], 1, v[30:31]
	s_wait_alu 0xf1ff
	s_delay_alu instid0(VALU_DEP_2) | instskip(SKIP_1) | instid1(VALU_DEP_2)
	v_cndmask_b32_e64 v4, 0x7fc0, v4, s3
	s_wait_kmcnt 0x0
	v_add_co_u32 v29, s3, s8, v30
	s_wait_alu 0xf1ff
	v_add_co_ci_u32_e64 v30, null, s9, v31, s3
	global_store_b16 v[29:30], v4, off
	v_dual_mov_b32 v30, v10 :: v_dual_mov_b32 v29, v9
	s_wait_alu 0xfffe
	s_or_b32 exec_lo, exec_lo, s5
	s_and_saveexec_b32 s5, s1
	s_cbranch_execz .LBB167_34
.LBB167_72:
	v_bfe_u32 v4, v30, 16, 1
	v_dual_mov_b32 v10, v29 :: v_dual_mov_b32 v9, v30
	v_add_nc_u32_e32 v29, v21, v3
	s_delay_alu instid0(VALU_DEP_3) | instskip(SKIP_1) | instid1(VALU_DEP_4)
	v_add3_u32 v4, v30, v4, 0x7fff
	v_mov_b32_e32 v30, 0
	v_cmp_o_f32_e64 s3, v9, v9
	v_mov_b32_e32 v9, v28
	s_delay_alu instid0(VALU_DEP_4) | instskip(NEXT) | instid1(VALU_DEP_4)
	v_lshrrev_b32_e32 v4, 16, v4
	v_lshlrev_b64_e32 v[29:30], 1, v[29:30]
	s_wait_alu 0xf1ff
	s_delay_alu instid0(VALU_DEP_2) | instskip(SKIP_1) | instid1(VALU_DEP_2)
	v_cndmask_b32_e64 v4, 0x7fc0, v4, s3
	s_wait_kmcnt 0x0
	v_add_co_u32 v28, s3, s8, v29
	s_wait_alu 0xf1ff
	v_add_co_ci_u32_e64 v29, null, s9, v30, s3
	global_store_b16 v[28:29], v4, off
	v_dual_mov_b32 v29, v10 :: v_dual_mov_b32 v28, v9
	s_wait_alu 0xfffe
	s_or_b32 exec_lo, exec_lo, s5
	s_and_saveexec_b32 s5, s2
	s_cbranch_execnz .LBB167_35
	s_branch .LBB167_36
.LBB167_73:
	v_bfe_u32 v4, v28, 16, 1
	v_dual_mov_b32 v9, v27 :: v_dual_mov_b32 v10, v28
	s_delay_alu instid0(VALU_DEP_3) | instskip(NEXT) | instid1(VALU_DEP_3)
	v_add_nc_u32_e32 v27, v21, v0
	v_add3_u32 v4, v28, v4, 0x7fff
	v_mov_b32_e32 v28, 0
	s_delay_alu instid0(VALU_DEP_4) | instskip(NEXT) | instid1(VALU_DEP_3)
	v_cmp_o_f32_e64 s3, v10, v10
	v_lshrrev_b32_e32 v4, 16, v4
	s_delay_alu instid0(VALU_DEP_3) | instskip(SKIP_1) | instid1(VALU_DEP_2)
	v_lshlrev_b64_e32 v[27:28], 1, v[27:28]
	s_wait_alu 0xf1ff
	v_cndmask_b32_e64 v4, 0x7fc0, v4, s3
	s_wait_kmcnt 0x0
	s_delay_alu instid0(VALU_DEP_2)
	v_add_co_u32 v25, s3, s8, v27
	v_mov_b32_e32 v27, v9
	v_mov_b32_e32 v9, v26
	s_wait_alu 0xf1ff
	v_add_co_ci_u32_e64 v26, null, s9, v28, s3
	global_store_b16 v[25:26], v4, off
	v_mov_b32_e32 v26, v9
	s_wait_alu 0xfffe
	s_or_b32 exec_lo, exec_lo, s5
	v_mov_b32_e32 v10, v24
	s_and_saveexec_b32 s5, s0
	s_cbranch_execz .LBB167_39
.LBB167_74:
	v_bfe_u32 v4, v27, 16, 1
	v_add_nc_u32_e32 v25, v21, v2
	v_dual_mov_b32 v9, v26 :: v_dual_mov_b32 v26, 0
	v_cmp_o_f32_e64 s3, v27, v27
	s_delay_alu instid0(VALU_DEP_4) | instskip(NEXT) | instid1(VALU_DEP_3)
	v_add3_u32 v4, v27, v4, 0x7fff
	v_lshlrev_b64_e32 v[25:26], 1, v[25:26]
	s_delay_alu instid0(VALU_DEP_2) | instskip(SKIP_1) | instid1(VALU_DEP_1)
	v_lshrrev_b32_e32 v4, 16, v4
	s_wait_alu 0xf1ff
	v_cndmask_b32_e64 v4, 0x7fc0, v4, s3
	s_wait_kmcnt 0x0
	s_delay_alu instid0(VALU_DEP_3)
	v_add_co_u32 v24, s3, s8, v25
	s_wait_alu 0xf1ff
	v_add_co_ci_u32_e64 v25, null, s9, v26, s3
	v_mov_b32_e32 v26, v9
	global_store_b16 v[24:25], v4, off
	s_wait_alu 0xfffe
	s_or_b32 exec_lo, exec_lo, s5
	s_and_saveexec_b32 s5, s1
	s_cbranch_execz .LBB167_40
.LBB167_75:
	v_bfe_u32 v4, v26, 16, 1
	v_dual_mov_b32 v25, 0 :: v_dual_add_nc_u32 v24, v21, v3
	v_cmp_o_f32_e64 s3, v26, v26
	v_mov_b32_e32 v9, v23
	s_delay_alu instid0(VALU_DEP_4) | instskip(NEXT) | instid1(VALU_DEP_4)
	v_add3_u32 v4, v26, v4, 0x7fff
	v_lshlrev_b64_e32 v[24:25], 1, v[24:25]
	s_delay_alu instid0(VALU_DEP_2) | instskip(SKIP_1) | instid1(VALU_DEP_1)
	v_lshrrev_b32_e32 v4, 16, v4
	s_wait_alu 0xf1ff
	v_cndmask_b32_e64 v4, 0x7fc0, v4, s3
	s_wait_kmcnt 0x0
	s_delay_alu instid0(VALU_DEP_3)
	v_add_co_u32 v23, s3, s8, v24
	s_wait_alu 0xf1ff
	v_add_co_ci_u32_e64 v24, null, s9, v25, s3
	global_store_b16 v[23:24], v4, off
	v_mov_b32_e32 v23, v9
	s_wait_alu 0xfffe
	s_or_b32 exec_lo, exec_lo, s5
	s_and_saveexec_b32 s5, s2
	s_cbranch_execnz .LBB167_41
	s_branch .LBB167_42
.LBB167_76:
	v_bfe_u32 v4, v23, 16, 1
	s_delay_alu instid0(VALU_DEP_2) | instskip(SKIP_1) | instid1(VALU_DEP_3)
	v_dual_mov_b32 v9, v22 :: v_dual_add_nc_u32 v22, v21, v0
	v_mov_b32_e32 v10, v23
	v_add3_u32 v4, v23, v4, 0x7fff
	v_mov_b32_e32 v23, 0
	s_delay_alu instid0(VALU_DEP_3) | instskip(NEXT) | instid1(VALU_DEP_3)
	v_cmp_o_f32_e64 s3, v10, v10
	v_lshrrev_b32_e32 v4, 16, v4
	s_delay_alu instid0(VALU_DEP_3) | instskip(SKIP_1) | instid1(VALU_DEP_2)
	v_lshlrev_b64_e32 v[22:23], 1, v[22:23]
	s_wait_alu 0xf1ff
	v_cndmask_b32_e64 v4, 0x7fc0, v4, s3
	s_wait_kmcnt 0x0
	s_delay_alu instid0(VALU_DEP_2)
	v_add_co_u32 v22, s3, s8, v22
	s_wait_alu 0xf1ff
	v_add_co_ci_u32_e64 v23, null, s9, v23, s3
	global_store_b16 v[22:23], v4, off
	v_mov_b32_e32 v22, v9
	s_wait_alu 0xfffe
	s_or_b32 exec_lo, exec_lo, s5
	s_and_saveexec_b32 s5, s0
	s_cbranch_execz .LBB167_45
.LBB167_77:
	v_bfe_u32 v4, v22, 16, 1
	v_dual_mov_b32 v9, v22 :: v_dual_add_nc_u32 v22, v21, v2
	v_mov_b32_e32 v23, 0
	s_delay_alu instid0(VALU_DEP_2) | instskip(SKIP_1) | instid1(VALU_DEP_3)
	v_add3_u32 v4, v9, v4, 0x7fff
	v_cmp_o_f32_e64 s3, v9, v9
	v_lshlrev_b64_e32 v[22:23], 1, v[22:23]
	v_mov_b32_e32 v9, v19
	s_delay_alu instid0(VALU_DEP_4) | instskip(SKIP_1) | instid1(VALU_DEP_1)
	v_lshrrev_b32_e32 v4, 16, v4
	s_wait_alu 0xf1ff
	v_cndmask_b32_e64 v4, 0x7fc0, v4, s3
	s_wait_kmcnt 0x0
	v_add_co_u32 v18, s3, s8, v22
	s_wait_alu 0xf1ff
	v_add_co_ci_u32_e64 v19, null, s9, v23, s3
	global_store_b16 v[18:19], v4, off
	v_mov_b32_e32 v19, v9
	s_wait_alu 0xfffe
	s_or_b32 exec_lo, exec_lo, s5
	s_and_saveexec_b32 s5, s1
	s_cbranch_execz .LBB167_46
.LBB167_78:
	v_bfe_u32 v4, v19, 16, 1
	v_dual_mov_b32 v9, v19 :: v_dual_add_nc_u32 v18, v21, v3
	s_delay_alu instid0(VALU_DEP_2) | instskip(SKIP_1) | instid1(VALU_DEP_3)
	v_add3_u32 v4, v19, v4, 0x7fff
	v_mov_b32_e32 v19, 0
	v_cmp_o_f32_e64 s3, v9, v9
	s_delay_alu instid0(VALU_DEP_3) | instskip(NEXT) | instid1(VALU_DEP_3)
	v_lshrrev_b32_e32 v4, 16, v4
	v_lshlrev_b64_e32 v[18:19], 1, v[18:19]
	s_wait_alu 0xf1ff
	s_delay_alu instid0(VALU_DEP_2) | instskip(SKIP_1) | instid1(VALU_DEP_2)
	v_cndmask_b32_e64 v4, 0x7fc0, v4, s3
	s_wait_kmcnt 0x0
	v_add_co_u32 v17, s3, s8, v18
	s_wait_alu 0xf1ff
	v_add_co_ci_u32_e64 v18, null, s9, v19, s3
	global_store_b16 v[17:18], v4, off
	s_wait_alu 0xfffe
	s_or_b32 exec_lo, exec_lo, s5
	s_and_saveexec_b32 s5, s2
	s_cbranch_execnz .LBB167_47
	s_branch .LBB167_48
.LBB167_79:
	v_bfe_u32 v4, v8, 16, 1
	s_delay_alu instid0(VALU_DEP_2) | instskip(SKIP_1) | instid1(VALU_DEP_3)
	v_dual_mov_b32 v18, 0 :: v_dual_add_nc_u32 v17, v16, v0
	v_cmp_o_f32_e64 s3, v8, v8
	v_add3_u32 v4, v8, v4, 0x7fff
	s_delay_alu instid0(VALU_DEP_3) | instskip(NEXT) | instid1(VALU_DEP_2)
	v_lshlrev_b64_e32 v[17:18], 1, v[17:18]
	v_lshrrev_b32_e32 v4, 16, v4
	s_wait_alu 0xf1ff
	s_delay_alu instid0(VALU_DEP_1) | instskip(SKIP_1) | instid1(VALU_DEP_3)
	v_cndmask_b32_e64 v4, 0x7fc0, v4, s3
	s_wait_kmcnt 0x0
	v_add_co_u32 v17, s3, s8, v17
	s_wait_alu 0xf1ff
	v_add_co_ci_u32_e64 v18, null, s9, v18, s3
	global_store_b16 v[17:18], v4, off
	s_wait_alu 0xfffe
	s_or_b32 exec_lo, exec_lo, s5
	s_and_saveexec_b32 s5, s0
	s_cbranch_execz .LBB167_51
.LBB167_80:
	v_bfe_u32 v4, v7, 16, 1
	v_dual_mov_b32 v18, 0 :: v_dual_add_nc_u32 v17, v16, v2
	v_cmp_o_f32_e64 s3, v7, v7
	s_delay_alu instid0(VALU_DEP_3) | instskip(SKIP_1) | instid1(VALU_DEP_4)
	v_add3_u32 v4, v7, v4, 0x7fff
	v_mov_b32_e32 v7, v15
	v_lshlrev_b64_e32 v[17:18], 1, v[17:18]
	s_delay_alu instid0(VALU_DEP_3) | instskip(SKIP_1) | instid1(VALU_DEP_1)
	v_lshrrev_b32_e32 v4, 16, v4
	s_wait_alu 0xf1ff
	v_cndmask_b32_e64 v4, 0x7fc0, v4, s3
	s_wait_kmcnt 0x0
	s_delay_alu instid0(VALU_DEP_3)
	v_add_co_u32 v14, s3, s8, v17
	s_wait_alu 0xf1ff
	v_add_co_ci_u32_e64 v15, null, s9, v18, s3
	global_store_b16 v[14:15], v4, off
	v_mov_b32_e32 v15, v7
	s_wait_alu 0xfffe
	s_or_b32 exec_lo, exec_lo, s5
	s_and_saveexec_b32 s5, s1
	s_cbranch_execz .LBB167_52
.LBB167_81:
	v_bfe_u32 v4, v15, 16, 1
	v_dual_mov_b32 v7, v15 :: v_dual_add_nc_u32 v14, v16, v3
	s_delay_alu instid0(VALU_DEP_2) | instskip(SKIP_1) | instid1(VALU_DEP_3)
	v_add3_u32 v4, v15, v4, 0x7fff
	v_mov_b32_e32 v15, 0
	v_cmp_o_f32_e64 s3, v7, v7
	s_delay_alu instid0(VALU_DEP_3) | instskip(NEXT) | instid1(VALU_DEP_3)
	v_lshrrev_b32_e32 v4, 16, v4
	v_lshlrev_b64_e32 v[14:15], 1, v[14:15]
	s_wait_alu 0xf1ff
	s_delay_alu instid0(VALU_DEP_2) | instskip(SKIP_1) | instid1(VALU_DEP_2)
	v_cndmask_b32_e64 v4, 0x7fc0, v4, s3
	s_wait_kmcnt 0x0
	v_add_co_u32 v13, s3, s8, v14
	s_wait_alu 0xf1ff
	v_add_co_ci_u32_e64 v14, null, s9, v15, s3
	global_store_b16 v[13:14], v4, off
	s_wait_alu 0xfffe
	s_or_b32 exec_lo, exec_lo, s5
	s_and_saveexec_b32 s5, s2
	s_cbranch_execnz .LBB167_53
	s_branch .LBB167_54
.LBB167_82:
	v_bfe_u32 v4, v6, 16, 1
	s_delay_alu instid0(VALU_DEP_2) | instskip(SKIP_1) | instid1(VALU_DEP_3)
	v_dual_mov_b32 v14, 0 :: v_dual_add_nc_u32 v13, v12, v0
	v_cmp_o_f32_e64 s3, v6, v6
	v_add3_u32 v4, v6, v4, 0x7fff
	s_delay_alu instid0(VALU_DEP_3) | instskip(NEXT) | instid1(VALU_DEP_2)
	v_lshlrev_b64_e32 v[13:14], 1, v[13:14]
	v_lshrrev_b32_e32 v4, 16, v4
	s_wait_alu 0xf1ff
	s_delay_alu instid0(VALU_DEP_1) | instskip(SKIP_1) | instid1(VALU_DEP_3)
	v_cndmask_b32_e64 v4, 0x7fc0, v4, s3
	s_wait_kmcnt 0x0
	v_add_co_u32 v13, s3, s8, v13
	s_wait_alu 0xf1ff
	v_add_co_ci_u32_e64 v14, null, s9, v14, s3
	global_store_b16 v[13:14], v4, off
	s_wait_alu 0xfffe
	s_or_b32 exec_lo, exec_lo, s5
	s_and_saveexec_b32 s5, s0
	s_cbranch_execz .LBB167_57
.LBB167_83:
	v_bfe_u32 v4, v5, 16, 1
	v_dual_mov_b32 v14, 0 :: v_dual_add_nc_u32 v13, v12, v2
	v_cmp_o_f32_e64 s3, v5, v5
	s_delay_alu instid0(VALU_DEP_3) | instskip(SKIP_1) | instid1(VALU_DEP_4)
	v_add3_u32 v4, v5, v4, 0x7fff
	v_mov_b32_e32 v5, v11
	v_lshlrev_b64_e32 v[13:14], 1, v[13:14]
	s_delay_alu instid0(VALU_DEP_3) | instskip(SKIP_1) | instid1(VALU_DEP_1)
	v_lshrrev_b32_e32 v4, 16, v4
	s_wait_alu 0xf1ff
	v_cndmask_b32_e64 v4, 0x7fc0, v4, s3
	s_wait_kmcnt 0x0
	s_delay_alu instid0(VALU_DEP_3)
	v_add_co_u32 v10, s3, s8, v13
	s_wait_alu 0xf1ff
	v_add_co_ci_u32_e64 v11, null, s9, v14, s3
	global_store_b16 v[10:11], v4, off
	v_mov_b32_e32 v11, v5
	s_wait_alu 0xfffe
	s_or_b32 exec_lo, exec_lo, s5
	s_and_saveexec_b32 s5, s1
	s_cbranch_execz .LBB167_58
.LBB167_84:
	v_bfe_u32 v4, v11, 16, 1
	v_dual_mov_b32 v5, v11 :: v_dual_add_nc_u32 v10, v12, v3
	s_delay_alu instid0(VALU_DEP_2) | instskip(SKIP_1) | instid1(VALU_DEP_3)
	v_add3_u32 v4, v11, v4, 0x7fff
	v_mov_b32_e32 v11, 0
	v_cmp_o_f32_e64 s3, v5, v5
	s_delay_alu instid0(VALU_DEP_3) | instskip(NEXT) | instid1(VALU_DEP_3)
	v_lshrrev_b32_e32 v4, 16, v4
	v_lshlrev_b64_e32 v[10:11], 1, v[10:11]
	s_wait_alu 0xf1ff
	s_delay_alu instid0(VALU_DEP_2) | instskip(SKIP_1) | instid1(VALU_DEP_2)
	v_cndmask_b32_e64 v4, 0x7fc0, v4, s3
	s_wait_kmcnt 0x0
	v_add_co_u32 v9, s3, s8, v10
	s_wait_alu 0xf1ff
	v_add_co_ci_u32_e64 v10, null, s9, v11, s3
	global_store_b16 v[9:10], v4, off
	s_wait_alu 0xfffe
	s_or_b32 exec_lo, exec_lo, s5
	s_and_saveexec_b32 s5, s2
	s_cbranch_execnz .LBB167_59
	s_branch .LBB167_60
.LBB167_85:
	v_bfe_u32 v4, v94, 16, 1
	s_delay_alu instid0(VALU_DEP_2) | instskip(SKIP_1) | instid1(VALU_DEP_3)
	v_dual_mov_b32 v9, 0 :: v_dual_add_nc_u32 v8, v1, v0
	v_cmp_o_f32_e32 vcc_lo, v94, v94
	v_add3_u32 v0, v94, v4, 0x7fff
	s_delay_alu instid0(VALU_DEP_3) | instskip(NEXT) | instid1(VALU_DEP_2)
	v_lshlrev_b64_e32 v[8:9], 1, v[8:9]
	v_lshrrev_b32_e32 v0, 16, v0
	s_wait_alu 0xfffd
	s_delay_alu instid0(VALU_DEP_1) | instskip(SKIP_1) | instid1(VALU_DEP_3)
	v_cndmask_b32_e32 v0, 0x7fc0, v0, vcc_lo
	s_wait_kmcnt 0x0
	v_add_co_u32 v7, vcc_lo, s8, v8
	s_wait_alu 0xfffd
	v_add_co_ci_u32_e64 v8, null, s9, v9, vcc_lo
	global_store_b16 v[7:8], v0, off
	s_wait_alu 0xfffe
	s_or_b32 exec_lo, exec_lo, s3
	s_and_saveexec_b32 s3, s0
	s_cbranch_execz .LBB167_63
.LBB167_86:
	v_bfe_u32 v0, v93, 16, 1
	v_dual_mov_b32 v8, 0 :: v_dual_add_nc_u32 v7, v1, v2
	v_cmp_o_f32_e32 vcc_lo, v93, v93
	s_delay_alu instid0(VALU_DEP_3) | instskip(NEXT) | instid1(VALU_DEP_3)
	v_add3_u32 v0, v93, v0, 0x7fff
	v_lshlrev_b64_e32 v[7:8], 1, v[7:8]
	s_delay_alu instid0(VALU_DEP_2) | instskip(SKIP_1) | instid1(VALU_DEP_1)
	v_lshrrev_b32_e32 v0, 16, v0
	s_wait_alu 0xfffd
	v_cndmask_b32_e32 v0, 0x7fc0, v0, vcc_lo
	s_wait_kmcnt 0x0
	s_delay_alu instid0(VALU_DEP_3)
	v_add_co_u32 v6, vcc_lo, s8, v7
	s_wait_alu 0xfffd
	v_add_co_ci_u32_e64 v7, null, s9, v8, vcc_lo
	global_store_b16 v[6:7], v0, off
	s_wait_alu 0xfffe
	s_or_b32 exec_lo, exec_lo, s3
	s_and_saveexec_b32 s0, s1
	s_cbranch_execz .LBB167_64
.LBB167_87:
	v_bfe_u32 v0, v92, 16, 1
	v_dual_mov_b32 v3, 0 :: v_dual_add_nc_u32 v2, v1, v3
	v_cmp_o_f32_e32 vcc_lo, v92, v92
	s_delay_alu instid0(VALU_DEP_3) | instskip(NEXT) | instid1(VALU_DEP_3)
	v_add3_u32 v0, v92, v0, 0x7fff
	v_lshlrev_b64_e32 v[2:3], 1, v[2:3]
	s_delay_alu instid0(VALU_DEP_2) | instskip(SKIP_1) | instid1(VALU_DEP_1)
	v_lshrrev_b32_e32 v0, 16, v0
	s_wait_alu 0xfffd
	v_cndmask_b32_e32 v0, 0x7fc0, v0, vcc_lo
	s_wait_kmcnt 0x0
	s_delay_alu instid0(VALU_DEP_3)
	v_add_co_u32 v2, vcc_lo, s8, v2
	s_wait_alu 0xfffd
	v_add_co_ci_u32_e64 v3, null, s9, v3, vcc_lo
	global_store_b16 v[2:3], v0, off
	s_wait_alu 0xfffe
	s_or_b32 exec_lo, exec_lo, s0
	s_delay_alu instid0(SALU_CYCLE_1)
	s_and_b32 exec_lo, exec_lo, s2
	s_cbranch_execnz .LBB167_65
	s_branch .LBB167_66
	.section	.rodata,"a",@progbits
	.p2align	6, 0x0
	.amdhsa_kernel _ZL12mul_mat_q2_KIN3c108BFloat16ELb0EEvPKvS3_PT_iiiii
		.amdhsa_group_segment_fixed_size 31392
		.amdhsa_private_segment_fixed_size 360
		.amdhsa_kernarg_size 44
		.amdhsa_user_sgpr_count 2
		.amdhsa_user_sgpr_dispatch_ptr 0
		.amdhsa_user_sgpr_queue_ptr 0
		.amdhsa_user_sgpr_kernarg_segment_ptr 1
		.amdhsa_user_sgpr_dispatch_id 0
		.amdhsa_user_sgpr_private_segment_size 0
		.amdhsa_wavefront_size32 1
		.amdhsa_uses_dynamic_stack 0
		.amdhsa_enable_private_segment 1
		.amdhsa_system_sgpr_workgroup_id_x 1
		.amdhsa_system_sgpr_workgroup_id_y 1
		.amdhsa_system_sgpr_workgroup_id_z 0
		.amdhsa_system_sgpr_workgroup_info 0
		.amdhsa_system_vgpr_workitem_id 1
		.amdhsa_next_free_vgpr 256
		.amdhsa_next_free_sgpr 22
		.amdhsa_reserve_vcc 1
		.amdhsa_float_round_mode_32 0
		.amdhsa_float_round_mode_16_64 0
		.amdhsa_float_denorm_mode_32 3
		.amdhsa_float_denorm_mode_16_64 3
		.amdhsa_fp16_overflow 0
		.amdhsa_workgroup_processor_mode 1
		.amdhsa_memory_ordered 1
		.amdhsa_forward_progress 1
		.amdhsa_inst_pref_size 255
		.amdhsa_round_robin_scheduling 0
		.amdhsa_exception_fp_ieee_invalid_op 0
		.amdhsa_exception_fp_denorm_src 0
		.amdhsa_exception_fp_ieee_div_zero 0
		.amdhsa_exception_fp_ieee_overflow 0
		.amdhsa_exception_fp_ieee_underflow 0
		.amdhsa_exception_fp_ieee_inexact 0
		.amdhsa_exception_int_div_zero 0
	.end_amdhsa_kernel
	.section	.text._ZL12mul_mat_q2_KIN3c108BFloat16ELb0EEvPKvS3_PT_iiiii,"axG",@progbits,_ZL12mul_mat_q2_KIN3c108BFloat16ELb0EEvPKvS3_PT_iiiii,comdat
.Lfunc_end167:
	.size	_ZL12mul_mat_q2_KIN3c108BFloat16ELb0EEvPKvS3_PT_iiiii, .Lfunc_end167-_ZL12mul_mat_q2_KIN3c108BFloat16ELb0EEvPKvS3_PT_iiiii
                                        ; -- End function
	.set _ZL12mul_mat_q2_KIN3c108BFloat16ELb0EEvPKvS3_PT_iiiii.num_vgpr, 256
	.set _ZL12mul_mat_q2_KIN3c108BFloat16ELb0EEvPKvS3_PT_iiiii.num_agpr, 0
	.set _ZL12mul_mat_q2_KIN3c108BFloat16ELb0EEvPKvS3_PT_iiiii.numbered_sgpr, 22
	.set _ZL12mul_mat_q2_KIN3c108BFloat16ELb0EEvPKvS3_PT_iiiii.num_named_barrier, 0
	.set _ZL12mul_mat_q2_KIN3c108BFloat16ELb0EEvPKvS3_PT_iiiii.private_seg_size, 360
	.set _ZL12mul_mat_q2_KIN3c108BFloat16ELb0EEvPKvS3_PT_iiiii.uses_vcc, 1
	.set _ZL12mul_mat_q2_KIN3c108BFloat16ELb0EEvPKvS3_PT_iiiii.uses_flat_scratch, 1
	.set _ZL12mul_mat_q2_KIN3c108BFloat16ELb0EEvPKvS3_PT_iiiii.has_dyn_sized_stack, 0
	.set _ZL12mul_mat_q2_KIN3c108BFloat16ELb0EEvPKvS3_PT_iiiii.has_recursion, 0
	.set _ZL12mul_mat_q2_KIN3c108BFloat16ELb0EEvPKvS3_PT_iiiii.has_indirect_call, 0
	.section	.AMDGPU.csdata,"",@progbits
; Kernel info:
; codeLenInByte = 46896
; TotalNumSgprs: 24
; NumVgprs: 256
; ScratchSize: 360
; MemoryBound: 0
; FloatMode: 240
; IeeeMode: 1
; LDSByteSize: 31392 bytes/workgroup (compile time only)
; SGPRBlocks: 0
; VGPRBlocks: 31
; NumSGPRsForWavesPerEU: 24
; NumVGPRsForWavesPerEU: 256
; Occupancy: 5
; WaveLimiterHint : 0
; COMPUTE_PGM_RSRC2:SCRATCH_EN: 1
; COMPUTE_PGM_RSRC2:USER_SGPR: 2
; COMPUTE_PGM_RSRC2:TRAP_HANDLER: 0
; COMPUTE_PGM_RSRC2:TGID_X_EN: 1
; COMPUTE_PGM_RSRC2:TGID_Y_EN: 1
; COMPUTE_PGM_RSRC2:TGID_Z_EN: 0
; COMPUTE_PGM_RSRC2:TIDIG_COMP_CNT: 1
	.section	.text._ZL12mul_mat_q2_KIN3c108BFloat16ELb1EEvPKvS3_PT_iiiii,"axG",@progbits,_ZL12mul_mat_q2_KIN3c108BFloat16ELb1EEvPKvS3_PT_iiiii,comdat
	.globl	_ZL12mul_mat_q2_KIN3c108BFloat16ELb1EEvPKvS3_PT_iiiii ; -- Begin function _ZL12mul_mat_q2_KIN3c108BFloat16ELb1EEvPKvS3_PT_iiiii
	.p2align	8
	.type	_ZL12mul_mat_q2_KIN3c108BFloat16ELb1EEvPKvS3_PT_iiiii,@function
_ZL12mul_mat_q2_KIN3c108BFloat16ELb1EEvPKvS3_PT_iiiii: ; @_ZL12mul_mat_q2_KIN3c108BFloat16ELb1EEvPKvS3_PT_iiiii
; %bb.0:
	s_clause 0x1
	s_load_b128 s[4:7], s[0:1], 0x18
	s_load_b32 s12, s[0:1], 0x28
	v_bfe_u32 v1, v0, 10, 10
	v_and_b32_e32 v76, 0x3ff, v0
	s_lshl_b32 s13, ttmp7, 6
	scratch_store_b32 off, v1, off offset:480 ; 4-byte Folded Spill
	s_wait_kmcnt 0x0
	s_cmp_gt_i32 s4, 0xff
	s_cbranch_scc1 .LBB168_2
; %bb.1:
	v_bfe_u32 v1, v0, 10, 10
	v_and_b32_e32 v2, 0x3ff, v0
	s_mov_b32 s2, 0
	s_delay_alu instid0(VALU_DEP_2)
	v_add_nc_u32_e32 v3, s13, v1
	s_branch .LBB168_3
.LBB168_2:
	s_mov_b32 s2, -1
                                        ; implicit-def: $vgpr1
                                        ; implicit-def: $vgpr2
                                        ; implicit-def: $vgpr3
.LBB168_3:
	s_load_b64 s[8:9], s[0:1], 0x10
	v_dual_mov_b32 v20, 0 :: v_dual_mov_b32 v29, 0
	v_dual_mov_b32 v122, 0 :: v_dual_mov_b32 v33, 0
	;; [unrolled: 1-line block ×15, first 2 shown]
	v_mov_b32_e32 v68, 0
	v_mov_b32_e32 v124, 0
	s_and_not1_b32 vcc_lo, exec_lo, s2
	s_lshl_b32 s14, ttmp9, 7
	s_cbranch_vccnz .LBB168_15
; %bb.4:
	v_bfe_u32 v35, v0, 10, 10
	s_not_b32 s16, s14
	v_dual_mov_b32 v124, 0 :: v_dual_lshlrev_b32 v1, 2, v76
	s_add_co_i32 s5, s5, s16
	v_bfe_u32 v3, v0, 4, 6
	v_min_i32_e32 v2, s5, v35
	s_ashr_i32 s10, s4, 31
	v_and_b32_e32 v34, 12, v1
	s_lshr_b32 s10, s10, 24
	v_mov_b32_e32 v68, 0
	v_mad_co_u64_u32 v[4:5], null, 0x84, v2, v[1:2]
	scratch_store_b32 off, v3, off offset:136 ; 4-byte Folded Spill
	v_and_b32_e32 v3, 60, v1
	s_add_co_i32 s4, s4, s10
	v_dual_mov_b32 v63, 0 :: v_dual_add_nc_u32 v20, 8, v35
	s_wait_alu 0xfffe
	s_ashr_i32 s15, s4, 8
	s_clause 0x1
	scratch_store_b32 off, v3, off offset:224
	scratch_store_b32 off, v34, off offset:432
	v_mul_lo_u32 v3, v2, s15
	v_dual_mov_b32 v66, 0 :: v_dual_add_nc_u32 v15, s13, v35
	v_dual_mov_b32 v38, 0 :: v_dual_add_nc_u32 v21, 16, v35
	scratch_store_b64 off, v[4:5], off offset:232 ; 8-byte Folded Spill
	v_dual_mov_b32 v43, 0 :: v_dual_add_nc_u32 v22, 24, v35
	s_clause 0x1
	scratch_store_b32 off, v3, off offset:228
	scratch_store_b32 off, v15, off offset:484
	v_min_i32_e32 v3, s5, v20
	v_min_i32_e32 v2, s5, v21
	v_add_nc_u32_e32 v23, 32, v35
	v_add_nc_u32_e32 v24, 40, v35
	v_add_nc_u32_e32 v25, 48, v35
	v_mul_lo_u32 v4, v3, s15
	v_dual_mov_b32 v147, 0 :: v_dual_add_nc_u32 v26, 56, v35
	s_ashr_i32 s11, s7, 31
	v_add_nc_u32_e32 v18, 0x68, v35
	s_lshr_b32 s4, s11, 27
	v_dual_mov_b32 v51, 0 :: v_dual_add_nc_u32 v8, 16, v15
	scratch_store_b32 off, v4, off offset:240 ; 4-byte Folded Spill
	v_mad_co_u64_u32 v[3:4], null, 0x84, v3, v[1:2]
	s_wait_alu 0xfffe
	s_add_co_i32 s4, s7, s4
	s_add_co_i32 s7, s6, -1
	v_dual_mov_b32 v41, 0 :: v_dual_add_nc_u32 v10, 24, v15
	v_dual_mov_b32 v39, 0 :: v_dual_add_nc_u32 v12, 32, v15
	scratch_store_b64 off, v[3:4], off offset:244 ; 8-byte Folded Spill
	v_mul_lo_u32 v3, v2, s15
	v_mad_co_u64_u32 v[4:5], null, 0x84, v2, v[1:2]
	v_add_nc_u32_e32 v14, 40, v15
	v_dual_mov_b32 v56, 0 :: v_dual_add_nc_u32 v17, 48, v15
	v_add_nc_u32_e32 v19, 56, v15
	v_min_i32_e32 v29, s5, v18
	scratch_store_b32 off, v3, off offset:252 ; 4-byte Folded Spill
	v_min_i32_e32 v3, s5, v22
	v_cvt_f64_u32_e32 v[8:9], v8
	v_cvt_f64_u32_e32 v[10:11], v10
	v_cvt_f64_u32_e32 v[12:13], v12
	v_cvt_f64_u32_e32 v[18:19], v19
	v_mul_lo_u32 v2, v3, s15
	scratch_store_b64 off, v[4:5], off offset:256 ; 8-byte Folded Spill
	v_add_nc_u32_e32 v30, 0x70, v35
	v_bfe_u32 v59, v0, 2, 8
	s_load_b128 s[0:3], s[0:1], 0x0
	s_ashr_i32 s4, s4, 5
	v_lshlrev_b32_e32 v61, 5, v20
	v_lshlrev_b32_e32 v65, 5, v21
	scratch_store_b32 off, v2, off offset:264 ; 4-byte Folded Spill
	v_min_i32_e32 v2, s5, v23
	v_lshlrev_b32_e32 v60, 5, v35
	s_mul_i32 s10, s15, s14
	v_lshlrev_b32_e32 v69, 5, v22
	s_ashr_i32 s11, s10, 31
	v_mad_co_u64_u32 v[3:4], null, 0x84, v3, v[1:2]
	v_lshlrev_b32_e32 v123, 5, v26
	v_lshlrev_b32_e32 v73, 5, v76
	;; [unrolled: 1-line block ×3, first 2 shown]
	s_mul_u64 s[10:11], s[10:11], 0x54
	v_mov_b32_e32 v62, 0
	v_mov_b32_e32 v42, 0
	scratch_store_b64 off, v[3:4], off offset:268 ; 8-byte Folded Spill
	v_mul_lo_u32 v4, v2, s15
	v_min_i32_e32 v3, s5, v24
	s_wait_kmcnt 0x0
	s_add_nc_u64 s[0:1], s[0:1], s[10:11]
	v_mov_b32_e32 v67, 0
	v_dual_mov_b32 v45, 0 :: v_dual_mov_b32 v64, 0
	v_mov_b32_e32 v74, 0
	v_mov_b32_e32 v40, 0
	scratch_store_b32 off, v4, off offset:276 ; 4-byte Folded Spill
	v_mad_co_u64_u32 v[4:5], null, 0x84, v2, v[1:2]
	v_mul_lo_u32 v2, v3, s15
	v_mov_b32_e32 v122, 0
	s_clause 0x1
	scratch_store_b64 off, v[4:5], off offset:280
	scratch_store_b32 off, v2, off offset:288
	v_min_i32_e32 v2, s5, v25
	s_delay_alu instid0(VALU_DEP_1)
	v_mad_co_u64_u32 v[3:4], null, 0x84, v3, v[1:2]
	v_mad_co_u64_u32 v[5:6], null, 0x84, v2, v[1:2]
	scratch_store_b64 off, v[3:4], off offset:292 ; 8-byte Folded Spill
	v_mul_lo_u32 v4, v2, s15
	v_add_nc_u32_e32 v3, 64, v35
	scratch_store_b64 off, v[5:6], off offset:304 ; 8-byte Folded Spill
	v_min_i32_e32 v2, s5, v3
	v_add_nc_u32_e32 v3, 0x48, v35
	scratch_store_b32 off, v4, off offset:300 ; 4-byte Folded Spill
	v_min_i32_e32 v4, s5, v26
	v_min_i32_e32 v3, s5, v3
	s_delay_alu instid0(VALU_DEP_2)
	v_mul_lo_u32 v5, v4, s15
	scratch_store_b32 off, v5, off offset:312 ; 4-byte Folded Spill
	v_mad_co_u64_u32 v[4:5], null, 0x84, v4, v[1:2]
	scratch_store_b64 off, v[4:5], off offset:316 ; 8-byte Folded Spill
	v_mul_lo_u32 v4, v2, s15
	v_mad_co_u64_u32 v[5:6], null, 0x84, v2, v[1:2]
	v_add_nc_u32_e32 v2, 0x58, v35
	s_clause 0x1
	scratch_store_b32 off, v4, off offset:324
	scratch_store_b64 off, v[5:6], off offset:328
	v_mul_lo_u32 v5, v3, s15
	v_add_nc_u32_e32 v4, 0x50, v35
	s_delay_alu instid0(VALU_DEP_1)
	v_min_i32_e32 v4, s5, v4
	scratch_store_b32 off, v5, off offset:336 ; 4-byte Folded Spill
	v_mad_co_u64_u32 v[5:6], null, 0x84, v3, v[1:2]
	v_min_i32_e32 v2, s5, v2
	v_add_nc_u32_e32 v3, 0x60, v35
	scratch_store_b64 off, v[5:6], off offset:340 ; 8-byte Folded Spill
	v_mul_lo_u32 v5, v4, s15
	v_min_i32_e32 v27, s5, v3
	v_bfe_u32 v3, v0, 1, 9
	v_add_nc_u32_e32 v6, 8, v15
	s_delay_alu instid0(VALU_DEP_2)
	v_lshl_add_u32 v16, v35, 4, v3
	scratch_store_b32 off, v5, off offset:348 ; 4-byte Folded Spill
	v_mad_co_u64_u32 v[4:5], null, 0x84, v4, v[1:2]
	v_cvt_f64_u32_e32 v[6:7], v6
	v_and_b32_e32 v28, 0x7f, v16
	v_cvt_f64_u32_e32 v[16:17], v17
	scratch_store_b64 off, v[4:5], off offset:352 ; 8-byte Folded Spill
	v_mul_lo_u32 v4, v2, s15
	v_min_i32_e32 v28, s5, v28
	scratch_store_b32 off, v4, off offset:360 ; 4-byte Folded Spill
	v_mad_co_u64_u32 v[4:5], null, 0x84, v2, v[1:2]
	v_mul_lo_u32 v2, v27, s15
	scratch_store_b64 off, v[4:5], off offset:364 ; 8-byte Folded Spill
	v_cvt_f64_u32_e32 v[4:5], v15
	scratch_store_b32 off, v2, off offset:372 ; 4-byte Folded Spill
	v_cvt_f64_i32_e32 v[2:3], s7
	v_cvt_f64_u32_e32 v[14:15], v14
	s_delay_alu instid0(VALU_DEP_2) | instskip(SKIP_1) | instid1(VALU_DEP_4)
	v_mad_co_u64_u32 v[31:32], null, 0x84, v27, v[1:2]
	v_mul_lo_u32 v27, v29, s15
	v_min_num_f64_e32 v[4:5], v[4:5], v[2:3]
	v_min_num_f64_e32 v[6:7], v[6:7], v[2:3]
	;; [unrolled: 1-line block ×5, first 2 shown]
	scratch_store_b64 off, v[31:32], off offset:376 ; 8-byte Folded Spill
	v_mad_co_u64_u32 v[32:33], null, 0x84, v29, v[1:2]
	scratch_store_b32 off, v27, off offset:384 ; 4-byte Folded Spill
	v_min_i32_e32 v27, s5, v30
	v_add_nc_u32_e32 v30, 0x78, v35
	v_ashrrev_i32_e32 v31, 31, v28
	v_min_num_f64_e32 v[14:15], v[14:15], v[2:3]
	v_min_num_f64_e32 v[16:17], v[16:17], v[2:3]
	v_mul_lo_u32 v29, v27, s15
	scratch_store_b64 off, v[32:33], off offset:388 ; 8-byte Folded Spill
	v_mad_co_u64_u32 v[32:33], null, 0x84, v27, v[1:2]
	scratch_store_b32 off, v29, off offset:396 ; 4-byte Folded Spill
	v_min_i32_e32 v29, s5, v30
	v_lshrrev_b32_e32 v30, 28, v31
	v_bfe_u32 v31, v0, 3, 7
	s_delay_alu instid0(VALU_DEP_3)
	v_mul_lo_u32 v27, v29, s15
	s_clause 0x1
	scratch_store_b64 off, v[32:33], off offset:400
	scratch_store_b32 off, v27, off offset:408
	v_add_nc_u32_e32 v27, v28, v30
	v_lshl_add_u32 v30, v35, 2, v31
	v_mad_co_u64_u32 v[31:32], null, 0x84, v29, v[1:2]
	v_min_num_f64_e32 v[2:3], v[18:19], v[2:3]
	s_delay_alu instid0(VALU_DEP_4) | instskip(NEXT) | instid1(VALU_DEP_4)
	v_ashrrev_i32_e32 v27, 4, v27
	v_min_i32_e32 v29, s5, v30
	v_add_nc_u32_e32 v33, 32, v30
	v_and_b32_e32 v18, 7, v0
	v_cvt_i32_f64_e32 v4, v[4:5]
	v_lshlrev_b32_e32 v27, 2, v27
	v_mul_lo_u32 v34, v29, s15
	scratch_store_b64 off, v[31:32], off offset:412 ; 8-byte Folded Spill
	v_mul_lo_u32 v31, v28, s15
	v_and_b32_e32 v32, 1, v0
	v_cmp_lt_u32_e32 vcc_lo, 3, v18
	v_cvt_i32_f64_e32 v6, v[6:7]
	v_cvt_i32_f64_e32 v10, v[10:11]
	;; [unrolled: 1-line block ×3, first 2 shown]
	scratch_store_b32 off, v32, off offset:420 ; 4-byte Folded Spill
	v_lshlrev_b32_e32 v32, 2, v32
	scratch_store_b32 off, v31, off offset:424 ; 4-byte Folded Spill
	v_ashrrev_i32_e32 v31, 31, v29
	v_cvt_i32_f64_e32 v12, v[14:15]
	v_cvt_i32_f64_e32 v13, v[16:17]
	v_add3_u32 v19, v27, v32, 0x7280
	v_min_i32_e32 v27, s5, v33
	v_add_nc_u32_e32 v33, 64, v30
	v_add_nc_u32_e32 v30, 0x60, v30
	v_cndmask_b32_e64 v32, 0, 1, vcc_lo
	v_lshrrev_b32_e32 v31, 30, v31
	v_cvt_i32_f64_e32 v8, v[8:9]
	v_min_i32_e32 v33, s5, v33
	v_min_i32_e32 v30, s5, v30
	v_lshlrev_b32_e32 v18, 2, v18
	v_add_nc_u32_e32 v31, v29, v31
	v_lshlrev_b32_e32 v28, 3, v28
	v_mul_lo_u32 v15, v33, s15
	scratch_store_b32 off, v32, off offset:428 ; 4-byte Folded Spill
	v_ashrrev_i32_e32 v32, 31, v27
	v_ashrrev_i32_e32 v7, 31, v30
	v_mul_lo_u32 v17, v30, s15
	v_cvt_i32_f64_e32 v3, v[2:3]
	scratch_store_b32 off, v34, off offset:436 ; 4-byte Folded Spill
	v_ashrrev_i32_e32 v34, 31, v33
	v_lshrrev_b32_e32 v32, 30, v32
	v_lshrrev_b32_e32 v7, 30, v7
	v_and_b32_e32 v31, -4, v31
	scratch_store_b32 off, v15, off offset:444 ; 4-byte Folded Spill
	v_lshrrev_b32_e32 v5, 30, v34
	v_add_nc_u32_e32 v32, v27, v32
	v_add_nc_u32_e32 v2, v30, v7
	v_lshl_add_u32 v7, v35, 3, v59
	v_add3_u32 v31, v31, v18, 0x6200
	v_add_nc_u32_e32 v5, v33, v5
	v_and_b32_e32 v32, -4, v32
	v_and_b32_e32 v15, -4, v2
	v_and_b32_e32 v7, 63, v7
	v_and_b32_e32 v2, 3, v0
	v_and_b32_e32 v5, -4, v5
	v_add3_u32 v9, v32, v18, 0x6200
	scratch_store_b32 off, v17, off offset:448 ; 4-byte Folded Spill
	v_add3_u32 v15, v15, v18, 0x6200
	v_or_b32_e32 v17, s13, v7
	v_add3_u32 v5, v5, v18, 0x6200
	v_lshlrev_b32_e32 v18, 2, v2
	v_and_b32_e32 v1, 28, v1
	v_lshlrev_b32_e32 v29, 5, v29
	v_min_i32_e32 v17, s7, v17
	v_lshlrev_b32_e32 v14, 5, v27
	v_lshl_or_b32 v7, v7, 4, v18
	v_lshlrev_b32_e32 v16, 5, v33
	v_mul_lo_u32 v36, v27, s15
	v_and_b32_e32 v0, 31, v0
	v_lshlrev_b32_e32 v27, 5, v30
	s_mov_b32 s5, 0
	s_delay_alu instid0(VALU_DEP_2)
	v_lshl_or_b32 v0, v0, 2, 0x4200
	s_wait_alu 0xfffe
	v_mad_co_u64_u32 v[17:18], null, v17, s4, v[2:3]
	v_add_nc_u32_e32 v2, 0x76a0, v7
	v_mul_lo_u32 v7, s4, v10
	v_mul_lo_u32 v10, s4, v12
	;; [unrolled: 1-line block ×3, first 2 shown]
	v_lshlrev_b32_e32 v12, 7, v26
	scratch_store_b32 off, v2, off offset:148 ; 4-byte Folded Spill
	v_mul_lo_u32 v2, s4, v4
	v_mul_lo_u32 v4, s4, v6
	v_mul_lo_u32 v6, s4, v8
	v_mul_lo_u32 v8, s4, v11
	v_mul_lo_u32 v11, s4, v13
	s_clause 0x1
	scratch_store_b32 off, v7, off offset:164
	scratch_store_b32 off, v10, off offset:172
	v_add_nc_u32_e32 v13, 64, v76
	s_clause 0x3
	scratch_store_b32 off, v2, off offset:152
	scratch_store_b32 off, v4, off offset:156
	;; [unrolled: 1-line block ×4, first 2 shown]
	v_lshlrev_b32_e32 v4, 7, v20
	v_add_co_u32 v20, s4, s2, v1
	v_add_nc_u32_e32 v1, v19, v28
	v_lshlrev_b32_e32 v2, 7, v35
	v_lshlrev_b32_e32 v6, 7, v21
	s_wait_alu 0xf1ff
	v_add_co_ci_u32_e64 v21, null, s3, 0, s4
	scratch_store_b32 off, v1, off offset:460 ; 4-byte Folded Spill
	v_add_nc_u32_e32 v1, v31, v29
	v_lshlrev_b32_e32 v7, 7, v22
	scratch_store_b32 off, v11, off offset:176 ; 4-byte Folded Spill
	v_lshrrev_b32_e32 v32, 2, v13
	v_lshrrev_b32_e32 v33, 4, v13
	scratch_store_b32 off, v1, off offset:464 ; 4-byte Folded Spill
	v_dual_mov_b32 v28, 0 :: v_dual_add_nc_u32 v1, v9, v14
	v_lshlrev_b32_e32 v150, 2, v32
	v_mov_b32_e32 v32, 0
	v_lshlrev_b32_e32 v8, 7, v23
	scratch_store_b32 off, v1, off offset:468 ; 4-byte Folded Spill
	v_add_nc_u32_e32 v1, v5, v16
	v_dual_mov_b32 v23, 0 :: v_dual_lshlrev_b32 v70, 5, v23
	v_lshlrev_b32_e32 v10, 7, v24
	v_lshlrev_b32_e32 v11, 7, v25
	scratch_store_b32 off, v1, off offset:472 ; 4-byte Folded Spill
	v_add_nc_u32_e32 v1, v15, v27
	v_mul_u32_u24_e32 v26, 0x84, v76
	v_lshlrev_b32_e32 v148, 5, v13
	v_lshlrev_b32_e32 v149, 3, v13
	;; [unrolled: 1-line block ×3, first 2 shown]
	scratch_store_b32 off, v1, off offset:476 ; 4-byte Folded Spill
	v_add_nc_u32_e32 v1, v0, v2
	s_clause 0x1
	scratch_store_b32 off, v3, off offset:180
	scratch_store_b32 off, v36, off offset:440
	v_add_nc_u32_e32 v3, 32, v76
	v_mov_b32_e32 v31, 0
	scratch_store_b32 off, v1, off offset:192 ; 4-byte Folded Spill
	v_add_nc_u32_e32 v1, v0, v4
	scratch_store_b64 off, v[20:21], off offset:184 ; 8-byte Folded Spill
	v_lshrrev_b32_e32 v30, 4, v3
	v_lshlrev_b32_e32 v125, 5, v3
	v_lshlrev_b32_e32 v126, 3, v3
	scratch_store_b32 off, v1, off offset:196 ; 4-byte Folded Spill
	v_add_nc_u32_e32 v1, v0, v6
	scratch_store_b64 off, v[17:18], off offset:452 ; 8-byte Folded Spill
	v_add_nc_u32_e32 v17, 0x60, v76
	v_lshrrev_b32_e32 v18, 2, v3
	v_lshlrev_b32_e32 v129, 2, v30
	scratch_store_b32 off, v1, off offset:200 ; 4-byte Folded Spill
	v_add_nc_u32_e32 v1, v0, v7
	v_lshrrev_b32_e32 v34, 2, v17
	v_lshrrev_b32_e32 v35, 4, v17
	v_lshlrev_b32_e32 v151, 5, v17
	v_lshlrev_b32_e32 v152, 3, v17
	scratch_store_b32 off, v1, off offset:204 ; 4-byte Folded Spill
	v_add_nc_u32_e32 v1, v0, v8
	v_lshlrev_b32_e32 v128, 2, v18
	v_lshlrev_b32_e32 v158, 2, v34
	;; [unrolled: 1-line block ×3, first 2 shown]
	v_mov_b32_e32 v35, 0
	scratch_store_b32 off, v1, off offset:208 ; 4-byte Folded Spill
	v_add_nc_u32_e32 v1, v0, v10
	v_dual_mov_b32 v27, 0 :: v_dual_mov_b32 v22, 0
	v_mov_b32_e32 v34, 0
	v_mov_b32_e32 v30, 0
	scratch_store_b32 off, v1, off offset:212 ; 4-byte Folded Spill
	v_add_nc_u32_e32 v1, v0, v11
	v_dual_mov_b32 v21, 0 :: v_dual_add_nc_u32 v0, v0, v12
	v_mov_b32_e32 v33, 0
	v_dual_mov_b32 v29, 0 :: v_dual_mov_b32 v20, 0
	s_mov_b32 s4, s5
	v_lshlrev_b32_e32 v71, 5, v24
	v_lshlrev_b32_e32 v72, 5, v25
	s_clause 0x1a
	scratch_store_b32 off, v1, off offset:216
	scratch_store_b32 off, v0, off offset:220
	;; [unrolled: 1-line block ×27, first 2 shown]
	s_branch .LBB168_6
.LBB168_5:                              ;   in Loop: Header=BB168_6 Depth=1
	s_add_co_i32 s4, s4, 2
	s_wait_alu 0xfffe
	s_cmp_ge_i32 s4, s15
	s_cbranch_scc1 .LBB168_14
.LBB168_6:                              ; =>This Loop Header: Depth=1
                                        ;     Child Loop BB168_8 Depth 2
                                        ;       Child Loop BB168_10 Depth 3
                                        ;       Child Loop BB168_12 Depth 3
	s_clause 0xa
	scratch_load_b32 v0, off, off offset:136
	scratch_load_b32 v2, off, off offset:228
	;; [unrolled: 1-line block ×11, first 2 shown]
	s_wait_alu 0xfffe
	s_mul_u64 s[10:11], s[4:5], 0x54
	s_lshl_b32 s7, s4, 3
	s_wait_alu 0xfffe
	s_add_nc_u64 s[10:11], s[0:1], s[10:11]
	s_wait_loadcnt 0xa
	s_wait_alu 0xfffe
	v_mad_co_u64_u32 v[0:1], null, 0x54, v0, s[10:11]
	s_wait_loadcnt 0x9
	s_delay_alu instid0(VALU_DEP_1)
	v_mad_co_i64_i32 v[2:3], null, 0x54, v2, v[0:1]
	s_wait_loadcnt 0x8
	v_mad_co_i64_i32 v[4:5], null, 0x54, v4, v[0:1]
	s_wait_loadcnt 0x7
	;; [unrolled: 2-line block ×4, first 2 shown]
	v_add_co_u32 v2, vcc_lo, v2, v24
	v_mad_co_i64_i32 v[10:11], null, 0x54, v10, v[0:1]
	s_wait_alu 0xfffd
	v_add_co_ci_u32_e64 v3, null, 0, v3, vcc_lo
	v_add_co_u32 v4, vcc_lo, v4, v24
	v_mad_co_i64_i32 v[12:13], null, 0x54, v12, v[0:1]
	s_wait_alu 0xfffd
	v_add_co_ci_u32_e64 v5, null, 0, v5, vcc_lo
	v_add_co_u32 v6, vcc_lo, v6, v24
	s_wait_loadcnt 0x2
	v_mad_co_i64_i32 v[14:15], null, 0x54, v14, v[0:1]
	s_wait_alu 0xfffd
	v_add_co_ci_u32_e64 v7, null, 0, v7, vcc_lo
	v_add_co_u32 v8, vcc_lo, v8, v24
	s_wait_loadcnt 0x1
	;; [unrolled: 5-line block ×3, first 2 shown]
	v_mad_co_i64_i32 v[18:19], null, 0x54, v18, v[0:1]
	s_wait_alu 0xfffd
	v_add_co_ci_u32_e64 v11, null, 0, v11, vcc_lo
	v_add_co_u32 v12, vcc_lo, v12, v24
	s_wait_alu 0xfffd
	v_add_co_ci_u32_e64 v13, null, 0, v13, vcc_lo
	v_add_co_u32 v14, vcc_lo, v14, v24
	;; [unrolled: 3-line block ×3, first 2 shown]
	s_wait_alu 0xfffd
	v_add_co_ci_u32_e64 v17, null, 0, v17, vcc_lo
	s_clause 0x7
	global_load_b32 v44, v[2:3], off offset:16
	global_load_b32 v50, v[4:5], off offset:16
	global_load_b32 v52, v[6:7], off offset:16
	global_load_b32 v53, v[8:9], off offset:16
	global_load_b32 v54, v[10:11], off offset:16
	global_load_b32 v55, v[12:13], off offset:16
	global_load_b32 v57, v[14:15], off offset:16
	global_load_b32 v58, v[16:17], off offset:16
	scratch_load_b32 v2, off, off offset:336 ; 4-byte Folded Reload
	v_add_co_u32 v4, vcc_lo, v18, v24
	s_clause 0x6
	scratch_load_b32 v6, off, off offset:348
	scratch_load_b32 v8, off, off offset:360
	;; [unrolled: 1-line block ×7, first 2 shown]
	s_wait_alu 0xfffd
	v_add_co_ci_u32_e64 v5, null, 0, v19, vcc_lo
	scratch_load_b32 v25, off, off offset:432 ; 4-byte Folded Reload
	s_wait_loadcnt 0x8
	v_mad_co_i64_i32 v[2:3], null, 0x54, v2, v[0:1]
	s_wait_loadcnt 0x7
	v_mad_co_i64_i32 v[6:7], null, 0x54, v6, v[0:1]
	;; [unrolled: 2-line block ×7, first 2 shown]
	scratch_load_b32 v18, off, off offset:424 ; 4-byte Folded Reload
	v_add_co_u32 v2, vcc_lo, v2, v24
	s_wait_alu 0xfffd
	v_add_co_ci_u32_e64 v3, null, 0, v3, vcc_lo
	v_add_co_u32 v6, vcc_lo, v6, v24
	s_wait_alu 0xfffd
	v_add_co_ci_u32_e64 v7, null, 0, v7, vcc_lo
	v_add_co_u32 v8, vcc_lo, v8, v24
	v_mad_co_u64_u32 v[16:17], null, 0x54, v16, s[10:11]
	s_wait_alu 0xfffd
	v_add_co_ci_u32_e64 v9, null, 0, v9, vcc_lo
	v_add_co_u32 v10, vcc_lo, v10, v24
	s_wait_alu 0xfffd
	v_add_co_ci_u32_e64 v11, null, 0, v11, vcc_lo
	v_add_co_u32 v12, vcc_lo, v12, v24
	;; [unrolled: 3-line block ×3, first 2 shown]
	s_wait_alu 0xfffd
	v_add_co_ci_u32_e64 v15, null, 0, v15, vcc_lo
	s_wait_loadcnt 0x1
	v_add_co_u32 v16, vcc_lo, v16, v25
	s_wait_alu 0xfffd
	v_add_co_ci_u32_e64 v17, null, 0, v17, vcc_lo
	v_add_co_u32 v0, vcc_lo, v0, v24
	scratch_load_b32 v24, off, off offset:420 ; 4-byte Folded Reload
	s_wait_alu 0xfffd
	v_add_co_ci_u32_e64 v1, null, 0, v1, vcc_lo
	s_wait_loadcnt 0x1
	v_mad_co_i64_i32 v[18:19], null, 0x54, v18, s[10:11]
	s_mov_b32 s10, 0
	s_wait_loadcnt 0x0
	v_mad_co_u64_u32 v[18:19], null, 0x54, v24, v[18:19]
	scratch_load_b32 v24, off, off offset:436 ; 4-byte Folded Reload
	s_wait_loadcnt 0x0
	v_mad_co_i64_i32 v[36:37], null, 0x54, v24, v[16:17]
	scratch_load_b32 v24, off, off offset:440 ; 4-byte Folded Reload
	s_wait_loadcnt 0x0
	v_mad_co_i64_i32 v[46:47], null, 0x54, v24, v[16:17]
	;; [unrolled: 3-line block ×4, first 2 shown]
	s_clause 0xc
	global_load_b32 v4, v[4:5], off offset:16
	global_load_b32 v2, v[2:3], off offset:16
	;; [unrolled: 1-line block ×9, first 2 shown]
	global_load_b32 v9, v[36:37], off
	global_load_b32 v10, v[46:47], off
	;; [unrolled: 1-line block ×4, first 2 shown]
	scratch_load_b64 v[13:14], off, off offset:452 ; 8-byte Folded Reload
	s_wait_loadcnt 0x0
	v_add_nc_u32_e32 v13, s7, v13
	scratch_store_b32 off, v13, off offset:140 ; 4-byte Folded Spill
	scratch_load_b64 v[13:14], off, off offset:232 ; 8-byte Folded Reload
	s_wait_loadcnt 0x0
	ds_store_b32 v13, v44
	scratch_load_b64 v[13:14], off, off offset:244 ; 8-byte Folded Reload
	s_wait_loadcnt 0x0
	ds_store_b32 v13, v50
	;; [unrolled: 3-line block ×16, first 2 shown]
	scratch_load_b32 v0, off, off offset:460 ; 4-byte Folded Reload
	s_wait_loadcnt 0x0
	ds_store_b32 v0, v1
	scratch_load_b32 v0, off, off offset:464 ; 4-byte Folded Reload
	s_wait_loadcnt 0x0
	ds_store_b32 v0, v9
	;; [unrolled: 3-line block ×5, first 2 shown]
	s_branch .LBB168_8
.LBB168_7:                              ;   in Loop: Header=BB168_8 Depth=2
                                        ; implicit-def: $sgpr10
	s_wait_alu 0xfffe
	s_and_b32 vcc_lo, exec_lo, s11
	s_wait_alu 0xfffe
	s_cbranch_vccnz .LBB168_5
.LBB168_8:                              ;   Parent Loop BB168_6 Depth=1
                                        ; =>  This Loop Header: Depth=2
                                        ;       Child Loop BB168_10 Depth 3
                                        ;       Child Loop BB168_12 Depth 3
	s_wait_alu 0xfffe
	s_lshr_b32 s11, s10, 1
	s_wait_alu 0xfffe
	s_or_b32 s11, s11, s4
	s_wait_alu 0xfffe
	s_cmp_lt_i32 s11, s15
	s_mov_b32 s11, -1
	s_cbranch_scc0 .LBB168_7
; %bb.9:                                ;   in Loop: Header=BB168_8 Depth=2
	s_clause 0x2
	scratch_load_b32 v1, off, off offset:140
	scratch_load_b32 v2, off, off offset:156
	scratch_load_b64 v[17:18], off, off offset:184
	s_wait_loadcnt 0x3
	v_lshl_add_u32 v0, s10, 5, v76
	s_or_b32 s16, s10, 1
	s_lshl_b32 s17, s10, 3
	s_wait_alu 0xfffe
	s_lshl_b32 s11, s16, 3
	scratch_load_b32 v3, off, off offset:160 ; 4-byte Folded Reload
	v_lshrrev_b32_e32 v0, 3, v0
	s_delay_alu instid0(VALU_DEP_1)
	v_add_nc_u32_e32 v0, s7, v0
	s_wait_loadcnt 0x3
	v_lshl_add_u32 v8, s10, 2, v1
	scratch_load_b32 v1, off, off offset:152 ; 4-byte Folded Reload
	s_wait_loadcnt 0x3
	v_add_nc_u32_e32 v2, v0, v2
	v_mad_co_u64_u32 v[8:9], null, v8, 36, s[2:3]
	s_wait_loadcnt 0x1
	v_add_nc_u32_e32 v4, v0, v3
	scratch_load_b32 v3, off, off offset:164 ; 4-byte Folded Reload
	v_mad_co_i64_i32 v[4:5], null, v4, 36, v[17:18]
	s_wait_loadcnt 0x1
	v_add_nc_u32_e32 v1, v0, v1
	s_wait_loadcnt 0x0
	v_add_nc_u32_e32 v6, v0, v3
	scratch_load_b32 v3, off, off offset:168 ; 4-byte Folded Reload
	v_mad_co_i64_i32 v[6:7], null, v6, 36, v[17:18]
	s_wait_loadcnt 0x0
	v_add_nc_u32_e32 v12, v0, v3
	scratch_load_b32 v3, off, off offset:172 ; 4-byte Folded Reload
	v_mad_co_i64_i32 v[12:13], null, v12, 36, v[17:18]
	;; [unrolled: 4-line block ×3, first 2 shown]
	s_wait_loadcnt 0x0
	v_add_nc_u32_e32 v16, v0, v3
	scratch_load_b32 v3, off, off offset:180 ; 4-byte Folded Reload
	s_wait_loadcnt 0x0
	v_add_nc_u32_e32 v10, v0, v3
	v_mad_co_i64_i32 v[0:1], null, v1, 36, v[17:18]
	v_mad_co_i64_i32 v[2:3], null, v2, 36, v[17:18]
	s_delay_alu instid0(VALU_DEP_3)
	v_mad_co_i64_i32 v[10:11], null, v10, 36, v[17:18]
	v_mad_co_i64_i32 v[16:17], null, v16, 36, v[17:18]
	s_clause 0x8
	global_load_b32 v8, v[8:9], off
	global_load_b32 v9, v[10:11], off offset:4
	global_load_b32 v0, v[0:1], off offset:4
	;; [unrolled: 1-line block ×8, first 2 shown]
	s_wait_loadcnt 0x8
	v_cvt_f32_f16_e32 v7, v8
	scratch_load_b32 v8, off, off offset:220 ; 4-byte Folded Reload
	s_wait_loadcnt 0x0
	ds_store_b32 v8, v9
	scratch_load_b32 v8, off, off offset:192 ; 4-byte Folded Reload
	s_wait_loadcnt 0x0
	ds_store_b32 v8, v0
	;; [unrolled: 3-line block ×9, first 2 shown]
	s_wait_storecnt_dscnt 0x0
	s_barrier_signal -1
	s_barrier_wait -1
	global_inv scope:SCOPE_SE
.LBB168_10:                             ;   Parent Loop BB168_6 Depth=1
                                        ;     Parent Loop BB168_8 Depth=2
                                        ; =>    This Inner Loop Header: Depth=3
	s_clause 0x5
	scratch_store_b32 off, v39, off offset:20
	scratch_store_b32 off, v122, off offset:16
	;; [unrolled: 1-line block ×5, first 2 shown]
	scratch_store_b32 off, v20, off
	scratch_load_b32 v2, off, off offset:132 ; 4-byte Folded Reload
	s_and_b32 s20, s17, 0x3ffffff8
	s_and_b32 s21, s17, 0x7ffffffe
	s_wait_alu 0xfffe
	v_lshl_add_u32 v19, s20, 2, v26
	s_add_co_i32 s20, s21, 0x6200
	s_lshl_b32 s18, s17, 2
	s_and_b32 s19, s17, 6
	s_wait_alu 0xfffe
	s_and_b32 s18, s18, 24
	s_lshr_b32 s21, s17, 2
	s_wait_alu 0xfffe
	v_or_b32_e32 v0, s18, v60
	s_and_b32 s21, s21, 0x3ffffffc
	s_add_co_i32 s17, s17, 2
	s_wait_alu 0xfffe
	s_addk_co_i32 s21, 0x7280
	s_cmp_lt_u32 s17, s11
	v_lshlrev_b32_e32 v17, 2, v0
	v_lshrrev_b32_e32 v0, 1, v0
	ds_load_b32 v18, v0 offset:30368
	ds_load_2addr_b32 v[0:1], v19 offset1:1
	s_wait_dscnt 0x0
	v_ashrrev_i32_e32 v3, s19, v0
	v_ashrrev_i32_e32 v4, s19, v1
	ds_load_2addr_b32 v[0:1], v19 offset0:2 offset1:3
	v_and_b32_e32 v76, 3, v3
	v_bfe_u32 v54, v3, 8, 2
	v_bfe_u32 v77, v3, 16, 2
	;; [unrolled: 1-line block ×3, first 2 shown]
	v_and_b32_e32 v55, 3, v4
	v_bfe_u32 v57, v4, 8, 2
	v_bfe_u32 v58, v4, 16, 2
	;; [unrolled: 1-line block ×3, first 2 shown]
	s_wait_dscnt 0x0
	v_ashrrev_i32_e32 v5, s19, v0
	v_ashrrev_i32_e32 v6, s19, v1
	ds_load_2addr_b32 v[0:1], v19 offset0:4 offset1:5
	v_and_b32_e32 v60, 3, v5
	v_bfe_u32 v61, v5, 8, 2
	v_bfe_u32 v65, v5, 16, 2
	v_bfe_u32 v69, v5, 24, 2
	v_and_b32_e32 v70, 3, v6
	v_bfe_u32 v71, v6, 8, 2
	s_wait_dscnt 0x0
	v_ashrrev_i32_e32 v7, s19, v0
	v_ashrrev_i32_e32 v8, s19, v1
	ds_load_2addr_b32 v[0:1], v19 offset0:6 offset1:7
	v_and_b32_e32 v49, 3, v7
	v_bfe_u32 v52, v7, 16, 2
	v_bfe_u32 v53, v7, 24, 2
	v_and_b32_e32 v5, 3, v8
	s_wait_dscnt 0x0
	v_ashrrev_i32_e32 v0, s19, v0
	v_ashrrev_i32_e32 v1, s19, v1
	s_delay_alu instid0(VALU_DEP_2) | instskip(NEXT) | instid1(VALU_DEP_2)
	v_bfe_u32 v12, v0, 24, 2
	v_and_b32_e32 v13, 3, v1
	v_bfe_u32 v14, v1, 8, 2
	v_bfe_u32 v15, v1, 16, 2
	;; [unrolled: 1-line block ×3, first 2 shown]
	s_wait_loadcnt 0x0
	v_lshlrev_b32_e32 v2, 2, v2
	scratch_store_b32 off, v2, off offset:124 ; 4-byte Folded Spill
	v_add3_u32 v9, s20, v2, v73
	scratch_load_b32 v2, off, off offset:136 ; 4-byte Folded Reload
	v_bfe_u32 v73, v6, 16, 2
	s_wait_loadcnt 0x0
	v_lshlrev_b32_e32 v2, 2, v2
	scratch_store_b32 off, v2, off offset:128 ; 4-byte Folded Spill
	s_wait_alu 0xfffe
	v_add3_u32 v2, s21, v2, v75
	v_bfe_u32 v75, v6, 24, 2
	ds_load_b32 v2, v2
	ds_load_u16 v9, v9
	ds_load_b128 v[86:89], v17 offset:16896
	ds_load_b128 v[90:93], v17 offset:16912
	v_bfe_u32 v6, v8, 8, 2
	s_wait_dscnt 0x1
	v_bfe_i32 v95, v86, 0, 8
	v_lshrrev_b16 v10, 8, v9
	v_bfe_u32 v11, v9, 4, 4
	v_and_b32_e32 v3, 15, v9
	v_and_b32_e32 v9, 3, v0
	s_wait_dscnt 0x0
	v_ashrrev_i32_e32 v37, 24, v90
	v_and_b32_e32 v47, 0xffff, v10
	v_mul_lo_u32 v36, 0x1010101, v11
	v_bfe_u32 v10, v0, 8, 2
	v_bfe_u32 v11, v0, 16, 2
	v_lshrrev_b16 v0, 8, v90
	v_ashrrev_i32_e32 v82, 24, v91
	v_bfe_i32 v96, v86, 16, 8
	v_bfe_i32 v98, v87, 0, 8
	;; [unrolled: 1-line block ×4, first 2 shown]
	v_lshrrev_b16 v0, 8, v91
	v_bfe_i32 v102, v92, 0, 8
	v_bfe_i32 v103, v92, 8, 8
	;; [unrolled: 1-line block ×3, first 2 shown]
	v_ashrrev_i32_e32 v92, 24, v92
	v_bfe_i32 v85, v0, 0, 8
	v_lshrrev_b16 v0, 8, v88
	v_bfe_i32 v113, v93, 0, 8
	v_bfe_i32 v114, v93, 8, 8
	;; [unrolled: 1-line block ×3, first 2 shown]
	v_ashrrev_i32_e32 v93, 24, v93
	v_add_nc_u32_e32 v50, v82, v37
	v_ashrrev_i32_e32 v94, 24, v86
	v_bfe_i32 v79, v90, 16, 8
	v_bfe_i32 v83, v90, 0, 8
	;; [unrolled: 1-line block ×3, first 2 shown]
	v_ashrrev_i32_e32 v97, 24, v87
	v_bfe_i32 v100, v86, 8, 8
	v_bfe_i32 v101, v0, 0, 8
	v_bfe_i32 v105, v88, 16, 8
	v_bfe_i32 v106, v88, 0, 8
	v_lshrrev_b16 v0, 8, v89
	v_bfe_i32 v116, v89, 16, 8
	v_bfe_i32 v117, v89, 0, 8
	v_add_nc_u32_e32 v72, v99, v96
	v_add_nc_u32_e32 v80, v98, v95
	v_add3_u32 v121, v50, v92, v93
	v_mul_i32_i24_e32 v50, v55, v98
	v_bfe_i32 v84, v91, 16, 8
	v_bfe_i32 v91, v91, 0, 8
	v_ashrrev_i32_e32 v88, 24, v88
	v_bfe_i32 v107, v0, 0, 8
	v_ashrrev_i32_e32 v89, 24, v89
	v_add_nc_u32_e32 v0, v100, v90
	v_add_nc_u32_e32 v81, v97, v94
	v_add3_u32 v119, v80, v106, v117
	v_add3_u32 v120, v72, v105, v116
	v_mul_i32_i24_e32 v72, v58, v99
	v_mul_i32_i24_e32 v80, v59, v97
	v_mad_i32_i24 v50, v57, v90, v50
	v_add_nc_u32_e32 v1, v91, v83
	v_add_nc_u32_e32 v17, v85, v44
	v_add3_u32 v118, v81, v88, v89
	v_add3_u32 v122, v0, v101, v107
	v_mul_i32_i24_e32 v0, v95, v76
	v_mul_i32_i24_e32 v81, v60, v106
	v_add3_u32 v50, v50, v72, v80
	v_add_nc_u32_e32 v46, v84, v79
	v_add3_u32 v131, v17, v103, v114
	v_add3_u32 v132, v1, v102, v113
	v_mul_i32_i24_e32 v1, v100, v54
	v_mul_i32_i24_e32 v17, v96, v77
	v_add3_u32 v0, v50, v81, v0
	v_add3_u32 v127, v46, v104, v115
	v_mul_i32_i24_e32 v46, v94, v78
	v_mul_i32_i24_e32 v86, v61, v101
	v_lshrrev_b32_e32 v4, 4, v47
	v_add3_u32 v0, v0, v1, v17
	v_mul_i32_i24_e32 v87, v65, v105
	v_mul_i32_i24_e32 v108, v69, v88
	v_lshrrev_b16 v1, 8, v36
	v_mul_lo_u32 v48, 0x1010101, v4
	v_add3_u32 v0, v0, v46, v86
	v_bfe_u32 v4, v7, 8, 2
	v_mul_i32_i24_e32 v109, v70, v117
	v_mul_i32_i24_e32 v110, v71, v107
	v_bfe_i32 v81, v1, 0, 8
	v_add3_u32 v0, v0, v87, v108
	v_mul_i32_i24_e32 v1, v49, v83
	v_lshrrev_b32_e32 v80, 24, v48
	v_lshrrev_b32_e32 v46, 24, v36
	v_bfe_i32 v17, v36, 0, 8
	v_add3_u32 v0, v0, v109, v110
	v_bfe_i32 v72, v36, 16, 8
	v_bfe_i32 v109, v48, 16, 8
	;; [unrolled: 1-line block ×4, first 2 shown]
	v_mul_i32_i24_e32 v36, v52, v79
	v_mul_i32_i24_e32 v48, v53, v37
	v_mad_i32_i24 v1, v4, v44, v1
	v_bfe_u32 v7, v8, 16, 2
	v_bfe_u32 v8, v8, 24, 2
	v_mul_i32_i24_e32 v111, v73, v116
	v_mul_i32_i24_e32 v112, v75, v89
	v_add3_u32 v1, v1, v36, v48
	v_mul_i32_i24_e32 v36, v5, v91
	v_mul_i32_i24_e32 v48, v6, v85
	;; [unrolled: 1-line block ×4, first 2 shown]
	v_add3_u32 v0, v0, v111, v112
	v_mul_i32_i24_e32 v87, v9, v102
	v_add3_u32 v1, v1, v36, v48
	v_mul_i32_i24_e32 v111, v10, v103
	v_mul_i32_i24_e32 v112, v11, v104
	v_mul_i32_i24_e32 v130, v12, v92
	v_mul_i32_i24_e32 v133, v13, v113
	v_add3_u32 v1, v1, v50, v86
	v_mul_i32_i24_e32 v134, v14, v114
	v_mul_i32_i24_e32 v135, v15, v115
	v_mul_i32_i24_e32 v136, v16, v93
	;; [unrolled: 5-line block ×3, first 2 shown]
	v_mul_i32_i24_e32 v86, v127, v109
	v_add3_u32 v1, v1, v112, v130
	v_mad_i32_i24 v87, v118, v46, v87
	v_mul_lo_u32 v0, v0, v3
	v_and_b32_e32 v111, 15, v47
	v_mad_i32_i24 v86, v120, v72, v86
	v_add3_u32 v1, v1, v133, v134
	v_mad_i32_i24 v48, v119, v17, v48
	v_add3_u32 v36, v36, v50, v87
	s_delay_alu instid0(VALU_DEP_3) | instskip(NEXT) | instid1(VALU_DEP_2)
	v_add3_u32 v1, v1, v135, v136
	v_add3_u32 v36, v48, v86, v36
	s_delay_alu instid0(VALU_DEP_2) | instskip(SKIP_1) | instid1(VALU_DEP_1)
	v_mad_co_u64_u32 v[0:1], null, v1, v111, v[0:1]
	v_lshrrev_b32_e32 v1, 16, v2
	v_cvt_f32_f16_e32 v112, v1
	s_delay_alu instid0(VALU_DEP_4) | instskip(NEXT) | instid1(VALU_DEP_4)
	v_cvt_f32_i32_e32 v1, v36
	v_cvt_f32_i32_e32 v0, v0
	v_add3_u32 v36, s21, v129, v126
	s_delay_alu instid0(VALU_DEP_3) | instskip(NEXT) | instid1(VALU_DEP_1)
	v_mul_f32_e32 v1, v112, v1
	v_fma_mix_f32 v0, v2, v0, -v1 op_sel_hi:[1,0,0]
	s_delay_alu instid0(VALU_DEP_1)
	v_fmac_f32_e32 v124, v18, v0
	v_add_nc_u32_e32 v0, 0x1080, v19
	ds_load_2addr_b32 v[0:1], v0 offset1:1
	s_wait_dscnt 0x0
	v_ashrrev_i32_e32 v47, s19, v0
	v_add_nc_u32_e32 v0, 0x1088, v19
	v_ashrrev_i32_e32 v48, s19, v1
	s_delay_alu instid0(VALU_DEP_3)
	v_and_b32_e32 v250, 3, v47
	ds_load_2addr_b32 v[0:1], v0 offset1:1
	v_and_b32_e32 v239, 3, v48
	v_bfe_u32 v240, v48, 8, 2
	v_bfe_u32 v241, v48, 16, 2
	v_bfe_u32 v243, v48, 24, 2
	v_mul_i32_i24_e32 v136, v95, v250
	v_mul_i32_i24_e32 v139, v239, v98
	v_bfe_u32 v242, v47, 8, 2
	v_mul_i32_i24_e32 v140, v241, v99
	v_mul_i32_i24_e32 v48, v243, v97
	v_bfe_u32 v253, v47, 16, 2
	v_mad_i32_i24 v139, v240, v90, v139
	v_mul_i32_i24_e32 v137, v100, v242
	v_bfe_u32 v254, v47, 24, 2
	s_delay_alu instid0(VALU_DEP_4) | instskip(NEXT) | instid1(VALU_DEP_4)
	v_mul_i32_i24_e32 v138, v96, v253
	v_add3_u32 v48, v139, v140, v48
	s_delay_alu instid0(VALU_DEP_3) | instskip(SKIP_4) | instid1(VALU_DEP_3)
	v_mul_i32_i24_e32 v47, v94, v254
	s_wait_dscnt 0x0
	v_ashrrev_i32_e32 v86, s19, v0
	v_add_nc_u32_e32 v0, 0x1090, v19
	v_ashrrev_i32_e32 v87, s19, v1
	v_and_b32_e32 v244, 3, v86
	ds_load_2addr_b32 v[0:1], v0 offset1:1
	v_bfe_u32 v245, v86, 8, 2
	v_bfe_u32 v246, v86, 16, 2
	;; [unrolled: 1-line block ×3, first 2 shown]
	v_mul_i32_i24_e32 v141, v244, v106
	v_and_b32_e32 v248, 3, v87
	v_mul_i32_i24_e32 v142, v245, v101
	v_mul_i32_i24_e32 v143, v246, v105
	;; [unrolled: 1-line block ×3, first 2 shown]
	v_add3_u32 v48, v48, v141, v136
	v_bfe_u32 v249, v87, 8, 2
	v_mul_i32_i24_e32 v144, v248, v117
	v_bfe_u32 v251, v87, 16, 2
	v_bfe_u32 v252, v87, 24, 2
	v_add3_u32 v48, v48, v137, v138
	v_mul_i32_i24_e32 v145, v249, v107
	s_delay_alu instid0(VALU_DEP_4) | instskip(NEXT) | instid1(VALU_DEP_4)
	v_mul_i32_i24_e32 v146, v251, v116
	v_mul_i32_i24_e32 v87, v252, v89
	s_delay_alu instid0(VALU_DEP_4)
	v_add3_u32 v47, v48, v47, v142
	s_wait_dscnt 0x0
	v_ashrrev_i32_e32 v130, s19, v0
	v_add_nc_u32_e32 v0, 0x1098, v19
	v_ashrrev_i32_e32 v133, s19, v1
	v_add3_u32 v47, v47, v143, v86
	s_delay_alu instid0(VALU_DEP_4)
	v_and_b32_e32 v230, 3, v130
	ds_load_2addr_b32 v[0:1], v0 offset1:1
	v_bfe_u32 v222, v130, 8, 2
	v_bfe_u32 v233, v130, 16, 2
	v_add3_u32 v47, v47, v144, v145
	v_bfe_u32 v235, v130, 24, 2
	v_and_b32_e32 v221, 3, v133
	v_bfe_u32 v223, v133, 8, 2
	v_mul_i32_i24_e32 v86, v233, v79
	v_add3_u32 v47, v47, v146, v87
	v_mul_i32_i24_e32 v87, v235, v37
	v_bfe_u32 v224, v133, 16, 2
	v_bfe_u32 v225, v133, 24, 2
	s_delay_alu instid0(VALU_DEP_2) | instskip(NEXT) | instid1(VALU_DEP_2)
	v_mul_i32_i24_e32 v130, v224, v84
	v_mul_i32_i24_e32 v133, v225, v82
	s_wait_dscnt 0x0
	v_ashrrev_i32_e32 v134, s19, v0
	v_add3_u32 v0, s20, v128, v125
	ds_load_b32 v200, v36
	ds_load_u16 v0, v0
	v_and_b32_e32 v226, 3, v134
	v_bfe_u32 v227, v134, 8, 2
	v_ashrrev_i32_e32 v1, s19, v1
	v_bfe_u32 v228, v134, 16, 2
	v_bfe_u32 v229, v134, 24, 2
	s_delay_alu instid0(VALU_DEP_4) | instskip(NEXT) | instid1(VALU_DEP_4)
	v_mul_i32_i24_e32 v136, v227, v103
	v_and_b32_e32 v231, 3, v1
	s_delay_alu instid0(VALU_DEP_4) | instskip(NEXT) | instid1(VALU_DEP_4)
	v_mul_i32_i24_e32 v137, v228, v104
	v_mul_i32_i24_e32 v134, v229, v92
	v_bfe_u32 v232, v1, 8, 2
	v_bfe_u32 v234, v1, 16, 2
	v_mul_i32_i24_e32 v138, v231, v113
	v_bfe_u32 v236, v1, 24, 2
	s_delay_alu instid0(VALU_DEP_4) | instskip(NEXT) | instid1(VALU_DEP_4)
	v_mul_i32_i24_e32 v139, v232, v114
	v_mul_i32_i24_e32 v140, v234, v115
	s_delay_alu instid0(VALU_DEP_3) | instskip(SKIP_4) | instid1(VALU_DEP_2)
	v_mul_i32_i24_e32 v1, v236, v93
	s_wait_dscnt 0x0
	v_lshrrev_b16 v135, 8, v0
	v_and_b32_e32 v255, 15, v0
	v_bfe_u32 v36, v0, 4, 4
	v_mul_lo_u32 v0, v47, v255
	s_delay_alu instid0(VALU_DEP_4) | instskip(NEXT) | instid1(VALU_DEP_3)
	v_and_b32_e32 v47, 0xffff, v135
	v_mul_lo_u32 v36, 0x1010101, v36
	v_mul_i32_i24_e32 v135, v226, v102
	s_delay_alu instid0(VALU_DEP_3) | instskip(SKIP_1) | instid1(VALU_DEP_4)
	v_lshrrev_b32_e32 v48, 4, v47
	v_and_b32_e32 v237, 15, v47
	v_bfe_i32 v201, v36, 0, 8
	s_delay_alu instid0(VALU_DEP_3) | instskip(SKIP_3) | instid1(VALU_DEP_4)
	v_mul_lo_u32 v48, 0x1010101, v48
	v_bfe_i32 v202, v36, 8, 8
	v_bfe_i32 v50, v36, 16, 8
	v_lshrrev_b32_e32 v36, 24, v36
	v_bfe_i32 v217, v48, 0, 8
	v_bfe_i32 v218, v48, 8, 8
	;; [unrolled: 1-line block ×3, first 2 shown]
	v_lshrrev_b32_e32 v220, 24, v48
	v_mul_i32_i24_e32 v48, v230, v83
	s_delay_alu instid0(VALU_DEP_1) | instskip(NEXT) | instid1(VALU_DEP_1)
	v_mad_i32_i24 v48, v222, v44, v48
	v_add3_u32 v48, v48, v86, v87
	v_mul_i32_i24_e32 v86, v221, v91
	v_mul_i32_i24_e32 v87, v223, v85
	s_delay_alu instid0(VALU_DEP_1) | instskip(SKIP_2) | instid1(VALU_DEP_3)
	v_add3_u32 v48, v48, v86, v87
	v_mul_i32_i24_e32 v87, v132, v217
	v_mul_i32_i24_e32 v86, v127, v219
	v_add3_u32 v48, v48, v130, v133
	v_mul_i32_i24_e32 v133, v118, v36
	v_mul_i32_i24_e32 v130, v131, v218
	s_delay_alu instid0(VALU_DEP_3) | instskip(SKIP_1) | instid1(VALU_DEP_2)
	v_add3_u32 v48, v48, v135, v136
	v_mul_i32_i24_e32 v135, v119, v201
	v_add3_u32 v48, v48, v137, v134
	v_mul_i32_i24_e32 v134, v120, v50
	s_delay_alu instid0(VALU_DEP_3) | instskip(NEXT) | instid1(VALU_DEP_3)
	v_mad_i32_i24 v135, v122, v202, v135
	v_add3_u32 v48, v48, v138, v139
	s_delay_alu instid0(VALU_DEP_2) | instskip(NEXT) | instid1(VALU_DEP_2)
	v_add3_u32 v133, v135, v134, v133
	v_add3_u32 v1, v48, v140, v1
	v_mul_i32_i24_e32 v48, v121, v220
	s_delay_alu instid0(VALU_DEP_3) | instskip(NEXT) | instid1(VALU_DEP_3)
	v_add3_u32 v87, v133, v87, v130
	v_mad_co_u64_u32 v[0:1], null, v1, v237, v[0:1]
	s_delay_alu instid0(VALU_DEP_2) | instskip(SKIP_1) | instid1(VALU_DEP_1)
	v_add3_u32 v48, v87, v86, v48
	v_lshrrev_b32_e32 v1, 16, v200
	v_cvt_f32_f16_e64 v238, v1
	s_delay_alu instid0(VALU_DEP_3) | instskip(SKIP_1) | instid1(VALU_DEP_2)
	v_cvt_f32_i32_e32 v1, v48
	v_cvt_f32_i32_e32 v0, v0
	v_mul_f32_e32 v1, v238, v1
	s_delay_alu instid0(VALU_DEP_1) | instskip(NEXT) | instid1(VALU_DEP_1)
	v_fma_mix_f32 v0, v200, v0, -v1 op_sel_hi:[1,0,0]
	v_dual_fmac_f32 v147, v18, v0 :: v_dual_add_nc_u32 v0, 0x2100, v19
	scratch_store_b32 off, v147, off offset:24 ; 4-byte Folded Spill
	ds_load_2addr_b32 v[0:1], v0 offset1:1
	s_wait_dscnt 0x0
	v_ashrrev_i32_e32 v47, s19, v0
	v_add_nc_u32_e32 v0, 0x2108, v19
	v_ashrrev_i32_e32 v86, s19, v1
	s_delay_alu instid0(VALU_DEP_3)
	v_and_b32_e32 v211, 3, v47
	ds_load_2addr_b32 v[0:1], v0 offset1:1
	v_bfe_u32 v203, v47, 8, 2
	v_bfe_u32 v214, v47, 16, 2
	;; [unrolled: 1-line block ×6, first 2 shown]
	v_mul_i32_i24_e32 v139, v95, v211
	v_mul_i32_i24_e32 v140, v100, v203
	;; [unrolled: 1-line block ×5, first 2 shown]
	s_wait_dscnt 0x0
	v_ashrrev_i32_e32 v87, s19, v0
	v_add_nc_u32_e32 v0, 0x2110, v19
	v_ashrrev_i32_e32 v130, s19, v1
	s_delay_alu instid0(VALU_DEP_3)
	v_and_b32_e32 v205, 3, v87
	ds_load_2addr_b32 v[0:1], v0 offset1:1
	v_bfe_u32 v206, v87, 8, 2
	v_bfe_u32 v207, v87, 16, 2
	;; [unrolled: 1-line block ×3, first 2 shown]
	v_mul_i32_i24_e32 v145, v205, v106
	v_and_b32_e32 v209, 3, v130
	v_mul_i32_i24_e32 v146, v206, v101
	v_mul_i32_i24_e32 v147, v207, v105
	;; [unrolled: 1-line block ×3, first 2 shown]
	v_bfe_u32 v210, v130, 8, 2
	v_bfe_u32 v212, v130, 16, 2
	;; [unrolled: 1-line block ×3, first 2 shown]
	s_delay_alu instid0(VALU_DEP_1) | instskip(SKIP_4) | instid1(VALU_DEP_3)
	v_mul_i32_i24_e32 v130, v213, v89
	s_wait_dscnt 0x0
	v_ashrrev_i32_e32 v133, s19, v0
	v_add_nc_u32_e32 v0, 0x2118, v19
	v_ashrrev_i32_e32 v134, s19, v1
	v_and_b32_e32 v191, 3, v133
	ds_load_2addr_b32 v[0:1], v0 offset1:1
	v_bfe_u32 v183, v133, 8, 2
	v_bfe_u32 v194, v133, 16, 2
	;; [unrolled: 1-line block ×3, first 2 shown]
	v_and_b32_e32 v182, 3, v134
	v_bfe_u32 v184, v134, 8, 2
	v_bfe_u32 v185, v134, 16, 2
	;; [unrolled: 1-line block ×3, first 2 shown]
	v_mul_i32_i24_e32 v133, v196, v37
	s_delay_alu instid0(VALU_DEP_2)
	v_mul_i32_i24_e32 v134, v186, v82
	s_wait_dscnt 0x0
	v_ashrrev_i32_e32 v135, s19, v0
	v_add3_u32 v0, s21, v153, v149
	v_ashrrev_i32_e32 v136, s19, v1
	v_add3_u32 v1, s20, v150, v148
	ds_load_b32 v0, v0
	ds_load_u16 v137, v1
	v_mul_i32_i24_e32 v148, v209, v117
	v_mul_i32_i24_e32 v149, v210, v107
	;; [unrolled: 1-line block ×3, first 2 shown]
	v_and_b32_e32 v187, 3, v135
	v_bfe_u32 v188, v135, 8, 2
	v_bfe_u32 v189, v135, 16, 2
	;; [unrolled: 1-line block ×3, first 2 shown]
	v_and_b32_e32 v192, 3, v136
	v_bfe_u32 v193, v136, 8, 2
	v_bfe_u32 v195, v136, 16, 2
	;; [unrolled: 1-line block ×3, first 2 shown]
	v_mul_i32_i24_e32 v135, v190, v92
	s_delay_alu instid0(VALU_DEP_2)
	v_mul_i32_i24_e32 v136, v197, v93
	s_wait_dscnt 0x0
	v_bfe_u32 v1, v137, 4, 4
	v_lshrrev_b16 v138, 8, v137
	v_and_b32_e32 v216, 15, v137
	v_mul_i32_i24_e32 v137, v194, v79
	s_delay_alu instid0(VALU_DEP_4) | instskip(NEXT) | instid1(VALU_DEP_1)
	v_mul_lo_u32 v1, 0x1010101, v1
	v_bfe_i32 v154, v1, 0, 8
	v_bfe_i32 v155, v1, 8, 8
	;; [unrolled: 1-line block ×3, first 2 shown]
	v_lshrrev_b32_e32 v157, 24, v1
	v_and_b32_e32 v1, 3, v86
	v_mul_i32_i24_e32 v86, v204, v97
	s_delay_alu instid0(VALU_DEP_2) | instskip(NEXT) | instid1(VALU_DEP_1)
	v_mul_i32_i24_e32 v143, v1, v98
	v_mad_i32_i24 v143, v47, v90, v143
	s_delay_alu instid0(VALU_DEP_1) | instskip(SKIP_2) | instid1(VALU_DEP_3)
	v_add3_u32 v86, v143, v144, v86
	v_mul_i32_i24_e32 v143, v193, v114
	v_mul_i32_i24_e32 v144, v195, v115
	v_add3_u32 v86, v86, v145, v139
	v_mul_i32_i24_e32 v139, v187, v102
	s_delay_alu instid0(VALU_DEP_2) | instskip(SKIP_2) | instid1(VALU_DEP_3)
	v_add3_u32 v86, v86, v140, v141
	v_mul_i32_i24_e32 v140, v188, v103
	v_mul_i32_i24_e32 v141, v189, v104
	v_add3_u32 v86, v86, v142, v146
	v_mul_i32_i24_e32 v142, v192, v113
	s_delay_alu instid0(VALU_DEP_2) | instskip(SKIP_2) | instid1(VALU_DEP_3)
	v_add3_u32 v86, v86, v147, v87
	v_and_b32_e32 v87, 0xffff, v138
	v_mul_i32_i24_e32 v138, v185, v84
	v_add3_u32 v86, v86, v148, v149
	s_delay_alu instid0(VALU_DEP_3) | instskip(NEXT) | instid1(VALU_DEP_2)
	v_and_b32_e32 v198, 15, v87
	v_add3_u32 v86, v86, v150, v130
	v_lshrrev_b32_e32 v130, 4, v87
                                        ; kill: def $vgpr87 killed $sgpr0 killed $exec
	s_delay_alu instid0(VALU_DEP_2) | instskip(NEXT) | instid1(VALU_DEP_2)
	v_mul_lo_u32 v86, v86, v216
	v_mul_lo_u32 v130, 0x1010101, v130
	s_delay_alu instid0(VALU_DEP_1) | instskip(SKIP_4) | instid1(VALU_DEP_1)
	v_bfe_i32 v178, v130, 0, 8
	v_bfe_i32 v179, v130, 8, 8
	;; [unrolled: 1-line block ×3, first 2 shown]
	v_lshrrev_b32_e32 v181, 24, v130
	v_mul_i32_i24_e32 v130, v191, v83
	v_mad_i32_i24 v130, v183, v44, v130
	s_delay_alu instid0(VALU_DEP_1) | instskip(SKIP_2) | instid1(VALU_DEP_1)
	v_add3_u32 v130, v130, v137, v133
	v_mul_i32_i24_e32 v133, v182, v91
	v_mul_i32_i24_e32 v137, v184, v85
	v_add3_u32 v130, v130, v133, v137
	v_mul_i32_i24_e32 v137, v118, v157
	v_mul_i32_i24_e32 v133, v121, v181
	s_delay_alu instid0(VALU_DEP_3) | instskip(SKIP_2) | instid1(VALU_DEP_3)
	v_add3_u32 v130, v130, v138, v134
	v_mul_i32_i24_e32 v138, v120, v156
	v_mul_i32_i24_e32 v134, v127, v180
	v_add3_u32 v130, v130, v139, v140
	v_mul_i32_i24_e32 v139, v119, v154
	s_delay_alu instid0(VALU_DEP_2) | instskip(NEXT) | instid1(VALU_DEP_2)
	v_add3_u32 v130, v130, v141, v135
	v_mad_i32_i24 v139, v122, v155, v139
	v_mul_i32_i24_e32 v135, v132, v178
	s_delay_alu instid0(VALU_DEP_3) | instskip(NEXT) | instid1(VALU_DEP_3)
	v_add3_u32 v130, v130, v142, v143
	v_add3_u32 v137, v139, v138, v137
	s_delay_alu instid0(VALU_DEP_2) | instskip(SKIP_1) | instid1(VALU_DEP_2)
	v_add3_u32 v130, v130, v144, v136
	v_mul_i32_i24_e32 v136, v131, v179
	v_mad_co_u64_u32 v[86:87], null, v130, v198, v[86:87]
	s_delay_alu instid0(VALU_DEP_2) | instskip(SKIP_2) | instid1(VALU_DEP_3)
	v_add3_u32 v135, v137, v135, v136
	v_lshrrev_b32_e32 v87, 16, v0
	v_add3_u32 v130, s21, v159, v152
	v_add3_u32 v133, v135, v134, v133
	s_delay_alu instid0(VALU_DEP_3) | instskip(SKIP_1) | instid1(VALU_DEP_3)
	v_cvt_f32_f16_e64 v199, v87
	v_cvt_f32_i32_e32 v86, v86
	v_cvt_f32_i32_e32 v87, v133
	s_delay_alu instid0(VALU_DEP_1) | instskip(NEXT) | instid1(VALU_DEP_1)
	v_mul_f32_e32 v87, v199, v87
	v_fma_mix_f32 v86, v0, v86, -v87 op_sel_hi:[1,0,0]
	s_delay_alu instid0(VALU_DEP_1)
	v_dual_fmac_f32 v51, v18, v86 :: v_dual_add_nc_u32 v86, 0x3180, v19
	scratch_store_b32 off, v51, off offset:120 ; 4-byte Folded Spill
	ds_load_2addr_b32 v[86:87], v86 offset1:1
	v_mov_b32_e32 v51, v124
	s_wait_dscnt 0x0
	v_ashrrev_i32_e32 v137, s19, v86
	v_add_nc_u32_e32 v86, 0x3188, v19
	v_ashrrev_i32_e32 v138, s19, v87
	s_delay_alu instid0(VALU_DEP_3)
	v_and_b32_e32 v172, 3, v137
	ds_load_2addr_b32 v[86:87], v86 offset1:1
	v_bfe_u32 v159, v138, 8, 2
	v_bfe_u32 v160, v138, 16, 2
	;; [unrolled: 1-line block ×3, first 2 shown]
	v_mul_i32_i24_e32 v95, v95, v172
	v_bfe_u32 v161, v137, 8, 2
	v_bfe_u32 v175, v137, 16, 2
	v_mul_i32_i24_e32 v99, v160, v99
	v_mul_i32_i24_e32 v97, v162, v97
	v_bfe_u32 v176, v137, 24, 2
	v_mul_i32_i24_e32 v100, v100, v161
	v_mul_i32_i24_e32 v96, v96, v175
	s_delay_alu instid0(VALU_DEP_3)
	v_mul_i32_i24_e32 v94, v94, v176
	s_wait_dscnt 0x0
	v_ashrrev_i32_e32 v139, s19, v86
	v_add_nc_u32_e32 v86, 0x3190, v19
	v_ashrrev_i32_e32 v140, s19, v87
	v_add_nc_u32_e32 v19, 0x3198, v19
	s_delay_alu instid0(VALU_DEP_4)
	v_and_b32_e32 v164, 3, v139
	ds_load_2addr_b32 v[86:87], v86 offset1:1
	v_bfe_u32 v165, v139, 8, 2
	v_bfe_u32 v167, v139, 16, 2
	;; [unrolled: 1-line block ×3, first 2 shown]
	v_mul_i32_i24_e32 v106, v164, v106
	v_and_b32_e32 v170, 3, v140
	v_mul_i32_i24_e32 v101, v165, v101
	v_mul_i32_i24_e32 v105, v167, v105
	v_mul_i32_i24_e32 v88, v169, v88
	v_bfe_u32 v171, v140, 8, 2
	v_mul_i32_i24_e32 v117, v170, v117
	v_bfe_u32 v173, v140, 16, 2
	v_bfe_u32 v174, v140, 24, 2
	s_delay_alu instid0(VALU_DEP_4) | instskip(NEXT) | instid1(VALU_DEP_3)
	v_mul_i32_i24_e32 v107, v171, v107
	v_mul_i32_i24_e32 v116, v173, v116
	s_delay_alu instid0(VALU_DEP_3)
	v_mul_i32_i24_e32 v89, v174, v89
	s_wait_dscnt 0x0
	v_ashrrev_i32_e32 v141, s19, v86
	v_ashrrev_i32_e32 v144, s19, v87
	ds_load_2addr_b32 v[86:87], v19 offset1:1
	v_add3_u32 v19, s20, v158, v151
	v_and_b32_e32 v158, 3, v138
	ds_load_b32 v130, v130
	ds_load_u16 v19, v19
	v_and_b32_e32 v163, 3, v141
	v_mul_i32_i24_e32 v98, v158, v98
	v_bfe_u32 v153, v141, 8, 2
	v_bfe_u32 v166, v141, 16, 2
	;; [unrolled: 1-line block ×3, first 2 shown]
	v_mul_i32_i24_e32 v83, v163, v83
	v_mad_i32_i24 v90, v159, v90, v98
	v_and_b32_e32 v141, 3, v144
	v_mul_i32_i24_e32 v79, v166, v79
	v_mul_i32_i24_e32 v37, v168, v37
	v_mad_i32_i24 v44, v153, v44, v83
	v_add3_u32 v90, v90, v99, v97
	v_bfe_u32 v143, v144, 16, 2
	s_wait_dscnt 0x2
	v_ashrrev_i32_e32 v86, s19, v86
	v_add3_u32 v37, v44, v79, v37
	v_add3_u32 v90, v90, v106, v95
	v_mul_i32_i24_e32 v44, v141, v91
	v_mul_i32_i24_e32 v83, v143, v84
	s_wait_dscnt 0x0
	v_lshrrev_b16 v142, 8, v19
	v_and_b32_e32 v177, 15, v19
	v_add3_u32 v90, v90, v100, v96
	v_bfe_u32 v133, v19, 4, 4
	v_and_b32_e32 v145, 3, v86
	v_bfe_u32 v146, v86, 8, 2
	v_bfe_u32 v147, v86, 16, 2
	v_add3_u32 v90, v90, v94, v101
	v_mul_lo_u32 v136, 0x1010101, v133
	v_mul_i32_i24_e32 v84, v145, v102
	v_bfe_u32 v148, v86, 24, 2
	v_ashrrev_i32_e32 v87, s19, v87
	v_add3_u32 v88, v90, v105, v88
	s_delay_alu instid0(VALU_DEP_3) | instskip(SKIP_1) | instid1(VALU_DEP_3)
	v_mul_i32_i24_e32 v86, v148, v92
	v_bfe_i32 v133, v136, 0, 8
	v_add3_u32 v88, v88, v117, v107
	v_bfe_i32 v134, v136, 8, 8
	v_bfe_i32 v135, v136, 16, 8
	v_lshrrev_b32_e32 v136, 24, v136
	v_and_b32_e32 v149, 3, v87
	v_add3_u32 v88, v88, v116, v89
	v_bfe_u32 v150, v87, 8, 2
	v_bfe_u32 v151, v87, 16, 2
	v_bfe_u32 v152, v87, 24, 2
	v_mul_i32_i24_e32 v90, v149, v113
	v_mul_lo_u32 v19, v88, v177
	v_and_b32_e32 v88, 0xffff, v142
	v_bfe_u32 v142, v144, 8, 2
	v_bfe_u32 v144, v144, 24, 2
	v_mul_i32_i24_e32 v91, v150, v114
	v_mul_i32_i24_e32 v92, v151, v115
	v_lshrrev_b32_e32 v89, 4, v88
	v_mul_i32_i24_e32 v79, v142, v85
	v_mul_i32_i24_e32 v82, v144, v82
	;; [unrolled: 1-line block ×4, first 2 shown]
	v_mul_lo_u32 v89, 0x1010101, v89
	v_add3_u32 v37, v37, v44, v79
	s_delay_alu instid0(VALU_DEP_1) | instskip(NEXT) | instid1(VALU_DEP_3)
	v_add3_u32 v37, v37, v83, v82
	v_bfe_i32 v137, v89, 0, 8
	v_bfe_i32 v138, v89, 8, 8
	;; [unrolled: 1-line block ×3, first 2 shown]
	v_lshrrev_b32_e32 v140, 24, v89
	v_mul_i32_i24_e32 v89, v147, v104
	v_add3_u32 v37, v37, v84, v85
	v_mul_i32_i24_e32 v84, v118, v136
	v_mul_i32_i24_e32 v85, v120, v135
	;; [unrolled: 1-line block ×4, first 2 shown]
	v_add3_u32 v37, v37, v89, v86
	v_mul_i32_i24_e32 v86, v119, v133
	v_mul_i32_i24_e32 v44, v121, v140
	;; [unrolled: 1-line block ×3, first 2 shown]
	v_and_b32_e32 v132, 15, v88
	v_add3_u32 v37, v37, v90, v91
	v_mad_i32_i24 v86, v122, v134, v86
	s_delay_alu instid0(VALU_DEP_2) | instskip(NEXT) | instid1(VALU_DEP_2)
	v_add3_u32 v37, v37, v92, v87
	v_add3_u32 v84, v86, v85, v84
	s_delay_alu instid0(VALU_DEP_1) | instskip(NEXT) | instid1(VALU_DEP_1)
	v_add3_u32 v82, v84, v82, v83
	v_add3_u32 v44, v82, v79, v44
	s_delay_alu instid0(VALU_DEP_4) | instskip(SKIP_1) | instid1(VALU_DEP_3)
	v_mad_co_u64_u32 v[82:83], null, v37, v132, v[19:20]
	v_lshrrev_b32_e32 v19, 16, v130
	v_cvt_f32_i32_e32 v37, v44
	s_delay_alu instid0(VALU_DEP_2) | instskip(NEXT) | instid1(VALU_DEP_4)
	v_cvt_f32_f16_e64 v131, v19
	v_cvt_f32_i32_e32 v19, v82
	s_delay_alu instid0(VALU_DEP_2) | instskip(NEXT) | instid1(VALU_DEP_1)
	v_mul_f32_e32 v37, v131, v37
	v_fma_mix_f32 v19, v130, v19, -v37 op_sel_hi:[1,0,0]
	s_delay_alu instid0(VALU_DEP_1) | instskip(SKIP_3) | instid1(VALU_DEP_1)
	v_fmac_f32_e32 v74, v18, v19
	scratch_load_b32 v18, off, off offset:48 ; 4-byte Folded Reload
	s_wait_loadcnt 0x0
	v_or_b32_e32 v18, s18, v18
	v_lshlrev_b32_e32 v19, 2, v18
	v_lshrrev_b32_e32 v18, 1, v18
	ds_load_b32 v37, v18 offset:30368
	ds_load_b128 v[82:85], v19 offset:16896
	ds_load_b128 v[86:89], v19 offset:16912
	s_wait_dscnt 0x1
	v_ashrrev_i32_e32 v44, 24, v82
	s_wait_dscnt 0x0
	v_lshrrev_b16 v18, 8, v86
	v_bfe_i32 v79, v82, 0, 8
	v_bfe_i32 v90, v82, 16, 8
	;; [unrolled: 1-line block ×5, first 2 shown]
	v_lshrrev_b16 v18, 8, v87
	v_ashrrev_i32_e32 v91, 24, v86
	v_bfe_i32 v92, v86, 16, 8
	v_bfe_i32 v86, v86, 0, 8
	v_ashrrev_i32_e32 v97, 24, v87
	v_bfe_i32 v99, v18, 0, 8
	v_lshrrev_b16 v18, 8, v84
	v_bfe_i32 v98, v87, 16, 8
	v_bfe_i32 v87, v87, 0, 8
	v_bfe_i32 v101, v88, 0, 8
	v_bfe_i32 v107, v89, 0, 8
	v_bfe_i32 v100, v18, 0, 8
	v_lshrrev_b16 v18, 8, v85
	v_add_nc_u32_e32 v19, v87, v86
	v_bfe_i32 v96, v83, 0, 8
	v_mul_i32_i24_e32 v124, v44, v78
	v_ashrrev_i32_e32 v95, 24, v83
	v_bfe_i32 v106, v18, 0, 8
	v_add_nc_u32_e32 v18, v82, v94
	v_add3_u32 v127, v19, v101, v107
	v_mul_i32_i24_e32 v19, v90, v77
	v_bfe_i32 v83, v83, 16, 8
	v_bfe_i32 v105, v84, 0, 8
	v_add3_u32 v123, v18, v100, v106
	v_mul_i32_i24_e32 v18, v79, v76
	v_mul_i32_i24_e32 v126, v59, v95
	;; [unrolled: 1-line block ×3, first 2 shown]
	v_bfe_i32 v104, v84, 16, 8
	v_ashrrev_i32_e32 v84, 24, v84
	v_mad_i32_i24 v18, v82, v54, v18
	v_mul_i32_i24_e32 v128, v60, v105
	v_mul_i32_i24_e32 v129, v61, v100
	;; [unrolled: 1-line block ×4, first 2 shown]
	v_add3_u32 v18, v18, v19, v124
	v_mul_i32_i24_e32 v19, v55, v96
	v_mul_i32_i24_e32 v124, v57, v94
	v_bfe_i32 v116, v85, 0, 8
	v_bfe_i32 v115, v85, 16, 8
	v_ashrrev_i32_e32 v85, 24, v85
	v_mul_i32_i24_e32 v23, v71, v106
	v_add3_u32 v18, v18, v19, v124
	v_mul_i32_i24_e32 v19, v49, v86
	v_mul_i32_i24_e32 v22, v70, v116
	v_bfe_i32 v102, v88, 8, 8
	v_mul_i32_i24_e32 v24, v73, v115
	v_add3_u32 v18, v18, v125, v126
	v_mad_i32_i24 v19, v4, v93, v19
	v_mul_i32_i24_e32 v25, v75, v85
	v_bfe_i32 v103, v88, 16, 8
	v_ashrrev_i32_e32 v88, 24, v88
	v_add3_u32 v18, v18, v128, v129
	v_bfe_i32 v113, v89, 8, 8
	v_bfe_i32 v114, v89, 16, 8
	v_ashrrev_i32_e32 v89, 24, v89
	v_add_nc_u32_e32 v119, v97, v91
	v_add3_u32 v18, v18, v20, v21
	v_mul_i32_i24_e32 v20, v52, v92
	v_mul_i32_i24_e32 v21, v53, v91
	v_add_nc_u32_e32 v117, v99, v93
	v_add_nc_u32_e32 v118, v98, v92
	v_add3_u32 v18, v18, v22, v23
	v_mul_i32_i24_e32 v22, v7, v98
	v_add3_u32 v19, v19, v20, v21
	v_mul_i32_i24_e32 v20, v5, v87
	v_mul_i32_i24_e32 v21, v6, v99
	;; [unrolled: 1-line block ×3, first 2 shown]
	v_add3_u32 v18, v18, v24, v25
	v_mul_i32_i24_e32 v24, v9, v101
	v_mul_i32_i24_e32 v25, v10, v102
	v_add3_u32 v19, v19, v20, v21
	v_add_nc_u32_e32 v122, v95, v44
	v_add3_u32 v119, v119, v88, v89
	v_mul_i32_i24_e32 v124, v11, v103
	v_mul_i32_i24_e32 v125, v12, v88
	v_add3_u32 v19, v19, v22, v23
	v_add_nc_u32_e32 v120, v83, v90
	v_add_nc_u32_e32 v121, v96, v79
	v_add3_u32 v122, v122, v84, v85
	v_add3_u32 v118, v118, v103, v114
	;; [unrolled: 1-line block ×4, first 2 shown]
	v_mul_i32_i24_e32 v24, v119, v80
	v_mul_i32_i24_e32 v126, v13, v107
	;; [unrolled: 1-line block ×3, first 2 shown]
	v_add3_u32 v19, v19, v124, v125
	v_add3_u32 v121, v121, v105, v116
	;; [unrolled: 1-line block ×3, first 2 shown]
	v_mul_i32_i24_e32 v20, v123, v81
	v_mul_i32_i24_e32 v21, v127, v110
	;; [unrolled: 1-line block ×4, first 2 shown]
	v_mad_i32_i24 v24, v122, v46, v24
	v_mul_i32_i24_e32 v129, v15, v114
	v_mul_i32_i24_e32 v26, v16, v89
	v_add3_u32 v19, v19, v126, v128
	v_mul_lo_u32 v18, v18, v3
	v_mad_i32_i24 v23, v120, v72, v23
	v_mad_i32_i24 v21, v121, v17, v21
	v_add3_u32 v20, v20, v22, v24
	v_add3_u32 v19, v19, v129, v26
	v_mul_i32_i24_e32 v22, v243, v95
	v_mul_i32_i24_e32 v24, v245, v100
	;; [unrolled: 1-line block ×3, first 2 shown]
	v_add3_u32 v20, v21, v23, v20
	v_mad_co_u64_u32 v[18:19], null, v19, v111, v[18:19]
	v_mul_i32_i24_e32 v21, v241, v83
	v_mul_i32_i24_e32 v23, v244, v105
	s_delay_alu instid0(VALU_DEP_4)
	v_cvt_f32_i32_e32 v19, v20
	v_mul_i32_i24_e32 v20, v44, v254
	v_mul_i32_i24_e32 v26, v247, v84
	;; [unrolled: 1-line block ×3, first 2 shown]
	v_cvt_f32_i32_e32 v18, v18
	v_mul_f32_e32 v19, v112, v19
	v_mul_i32_i24_e32 v125, v249, v106
	v_mul_i32_i24_e32 v126, v251, v115
	;; [unrolled: 1-line block ×4, first 2 shown]
	v_fma_mix_f32 v18, v2, v18, -v19 op_sel_hi:[1,0,0]
	v_mul_i32_i24_e32 v19, v90, v253
	s_delay_alu instid0(VALU_DEP_2) | instskip(SKIP_1) | instid1(VALU_DEP_1)
	v_fmac_f32_e32 v68, v37, v18
	v_mul_i32_i24_e32 v18, v79, v250
	v_mad_i32_i24 v18, v82, v242, v18
	s_delay_alu instid0(VALU_DEP_1) | instskip(SKIP_2) | instid1(VALU_DEP_1)
	v_add3_u32 v18, v18, v19, v20
	v_mul_i32_i24_e32 v19, v239, v96
	v_mul_i32_i24_e32 v20, v240, v94
	v_add3_u32 v18, v18, v19, v20
	v_mul_i32_i24_e32 v19, v230, v86
	v_mul_i32_i24_e32 v20, v233, v92
	s_delay_alu instid0(VALU_DEP_3) | instskip(SKIP_1) | instid1(VALU_DEP_4)
	v_add3_u32 v18, v18, v21, v22
	v_mul_i32_i24_e32 v21, v235, v91
	v_mad_i32_i24 v19, v222, v93, v19
	v_mul_i32_i24_e32 v22, v224, v98
	s_delay_alu instid0(VALU_DEP_4) | instskip(SKIP_1) | instid1(VALU_DEP_4)
	v_add3_u32 v18, v18, v23, v24
	v_mul_i32_i24_e32 v23, v225, v97
	v_add3_u32 v19, v19, v20, v21
	v_mul_i32_i24_e32 v20, v221, v87
	v_mul_i32_i24_e32 v21, v223, v99
	v_add3_u32 v18, v18, v25, v26
	v_mul_i32_i24_e32 v24, v226, v101
	v_mul_i32_i24_e32 v25, v227, v102
	v_mul_i32_i24_e32 v26, v228, v103
	v_add3_u32 v19, v19, v20, v21
	v_add3_u32 v18, v18, v124, v125
	v_mul_i32_i24_e32 v124, v229, v88
	v_mul_i32_i24_e32 v125, v231, v107
	v_mul_i32_i24_e32 v20, v119, v220
	v_add3_u32 v19, v19, v22, v23
	;; [unrolled: 5-line block ×3, first 2 shown]
	v_mul_i32_i24_e32 v24, v122, v36
	v_mul_i32_i24_e32 v25, v120, v50
	;; [unrolled: 1-line block ×3, first 2 shown]
	v_mul_lo_u32 v18, v18, v255
	v_add3_u32 v19, v19, v26, v124
	v_mul_i32_i24_e32 v26, v121, v201
	v_mul_i32_i24_e32 v21, v118, v219
	;; [unrolled: 1-line block ×3, first 2 shown]
	s_delay_alu instid0(VALU_DEP_4) | instskip(NEXT) | instid1(VALU_DEP_4)
	v_add3_u32 v19, v19, v125, v126
	v_mad_i32_i24 v26, v123, v202, v26
	v_mul_i32_i24_e32 v125, v210, v106
	v_mul_i32_i24_e32 v126, v212, v115
	s_delay_alu instid0(VALU_DEP_4) | instskip(NEXT) | instid1(VALU_DEP_4)
	v_add3_u32 v19, v19, v128, v129
	v_add3_u32 v24, v26, v25, v24
	v_mul_i32_i24_e32 v25, v207, v104
	v_mul_i32_i24_e32 v26, v208, v84
	;; [unrolled: 1-line block ×3, first 2 shown]
	v_mad_co_u64_u32 v[18:19], null, v19, v237, v[18:19]
	v_add3_u32 v22, v24, v22, v23
	v_mul_i32_i24_e32 v23, v205, v105
	v_mul_i32_i24_e32 v24, v206, v100
	;; [unrolled: 1-line block ×3, first 2 shown]
	s_delay_alu instid0(VALU_DEP_4) | instskip(SKIP_3) | instid1(VALU_DEP_4)
	v_add3_u32 v20, v22, v21, v20
	v_cvt_f32_i32_e32 v18, v18
	v_mul_i32_i24_e32 v21, v48, v83
	v_mul_i32_i24_e32 v22, v204, v95
	v_cvt_f32_i32_e32 v19, v20
	v_mul_i32_i24_e32 v20, v44, v215
	s_delay_alu instid0(VALU_DEP_2) | instskip(NEXT) | instid1(VALU_DEP_1)
	v_mul_f32_e32 v19, v238, v19
	v_fma_mix_f32 v18, v200, v18, -v19 op_sel_hi:[1,0,0]
	v_mul_i32_i24_e32 v19, v90, v214
	s_delay_alu instid0(VALU_DEP_2) | instskip(SKIP_1) | instid1(VALU_DEP_1)
	v_fmac_f32_e32 v67, v37, v18
	v_mul_i32_i24_e32 v18, v79, v211
	v_mad_i32_i24 v18, v82, v203, v18
	s_delay_alu instid0(VALU_DEP_1) | instskip(SKIP_2) | instid1(VALU_DEP_1)
	v_add3_u32 v18, v18, v19, v20
	v_mul_i32_i24_e32 v19, v1, v96
	v_mul_i32_i24_e32 v20, v47, v94
	v_add3_u32 v18, v18, v19, v20
	v_mul_i32_i24_e32 v19, v191, v86
	v_mul_i32_i24_e32 v20, v194, v92
	s_delay_alu instid0(VALU_DEP_3) | instskip(SKIP_1) | instid1(VALU_DEP_4)
	v_add3_u32 v18, v18, v21, v22
	v_mul_i32_i24_e32 v21, v196, v91
	v_mad_i32_i24 v19, v183, v93, v19
	v_mul_i32_i24_e32 v22, v185, v98
	s_delay_alu instid0(VALU_DEP_4) | instskip(SKIP_1) | instid1(VALU_DEP_4)
	v_add3_u32 v18, v18, v23, v24
	v_mul_i32_i24_e32 v23, v186, v97
	v_add3_u32 v19, v19, v20, v21
	v_mul_i32_i24_e32 v20, v182, v87
	v_mul_i32_i24_e32 v21, v184, v99
	v_add3_u32 v18, v18, v25, v26
	v_mul_i32_i24_e32 v24, v187, v101
	v_mul_i32_i24_e32 v25, v188, v102
	v_mul_i32_i24_e32 v26, v189, v103
	v_add3_u32 v19, v19, v20, v21
	v_add3_u32 v18, v18, v124, v125
	v_mul_i32_i24_e32 v124, v190, v88
	v_mul_i32_i24_e32 v125, v192, v107
	v_mul_i32_i24_e32 v20, v119, v181
	v_add3_u32 v19, v19, v22, v23
	;; [unrolled: 5-line block ×3, first 2 shown]
	v_mul_i32_i24_e32 v24, v122, v157
	v_mul_i32_i24_e32 v25, v120, v156
	;; [unrolled: 1-line block ×3, first 2 shown]
	v_mul_lo_u32 v18, v18, v216
	v_add3_u32 v19, v19, v26, v124
	v_mul_i32_i24_e32 v26, v121, v154
	v_mul_i32_i24_e32 v21, v118, v180
	s_delay_alu instid0(VALU_DEP_3) | instskip(NEXT) | instid1(VALU_DEP_3)
	v_add3_u32 v19, v19, v125, v126
	v_mad_i32_i24 v26, v123, v155, v26
	s_delay_alu instid0(VALU_DEP_2) | instskip(NEXT) | instid1(VALU_DEP_2)
	v_add3_u32 v19, v19, v128, v129
	v_add3_u32 v24, v26, v25, v24
	v_mul_i32_i24_e32 v25, v167, v104
	v_mul_i32_i24_e32 v26, v169, v84
	;; [unrolled: 1-line block ×3, first 2 shown]
	v_mad_co_u64_u32 v[18:19], null, v19, v198, v[18:19]
	v_add3_u32 v22, v24, v22, v23
	v_mul_i32_i24_e32 v23, v164, v105
	v_mul_i32_i24_e32 v24, v165, v100
	s_delay_alu instid0(VALU_DEP_3)
	v_add3_u32 v20, v22, v21, v20
	v_cvt_f32_i32_e32 v18, v18
	v_mul_i32_i24_e32 v21, v160, v83
	v_mul_i32_i24_e32 v22, v162, v95
	;; [unrolled: 1-line block ×3, first 2 shown]
	v_cvt_f32_i32_e32 v19, v20
	v_mul_i32_i24_e32 v20, v44, v176
	v_mul_i32_i24_e32 v44, v170, v116
	s_delay_alu instid0(VALU_DEP_3) | instskip(NEXT) | instid1(VALU_DEP_1)
	v_mul_f32_e32 v19, v199, v19
	v_fma_mix_f32 v18, v0, v18, -v19 op_sel_hi:[1,0,0]
	v_mul_i32_i24_e32 v19, v90, v175
	s_delay_alu instid0(VALU_DEP_2) | instskip(SKIP_2) | instid1(VALU_DEP_2)
	v_fmac_f32_e32 v66, v37, v18
	v_mul_i32_i24_e32 v18, v79, v172
	v_mul_i32_i24_e32 v79, v171, v106
	v_mad_i32_i24 v18, v82, v161, v18
	v_mul_i32_i24_e32 v82, v173, v115
	s_delay_alu instid0(VALU_DEP_2) | instskip(SKIP_2) | instid1(VALU_DEP_1)
	v_add3_u32 v18, v18, v19, v20
	v_mul_i32_i24_e32 v19, v158, v96
	v_mul_i32_i24_e32 v20, v159, v94
	v_add3_u32 v18, v18, v19, v20
	v_mul_i32_i24_e32 v19, v163, v86
	v_mul_i32_i24_e32 v20, v166, v92
	s_delay_alu instid0(VALU_DEP_3) | instskip(SKIP_1) | instid1(VALU_DEP_4)
	v_add3_u32 v18, v18, v21, v22
	v_mul_i32_i24_e32 v21, v168, v91
	v_mad_i32_i24 v19, v153, v93, v19
	v_mul_i32_i24_e32 v22, v143, v98
	s_delay_alu instid0(VALU_DEP_4) | instskip(SKIP_1) | instid1(VALU_DEP_4)
	v_add3_u32 v18, v18, v23, v24
	v_mul_i32_i24_e32 v23, v144, v97
	v_add3_u32 v19, v19, v20, v21
	v_mul_i32_i24_e32 v20, v141, v87
	v_mul_i32_i24_e32 v21, v142, v99
	v_add3_u32 v18, v18, v25, v26
	v_mul_i32_i24_e32 v24, v145, v101
	v_mul_i32_i24_e32 v25, v146, v102
	v_mul_i32_i24_e32 v26, v147, v103
	v_add3_u32 v19, v19, v20, v21
	v_add3_u32 v18, v18, v44, v79
	v_mul_i32_i24_e32 v44, v148, v88
	v_mul_i32_i24_e32 v79, v149, v107
	v_mul_i32_i24_e32 v20, v119, v140
	v_add3_u32 v19, v19, v22, v23
	;; [unrolled: 5-line block ×3, first 2 shown]
	v_mul_i32_i24_e32 v24, v122, v136
	v_mul_i32_i24_e32 v25, v120, v135
	;; [unrolled: 1-line block ×3, first 2 shown]
	v_mul_lo_u32 v18, v18, v177
	v_add3_u32 v19, v19, v26, v44
	v_mul_i32_i24_e32 v26, v121, v133
	v_mul_i32_i24_e32 v21, v118, v139
	s_delay_alu instid0(VALU_DEP_3) | instskip(NEXT) | instid1(VALU_DEP_3)
	v_add3_u32 v19, v19, v79, v82
	v_mad_i32_i24 v26, v123, v134, v26
	s_delay_alu instid0(VALU_DEP_2) | instskip(NEXT) | instid1(VALU_DEP_2)
	v_add3_u32 v19, v19, v83, v84
	v_add3_u32 v24, v26, v25, v24
	s_delay_alu instid0(VALU_DEP_2) | instskip(NEXT) | instid1(VALU_DEP_2)
	v_mad_co_u64_u32 v[18:19], null, v19, v132, v[18:19]
	v_add3_u32 v22, v24, v22, v23
	s_delay_alu instid0(VALU_DEP_1) | instskip(NEXT) | instid1(VALU_DEP_3)
	v_add3_u32 v20, v22, v21, v20
	v_cvt_f32_i32_e32 v18, v18
	s_delay_alu instid0(VALU_DEP_2) | instskip(NEXT) | instid1(VALU_DEP_1)
	v_cvt_f32_i32_e32 v19, v20
	v_mul_f32_e32 v19, v131, v19
	s_delay_alu instid0(VALU_DEP_1) | instskip(NEXT) | instid1(VALU_DEP_1)
	v_fma_mix_f32 v18, v130, v18, -v19 op_sel_hi:[1,0,0]
	v_fmac_f32_e32 v64, v37, v18
	scratch_load_b32 v18, off, off offset:40 ; 4-byte Folded Reload
	s_wait_loadcnt 0x0
	v_or_b32_e32 v18, s18, v18
	s_delay_alu instid0(VALU_DEP_1)
	v_lshlrev_b32_e32 v19, 2, v18
	v_lshrrev_b32_e32 v18, 1, v18
	ds_load_b32 v20, v18 offset:30368
	ds_load_b128 v[82:85], v19 offset:16896
	ds_load_b128 v[86:89], v19 offset:16912
	s_wait_dscnt 0x1
	v_ashrrev_i32_e32 v21, 24, v82
	s_wait_dscnt 0x0
	v_lshrrev_b16 v18, 8, v86
	v_bfe_i32 v22, v82, 0, 8
	v_bfe_i32 v23, v82, 16, 8
	;; [unrolled: 1-line block ×5, first 2 shown]
	v_lshrrev_b16 v18, 8, v87
	v_bfe_i32 v37, v86, 0, 8
	v_ashrrev_i32_e32 v90, 24, v87
	v_bfe_i32 v91, v87, 16, 8
	v_bfe_i32 v87, v87, 0, 8
	;; [unrolled: 1-line block ×3, first 2 shown]
	v_lshrrev_b16 v18, 8, v84
	v_bfe_i32 v94, v88, 0, 8
	v_bfe_i32 v100, v89, 0, 8
	v_add_nc_u32_e32 v19, v87, v37
	v_ashrrev_i32_e32 v24, 24, v86
	v_bfe_i32 v93, v18, 0, 8
	v_lshrrev_b16 v18, 8, v85
	v_bfe_i32 v25, v86, 16, 8
	v_bfe_i32 v86, v83, 0, 8
	v_add3_u32 v116, v19, v94, v100
	v_mul_i32_i24_e32 v19, v23, v77
	v_bfe_i32 v99, v18, 0, 8
	v_add_nc_u32_e32 v18, v82, v44
	v_mul_i32_i24_e32 v118, v21, v78
	v_ashrrev_i32_e32 v79, 24, v83
	v_bfe_i32 v83, v83, 16, 8
	v_bfe_i32 v98, v84, 0, 8
	v_add3_u32 v117, v18, v93, v99
	v_mul_i32_i24_e32 v18, v22, v76
	v_mul_i32_i24_e32 v120, v59, v79
	v_mul_i32_i24_e32 v119, v58, v83
	v_bfe_i32 v97, v84, 16, 8
	v_ashrrev_i32_e32 v84, 24, v84
	v_mad_i32_i24 v18, v82, v54, v18
	v_mul_i32_i24_e32 v121, v60, v98
	v_mul_i32_i24_e32 v122, v61, v93
	v_bfe_i32 v95, v88, 8, 8
	v_bfe_i32 v104, v85, 0, 8
	v_add3_u32 v18, v18, v19, v118
	v_mul_i32_i24_e32 v19, v55, v86
	v_mul_i32_i24_e32 v118, v57, v44
	;; [unrolled: 1-line block ×4, first 2 shown]
	v_bfe_i32 v96, v88, 16, 8
	v_ashrrev_i32_e32 v88, 24, v88
	v_add3_u32 v18, v18, v19, v118
	v_mul_i32_i24_e32 v19, v49, v37
	v_mul_i32_i24_e32 v118, v52, v25
	v_bfe_i32 v101, v89, 8, 8
	v_bfe_i32 v102, v89, 16, 8
	v_add3_u32 v18, v18, v119, v120
	v_mul_i32_i24_e32 v119, v53, v24
	v_mad_i32_i24 v19, v4, v26, v19
	v_mul_i32_i24_e32 v120, v7, v91
	v_ashrrev_i32_e32 v89, 24, v89
	v_add3_u32 v18, v18, v121, v122
	v_mul_i32_i24_e32 v121, v8, v90
	v_add3_u32 v19, v19, v118, v119
	v_mul_i32_i24_e32 v118, v5, v87
	v_mul_i32_i24_e32 v119, v6, v92
	v_add_nc_u32_e32 v107, v90, v24
	v_bfe_i32 v103, v85, 16, 8
	v_ashrrev_i32_e32 v85, 24, v85
	v_mul_i32_i24_e32 v125, v70, v104
	v_add3_u32 v19, v19, v118, v119
	v_mul_i32_i24_e32 v126, v71, v99
	v_add3_u32 v18, v18, v123, v124
	v_mul_i32_i24_e32 v122, v9, v94
	v_mul_i32_i24_e32 v123, v10, v95
	v_add3_u32 v19, v19, v120, v121
	v_add_nc_u32_e32 v105, v92, v26
	v_add_nc_u32_e32 v106, v91, v25
	;; [unrolled: 1-line block ×3, first 2 shown]
	v_add3_u32 v107, v107, v88, v89
	v_mul_i32_i24_e32 v127, v73, v103
	v_mul_i32_i24_e32 v128, v75, v85
	v_add3_u32 v18, v18, v125, v126
	v_mul_i32_i24_e32 v124, v11, v96
	v_mul_i32_i24_e32 v125, v12, v88
	v_add3_u32 v19, v19, v122, v123
	v_add_nc_u32_e32 v113, v83, v23
	v_add_nc_u32_e32 v114, v86, v22
	v_add3_u32 v115, v115, v84, v85
	v_add3_u32 v106, v106, v96, v102
	;; [unrolled: 1-line block ×3, first 2 shown]
	v_mul_i32_i24_e32 v122, v107, v80
	v_add3_u32 v18, v18, v127, v128
	v_mul_i32_i24_e32 v126, v13, v100
	v_mul_i32_i24_e32 v127, v14, v101
	v_add3_u32 v19, v19, v124, v125
	v_add3_u32 v114, v114, v98, v104
	;; [unrolled: 1-line block ×3, first 2 shown]
	v_mul_i32_i24_e32 v118, v117, v81
	v_mul_i32_i24_e32 v119, v116, v110
	v_mul_i32_i24_e32 v120, v105, v108
	v_mul_i32_i24_e32 v121, v106, v109
	v_mad_i32_i24 v122, v115, v46, v122
	v_mul_i32_i24_e32 v128, v15, v102
	v_mul_i32_i24_e32 v129, v16, v89
	v_add3_u32 v19, v19, v126, v127
	v_mul_lo_u32 v18, v18, v3
	v_mad_i32_i24 v121, v113, v72, v121
	v_mad_i32_i24 v119, v114, v17, v119
	v_add3_u32 v118, v118, v120, v122
	v_add3_u32 v19, v19, v128, v129
	v_mul_i32_i24_e32 v120, v243, v79
	v_mul_i32_i24_e32 v122, v245, v93
	;; [unrolled: 1-line block ×3, first 2 shown]
	v_add3_u32 v118, v119, v121, v118
	v_mad_co_u64_u32 v[18:19], null, v19, v111, v[18:19]
	v_mul_i32_i24_e32 v119, v241, v83
	v_mul_i32_i24_e32 v121, v244, v98
	s_delay_alu instid0(VALU_DEP_4)
	v_cvt_f32_i32_e32 v19, v118
	v_mul_i32_i24_e32 v118, v21, v254
	v_mul_i32_i24_e32 v124, v247, v84
	;; [unrolled: 1-line block ×3, first 2 shown]
	v_cvt_f32_i32_e32 v18, v18
	v_mul_f32_e32 v19, v112, v19
	v_mul_i32_i24_e32 v126, v249, v99
	v_mul_i32_i24_e32 v127, v251, v103
	;; [unrolled: 1-line block ×4, first 2 shown]
	v_fma_mix_f32 v18, v2, v18, -v19 op_sel_hi:[1,0,0]
	v_mul_i32_i24_e32 v19, v23, v253
	s_delay_alu instid0(VALU_DEP_2) | instskip(SKIP_1) | instid1(VALU_DEP_1)
	v_fmac_f32_e32 v63, v20, v18
	v_mul_i32_i24_e32 v18, v22, v250
	v_mad_i32_i24 v18, v82, v242, v18
	s_delay_alu instid0(VALU_DEP_1) | instskip(SKIP_2) | instid1(VALU_DEP_1)
	v_add3_u32 v18, v18, v19, v118
	v_mul_i32_i24_e32 v19, v239, v86
	v_mul_i32_i24_e32 v118, v240, v44
	v_add3_u32 v18, v18, v19, v118
	v_mul_i32_i24_e32 v19, v230, v37
	v_mul_i32_i24_e32 v118, v233, v25
	s_delay_alu instid0(VALU_DEP_3) | instskip(SKIP_1) | instid1(VALU_DEP_4)
	v_add3_u32 v18, v18, v119, v120
	v_mul_i32_i24_e32 v119, v235, v24
	v_mad_i32_i24 v19, v222, v26, v19
	v_mul_i32_i24_e32 v120, v224, v91
	s_delay_alu instid0(VALU_DEP_4) | instskip(SKIP_1) | instid1(VALU_DEP_4)
	v_add3_u32 v18, v18, v121, v122
	v_mul_i32_i24_e32 v121, v225, v90
	v_add3_u32 v19, v19, v118, v119
	v_mul_i32_i24_e32 v118, v221, v87
	v_mul_i32_i24_e32 v119, v223, v92
	v_add3_u32 v18, v18, v123, v124
	v_mul_i32_i24_e32 v122, v226, v94
	v_mul_i32_i24_e32 v123, v227, v95
	v_mul_i32_i24_e32 v124, v228, v96
	v_add3_u32 v19, v19, v118, v119
	v_add3_u32 v18, v18, v125, v126
	v_mul_i32_i24_e32 v125, v229, v88
	v_mul_i32_i24_e32 v126, v231, v100
	v_mul_i32_i24_e32 v118, v107, v220
	v_add3_u32 v19, v19, v120, v121
	;; [unrolled: 5-line block ×3, first 2 shown]
	v_mul_i32_i24_e32 v122, v115, v36
	v_mul_i32_i24_e32 v123, v113, v50
	;; [unrolled: 1-line block ×3, first 2 shown]
	v_mul_lo_u32 v18, v18, v255
	v_add3_u32 v19, v19, v124, v125
	v_mul_i32_i24_e32 v124, v114, v201
	v_mul_i32_i24_e32 v119, v106, v219
	;; [unrolled: 1-line block ×3, first 2 shown]
	s_delay_alu instid0(VALU_DEP_4) | instskip(NEXT) | instid1(VALU_DEP_4)
	v_add3_u32 v19, v19, v126, v127
	v_mad_i32_i24 v124, v117, v202, v124
	v_mul_i32_i24_e32 v126, v210, v99
	v_mul_i32_i24_e32 v127, v212, v103
	s_delay_alu instid0(VALU_DEP_4) | instskip(NEXT) | instid1(VALU_DEP_4)
	v_add3_u32 v19, v19, v128, v129
	v_add3_u32 v122, v124, v123, v122
	v_mul_i32_i24_e32 v123, v207, v97
	v_mul_i32_i24_e32 v124, v208, v84
	;; [unrolled: 1-line block ×3, first 2 shown]
	v_mad_co_u64_u32 v[18:19], null, v19, v237, v[18:19]
	v_add3_u32 v120, v122, v120, v121
	v_mul_i32_i24_e32 v121, v205, v98
	v_mul_i32_i24_e32 v122, v206, v93
	;; [unrolled: 1-line block ×4, first 2 shown]
	v_add3_u32 v118, v120, v119, v118
	v_cvt_f32_i32_e32 v18, v18
	v_mul_i32_i24_e32 v119, v48, v83
	v_mul_i32_i24_e32 v120, v204, v79
	s_delay_alu instid0(VALU_DEP_4) | instskip(SKIP_2) | instid1(VALU_DEP_3)
	v_cvt_f32_i32_e32 v19, v118
	v_mul_i32_i24_e32 v118, v21, v215
	v_mul_i32_i24_e32 v21, v21, v176
	v_mul_f32_e32 v19, v238, v19
	s_delay_alu instid0(VALU_DEP_1) | instskip(SKIP_1) | instid1(VALU_DEP_2)
	v_fma_mix_f32 v18, v200, v18, -v19 op_sel_hi:[1,0,0]
	v_mul_i32_i24_e32 v19, v23, v214
	v_fmac_f32_e32 v62, v20, v18
	v_mul_i32_i24_e32 v18, v22, v211
	s_delay_alu instid0(VALU_DEP_1) | instskip(NEXT) | instid1(VALU_DEP_1)
	v_mad_i32_i24 v18, v82, v203, v18
	v_add3_u32 v18, v18, v19, v118
	v_mul_i32_i24_e32 v19, v1, v86
	v_mul_i32_i24_e32 v118, v47, v44
	s_delay_alu instid0(VALU_DEP_1) | instskip(SKIP_2) | instid1(VALU_DEP_3)
	v_add3_u32 v18, v18, v19, v118
	v_mul_i32_i24_e32 v19, v191, v37
	v_mul_i32_i24_e32 v118, v194, v25
	v_add3_u32 v18, v18, v119, v120
	v_mul_i32_i24_e32 v119, v196, v24
	s_delay_alu instid0(VALU_DEP_4) | instskip(SKIP_1) | instid1(VALU_DEP_4)
	v_mad_i32_i24 v19, v183, v26, v19
	v_mul_i32_i24_e32 v120, v185, v91
	v_add3_u32 v18, v18, v121, v122
	v_mul_i32_i24_e32 v121, v186, v90
	s_delay_alu instid0(VALU_DEP_4)
	v_add3_u32 v19, v19, v118, v119
	v_mul_i32_i24_e32 v118, v182, v87
	v_mul_i32_i24_e32 v119, v184, v92
	v_add3_u32 v18, v18, v123, v124
	v_mul_i32_i24_e32 v122, v187, v94
	v_mul_i32_i24_e32 v123, v188, v95
	v_mul_i32_i24_e32 v124, v189, v96
	v_add3_u32 v19, v19, v118, v119
	v_add3_u32 v18, v18, v125, v126
	v_mul_i32_i24_e32 v125, v190, v88
	v_mul_i32_i24_e32 v126, v192, v100
	v_mul_i32_i24_e32 v118, v107, v181
	v_add3_u32 v19, v19, v120, v121
	;; [unrolled: 5-line block ×3, first 2 shown]
	v_mul_i32_i24_e32 v122, v115, v157
	v_mul_i32_i24_e32 v123, v113, v156
	;; [unrolled: 1-line block ×3, first 2 shown]
	v_mul_lo_u32 v18, v18, v216
	v_add3_u32 v19, v19, v124, v125
	v_mul_i32_i24_e32 v124, v114, v154
	v_mul_i32_i24_e32 v119, v106, v180
	s_delay_alu instid0(VALU_DEP_3) | instskip(NEXT) | instid1(VALU_DEP_3)
	v_add3_u32 v19, v19, v126, v127
	v_mad_i32_i24 v124, v117, v155, v124
	s_delay_alu instid0(VALU_DEP_2) | instskip(NEXT) | instid1(VALU_DEP_2)
	v_add3_u32 v19, v19, v128, v129
	v_add3_u32 v122, v124, v123, v122
	s_delay_alu instid0(VALU_DEP_2) | instskip(NEXT) | instid1(VALU_DEP_2)
	v_mad_co_u64_u32 v[18:19], null, v19, v198, v[18:19]
	v_add3_u32 v120, v122, v120, v121
	s_delay_alu instid0(VALU_DEP_1) | instskip(NEXT) | instid1(VALU_DEP_3)
	v_add3_u32 v118, v120, v119, v118
	v_cvt_f32_i32_e32 v18, v18
	s_delay_alu instid0(VALU_DEP_2) | instskip(NEXT) | instid1(VALU_DEP_1)
	v_cvt_f32_i32_e32 v19, v118
	v_mul_f32_e32 v19, v199, v19
	s_delay_alu instid0(VALU_DEP_1)
	v_fma_mix_f32 v18, v0, v18, -v19 op_sel_hi:[1,0,0]
	v_mul_i32_i24_e32 v19, v23, v175
	v_mul_i32_i24_e32 v23, v162, v79
	;; [unrolled: 1-line block ×4, first 2 shown]
	v_fmac_f32_e32 v56, v20, v18
	v_mul_i32_i24_e32 v18, v22, v172
	v_mul_i32_i24_e32 v22, v160, v83
	;; [unrolled: 1-line block ×4, first 2 shown]
	s_delay_alu instid0(VALU_DEP_4) | instskip(SKIP_1) | instid1(VALU_DEP_2)
	v_mad_i32_i24 v18, v82, v161, v18
	v_mul_i32_i24_e32 v82, v167, v97
	v_add3_u32 v18, v18, v19, v21
	v_mul_i32_i24_e32 v19, v158, v86
	v_mul_i32_i24_e32 v21, v159, v44
	;; [unrolled: 1-line block ×4, first 2 shown]
	s_delay_alu instid0(VALU_DEP_3)
	v_add3_u32 v18, v18, v19, v21
	v_mul_i32_i24_e32 v19, v163, v37
	v_mul_i32_i24_e32 v21, v166, v25
	v_mul_i32_i24_e32 v25, v145, v94
	v_mul_i32_i24_e32 v37, v147, v96
	v_add3_u32 v18, v18, v22, v23
	v_mul_i32_i24_e32 v22, v168, v24
	v_mad_i32_i24 v19, v153, v26, v19
	v_mul_i32_i24_e32 v23, v143, v91
	v_mul_i32_i24_e32 v24, v144, v90
	;; [unrolled: 1-line block ×3, first 2 shown]
	v_add3_u32 v18, v18, v44, v79
	v_add3_u32 v19, v19, v21, v22
	v_mul_i32_i24_e32 v21, v141, v87
	v_mul_i32_i24_e32 v22, v142, v92
	;; [unrolled: 1-line block ×3, first 2 shown]
	v_add3_u32 v18, v18, v82, v83
	v_mul_i32_i24_e32 v79, v149, v100
	v_mul_i32_i24_e32 v82, v150, v101
	v_add3_u32 v19, v19, v21, v22
	v_mul_i32_i24_e32 v83, v151, v102
	v_add3_u32 v18, v18, v84, v86
	v_mul_i32_i24_e32 v84, v152, v89
	v_mul_i32_i24_e32 v21, v107, v140
	v_add3_u32 v19, v19, v23, v24
	v_mul_i32_i24_e32 v23, v116, v137
	;; [unrolled: 5-line block ×3, first 2 shown]
	v_mul_i32_i24_e32 v26, v113, v135
	v_mul_lo_u32 v18, v18, v177
	s_delay_alu instid0(VALU_DEP_4) | instskip(SKIP_1) | instid1(VALU_DEP_2)
	v_add3_u32 v19, v19, v37, v44
	v_mul_i32_i24_e32 v37, v114, v133
	v_add3_u32 v19, v19, v79, v82
	s_delay_alu instid0(VALU_DEP_2) | instskip(NEXT) | instid1(VALU_DEP_2)
	v_mad_i32_i24 v37, v117, v134, v37
	v_add3_u32 v19, v19, v83, v84
	s_delay_alu instid0(VALU_DEP_2) | instskip(NEXT) | instid1(VALU_DEP_2)
	v_add3_u32 v25, v37, v26, v25
	v_mad_co_u64_u32 v[18:19], null, v19, v132, v[18:19]
	s_delay_alu instid0(VALU_DEP_2) | instskip(NEXT) | instid1(VALU_DEP_1)
	v_add3_u32 v23, v25, v23, v24
	v_add3_u32 v21, v23, v22, v21
	s_delay_alu instid0(VALU_DEP_3) | instskip(NEXT) | instid1(VALU_DEP_2)
	v_cvt_f32_i32_e32 v18, v18
	v_cvt_f32_i32_e32 v19, v21
	s_delay_alu instid0(VALU_DEP_1) | instskip(NEXT) | instid1(VALU_DEP_1)
	v_mul_f32_e32 v19, v131, v19
	v_fma_mix_f32 v18, v130, v18, -v19 op_sel_hi:[1,0,0]
	s_delay_alu instid0(VALU_DEP_1) | instskip(SKIP_3) | instid1(VALU_DEP_1)
	v_fmac_f32_e32 v45, v20, v18
	scratch_load_b32 v18, off, off offset:44 ; 4-byte Folded Reload
	s_wait_loadcnt 0x0
	v_or_b32_e32 v18, s18, v18
	v_lshlrev_b32_e32 v19, 2, v18
	v_lshrrev_b32_e32 v18, 1, v18
	ds_load_b32 v20, v18 offset:30368
	ds_load_b128 v[82:85], v19 offset:16896
	ds_load_b128 v[86:89], v19 offset:16912
	s_wait_dscnt 0x1
	v_ashrrev_i32_e32 v24, 24, v82
	s_wait_dscnt 0x0
	v_bfe_i32 v93, v86, 0, 8
	v_bfe_i32 v94, v86, 8, 8
	v_bfe_i32 v95, v86, 16, 8
	v_ashrrev_i32_e32 v86, 24, v86
	v_bfe_i32 v96, v87, 0, 8
	v_bfe_i32 v97, v87, 8, 8
	v_bfe_i32 v98, v87, 16, 8
	v_ashrrev_i32_e32 v87, 24, v87
	;; [unrolled: 4-line block ×4, first 2 shown]
	v_add_nc_u32_e32 v18, v87, v86
	v_ashrrev_i32_e32 v44, 24, v83
	v_bfe_i32 v21, v82, 0, 8
	v_bfe_i32 v22, v82, 8, 8
	;; [unrolled: 1-line block ×3, first 2 shown]
	v_add3_u32 v105, v18, v88, v89
	v_add_nc_u32_e32 v18, v98, v95
	v_bfe_i32 v25, v83, 0, 8
	v_bfe_i32 v26, v83, 8, 8
	;; [unrolled: 1-line block ×4, first 2 shown]
	v_add3_u32 v106, v18, v101, v104
	v_add_nc_u32_e32 v18, v96, v93
	v_bfe_i32 v82, v84, 8, 8
	v_bfe_i32 v83, v84, 16, 8
	v_ashrrev_i32_e32 v84, 24, v84
	v_bfe_i32 v90, v85, 0, 8
	v_add3_u32 v107, v18, v99, v102
	v_add_nc_u32_e32 v18, v97, v94
	v_bfe_i32 v91, v85, 8, 8
	v_bfe_i32 v92, v85, 16, 8
	v_ashrrev_i32_e32 v85, 24, v85
	v_mul_i32_i24_e32 v19, v23, v77
	v_add3_u32 v113, v18, v100, v103
	v_add_nc_u32_e32 v18, v44, v24
	v_mul_i32_i24_e32 v118, v24, v78
	v_mul_i32_i24_e32 v119, v58, v37
	v_mul_i32_i24_e32 v120, v59, v44
	v_mul_i32_i24_e32 v121, v60, v79
	v_add3_u32 v114, v18, v84, v85
	v_add_nc_u32_e32 v18, v37, v23
	v_mul_i32_i24_e32 v122, v61, v82
	v_mul_i32_i24_e32 v123, v65, v83
	v_mul_i32_i24_e32 v124, v69, v84
	;; [unrolled: 6-line block ×3, first 2 shown]
	v_mul_i32_i24_e32 v129, v16, v89
	v_add3_u32 v116, v18, v82, v91
	v_add_nc_u32_e32 v18, v25, v21
	s_delay_alu instid0(VALU_DEP_1) | instskip(SKIP_1) | instid1(VALU_DEP_1)
	v_add3_u32 v117, v18, v79, v90
	v_mul_i32_i24_e32 v18, v21, v76
	v_mad_i32_i24 v18, v22, v54, v18
	s_delay_alu instid0(VALU_DEP_1) | instskip(SKIP_2) | instid1(VALU_DEP_1)
	v_add3_u32 v18, v18, v19, v118
	v_mul_i32_i24_e32 v19, v55, v25
	v_mul_i32_i24_e32 v118, v57, v26
	v_add3_u32 v18, v18, v19, v118
	v_mul_i32_i24_e32 v19, v49, v93
	v_mul_i32_i24_e32 v118, v52, v95
	s_delay_alu instid0(VALU_DEP_3) | instskip(SKIP_1) | instid1(VALU_DEP_4)
	v_add3_u32 v18, v18, v119, v120
	v_mul_i32_i24_e32 v119, v53, v86
	v_mad_i32_i24 v19, v4, v94, v19
	v_mul_i32_i24_e32 v120, v7, v98
	s_delay_alu instid0(VALU_DEP_4) | instskip(SKIP_1) | instid1(VALU_DEP_4)
	v_add3_u32 v18, v18, v121, v122
	v_mul_i32_i24_e32 v121, v8, v87
	v_add3_u32 v19, v19, v118, v119
	v_mul_i32_i24_e32 v118, v5, v96
	v_mul_i32_i24_e32 v119, v6, v97
	v_add3_u32 v18, v18, v123, v124
	v_mul_i32_i24_e32 v122, v9, v99
	v_mul_i32_i24_e32 v123, v10, v100
	v_mul_i32_i24_e32 v124, v11, v101
	v_add3_u32 v19, v19, v118, v119
	v_add3_u32 v18, v18, v125, v126
	v_mul_i32_i24_e32 v125, v12, v88
	v_mul_i32_i24_e32 v126, v13, v102
	v_mul_i32_i24_e32 v118, v105, v80
	v_add3_u32 v19, v19, v120, v121
	;; [unrolled: 5-line block ×3, first 2 shown]
	v_mul_i32_i24_e32 v122, v114, v46
	v_mul_i32_i24_e32 v123, v115, v72
	;; [unrolled: 1-line block ×3, first 2 shown]
	v_mul_lo_u32 v18, v18, v3
	v_add3_u32 v19, v19, v124, v125
	v_mul_i32_i24_e32 v124, v117, v17
	v_mul_i32_i24_e32 v119, v106, v109
	;; [unrolled: 1-line block ×3, first 2 shown]
	s_delay_alu instid0(VALU_DEP_4) | instskip(NEXT) | instid1(VALU_DEP_4)
	v_add3_u32 v19, v19, v126, v127
	v_mad_i32_i24 v124, v116, v81, v124
	v_mul_i32_i24_e32 v126, v249, v91
	v_mul_i32_i24_e32 v127, v251, v92
	s_delay_alu instid0(VALU_DEP_4) | instskip(NEXT) | instid1(VALU_DEP_4)
	v_add3_u32 v19, v19, v128, v129
	v_add3_u32 v122, v124, v123, v122
	v_mul_i32_i24_e32 v123, v246, v83
	v_mul_i32_i24_e32 v124, v247, v84
	;; [unrolled: 1-line block ×3, first 2 shown]
	v_mad_co_u64_u32 v[18:19], null, v19, v111, v[18:19]
	v_add3_u32 v120, v122, v120, v121
	v_mul_i32_i24_e32 v121, v244, v79
	v_mul_i32_i24_e32 v122, v245, v82
	;; [unrolled: 1-line block ×3, first 2 shown]
	s_delay_alu instid0(VALU_DEP_4) | instskip(SKIP_3) | instid1(VALU_DEP_4)
	v_add3_u32 v118, v120, v119, v118
	v_cvt_f32_i32_e32 v18, v18
	v_mul_i32_i24_e32 v119, v241, v37
	v_mul_i32_i24_e32 v120, v243, v44
	v_cvt_f32_i32_e32 v19, v118
	v_mul_i32_i24_e32 v118, v24, v254
	s_delay_alu instid0(VALU_DEP_2) | instskip(NEXT) | instid1(VALU_DEP_1)
	v_mul_f32_e32 v19, v112, v19
	v_fma_mix_f32 v18, v2, v18, -v19 op_sel_hi:[1,0,0]
	v_mul_i32_i24_e32 v19, v23, v253
	s_delay_alu instid0(VALU_DEP_2) | instskip(SKIP_1) | instid1(VALU_DEP_1)
	v_fmac_f32_e32 v43, v20, v18
	v_mul_i32_i24_e32 v18, v21, v250
	v_mad_i32_i24 v18, v22, v242, v18
	s_delay_alu instid0(VALU_DEP_1) | instskip(SKIP_2) | instid1(VALU_DEP_1)
	v_add3_u32 v18, v18, v19, v118
	v_mul_i32_i24_e32 v19, v239, v25
	v_mul_i32_i24_e32 v118, v240, v26
	v_add3_u32 v18, v18, v19, v118
	v_mul_i32_i24_e32 v19, v230, v93
	v_mul_i32_i24_e32 v118, v233, v95
	s_delay_alu instid0(VALU_DEP_3) | instskip(SKIP_1) | instid1(VALU_DEP_4)
	v_add3_u32 v18, v18, v119, v120
	v_mul_i32_i24_e32 v119, v235, v86
	v_mad_i32_i24 v19, v222, v94, v19
	v_mul_i32_i24_e32 v120, v224, v98
	s_delay_alu instid0(VALU_DEP_4) | instskip(SKIP_1) | instid1(VALU_DEP_4)
	v_add3_u32 v18, v18, v121, v122
	v_mul_i32_i24_e32 v121, v225, v87
	v_add3_u32 v19, v19, v118, v119
	v_mul_i32_i24_e32 v118, v221, v96
	v_mul_i32_i24_e32 v119, v223, v97
	v_add3_u32 v18, v18, v123, v124
	v_mul_i32_i24_e32 v122, v226, v99
	v_mul_i32_i24_e32 v123, v227, v100
	v_mul_i32_i24_e32 v124, v228, v101
	v_add3_u32 v19, v19, v118, v119
	v_add3_u32 v18, v18, v125, v126
	v_mul_i32_i24_e32 v125, v229, v88
	v_mul_i32_i24_e32 v126, v231, v102
	v_mul_i32_i24_e32 v118, v105, v220
	v_add3_u32 v19, v19, v120, v121
	;; [unrolled: 5-line block ×3, first 2 shown]
	v_mul_i32_i24_e32 v122, v114, v36
	v_mul_i32_i24_e32 v123, v115, v50
	;; [unrolled: 1-line block ×3, first 2 shown]
	v_mul_lo_u32 v18, v18, v255
	v_add3_u32 v19, v19, v124, v125
	v_mul_i32_i24_e32 v124, v117, v201
	v_mul_i32_i24_e32 v119, v106, v219
	;; [unrolled: 1-line block ×3, first 2 shown]
	s_delay_alu instid0(VALU_DEP_4) | instskip(NEXT) | instid1(VALU_DEP_4)
	v_add3_u32 v19, v19, v126, v127
	v_mad_i32_i24 v124, v116, v202, v124
	v_mul_i32_i24_e32 v126, v210, v91
	v_mul_i32_i24_e32 v127, v212, v92
	s_delay_alu instid0(VALU_DEP_4) | instskip(NEXT) | instid1(VALU_DEP_4)
	v_add3_u32 v19, v19, v128, v129
	v_add3_u32 v122, v124, v123, v122
	v_mul_i32_i24_e32 v123, v207, v83
	v_mul_i32_i24_e32 v124, v208, v84
	;; [unrolled: 1-line block ×3, first 2 shown]
	v_mad_co_u64_u32 v[18:19], null, v19, v237, v[18:19]
	v_add3_u32 v120, v122, v120, v121
	v_mul_i32_i24_e32 v121, v205, v79
	v_mul_i32_i24_e32 v122, v206, v82
	;; [unrolled: 1-line block ×3, first 2 shown]
	s_delay_alu instid0(VALU_DEP_4) | instskip(SKIP_3) | instid1(VALU_DEP_4)
	v_add3_u32 v118, v120, v119, v118
	v_cvt_f32_i32_e32 v18, v18
	v_mul_i32_i24_e32 v119, v48, v37
	v_mul_i32_i24_e32 v120, v204, v44
	v_cvt_f32_i32_e32 v19, v118
	v_mul_i32_i24_e32 v118, v24, v215
	s_delay_alu instid0(VALU_DEP_2) | instskip(NEXT) | instid1(VALU_DEP_1)
	v_mul_f32_e32 v19, v238, v19
	v_fma_mix_f32 v18, v200, v18, -v19 op_sel_hi:[1,0,0]
	v_mul_i32_i24_e32 v19, v23, v214
	s_delay_alu instid0(VALU_DEP_2) | instskip(SKIP_1) | instid1(VALU_DEP_1)
	v_fmac_f32_e32 v42, v20, v18
	v_mul_i32_i24_e32 v18, v21, v211
	v_mad_i32_i24 v18, v22, v203, v18
	s_delay_alu instid0(VALU_DEP_1) | instskip(SKIP_2) | instid1(VALU_DEP_1)
	v_add3_u32 v18, v18, v19, v118
	v_mul_i32_i24_e32 v19, v1, v25
	v_mul_i32_i24_e32 v118, v47, v26
	v_add3_u32 v18, v18, v19, v118
	v_mul_i32_i24_e32 v19, v191, v93
	v_mul_i32_i24_e32 v118, v194, v95
	s_delay_alu instid0(VALU_DEP_3) | instskip(SKIP_1) | instid1(VALU_DEP_4)
	v_add3_u32 v18, v18, v119, v120
	v_mul_i32_i24_e32 v119, v196, v86
	v_mad_i32_i24 v19, v183, v94, v19
	v_mul_i32_i24_e32 v120, v185, v98
	s_delay_alu instid0(VALU_DEP_4) | instskip(SKIP_1) | instid1(VALU_DEP_4)
	v_add3_u32 v18, v18, v121, v122
	v_mul_i32_i24_e32 v121, v186, v87
	v_add3_u32 v19, v19, v118, v119
	v_mul_i32_i24_e32 v118, v182, v96
	v_mul_i32_i24_e32 v119, v184, v97
	v_add3_u32 v18, v18, v123, v124
	v_mul_i32_i24_e32 v122, v187, v99
	v_mul_i32_i24_e32 v123, v188, v100
	v_mul_i32_i24_e32 v124, v189, v101
	v_add3_u32 v19, v19, v118, v119
	v_add3_u32 v18, v18, v125, v126
	v_mul_i32_i24_e32 v125, v190, v88
	v_mul_i32_i24_e32 v126, v192, v102
	v_mul_i32_i24_e32 v118, v105, v181
	v_add3_u32 v19, v19, v120, v121
	;; [unrolled: 5-line block ×3, first 2 shown]
	v_mul_i32_i24_e32 v122, v114, v157
	v_mul_i32_i24_e32 v123, v115, v156
	;; [unrolled: 1-line block ×3, first 2 shown]
	v_mul_lo_u32 v18, v18, v216
	v_add3_u32 v19, v19, v124, v125
	v_mul_i32_i24_e32 v124, v117, v154
	v_mul_i32_i24_e32 v119, v106, v180
	s_delay_alu instid0(VALU_DEP_3) | instskip(NEXT) | instid1(VALU_DEP_3)
	v_add3_u32 v19, v19, v126, v127
	v_mad_i32_i24 v124, v116, v155, v124
	s_delay_alu instid0(VALU_DEP_2) | instskip(NEXT) | instid1(VALU_DEP_2)
	v_add3_u32 v19, v19, v128, v129
	v_add3_u32 v122, v124, v123, v122
	s_delay_alu instid0(VALU_DEP_2) | instskip(NEXT) | instid1(VALU_DEP_2)
	v_mad_co_u64_u32 v[18:19], null, v19, v198, v[18:19]
	v_add3_u32 v120, v122, v120, v121
	s_delay_alu instid0(VALU_DEP_1) | instskip(NEXT) | instid1(VALU_DEP_3)
	v_add3_u32 v118, v120, v119, v118
	v_cvt_f32_i32_e32 v18, v18
	s_delay_alu instid0(VALU_DEP_2) | instskip(NEXT) | instid1(VALU_DEP_1)
	v_cvt_f32_i32_e32 v19, v118
	v_mul_f32_e32 v19, v199, v19
	s_delay_alu instid0(VALU_DEP_1) | instskip(SKIP_3) | instid1(VALU_DEP_4)
	v_fma_mix_f32 v18, v0, v18, -v19 op_sel_hi:[1,0,0]
	v_mul_i32_i24_e32 v19, v23, v175
	v_mul_i32_i24_e32 v23, v162, v44
	v_mul_i32_i24_e32 v44, v170, v90
	v_fmac_f32_e32 v41, v20, v18
	v_mul_i32_i24_e32 v18, v21, v172
	v_mul_i32_i24_e32 v21, v24, v176
	;; [unrolled: 1-line block ×4, first 2 shown]
	s_delay_alu instid0(VALU_DEP_4) | instskip(SKIP_3) | instid1(VALU_DEP_4)
	v_mad_i32_i24 v18, v22, v161, v18
	v_mul_i32_i24_e32 v22, v160, v37
	v_mul_i32_i24_e32 v37, v169, v84
	;; [unrolled: 1-line block ×3, first 2 shown]
	v_add3_u32 v18, v18, v19, v21
	v_mul_i32_i24_e32 v19, v158, v25
	v_mul_i32_i24_e32 v21, v159, v26
	;; [unrolled: 1-line block ×6, first 2 shown]
	v_add3_u32 v18, v18, v19, v21
	v_mul_i32_i24_e32 v19, v163, v93
	v_mul_i32_i24_e32 v21, v166, v95
	s_delay_alu instid0(VALU_DEP_3) | instskip(SKIP_1) | instid1(VALU_DEP_4)
	v_add3_u32 v18, v18, v22, v23
	v_mul_i32_i24_e32 v22, v168, v86
	v_mad_i32_i24 v19, v153, v94, v19
	v_mul_i32_i24_e32 v23, v143, v98
	s_delay_alu instid0(VALU_DEP_4) | instskip(SKIP_1) | instid1(VALU_DEP_4)
	v_add3_u32 v18, v18, v24, v25
	v_mul_i32_i24_e32 v24, v144, v87
	v_add3_u32 v19, v19, v21, v22
	v_mul_i32_i24_e32 v21, v141, v96
	v_mul_i32_i24_e32 v22, v142, v97
	v_add3_u32 v18, v18, v26, v37
	v_mul_i32_i24_e32 v25, v145, v99
	v_mul_i32_i24_e32 v26, v146, v100
	v_mul_i32_i24_e32 v37, v147, v101
	v_add3_u32 v19, v19, v21, v22
	v_add3_u32 v18, v18, v44, v79
	v_mul_i32_i24_e32 v44, v148, v88
	v_mul_i32_i24_e32 v79, v149, v102
	v_mul_i32_i24_e32 v21, v105, v140
	v_add3_u32 v19, v19, v23, v24
	;; [unrolled: 5-line block ×3, first 2 shown]
	v_mul_i32_i24_e32 v25, v114, v136
	v_mul_i32_i24_e32 v26, v115, v135
	v_mul_i32_i24_e32 v83, v151, v104
	v_mul_lo_u32 v18, v18, v177
	v_add3_u32 v19, v19, v37, v44
	v_mul_i32_i24_e32 v37, v117, v133
	v_mul_i32_i24_e32 v22, v106, v139
	s_delay_alu instid0(VALU_DEP_3) | instskip(NEXT) | instid1(VALU_DEP_3)
	v_add3_u32 v19, v19, v79, v82
	v_mad_i32_i24 v37, v116, v134, v37
	s_delay_alu instid0(VALU_DEP_2) | instskip(NEXT) | instid1(VALU_DEP_2)
	v_add3_u32 v19, v19, v83, v84
	v_add3_u32 v25, v37, v26, v25
	s_delay_alu instid0(VALU_DEP_2) | instskip(NEXT) | instid1(VALU_DEP_2)
	v_mad_co_u64_u32 v[18:19], null, v19, v132, v[18:19]
	v_add3_u32 v23, v25, v23, v24
	s_delay_alu instid0(VALU_DEP_1) | instskip(NEXT) | instid1(VALU_DEP_3)
	v_add3_u32 v21, v23, v22, v21
	v_cvt_f32_i32_e32 v18, v18
	s_delay_alu instid0(VALU_DEP_2) | instskip(NEXT) | instid1(VALU_DEP_1)
	v_cvt_f32_i32_e32 v19, v21
	v_mul_f32_e32 v19, v131, v19
	s_delay_alu instid0(VALU_DEP_1) | instskip(NEXT) | instid1(VALU_DEP_1)
	v_fma_mix_f32 v18, v130, v18, -v19 op_sel_hi:[1,0,0]
	v_fmac_f32_e32 v40, v20, v18
	scratch_load_b32 v18, off, off offset:32 ; 4-byte Folded Reload
	s_wait_loadcnt 0x0
	v_or_b32_e32 v18, s18, v18
	s_delay_alu instid0(VALU_DEP_1)
	v_lshlrev_b32_e32 v19, 2, v18
	v_lshrrev_b32_e32 v18, 1, v18
	ds_load_b32 v20, v18 offset:30368
	ds_load_b128 v[82:85], v19 offset:16896
	ds_load_b128 v[86:89], v19 offset:16912
	s_wait_dscnt 0x1
	v_ashrrev_i32_e32 v24, 24, v82
	s_wait_dscnt 0x0
	v_bfe_i32 v93, v86, 0, 8
	v_bfe_i32 v94, v86, 8, 8
	v_bfe_i32 v95, v86, 16, 8
	v_ashrrev_i32_e32 v86, 24, v86
	v_bfe_i32 v96, v87, 0, 8
	v_bfe_i32 v97, v87, 8, 8
	v_bfe_i32 v98, v87, 16, 8
	v_ashrrev_i32_e32 v87, 24, v87
	;; [unrolled: 4-line block ×4, first 2 shown]
	v_add_nc_u32_e32 v18, v87, v86
	v_ashrrev_i32_e32 v44, 24, v83
	v_bfe_i32 v21, v82, 0, 8
	v_bfe_i32 v22, v82, 8, 8
	;; [unrolled: 1-line block ×3, first 2 shown]
	v_add3_u32 v105, v18, v88, v89
	v_add_nc_u32_e32 v18, v98, v95
	v_bfe_i32 v25, v83, 0, 8
	v_bfe_i32 v26, v83, 8, 8
	v_bfe_i32 v37, v83, 16, 8
	v_bfe_i32 v79, v84, 0, 8
	v_add3_u32 v106, v18, v101, v104
	v_add_nc_u32_e32 v18, v96, v93
	v_bfe_i32 v82, v84, 8, 8
	v_bfe_i32 v83, v84, 16, 8
	v_ashrrev_i32_e32 v84, 24, v84
	v_bfe_i32 v90, v85, 0, 8
	v_add3_u32 v107, v18, v99, v102
	v_add_nc_u32_e32 v18, v97, v94
	v_bfe_i32 v91, v85, 8, 8
	v_bfe_i32 v92, v85, 16, 8
	v_ashrrev_i32_e32 v85, 24, v85
	v_mul_i32_i24_e32 v19, v23, v77
	v_add3_u32 v113, v18, v100, v103
	v_add_nc_u32_e32 v18, v44, v24
	v_mul_i32_i24_e32 v118, v24, v78
	v_mul_i32_i24_e32 v119, v58, v37
	v_mul_i32_i24_e32 v120, v59, v44
	v_mul_i32_i24_e32 v121, v60, v79
	v_add3_u32 v114, v18, v84, v85
	v_add_nc_u32_e32 v18, v37, v23
	v_mul_i32_i24_e32 v122, v61, v82
	v_mul_i32_i24_e32 v123, v65, v83
	v_mul_i32_i24_e32 v124, v69, v84
	;; [unrolled: 6-line block ×3, first 2 shown]
	v_mul_i32_i24_e32 v129, v16, v89
	v_add3_u32 v116, v18, v82, v91
	v_add_nc_u32_e32 v18, v25, v21
	s_delay_alu instid0(VALU_DEP_1) | instskip(SKIP_1) | instid1(VALU_DEP_1)
	v_add3_u32 v117, v18, v79, v90
	v_mul_i32_i24_e32 v18, v21, v76
	v_mad_i32_i24 v18, v22, v54, v18
	s_delay_alu instid0(VALU_DEP_1) | instskip(SKIP_2) | instid1(VALU_DEP_1)
	v_add3_u32 v18, v18, v19, v118
	v_mul_i32_i24_e32 v19, v55, v25
	v_mul_i32_i24_e32 v118, v57, v26
	v_add3_u32 v18, v18, v19, v118
	v_mul_i32_i24_e32 v19, v49, v93
	v_mul_i32_i24_e32 v118, v52, v95
	s_delay_alu instid0(VALU_DEP_3) | instskip(SKIP_1) | instid1(VALU_DEP_4)
	v_add3_u32 v18, v18, v119, v120
	v_mul_i32_i24_e32 v119, v53, v86
	v_mad_i32_i24 v19, v4, v94, v19
	v_mul_i32_i24_e32 v120, v7, v98
	s_delay_alu instid0(VALU_DEP_4) | instskip(SKIP_1) | instid1(VALU_DEP_4)
	v_add3_u32 v18, v18, v121, v122
	v_mul_i32_i24_e32 v121, v8, v87
	v_add3_u32 v19, v19, v118, v119
	v_mul_i32_i24_e32 v118, v5, v96
	v_mul_i32_i24_e32 v119, v6, v97
	v_add3_u32 v18, v18, v123, v124
	v_mul_i32_i24_e32 v122, v9, v99
	v_mul_i32_i24_e32 v123, v10, v100
	v_mul_i32_i24_e32 v124, v11, v101
	v_add3_u32 v19, v19, v118, v119
	v_add3_u32 v18, v18, v125, v126
	v_mul_i32_i24_e32 v125, v12, v88
	v_mul_i32_i24_e32 v126, v13, v102
	v_mul_i32_i24_e32 v118, v105, v80
	v_add3_u32 v19, v19, v120, v121
	v_add3_u32 v18, v18, v127, v128
	v_mul_i32_i24_e32 v127, v14, v103
	v_mul_i32_i24_e32 v120, v107, v110
	v_mul_i32_i24_e32 v121, v113, v108
	v_add3_u32 v19, v19, v122, v123
	v_mul_i32_i24_e32 v122, v114, v46
	v_mul_i32_i24_e32 v123, v115, v72
	;; [unrolled: 1-line block ×3, first 2 shown]
	v_mul_lo_u32 v18, v18, v3
	v_add3_u32 v19, v19, v124, v125
	v_mul_i32_i24_e32 v124, v117, v17
	v_mul_i32_i24_e32 v119, v106, v109
	;; [unrolled: 1-line block ×3, first 2 shown]
	s_delay_alu instid0(VALU_DEP_4) | instskip(NEXT) | instid1(VALU_DEP_4)
	v_add3_u32 v19, v19, v126, v127
	v_mad_i32_i24 v124, v116, v81, v124
	v_mul_i32_i24_e32 v126, v249, v91
	v_mul_i32_i24_e32 v127, v251, v92
	s_delay_alu instid0(VALU_DEP_4) | instskip(NEXT) | instid1(VALU_DEP_4)
	v_add3_u32 v19, v19, v128, v129
	v_add3_u32 v122, v124, v123, v122
	v_mul_i32_i24_e32 v123, v246, v83
	v_mul_i32_i24_e32 v124, v247, v84
	v_mul_i32_i24_e32 v128, v252, v85
	v_mad_co_u64_u32 v[18:19], null, v19, v111, v[18:19]
	v_add3_u32 v120, v122, v120, v121
	v_mul_i32_i24_e32 v121, v244, v79
	v_mul_i32_i24_e32 v122, v245, v82
	;; [unrolled: 1-line block ×3, first 2 shown]
	s_delay_alu instid0(VALU_DEP_4) | instskip(SKIP_3) | instid1(VALU_DEP_4)
	v_add3_u32 v118, v120, v119, v118
	v_cvt_f32_i32_e32 v18, v18
	v_mul_i32_i24_e32 v119, v241, v37
	v_mul_i32_i24_e32 v120, v243, v44
	v_cvt_f32_i32_e32 v19, v118
	v_mul_i32_i24_e32 v118, v24, v254
	s_delay_alu instid0(VALU_DEP_2) | instskip(NEXT) | instid1(VALU_DEP_1)
	v_mul_f32_e32 v19, v112, v19
	v_fma_mix_f32 v18, v2, v18, -v19 op_sel_hi:[1,0,0]
	v_mul_i32_i24_e32 v19, v23, v253
	s_delay_alu instid0(VALU_DEP_2) | instskip(SKIP_1) | instid1(VALU_DEP_1)
	v_fmac_f32_e32 v38, v20, v18
	v_mul_i32_i24_e32 v18, v21, v250
	v_mad_i32_i24 v18, v22, v242, v18
	s_delay_alu instid0(VALU_DEP_1) | instskip(SKIP_2) | instid1(VALU_DEP_1)
	v_add3_u32 v18, v18, v19, v118
	v_mul_i32_i24_e32 v19, v239, v25
	v_mul_i32_i24_e32 v118, v240, v26
	v_add3_u32 v18, v18, v19, v118
	v_mul_i32_i24_e32 v19, v230, v93
	v_mul_i32_i24_e32 v118, v233, v95
	s_delay_alu instid0(VALU_DEP_3) | instskip(SKIP_1) | instid1(VALU_DEP_4)
	v_add3_u32 v18, v18, v119, v120
	v_mul_i32_i24_e32 v119, v235, v86
	v_mad_i32_i24 v19, v222, v94, v19
	v_mul_i32_i24_e32 v120, v224, v98
	s_delay_alu instid0(VALU_DEP_4) | instskip(SKIP_1) | instid1(VALU_DEP_4)
	v_add3_u32 v18, v18, v121, v122
	v_mul_i32_i24_e32 v121, v225, v87
	v_add3_u32 v19, v19, v118, v119
	v_mul_i32_i24_e32 v118, v221, v96
	v_mul_i32_i24_e32 v119, v223, v97
	v_add3_u32 v18, v18, v123, v124
	v_mul_i32_i24_e32 v122, v226, v99
	v_mul_i32_i24_e32 v123, v227, v100
	v_mul_i32_i24_e32 v124, v228, v101
	v_add3_u32 v19, v19, v118, v119
	v_add3_u32 v18, v18, v125, v126
	v_mul_i32_i24_e32 v125, v229, v88
	v_mul_i32_i24_e32 v126, v231, v102
	v_mul_i32_i24_e32 v118, v105, v220
	v_add3_u32 v19, v19, v120, v121
	;; [unrolled: 5-line block ×3, first 2 shown]
	v_mul_i32_i24_e32 v122, v114, v36
	v_mul_i32_i24_e32 v123, v115, v50
	;; [unrolled: 1-line block ×3, first 2 shown]
	v_mul_lo_u32 v18, v18, v255
	v_add3_u32 v19, v19, v124, v125
	v_mul_i32_i24_e32 v124, v117, v201
	v_mul_i32_i24_e32 v119, v106, v219
	;; [unrolled: 1-line block ×3, first 2 shown]
	s_delay_alu instid0(VALU_DEP_4) | instskip(NEXT) | instid1(VALU_DEP_4)
	v_add3_u32 v19, v19, v126, v127
	v_mad_i32_i24 v124, v116, v202, v124
	v_mul_i32_i24_e32 v126, v210, v91
	v_mul_i32_i24_e32 v127, v212, v92
	s_delay_alu instid0(VALU_DEP_4) | instskip(NEXT) | instid1(VALU_DEP_4)
	v_add3_u32 v19, v19, v128, v129
	v_add3_u32 v122, v124, v123, v122
	v_mul_i32_i24_e32 v123, v207, v83
	v_mul_i32_i24_e32 v124, v208, v84
	;; [unrolled: 1-line block ×3, first 2 shown]
	v_mad_co_u64_u32 v[18:19], null, v19, v237, v[18:19]
	v_add3_u32 v120, v122, v120, v121
	v_mul_i32_i24_e32 v121, v205, v79
	v_mul_i32_i24_e32 v122, v206, v82
	;; [unrolled: 1-line block ×3, first 2 shown]
	s_delay_alu instid0(VALU_DEP_4) | instskip(SKIP_3) | instid1(VALU_DEP_4)
	v_add3_u32 v118, v120, v119, v118
	v_cvt_f32_i32_e32 v18, v18
	v_mul_i32_i24_e32 v119, v48, v37
	v_mul_i32_i24_e32 v120, v204, v44
	v_cvt_f32_i32_e32 v19, v118
	v_mul_i32_i24_e32 v118, v24, v215
	s_delay_alu instid0(VALU_DEP_2) | instskip(NEXT) | instid1(VALU_DEP_1)
	v_mul_f32_e32 v19, v238, v19
	v_fma_mix_f32 v18, v200, v18, -v19 op_sel_hi:[1,0,0]
	v_mul_i32_i24_e32 v19, v23, v214
	s_delay_alu instid0(VALU_DEP_2) | instskip(SKIP_1) | instid1(VALU_DEP_1)
	v_fmac_f32_e32 v35, v20, v18
	v_mul_i32_i24_e32 v18, v21, v211
	v_mad_i32_i24 v18, v22, v203, v18
	s_delay_alu instid0(VALU_DEP_1) | instskip(SKIP_2) | instid1(VALU_DEP_1)
	v_add3_u32 v18, v18, v19, v118
	v_mul_i32_i24_e32 v19, v1, v25
	v_mul_i32_i24_e32 v118, v47, v26
	v_add3_u32 v18, v18, v19, v118
	v_mul_i32_i24_e32 v19, v191, v93
	v_mul_i32_i24_e32 v118, v194, v95
	s_delay_alu instid0(VALU_DEP_3) | instskip(SKIP_1) | instid1(VALU_DEP_4)
	v_add3_u32 v18, v18, v119, v120
	v_mul_i32_i24_e32 v119, v196, v86
	v_mad_i32_i24 v19, v183, v94, v19
	v_mul_i32_i24_e32 v120, v185, v98
	s_delay_alu instid0(VALU_DEP_4) | instskip(SKIP_1) | instid1(VALU_DEP_4)
	v_add3_u32 v18, v18, v121, v122
	v_mul_i32_i24_e32 v121, v186, v87
	v_add3_u32 v19, v19, v118, v119
	v_mul_i32_i24_e32 v118, v182, v96
	v_mul_i32_i24_e32 v119, v184, v97
	v_add3_u32 v18, v18, v123, v124
	v_mul_i32_i24_e32 v122, v187, v99
	v_mul_i32_i24_e32 v123, v188, v100
	v_mul_i32_i24_e32 v124, v189, v101
	v_add3_u32 v19, v19, v118, v119
	v_add3_u32 v18, v18, v125, v126
	v_mul_i32_i24_e32 v125, v190, v88
	v_mul_i32_i24_e32 v126, v192, v102
	v_mul_i32_i24_e32 v118, v105, v181
	v_add3_u32 v19, v19, v120, v121
	;; [unrolled: 5-line block ×3, first 2 shown]
	v_mul_i32_i24_e32 v122, v114, v157
	v_mul_i32_i24_e32 v123, v115, v156
	;; [unrolled: 1-line block ×3, first 2 shown]
	v_mul_lo_u32 v18, v18, v216
	v_add3_u32 v19, v19, v124, v125
	v_mul_i32_i24_e32 v124, v117, v154
	v_mul_i32_i24_e32 v119, v106, v180
	s_delay_alu instid0(VALU_DEP_3) | instskip(NEXT) | instid1(VALU_DEP_3)
	v_add3_u32 v19, v19, v126, v127
	v_mad_i32_i24 v124, v116, v155, v124
	s_delay_alu instid0(VALU_DEP_2) | instskip(NEXT) | instid1(VALU_DEP_2)
	v_add3_u32 v19, v19, v128, v129
	v_add3_u32 v122, v124, v123, v122
	s_delay_alu instid0(VALU_DEP_2) | instskip(NEXT) | instid1(VALU_DEP_2)
	v_mad_co_u64_u32 v[18:19], null, v19, v198, v[18:19]
	v_add3_u32 v120, v122, v120, v121
	s_delay_alu instid0(VALU_DEP_1) | instskip(NEXT) | instid1(VALU_DEP_3)
	v_add3_u32 v118, v120, v119, v118
	v_cvt_f32_i32_e32 v18, v18
	s_delay_alu instid0(VALU_DEP_2) | instskip(NEXT) | instid1(VALU_DEP_1)
	v_cvt_f32_i32_e32 v19, v118
	v_mul_f32_e32 v19, v199, v19
	s_delay_alu instid0(VALU_DEP_1) | instskip(SKIP_3) | instid1(VALU_DEP_4)
	v_fma_mix_f32 v18, v0, v18, -v19 op_sel_hi:[1,0,0]
	v_mul_i32_i24_e32 v19, v23, v175
	v_mul_i32_i24_e32 v23, v162, v44
	;; [unrolled: 1-line block ×3, first 2 shown]
	v_fmac_f32_e32 v34, v20, v18
	v_mul_i32_i24_e32 v18, v21, v172
	v_mul_i32_i24_e32 v21, v24, v176
	v_mul_i32_i24_e32 v24, v164, v79
	v_mul_i32_i24_e32 v79, v171, v91
	s_delay_alu instid0(VALU_DEP_4) | instskip(SKIP_3) | instid1(VALU_DEP_4)
	v_mad_i32_i24 v18, v22, v161, v18
	v_mul_i32_i24_e32 v22, v160, v37
	v_mul_i32_i24_e32 v37, v169, v84
	;; [unrolled: 1-line block ×3, first 2 shown]
	v_add3_u32 v18, v18, v19, v21
	v_mul_i32_i24_e32 v19, v158, v25
	v_mul_i32_i24_e32 v21, v159, v26
	;; [unrolled: 1-line block ×6, first 2 shown]
	v_add3_u32 v18, v18, v19, v21
	v_mul_i32_i24_e32 v19, v163, v93
	v_mul_i32_i24_e32 v21, v166, v95
	s_delay_alu instid0(VALU_DEP_3) | instskip(SKIP_1) | instid1(VALU_DEP_4)
	v_add3_u32 v18, v18, v22, v23
	v_mul_i32_i24_e32 v22, v168, v86
	v_mad_i32_i24 v19, v153, v94, v19
	v_mul_i32_i24_e32 v23, v143, v98
	s_delay_alu instid0(VALU_DEP_4) | instskip(SKIP_1) | instid1(VALU_DEP_4)
	v_add3_u32 v18, v18, v24, v25
	v_mul_i32_i24_e32 v24, v144, v87
	v_add3_u32 v19, v19, v21, v22
	v_mul_i32_i24_e32 v21, v141, v96
	v_mul_i32_i24_e32 v22, v142, v97
	v_add3_u32 v18, v18, v26, v37
	v_mul_i32_i24_e32 v25, v145, v99
	v_mul_i32_i24_e32 v26, v146, v100
	v_mul_i32_i24_e32 v37, v147, v101
	v_add3_u32 v19, v19, v21, v22
	v_add3_u32 v18, v18, v44, v79
	v_mul_i32_i24_e32 v44, v148, v88
	v_mul_i32_i24_e32 v79, v149, v102
	v_mul_i32_i24_e32 v21, v105, v140
	v_add3_u32 v19, v19, v23, v24
	;; [unrolled: 5-line block ×3, first 2 shown]
	v_mul_i32_i24_e32 v25, v114, v136
	v_mul_i32_i24_e32 v26, v115, v135
	;; [unrolled: 1-line block ×3, first 2 shown]
	v_mul_lo_u32 v18, v18, v177
	v_add3_u32 v19, v19, v37, v44
	v_mul_i32_i24_e32 v37, v117, v133
	v_mul_i32_i24_e32 v22, v106, v139
	s_delay_alu instid0(VALU_DEP_3) | instskip(NEXT) | instid1(VALU_DEP_3)
	v_add3_u32 v19, v19, v79, v82
	v_mad_i32_i24 v37, v116, v134, v37
	s_delay_alu instid0(VALU_DEP_2) | instskip(NEXT) | instid1(VALU_DEP_2)
	v_add3_u32 v19, v19, v83, v84
	v_add3_u32 v25, v37, v26, v25
	s_delay_alu instid0(VALU_DEP_2) | instskip(NEXT) | instid1(VALU_DEP_2)
	v_mad_co_u64_u32 v[18:19], null, v19, v132, v[18:19]
	v_add3_u32 v23, v25, v23, v24
	s_delay_alu instid0(VALU_DEP_1) | instskip(NEXT) | instid1(VALU_DEP_3)
	v_add3_u32 v21, v23, v22, v21
	v_cvt_f32_i32_e32 v18, v18
	s_delay_alu instid0(VALU_DEP_2) | instskip(NEXT) | instid1(VALU_DEP_1)
	v_cvt_f32_i32_e32 v19, v21
	v_mul_f32_e32 v19, v131, v19
	s_delay_alu instid0(VALU_DEP_1) | instskip(NEXT) | instid1(VALU_DEP_1)
	v_fma_mix_f32 v18, v130, v18, -v19 op_sel_hi:[1,0,0]
	v_fmac_f32_e32 v33, v20, v18
	scratch_load_b32 v18, off, off offset:36 ; 4-byte Folded Reload
	s_wait_loadcnt 0x0
	v_or_b32_e32 v18, s18, v18
	s_delay_alu instid0(VALU_DEP_1)
	v_lshlrev_b32_e32 v19, 2, v18
	v_lshrrev_b32_e32 v18, 1, v18
	ds_load_b32 v20, v18 offset:30368
	ds_load_b128 v[82:85], v19 offset:16896
	ds_load_b128 v[86:89], v19 offset:16912
	s_wait_dscnt 0x1
	v_ashrrev_i32_e32 v24, 24, v82
	s_wait_dscnt 0x0
	v_bfe_i32 v93, v86, 0, 8
	v_bfe_i32 v94, v86, 8, 8
	v_bfe_i32 v95, v86, 16, 8
	v_ashrrev_i32_e32 v86, 24, v86
	v_bfe_i32 v96, v87, 0, 8
	v_bfe_i32 v97, v87, 8, 8
	v_bfe_i32 v98, v87, 16, 8
	v_ashrrev_i32_e32 v87, 24, v87
	;; [unrolled: 4-line block ×4, first 2 shown]
	v_add_nc_u32_e32 v18, v87, v86
	v_ashrrev_i32_e32 v44, 24, v83
	v_bfe_i32 v21, v82, 0, 8
	v_bfe_i32 v22, v82, 8, 8
	;; [unrolled: 1-line block ×3, first 2 shown]
	v_add3_u32 v105, v18, v88, v89
	v_add_nc_u32_e32 v18, v98, v95
	v_bfe_i32 v25, v83, 0, 8
	v_bfe_i32 v26, v83, 8, 8
	;; [unrolled: 1-line block ×4, first 2 shown]
	v_add3_u32 v106, v18, v101, v104
	v_add_nc_u32_e32 v18, v96, v93
	v_bfe_i32 v82, v84, 8, 8
	v_bfe_i32 v83, v84, 16, 8
	v_ashrrev_i32_e32 v84, 24, v84
	v_bfe_i32 v90, v85, 0, 8
	v_add3_u32 v107, v18, v99, v102
	v_add_nc_u32_e32 v18, v97, v94
	v_bfe_i32 v91, v85, 8, 8
	v_bfe_i32 v92, v85, 16, 8
	v_ashrrev_i32_e32 v85, 24, v85
	v_mul_i32_i24_e32 v19, v23, v77
	v_add3_u32 v113, v18, v100, v103
	v_add_nc_u32_e32 v18, v44, v24
	v_mul_i32_i24_e32 v118, v24, v78
	v_mul_i32_i24_e32 v119, v58, v37
	v_mul_i32_i24_e32 v120, v59, v44
	v_mul_i32_i24_e32 v121, v60, v79
	v_add3_u32 v114, v18, v84, v85
	v_add_nc_u32_e32 v18, v37, v23
	v_mul_i32_i24_e32 v122, v61, v82
	v_mul_i32_i24_e32 v123, v65, v83
	v_mul_i32_i24_e32 v124, v69, v84
	v_mul_i32_i24_e32 v125, v70, v90
	v_add3_u32 v115, v18, v83, v92
	v_add_nc_u32_e32 v18, v26, v22
	v_mul_i32_i24_e32 v126, v71, v91
	v_mul_i32_i24_e32 v127, v73, v92
	v_mul_i32_i24_e32 v128, v75, v85
	v_mul_i32_i24_e32 v129, v16, v89
	v_add3_u32 v116, v18, v82, v91
	v_add_nc_u32_e32 v18, v25, v21
	s_delay_alu instid0(VALU_DEP_1) | instskip(SKIP_1) | instid1(VALU_DEP_1)
	v_add3_u32 v117, v18, v79, v90
	v_mul_i32_i24_e32 v18, v21, v76
	v_mad_i32_i24 v18, v22, v54, v18
	s_delay_alu instid0(VALU_DEP_1) | instskip(SKIP_2) | instid1(VALU_DEP_1)
	v_add3_u32 v18, v18, v19, v118
	v_mul_i32_i24_e32 v19, v55, v25
	v_mul_i32_i24_e32 v118, v57, v26
	v_add3_u32 v18, v18, v19, v118
	v_mul_i32_i24_e32 v19, v49, v93
	v_mul_i32_i24_e32 v118, v52, v95
	s_delay_alu instid0(VALU_DEP_3) | instskip(SKIP_1) | instid1(VALU_DEP_4)
	v_add3_u32 v18, v18, v119, v120
	v_mul_i32_i24_e32 v119, v53, v86
	v_mad_i32_i24 v19, v4, v94, v19
	v_mul_i32_i24_e32 v120, v7, v98
	s_delay_alu instid0(VALU_DEP_4) | instskip(SKIP_1) | instid1(VALU_DEP_4)
	v_add3_u32 v18, v18, v121, v122
	v_mul_i32_i24_e32 v121, v8, v87
	v_add3_u32 v19, v19, v118, v119
	v_mul_i32_i24_e32 v118, v5, v96
	v_mul_i32_i24_e32 v119, v6, v97
	v_add3_u32 v18, v18, v123, v124
	v_mul_i32_i24_e32 v122, v9, v99
	v_mul_i32_i24_e32 v123, v10, v100
	v_mul_i32_i24_e32 v124, v11, v101
	v_add3_u32 v19, v19, v118, v119
	v_add3_u32 v18, v18, v125, v126
	v_mul_i32_i24_e32 v125, v12, v88
	v_mul_i32_i24_e32 v126, v13, v102
	v_mul_i32_i24_e32 v118, v105, v80
	v_add3_u32 v19, v19, v120, v121
	;; [unrolled: 5-line block ×3, first 2 shown]
	v_mul_i32_i24_e32 v122, v114, v46
	v_mul_i32_i24_e32 v123, v115, v72
	;; [unrolled: 1-line block ×3, first 2 shown]
	v_mul_lo_u32 v18, v18, v3
	v_add3_u32 v19, v19, v124, v125
	v_mul_i32_i24_e32 v124, v117, v17
	v_mul_i32_i24_e32 v119, v106, v109
	;; [unrolled: 1-line block ×3, first 2 shown]
	s_delay_alu instid0(VALU_DEP_4) | instskip(NEXT) | instid1(VALU_DEP_4)
	v_add3_u32 v19, v19, v126, v127
	v_mad_i32_i24 v124, v116, v81, v124
	v_mul_i32_i24_e32 v126, v249, v91
	v_mul_i32_i24_e32 v127, v251, v92
	s_delay_alu instid0(VALU_DEP_4) | instskip(NEXT) | instid1(VALU_DEP_4)
	v_add3_u32 v19, v19, v128, v129
	v_add3_u32 v122, v124, v123, v122
	v_mul_i32_i24_e32 v123, v246, v83
	v_mul_i32_i24_e32 v124, v247, v84
	;; [unrolled: 1-line block ×3, first 2 shown]
	v_mad_co_u64_u32 v[18:19], null, v19, v111, v[18:19]
	v_add3_u32 v120, v122, v120, v121
	v_mul_i32_i24_e32 v121, v244, v79
	v_mul_i32_i24_e32 v122, v245, v82
	;; [unrolled: 1-line block ×3, first 2 shown]
	s_delay_alu instid0(VALU_DEP_4) | instskip(SKIP_3) | instid1(VALU_DEP_4)
	v_add3_u32 v118, v120, v119, v118
	v_cvt_f32_i32_e32 v18, v18
	v_mul_i32_i24_e32 v119, v241, v37
	v_mul_i32_i24_e32 v120, v243, v44
	v_cvt_f32_i32_e32 v19, v118
	v_mul_i32_i24_e32 v118, v24, v254
	s_delay_alu instid0(VALU_DEP_2) | instskip(NEXT) | instid1(VALU_DEP_1)
	v_mul_f32_e32 v19, v112, v19
	v_fma_mix_f32 v18, v2, v18, -v19 op_sel_hi:[1,0,0]
	v_mul_i32_i24_e32 v19, v23, v253
	s_delay_alu instid0(VALU_DEP_2) | instskip(SKIP_1) | instid1(VALU_DEP_1)
	v_fmac_f32_e32 v32, v20, v18
	v_mul_i32_i24_e32 v18, v21, v250
	v_mad_i32_i24 v18, v22, v242, v18
	s_delay_alu instid0(VALU_DEP_1) | instskip(SKIP_2) | instid1(VALU_DEP_1)
	v_add3_u32 v18, v18, v19, v118
	v_mul_i32_i24_e32 v19, v239, v25
	v_mul_i32_i24_e32 v118, v240, v26
	v_add3_u32 v18, v18, v19, v118
	v_mul_i32_i24_e32 v19, v230, v93
	v_mul_i32_i24_e32 v118, v233, v95
	s_delay_alu instid0(VALU_DEP_3) | instskip(SKIP_1) | instid1(VALU_DEP_4)
	v_add3_u32 v18, v18, v119, v120
	v_mul_i32_i24_e32 v119, v235, v86
	v_mad_i32_i24 v19, v222, v94, v19
	v_mul_i32_i24_e32 v120, v224, v98
	s_delay_alu instid0(VALU_DEP_4) | instskip(SKIP_1) | instid1(VALU_DEP_4)
	v_add3_u32 v18, v18, v121, v122
	v_mul_i32_i24_e32 v121, v225, v87
	v_add3_u32 v19, v19, v118, v119
	v_mul_i32_i24_e32 v118, v221, v96
	v_mul_i32_i24_e32 v119, v223, v97
	v_add3_u32 v18, v18, v123, v124
	v_mul_i32_i24_e32 v122, v226, v99
	v_mul_i32_i24_e32 v123, v227, v100
	v_mul_i32_i24_e32 v124, v228, v101
	v_add3_u32 v19, v19, v118, v119
	v_add3_u32 v18, v18, v125, v126
	v_mul_i32_i24_e32 v125, v229, v88
	v_mul_i32_i24_e32 v126, v231, v102
	v_mul_i32_i24_e32 v118, v105, v220
	v_add3_u32 v19, v19, v120, v121
	;; [unrolled: 5-line block ×3, first 2 shown]
	v_mul_i32_i24_e32 v122, v114, v36
	v_mul_i32_i24_e32 v123, v115, v50
	;; [unrolled: 1-line block ×3, first 2 shown]
	v_mul_lo_u32 v18, v18, v255
	v_add3_u32 v19, v19, v124, v125
	v_mul_i32_i24_e32 v124, v117, v201
	v_mul_i32_i24_e32 v119, v106, v219
	v_mul_i32_i24_e32 v125, v209, v90
	s_delay_alu instid0(VALU_DEP_4) | instskip(NEXT) | instid1(VALU_DEP_4)
	v_add3_u32 v19, v19, v126, v127
	v_mad_i32_i24 v124, v116, v202, v124
	v_mul_i32_i24_e32 v126, v210, v91
	v_mul_i32_i24_e32 v127, v212, v92
	s_delay_alu instid0(VALU_DEP_4) | instskip(NEXT) | instid1(VALU_DEP_4)
	v_add3_u32 v19, v19, v128, v129
	v_add3_u32 v122, v124, v123, v122
	v_mul_i32_i24_e32 v123, v207, v83
	v_mul_i32_i24_e32 v124, v208, v84
	;; [unrolled: 1-line block ×3, first 2 shown]
	v_mad_co_u64_u32 v[18:19], null, v19, v237, v[18:19]
	v_add3_u32 v120, v122, v120, v121
	v_mul_i32_i24_e32 v121, v205, v79
	v_mul_i32_i24_e32 v122, v206, v82
	;; [unrolled: 1-line block ×3, first 2 shown]
	s_delay_alu instid0(VALU_DEP_4) | instskip(SKIP_3) | instid1(VALU_DEP_4)
	v_add3_u32 v118, v120, v119, v118
	v_cvt_f32_i32_e32 v18, v18
	v_mul_i32_i24_e32 v119, v48, v37
	v_mul_i32_i24_e32 v120, v204, v44
	v_cvt_f32_i32_e32 v19, v118
	v_mul_i32_i24_e32 v118, v24, v215
	s_delay_alu instid0(VALU_DEP_2) | instskip(NEXT) | instid1(VALU_DEP_1)
	v_mul_f32_e32 v19, v238, v19
	v_fma_mix_f32 v18, v200, v18, -v19 op_sel_hi:[1,0,0]
	v_mul_i32_i24_e32 v19, v23, v214
	s_delay_alu instid0(VALU_DEP_2) | instskip(SKIP_1) | instid1(VALU_DEP_1)
	v_fmac_f32_e32 v31, v20, v18
	v_mul_i32_i24_e32 v18, v21, v211
	v_mad_i32_i24 v18, v22, v203, v18
	s_delay_alu instid0(VALU_DEP_1) | instskip(SKIP_2) | instid1(VALU_DEP_1)
	v_add3_u32 v18, v18, v19, v118
	v_mul_i32_i24_e32 v19, v1, v25
	v_mul_i32_i24_e32 v118, v47, v26
	v_add3_u32 v18, v18, v19, v118
	v_mul_i32_i24_e32 v19, v191, v93
	v_mul_i32_i24_e32 v118, v194, v95
	s_delay_alu instid0(VALU_DEP_3) | instskip(SKIP_1) | instid1(VALU_DEP_4)
	v_add3_u32 v18, v18, v119, v120
	v_mul_i32_i24_e32 v119, v196, v86
	v_mad_i32_i24 v19, v183, v94, v19
	v_mul_i32_i24_e32 v120, v185, v98
	s_delay_alu instid0(VALU_DEP_4) | instskip(SKIP_1) | instid1(VALU_DEP_4)
	v_add3_u32 v18, v18, v121, v122
	v_mul_i32_i24_e32 v121, v186, v87
	v_add3_u32 v19, v19, v118, v119
	v_mul_i32_i24_e32 v118, v182, v96
	v_mul_i32_i24_e32 v119, v184, v97
	v_add3_u32 v18, v18, v123, v124
	v_mul_i32_i24_e32 v122, v187, v99
	v_mul_i32_i24_e32 v123, v188, v100
	v_mul_i32_i24_e32 v124, v189, v101
	v_add3_u32 v19, v19, v118, v119
	v_add3_u32 v18, v18, v125, v126
	v_mul_i32_i24_e32 v125, v190, v88
	v_mul_i32_i24_e32 v126, v192, v102
	v_mul_i32_i24_e32 v118, v105, v181
	v_add3_u32 v19, v19, v120, v121
	;; [unrolled: 5-line block ×3, first 2 shown]
	v_mul_i32_i24_e32 v122, v114, v157
	v_mul_i32_i24_e32 v123, v115, v156
	;; [unrolled: 1-line block ×3, first 2 shown]
	v_mul_lo_u32 v18, v18, v216
	v_add3_u32 v19, v19, v124, v125
	v_mul_i32_i24_e32 v124, v117, v154
	v_mul_i32_i24_e32 v119, v106, v180
	s_delay_alu instid0(VALU_DEP_3) | instskip(NEXT) | instid1(VALU_DEP_3)
	v_add3_u32 v19, v19, v126, v127
	v_mad_i32_i24 v124, v116, v155, v124
	s_delay_alu instid0(VALU_DEP_2) | instskip(NEXT) | instid1(VALU_DEP_2)
	v_add3_u32 v19, v19, v128, v129
	v_add3_u32 v122, v124, v123, v122
	s_delay_alu instid0(VALU_DEP_2) | instskip(NEXT) | instid1(VALU_DEP_2)
	v_mad_co_u64_u32 v[18:19], null, v19, v198, v[18:19]
	v_add3_u32 v120, v122, v120, v121
	s_delay_alu instid0(VALU_DEP_1) | instskip(NEXT) | instid1(VALU_DEP_3)
	v_add3_u32 v118, v120, v119, v118
	v_cvt_f32_i32_e32 v18, v18
	s_delay_alu instid0(VALU_DEP_2) | instskip(NEXT) | instid1(VALU_DEP_1)
	v_cvt_f32_i32_e32 v19, v118
	v_mul_f32_e32 v19, v199, v19
	s_delay_alu instid0(VALU_DEP_1) | instskip(SKIP_3) | instid1(VALU_DEP_4)
	v_fma_mix_f32 v18, v0, v18, -v19 op_sel_hi:[1,0,0]
	v_mul_i32_i24_e32 v19, v23, v175
	v_mul_i32_i24_e32 v23, v162, v44
	;; [unrolled: 1-line block ×3, first 2 shown]
	v_fmac_f32_e32 v30, v20, v18
	v_mul_i32_i24_e32 v18, v21, v172
	v_mul_i32_i24_e32 v21, v24, v176
	v_mul_i32_i24_e32 v24, v164, v79
	v_mul_i32_i24_e32 v79, v171, v91
	s_delay_alu instid0(VALU_DEP_4) | instskip(SKIP_3) | instid1(VALU_DEP_4)
	v_mad_i32_i24 v18, v22, v161, v18
	v_mul_i32_i24_e32 v22, v160, v37
	v_mul_i32_i24_e32 v37, v169, v84
	;; [unrolled: 1-line block ×3, first 2 shown]
	v_add3_u32 v18, v18, v19, v21
	v_mul_i32_i24_e32 v19, v158, v25
	v_mul_i32_i24_e32 v21, v159, v26
	;; [unrolled: 1-line block ×6, first 2 shown]
	v_add3_u32 v18, v18, v19, v21
	v_mul_i32_i24_e32 v19, v163, v93
	v_mul_i32_i24_e32 v21, v166, v95
	s_delay_alu instid0(VALU_DEP_3) | instskip(SKIP_1) | instid1(VALU_DEP_4)
	v_add3_u32 v18, v18, v22, v23
	v_mul_i32_i24_e32 v22, v168, v86
	v_mad_i32_i24 v19, v153, v94, v19
	v_mul_i32_i24_e32 v23, v143, v98
	s_delay_alu instid0(VALU_DEP_4) | instskip(SKIP_1) | instid1(VALU_DEP_4)
	v_add3_u32 v18, v18, v24, v25
	v_mul_i32_i24_e32 v24, v144, v87
	v_add3_u32 v19, v19, v21, v22
	v_mul_i32_i24_e32 v21, v141, v96
	v_mul_i32_i24_e32 v22, v142, v97
	v_add3_u32 v18, v18, v26, v37
	v_mul_i32_i24_e32 v25, v145, v99
	v_mul_i32_i24_e32 v26, v146, v100
	v_mul_i32_i24_e32 v37, v147, v101
	v_add3_u32 v19, v19, v21, v22
	v_add3_u32 v18, v18, v44, v79
	v_mul_i32_i24_e32 v44, v148, v88
	v_mul_i32_i24_e32 v79, v149, v102
	v_mul_i32_i24_e32 v21, v105, v140
	v_add3_u32 v19, v19, v23, v24
	;; [unrolled: 5-line block ×3, first 2 shown]
	v_mul_i32_i24_e32 v25, v114, v136
	v_mul_i32_i24_e32 v26, v115, v135
	;; [unrolled: 1-line block ×3, first 2 shown]
	v_mul_lo_u32 v18, v18, v177
	v_add3_u32 v19, v19, v37, v44
	v_mul_i32_i24_e32 v37, v117, v133
	v_mul_i32_i24_e32 v22, v106, v139
	s_delay_alu instid0(VALU_DEP_3) | instskip(NEXT) | instid1(VALU_DEP_3)
	v_add3_u32 v19, v19, v79, v82
	v_mad_i32_i24 v37, v116, v134, v37
	s_delay_alu instid0(VALU_DEP_2) | instskip(NEXT) | instid1(VALU_DEP_2)
	v_add3_u32 v19, v19, v83, v84
	v_add3_u32 v25, v37, v26, v25
	s_delay_alu instid0(VALU_DEP_2) | instskip(NEXT) | instid1(VALU_DEP_2)
	v_mad_co_u64_u32 v[18:19], null, v19, v132, v[18:19]
	v_add3_u32 v23, v25, v23, v24
	s_delay_alu instid0(VALU_DEP_1) | instskip(NEXT) | instid1(VALU_DEP_3)
	v_add3_u32 v21, v23, v22, v21
	v_cvt_f32_i32_e32 v18, v18
	s_delay_alu instid0(VALU_DEP_2) | instskip(NEXT) | instid1(VALU_DEP_1)
	v_cvt_f32_i32_e32 v19, v21
	v_mul_f32_e32 v19, v131, v19
	s_delay_alu instid0(VALU_DEP_1) | instskip(NEXT) | instid1(VALU_DEP_1)
	v_fma_mix_f32 v18, v130, v18, -v19 op_sel_hi:[1,0,0]
	v_fmac_f32_e32 v29, v20, v18
	scratch_load_b32 v18, off, off offset:28 ; 4-byte Folded Reload
	s_wait_loadcnt 0x0
	v_or_b32_e32 v18, s18, v18
	s_delay_alu instid0(VALU_DEP_1)
	v_lshlrev_b32_e32 v19, 2, v18
	v_lshrrev_b32_e32 v18, 1, v18
	ds_load_b32 v20, v18 offset:30368
	ds_load_b128 v[82:85], v19 offset:16896
	ds_load_b128 v[86:89], v19 offset:16912
	s_wait_dscnt 0x1
	v_ashrrev_i32_e32 v24, 24, v82
	s_wait_dscnt 0x0
	v_bfe_i32 v93, v86, 0, 8
	v_bfe_i32 v94, v86, 8, 8
	v_bfe_i32 v95, v86, 16, 8
	v_ashrrev_i32_e32 v86, 24, v86
	v_bfe_i32 v96, v87, 0, 8
	v_bfe_i32 v97, v87, 8, 8
	v_bfe_i32 v98, v87, 16, 8
	v_ashrrev_i32_e32 v87, 24, v87
	;; [unrolled: 4-line block ×4, first 2 shown]
	v_add_nc_u32_e32 v18, v87, v86
	v_ashrrev_i32_e32 v44, 24, v83
	v_bfe_i32 v21, v82, 0, 8
	v_bfe_i32 v22, v82, 8, 8
	;; [unrolled: 1-line block ×3, first 2 shown]
	v_add3_u32 v105, v18, v88, v89
	v_add_nc_u32_e32 v18, v98, v95
	v_bfe_i32 v25, v83, 0, 8
	v_bfe_i32 v26, v83, 8, 8
	;; [unrolled: 1-line block ×4, first 2 shown]
	v_add3_u32 v106, v18, v101, v104
	v_add_nc_u32_e32 v18, v96, v93
	v_bfe_i32 v82, v84, 8, 8
	v_bfe_i32 v83, v84, 16, 8
	v_ashrrev_i32_e32 v84, 24, v84
	v_bfe_i32 v90, v85, 0, 8
	v_add3_u32 v107, v18, v99, v102
	v_add_nc_u32_e32 v18, v97, v94
	v_bfe_i32 v91, v85, 8, 8
	v_bfe_i32 v92, v85, 16, 8
	v_ashrrev_i32_e32 v85, 24, v85
	v_mul_i32_i24_e32 v19, v23, v77
	v_add3_u32 v113, v18, v100, v103
	v_add_nc_u32_e32 v18, v44, v24
	v_mul_i32_i24_e32 v118, v24, v78
	v_mul_i32_i24_e32 v119, v58, v37
	v_mul_i32_i24_e32 v120, v59, v44
	v_mul_i32_i24_e32 v121, v60, v79
	v_add3_u32 v114, v18, v84, v85
	v_add_nc_u32_e32 v18, v37, v23
	v_mul_i32_i24_e32 v122, v61, v82
	v_mul_i32_i24_e32 v123, v65, v83
	v_mul_i32_i24_e32 v124, v69, v84
	;; [unrolled: 6-line block ×3, first 2 shown]
	v_mul_i32_i24_e32 v129, v16, v89
	v_add3_u32 v116, v18, v82, v91
	v_add_nc_u32_e32 v18, v25, v21
	s_delay_alu instid0(VALU_DEP_1) | instskip(SKIP_1) | instid1(VALU_DEP_1)
	v_add3_u32 v117, v18, v79, v90
	v_mul_i32_i24_e32 v18, v21, v76
	v_mad_i32_i24 v18, v22, v54, v18
	s_delay_alu instid0(VALU_DEP_1) | instskip(SKIP_2) | instid1(VALU_DEP_1)
	v_add3_u32 v18, v18, v19, v118
	v_mul_i32_i24_e32 v19, v55, v25
	v_mul_i32_i24_e32 v118, v57, v26
	v_add3_u32 v18, v18, v19, v118
	v_mul_i32_i24_e32 v19, v49, v93
	v_mul_i32_i24_e32 v118, v52, v95
	s_delay_alu instid0(VALU_DEP_3) | instskip(SKIP_1) | instid1(VALU_DEP_4)
	v_add3_u32 v18, v18, v119, v120
	v_mul_i32_i24_e32 v119, v53, v86
	v_mad_i32_i24 v19, v4, v94, v19
	v_mul_i32_i24_e32 v120, v7, v98
	s_delay_alu instid0(VALU_DEP_4) | instskip(SKIP_1) | instid1(VALU_DEP_4)
	v_add3_u32 v18, v18, v121, v122
	v_mul_i32_i24_e32 v121, v8, v87
	v_add3_u32 v19, v19, v118, v119
	v_mul_i32_i24_e32 v118, v5, v96
	v_mul_i32_i24_e32 v119, v6, v97
	v_add3_u32 v18, v18, v123, v124
	v_mul_i32_i24_e32 v122, v9, v99
	v_mul_i32_i24_e32 v123, v10, v100
	v_mul_i32_i24_e32 v124, v11, v101
	v_add3_u32 v19, v19, v118, v119
	v_add3_u32 v18, v18, v125, v126
	v_mul_i32_i24_e32 v125, v12, v88
	v_mul_i32_i24_e32 v126, v13, v102
	v_mul_i32_i24_e32 v118, v105, v80
	v_add3_u32 v19, v19, v120, v121
	;; [unrolled: 5-line block ×3, first 2 shown]
	v_mul_i32_i24_e32 v122, v114, v46
	v_mul_i32_i24_e32 v123, v115, v72
	;; [unrolled: 1-line block ×3, first 2 shown]
	v_mul_lo_u32 v18, v18, v3
	v_add3_u32 v19, v19, v124, v125
	v_mul_i32_i24_e32 v124, v117, v17
	v_mul_i32_i24_e32 v119, v106, v109
	;; [unrolled: 1-line block ×3, first 2 shown]
	s_delay_alu instid0(VALU_DEP_4) | instskip(NEXT) | instid1(VALU_DEP_4)
	v_add3_u32 v19, v19, v126, v127
	v_mad_i32_i24 v124, v116, v81, v124
	v_mul_i32_i24_e32 v126, v249, v91
	v_mul_i32_i24_e32 v127, v251, v92
	s_delay_alu instid0(VALU_DEP_4) | instskip(NEXT) | instid1(VALU_DEP_4)
	v_add3_u32 v19, v19, v128, v129
	v_add3_u32 v122, v124, v123, v122
	v_mul_i32_i24_e32 v123, v246, v83
	v_mul_i32_i24_e32 v124, v247, v84
	;; [unrolled: 1-line block ×3, first 2 shown]
	v_mad_co_u64_u32 v[18:19], null, v19, v111, v[18:19]
	v_add3_u32 v120, v122, v120, v121
	v_mul_i32_i24_e32 v121, v244, v79
	v_mul_i32_i24_e32 v122, v245, v82
	;; [unrolled: 1-line block ×3, first 2 shown]
	s_delay_alu instid0(VALU_DEP_4) | instskip(SKIP_3) | instid1(VALU_DEP_4)
	v_add3_u32 v118, v120, v119, v118
	v_cvt_f32_i32_e32 v18, v18
	v_mul_i32_i24_e32 v119, v241, v37
	v_mul_i32_i24_e32 v120, v243, v44
	v_cvt_f32_i32_e32 v19, v118
	v_mul_i32_i24_e32 v118, v24, v254
	s_delay_alu instid0(VALU_DEP_2) | instskip(NEXT) | instid1(VALU_DEP_1)
	v_mul_f32_e32 v19, v112, v19
	v_fma_mix_f32 v18, v2, v18, -v19 op_sel_hi:[1,0,0]
	v_mul_i32_i24_e32 v19, v23, v253
	s_delay_alu instid0(VALU_DEP_2) | instskip(SKIP_1) | instid1(VALU_DEP_1)
	v_fmac_f32_e32 v28, v20, v18
	v_mul_i32_i24_e32 v18, v21, v250
	v_mad_i32_i24 v18, v22, v242, v18
	s_delay_alu instid0(VALU_DEP_1) | instskip(SKIP_2) | instid1(VALU_DEP_1)
	v_add3_u32 v18, v18, v19, v118
	v_mul_i32_i24_e32 v19, v239, v25
	v_mul_i32_i24_e32 v118, v240, v26
	v_add3_u32 v18, v18, v19, v118
	v_mul_i32_i24_e32 v19, v230, v93
	v_mul_i32_i24_e32 v118, v233, v95
	s_delay_alu instid0(VALU_DEP_3) | instskip(SKIP_1) | instid1(VALU_DEP_4)
	v_add3_u32 v18, v18, v119, v120
	v_mul_i32_i24_e32 v119, v235, v86
	v_mad_i32_i24 v19, v222, v94, v19
	v_mul_i32_i24_e32 v120, v224, v98
	s_delay_alu instid0(VALU_DEP_4) | instskip(SKIP_1) | instid1(VALU_DEP_4)
	v_add3_u32 v18, v18, v121, v122
	v_mul_i32_i24_e32 v121, v225, v87
	v_add3_u32 v19, v19, v118, v119
	v_mul_i32_i24_e32 v118, v221, v96
	v_mul_i32_i24_e32 v119, v223, v97
	v_add3_u32 v18, v18, v123, v124
	v_mul_i32_i24_e32 v122, v226, v99
	v_mul_i32_i24_e32 v123, v227, v100
	v_mul_i32_i24_e32 v124, v228, v101
	v_add3_u32 v19, v19, v118, v119
	v_add3_u32 v18, v18, v125, v126
	v_mul_i32_i24_e32 v125, v229, v88
	v_mul_i32_i24_e32 v126, v231, v102
	v_mul_i32_i24_e32 v118, v105, v220
	v_add3_u32 v19, v19, v120, v121
	;; [unrolled: 5-line block ×3, first 2 shown]
	v_mul_i32_i24_e32 v122, v114, v36
	v_mul_i32_i24_e32 v123, v115, v50
	;; [unrolled: 1-line block ×3, first 2 shown]
	v_mul_lo_u32 v18, v18, v255
	v_add3_u32 v19, v19, v124, v125
	v_mul_i32_i24_e32 v124, v117, v201
	v_mul_i32_i24_e32 v119, v106, v219
	;; [unrolled: 1-line block ×3, first 2 shown]
	s_delay_alu instid0(VALU_DEP_4) | instskip(NEXT) | instid1(VALU_DEP_4)
	v_add3_u32 v19, v19, v126, v127
	v_mad_i32_i24 v124, v116, v202, v124
	v_mul_i32_i24_e32 v126, v210, v91
	v_mul_i32_i24_e32 v127, v212, v92
	s_delay_alu instid0(VALU_DEP_4) | instskip(NEXT) | instid1(VALU_DEP_4)
	v_add3_u32 v19, v19, v128, v129
	v_add3_u32 v122, v124, v123, v122
	v_mul_i32_i24_e32 v123, v207, v83
	v_mul_i32_i24_e32 v124, v208, v84
	;; [unrolled: 1-line block ×3, first 2 shown]
	v_mad_co_u64_u32 v[18:19], null, v19, v237, v[18:19]
	v_add3_u32 v120, v122, v120, v121
	v_mul_i32_i24_e32 v121, v205, v79
	v_mul_i32_i24_e32 v122, v206, v82
	;; [unrolled: 1-line block ×3, first 2 shown]
	s_delay_alu instid0(VALU_DEP_4) | instskip(SKIP_3) | instid1(VALU_DEP_4)
	v_add3_u32 v118, v120, v119, v118
	v_cvt_f32_i32_e32 v18, v18
	v_mul_i32_i24_e32 v119, v48, v37
	v_mul_i32_i24_e32 v120, v204, v44
	v_cvt_f32_i32_e32 v19, v118
	v_mul_i32_i24_e32 v118, v24, v215
	s_delay_alu instid0(VALU_DEP_2) | instskip(NEXT) | instid1(VALU_DEP_1)
	v_mul_f32_e32 v19, v238, v19
	v_fma_mix_f32 v18, v200, v18, -v19 op_sel_hi:[1,0,0]
	v_mul_i32_i24_e32 v19, v23, v214
	s_delay_alu instid0(VALU_DEP_2) | instskip(SKIP_1) | instid1(VALU_DEP_1)
	v_fmac_f32_e32 v27, v20, v18
	v_mul_i32_i24_e32 v18, v21, v211
	v_mad_i32_i24 v18, v22, v203, v18
	s_delay_alu instid0(VALU_DEP_1) | instskip(SKIP_2) | instid1(VALU_DEP_1)
	v_add3_u32 v18, v18, v19, v118
	v_mul_i32_i24_e32 v19, v1, v25
	v_mul_i32_i24_e32 v118, v47, v26
	v_add3_u32 v18, v18, v19, v118
	v_mul_i32_i24_e32 v19, v191, v93
	v_mul_i32_i24_e32 v118, v194, v95
	s_delay_alu instid0(VALU_DEP_3) | instskip(SKIP_1) | instid1(VALU_DEP_4)
	v_add3_u32 v18, v18, v119, v120
	v_mul_i32_i24_e32 v119, v196, v86
	v_mad_i32_i24 v19, v183, v94, v19
	v_mul_i32_i24_e32 v120, v185, v98
	s_delay_alu instid0(VALU_DEP_4) | instskip(SKIP_1) | instid1(VALU_DEP_4)
	v_add3_u32 v18, v18, v121, v122
	v_mul_i32_i24_e32 v121, v186, v87
	v_add3_u32 v19, v19, v118, v119
	v_mul_i32_i24_e32 v118, v182, v96
	v_mul_i32_i24_e32 v119, v184, v97
	v_add3_u32 v18, v18, v123, v124
	v_mul_i32_i24_e32 v122, v187, v99
	v_mul_i32_i24_e32 v123, v188, v100
	v_mul_i32_i24_e32 v124, v189, v101
	v_add3_u32 v19, v19, v118, v119
	v_add3_u32 v18, v18, v125, v126
	v_mul_i32_i24_e32 v125, v190, v88
	v_mul_i32_i24_e32 v126, v192, v102
	v_mul_i32_i24_e32 v118, v105, v181
	v_add3_u32 v19, v19, v120, v121
	;; [unrolled: 5-line block ×3, first 2 shown]
	v_mul_i32_i24_e32 v122, v114, v157
	v_mul_i32_i24_e32 v123, v115, v156
	;; [unrolled: 1-line block ×3, first 2 shown]
	v_mul_lo_u32 v18, v18, v216
	v_add3_u32 v19, v19, v124, v125
	v_mul_i32_i24_e32 v124, v117, v154
	scratch_load_b32 v125, off, off offset:72 ; 4-byte Folded Reload
	v_mul_i32_i24_e32 v119, v106, v180
	v_add3_u32 v19, v19, v126, v127
	v_mad_i32_i24 v124, v116, v155, v124
	scratch_load_b32 v126, off, off offset:76 ; 4-byte Folded Reload
	v_add3_u32 v19, v19, v128, v129
	s_clause 0x1
	scratch_load_b32 v129, off, off offset:100
	scratch_load_b32 v128, off, off offset:96
	v_add3_u32 v122, v124, v123, v122
	s_clause 0x1
	scratch_load_b32 v123, off, off offset:56
	scratch_load_b32 v39, off, off offset:20 th:TH_LOAD_LU
	v_mad_co_u64_u32 v[18:19], null, v19, v198, v[18:19]
	v_add3_u32 v120, v122, v120, v121
	scratch_load_b32 v122, off, off offset:16 th:TH_LOAD_LU ; 4-byte Folded Reload
	v_mov_b32_e32 v124, v51
	v_add3_u32 v118, v120, v119, v118
	v_cvt_f32_i32_e32 v18, v18
	s_delay_alu instid0(VALU_DEP_2) | instskip(NEXT) | instid1(VALU_DEP_1)
	v_cvt_f32_i32_e32 v19, v118
	v_mul_f32_e32 v19, v199, v19
	s_delay_alu instid0(VALU_DEP_1)
	v_fma_mix_f32 v18, v0, v18, -v19 op_sel_hi:[1,0,0]
	v_mul_i32_i24_e32 v19, v23, v175
	v_mul_i32_i24_e32 v23, v162, v44
	;; [unrolled: 1-line block ×3, first 2 shown]
	s_wait_loadcnt 0x1
	v_fmac_f32_e32 v39, v20, v18
	v_mul_i32_i24_e32 v18, v21, v172
	v_mul_i32_i24_e32 v21, v24, v176
	v_mul_i32_i24_e32 v24, v164, v79
	v_mul_i32_i24_e32 v79, v171, v91
	s_delay_alu instid0(VALU_DEP_4) | instskip(SKIP_3) | instid1(VALU_DEP_4)
	v_mad_i32_i24 v18, v22, v161, v18
	v_mul_i32_i24_e32 v22, v160, v37
	v_mul_i32_i24_e32 v37, v169, v84
	;; [unrolled: 1-line block ×3, first 2 shown]
	v_add3_u32 v18, v18, v19, v21
	v_mul_i32_i24_e32 v19, v158, v25
	v_mul_i32_i24_e32 v21, v159, v26
	;; [unrolled: 1-line block ×6, first 2 shown]
	v_add3_u32 v18, v18, v19, v21
	v_mul_i32_i24_e32 v19, v163, v93
	v_mul_i32_i24_e32 v21, v166, v95
	s_delay_alu instid0(VALU_DEP_3) | instskip(SKIP_1) | instid1(VALU_DEP_4)
	v_add3_u32 v18, v18, v22, v23
	v_mul_i32_i24_e32 v22, v168, v86
	v_mad_i32_i24 v19, v153, v94, v19
	v_mul_i32_i24_e32 v23, v143, v98
	s_delay_alu instid0(VALU_DEP_4) | instskip(SKIP_1) | instid1(VALU_DEP_4)
	v_add3_u32 v18, v18, v24, v25
	v_mul_i32_i24_e32 v24, v144, v87
	v_add3_u32 v19, v19, v21, v22
	v_mul_i32_i24_e32 v21, v141, v96
	v_mul_i32_i24_e32 v22, v142, v97
	v_add3_u32 v18, v18, v26, v37
	v_mul_i32_i24_e32 v25, v145, v99
	v_mul_i32_i24_e32 v26, v146, v100
	v_mul_i32_i24_e32 v37, v147, v101
	v_add3_u32 v19, v19, v21, v22
	v_add3_u32 v18, v18, v44, v79
	v_mul_i32_i24_e32 v44, v148, v88
	v_mul_i32_i24_e32 v79, v149, v102
	v_mul_i32_i24_e32 v21, v105, v140
	v_add3_u32 v19, v19, v23, v24
	v_add3_u32 v18, v18, v82, v83
	v_mul_i32_i24_e32 v82, v150, v103
	v_mul_i32_i24_e32 v23, v107, v137
	v_mul_i32_i24_e32 v24, v113, v138
	v_add3_u32 v19, v19, v25, v26
	v_mul_i32_i24_e32 v25, v114, v136
	v_mul_i32_i24_e32 v26, v115, v135
	;; [unrolled: 1-line block ×3, first 2 shown]
	v_mul_lo_u32 v18, v18, v177
	v_add3_u32 v19, v19, v37, v44
	v_mul_i32_i24_e32 v37, v117, v133
	v_mul_i32_i24_e32 v22, v106, v139
	s_delay_alu instid0(VALU_DEP_3) | instskip(NEXT) | instid1(VALU_DEP_3)
	v_add3_u32 v19, v19, v79, v82
	v_mad_i32_i24 v37, v116, v134, v37
	s_delay_alu instid0(VALU_DEP_2) | instskip(NEXT) | instid1(VALU_DEP_2)
	v_add3_u32 v19, v19, v83, v84
	v_add3_u32 v25, v37, v26, v25
	s_delay_alu instid0(VALU_DEP_2) | instskip(NEXT) | instid1(VALU_DEP_2)
	v_mad_co_u64_u32 v[18:19], null, v19, v132, v[18:19]
	v_add3_u32 v23, v25, v23, v24
	s_delay_alu instid0(VALU_DEP_1) | instskip(NEXT) | instid1(VALU_DEP_3)
	v_add3_u32 v21, v23, v22, v21
	v_cvt_f32_i32_e32 v18, v18
	s_delay_alu instid0(VALU_DEP_2) | instskip(NEXT) | instid1(VALU_DEP_1)
	v_cvt_f32_i32_e32 v19, v21
	v_mul_f32_e32 v19, v131, v19
	s_delay_alu instid0(VALU_DEP_1) | instskip(SKIP_1) | instid1(VALU_DEP_1)
	v_fma_mix_f32 v18, v130, v18, -v19 op_sel_hi:[1,0,0]
	s_wait_loadcnt 0x0
	v_fmac_f32_e32 v122, v20, v18
	v_or_b32_e32 v18, s18, v123
	s_delay_alu instid0(VALU_DEP_1)
	v_lshlrev_b32_e32 v19, 2, v18
	v_lshrrev_b32_e32 v18, 1, v18
	ds_load_b32 v82, v18 offset:30368
	ds_load_b128 v[83:86], v19 offset:16896
	ds_load_b128 v[87:90], v19 offset:16912
	s_wait_dscnt 0x1
	v_bfe_i32 v94, v85, 0, 8
	s_wait_dscnt 0x0
	v_ashrrev_i32_e32 v99, 24, v87
	v_ashrrev_i32_e32 v116, 24, v88
	v_bfe_i32 v91, v87, 16, 8
	v_bfe_i32 v115, v88, 16, 8
	v_ashrrev_i32_e32 v120, 24, v89
	v_ashrrev_i32_e32 v19, 24, v90
	v_add_nc_u32_e32 v20, v116, v99
	v_bfe_i32 v95, v85, 8, 8
	v_bfe_i32 v96, v85, 16, 8
	v_ashrrev_i32_e32 v97, 24, v85
	v_bfe_i32 v79, v87, 0, 8
	v_bfe_i32 v113, v88, 0, 8
	;; [unrolled: 1-line block ×4, first 2 shown]
	v_add3_u32 v85, v20, v120, v19
	v_add_nc_u32_e32 v20, v115, v91
	v_bfe_i32 v98, v86, 0, 8
	v_bfe_i32 v102, v86, 8, 8
	;; [unrolled: 1-line block ×3, first 2 shown]
	v_ashrrev_i32_e32 v104, 24, v86
	v_bfe_i32 v44, v87, 8, 8
	v_bfe_i32 v114, v88, 8, 8
	;; [unrolled: 1-line block ×4, first 2 shown]
	v_add3_u32 v86, v20, v119, v18
	v_add_nc_u32_e32 v20, v113, v79
	v_ashrrev_i32_e32 v121, 24, v83
	v_ashrrev_i32_e32 v93, 24, v84
	v_bfe_i32 v118, v89, 8, 8
	v_bfe_i32 v127, v90, 8, 8
	v_add3_u32 v87, v20, v117, v37
	v_add_nc_u32_e32 v20, v114, v44
	v_bfe_i32 v107, v83, 16, 8
	v_bfe_i32 v92, v84, 16, 8
	;; [unrolled: 1-line block ×4, first 2 shown]
	v_add3_u32 v88, v20, v118, v127
	v_add_nc_u32_e32 v20, v93, v121
	v_bfe_i32 v106, v83, 0, 8
	v_bfe_i32 v100, v84, 0, 8
	v_mul_i32_i24_e32 v21, v107, v77
	v_mul_i32_i24_e32 v22, v121, v78
	v_add3_u32 v89, v20, v97, v104
	v_add_nc_u32_e32 v20, v92, v107
	v_mul_i32_i24_e32 v23, v58, v92
	v_mul_i32_i24_e32 v24, v59, v93
	;; [unrolled: 1-line block ×4, first 2 shown]
	v_add3_u32 v90, v20, v96, v103
	v_add_nc_u32_e32 v20, v101, v105
	v_mul_i32_i24_e32 v58, v71, v102
	v_mul_i32_i24_e32 v59, v73, v103
	;; [unrolled: 1-line block ×3, first 2 shown]
	s_clause 0x1
	scratch_load_b32 v73, off, off offset:64
	scratch_load_b32 v75, off, off offset:68
	v_add3_u32 v83, v20, v95, v102
	v_add_nc_u32_e32 v20, v100, v106
	v_mul_i32_i24_e32 v5, v5, v113
	v_mul_i32_i24_e32 v6, v6, v114
	;; [unrolled: 1-line block ×4, first 2 shown]
	v_add3_u32 v84, v20, v94, v98
	v_mul_i32_i24_e32 v20, v106, v76
	v_mul_i32_i24_e32 v9, v9, v117
	;; [unrolled: 1-line block ×5, first 2 shown]
	v_mad_i32_i24 v20, v105, v54, v20
	v_mul_i32_i24_e32 v54, v65, v96
	v_mul_i32_i24_e32 v13, v13, v37
	;; [unrolled: 1-line block ×4, first 2 shown]
	v_add3_u32 v20, v20, v21, v22
	v_mul_i32_i24_e32 v21, v55, v100
	v_mul_i32_i24_e32 v22, v57, v101
	;; [unrolled: 1-line block ×6, first 2 shown]
	v_add3_u32 v20, v20, v21, v22
	v_mul_i32_i24_e32 v21, v52, v91
	v_mul_i32_i24_e32 v22, v53, v99
	s_delay_alu instid0(VALU_DEP_3) | instskip(SKIP_4) | instid1(VALU_DEP_1)
	v_add3_u32 v20, v20, v23, v24
	scratch_load_b32 v23, off, off offset:12 th:TH_LOAD_LU ; 4-byte Folded Reload
	v_add3_u32 v20, v20, v25, v26
	scratch_load_b32 v26, off, off offset:60 ; 4-byte Folded Reload
	v_add3_u32 v20, v20, v54, v55
	v_add3_u32 v20, v20, v57, v58
	s_delay_alu instid0(VALU_DEP_1) | instskip(SKIP_3) | instid1(VALU_DEP_1)
	v_add3_u32 v20, v20, v59, v60
	scratch_load_b32 v60, off, off offset:52 ; 4-byte Folded Reload
	v_mul_lo_u32 v3, v20, v3
	v_mul_i32_i24_e32 v20, v49, v79
	v_mad_i32_i24 v4, v4, v44, v20
	scratch_load_b32 v20, off, off th:TH_LOAD_LU ; 4-byte Folded Reload
	v_add3_u32 v4, v4, v21, v22
	s_clause 0x1
	scratch_load_b32 v22, off, off offset:8 th:TH_LOAD_LU
	scratch_load_b32 v21, off, off offset:4 th:TH_LOAD_LU
	v_add3_u32 v4, v4, v5, v6
	v_mul_i32_i24_e32 v5, v85, v80
	v_mul_i32_i24_e32 v6, v86, v109
	s_delay_alu instid0(VALU_DEP_3) | instskip(SKIP_2) | instid1(VALU_DEP_3)
	v_add3_u32 v4, v4, v7, v8
	v_mul_i32_i24_e32 v7, v87, v110
	v_mul_i32_i24_e32 v8, v88, v108
	v_add3_u32 v4, v4, v9, v10
	v_mul_i32_i24_e32 v9, v89, v46
	v_mul_i32_i24_e32 v10, v90, v72
	s_delay_alu instid0(VALU_DEP_3) | instskip(SKIP_2) | instid1(VALU_DEP_3)
	v_add3_u32 v4, v4, v11, v12
	v_mul_i32_i24_e32 v11, v84, v17
	v_mul_i32_i24_e32 v12, v249, v102
	v_add3_u32 v4, v4, v13, v14
	s_delay_alu instid0(VALU_DEP_3) | instskip(SKIP_2) | instid1(VALU_DEP_4)
	v_mad_i32_i24 v11, v83, v81, v11
	v_mul_i32_i24_e32 v13, v251, v103
	v_mul_i32_i24_e32 v14, v252, v104
	v_add3_u32 v4, v4, v15, v16
	s_delay_alu instid0(VALU_DEP_4)
	v_add3_u32 v9, v11, v10, v9
	v_mul_i32_i24_e32 v10, v247, v97
	v_mul_i32_i24_e32 v11, v248, v98
	;; [unrolled: 1-line block ×3, first 2 shown]
	v_mad_co_u64_u32 v[3:4], null, v4, v111, v[3:4]
	v_add3_u32 v7, v9, v7, v8
	v_mul_i32_i24_e32 v8, v245, v95
	v_mul_i32_i24_e32 v9, v246, v96
	s_delay_alu instid0(VALU_DEP_3) | instskip(SKIP_3) | instid1(VALU_DEP_4)
	v_add3_u32 v5, v7, v6, v5
	v_cvt_f32_i32_e32 v3, v3
	v_mul_i32_i24_e32 v6, v243, v93
	v_mul_i32_i24_e32 v7, v244, v94
	v_cvt_f32_i32_e32 v4, v5
	v_mul_i32_i24_e32 v5, v241, v92
	s_delay_alu instid0(VALU_DEP_2) | instskip(NEXT) | instid1(VALU_DEP_1)
	v_mul_f32_e32 v4, v112, v4
	v_fma_mix_f32 v2, v2, v3, -v4 op_sel_hi:[1,0,0]
	v_mul_i32_i24_e32 v3, v107, v253
	v_mul_i32_i24_e32 v4, v121, v254
	s_wait_loadcnt 0x5
	s_delay_alu instid0(VALU_DEP_3) | instskip(SKIP_1) | instid1(VALU_DEP_1)
	v_fmac_f32_e32 v23, v82, v2
	v_mul_i32_i24_e32 v2, v106, v250
	v_mad_i32_i24 v2, v105, v242, v2
	s_delay_alu instid0(VALU_DEP_1) | instskip(SKIP_2) | instid1(VALU_DEP_1)
	v_add3_u32 v2, v2, v3, v4
	v_mul_i32_i24_e32 v3, v239, v100
	v_mul_i32_i24_e32 v4, v240, v101
	v_add3_u32 v2, v2, v3, v4
	v_mul_i32_i24_e32 v3, v230, v79
	v_mul_i32_i24_e32 v4, v233, v91
	s_delay_alu instid0(VALU_DEP_3) | instskip(SKIP_1) | instid1(VALU_DEP_4)
	v_add3_u32 v2, v2, v5, v6
	v_mul_i32_i24_e32 v5, v235, v99
	v_mad_i32_i24 v3, v222, v44, v3
	v_mul_i32_i24_e32 v6, v224, v115
	s_delay_alu instid0(VALU_DEP_4) | instskip(SKIP_1) | instid1(VALU_DEP_4)
	v_add3_u32 v2, v2, v7, v8
	v_mul_i32_i24_e32 v7, v225, v116
	v_add3_u32 v3, v3, v4, v5
	v_mul_i32_i24_e32 v4, v221, v113
	v_mul_i32_i24_e32 v5, v223, v114
	v_add3_u32 v2, v2, v9, v10
	v_mul_i32_i24_e32 v8, v226, v117
	v_mul_i32_i24_e32 v9, v227, v118
	v_mul_i32_i24_e32 v10, v228, v119
	v_add3_u32 v3, v3, v4, v5
	v_add3_u32 v2, v2, v11, v12
	v_mul_i32_i24_e32 v11, v229, v120
	v_mul_i32_i24_e32 v12, v231, v37
	v_mul_i32_i24_e32 v4, v85, v220
	v_add3_u32 v3, v3, v6, v7
	;; [unrolled: 5-line block ×3, first 2 shown]
	v_mul_i32_i24_e32 v8, v89, v36
	v_mul_i32_i24_e32 v9, v90, v50
	;; [unrolled: 1-line block ×3, first 2 shown]
	v_mul_lo_u32 v2, v2, v255
	v_add3_u32 v3, v3, v10, v11
	v_mul_i32_i24_e32 v10, v84, v201
	v_mul_i32_i24_e32 v5, v86, v219
	;; [unrolled: 1-line block ×3, first 2 shown]
	s_delay_alu instid0(VALU_DEP_4) | instskip(NEXT) | instid1(VALU_DEP_4)
	v_add3_u32 v3, v3, v12, v13
	v_mad_i32_i24 v10, v83, v202, v10
	v_mul_i32_i24_e32 v12, v212, v103
	v_mul_i32_i24_e32 v13, v213, v104
	s_delay_alu instid0(VALU_DEP_4) | instskip(NEXT) | instid1(VALU_DEP_4)
	v_add3_u32 v3, v3, v14, v15
	v_add3_u32 v8, v10, v9, v8
	v_mul_i32_i24_e32 v9, v208, v97
	v_mul_i32_i24_e32 v10, v209, v98
	;; [unrolled: 1-line block ×3, first 2 shown]
	v_mad_co_u64_u32 v[2:3], null, v3, v237, v[2:3]
	v_add3_u32 v6, v8, v6, v7
	v_mul_i32_i24_e32 v7, v206, v95
	v_mul_i32_i24_e32 v8, v207, v96
	s_delay_alu instid0(VALU_DEP_3) | instskip(SKIP_3) | instid1(VALU_DEP_4)
	v_add3_u32 v4, v6, v5, v4
	v_cvt_f32_i32_e32 v2, v2
	v_mul_i32_i24_e32 v5, v204, v93
	v_mul_i32_i24_e32 v6, v205, v94
	v_cvt_f32_i32_e32 v3, v4
	v_mul_i32_i24_e32 v4, v121, v215
	s_delay_alu instid0(VALU_DEP_2) | instskip(NEXT) | instid1(VALU_DEP_1)
	v_mul_f32_e32 v3, v238, v3
	v_fma_mix_f32 v2, v200, v2, -v3 op_sel_hi:[1,0,0]
	v_mul_i32_i24_e32 v3, v107, v214
	s_wait_loadcnt 0x1
	s_delay_alu instid0(VALU_DEP_2) | instskip(SKIP_1) | instid1(VALU_DEP_1)
	v_fmac_f32_e32 v22, v82, v2
	v_mul_i32_i24_e32 v2, v106, v211
	v_mad_i32_i24 v2, v105, v203, v2
	s_delay_alu instid0(VALU_DEP_1) | instskip(SKIP_2) | instid1(VALU_DEP_2)
	v_add3_u32 v2, v2, v3, v4
	v_mul_i32_i24_e32 v3, v47, v101
	v_mul_i32_i24_e32 v4, v48, v92
	v_add3_u32 v1, v2, v1, v3
	v_mul_i32_i24_e32 v2, v191, v79
	v_mul_i32_i24_e32 v3, v194, v91
	s_delay_alu instid0(VALU_DEP_3) | instskip(SKIP_1) | instid1(VALU_DEP_4)
	v_add3_u32 v1, v1, v4, v5
	v_mul_i32_i24_e32 v4, v196, v99
	v_mad_i32_i24 v2, v183, v44, v2
	v_mul_i32_i24_e32 v5, v185, v115
	s_delay_alu instid0(VALU_DEP_4) | instskip(SKIP_1) | instid1(VALU_DEP_4)
	v_add3_u32 v1, v1, v6, v7
	v_mul_i32_i24_e32 v6, v186, v116
	v_add3_u32 v2, v2, v3, v4
	v_mul_i32_i24_e32 v3, v182, v113
	v_mul_i32_i24_e32 v4, v184, v114
	v_add3_u32 v1, v1, v8, v9
	v_mul_i32_i24_e32 v7, v187, v117
	v_mul_i32_i24_e32 v8, v188, v118
	v_mul_i32_i24_e32 v9, v189, v119
	v_add3_u32 v2, v2, v3, v4
	v_add3_u32 v1, v1, v10, v11
	v_mul_i32_i24_e32 v10, v190, v120
	v_mul_i32_i24_e32 v11, v192, v37
	v_mul_i32_i24_e32 v3, v85, v181
	v_add3_u32 v2, v2, v5, v6
	;; [unrolled: 5-line block ×3, first 2 shown]
	v_mul_i32_i24_e32 v7, v89, v157
	v_mul_i32_i24_e32 v8, v90, v156
	;; [unrolled: 1-line block ×3, first 2 shown]
	v_mul_lo_u32 v1, v1, v216
	v_add3_u32 v2, v2, v9, v10
	v_mul_i32_i24_e32 v9, v84, v154
	v_mul_i32_i24_e32 v4, v86, v180
	;; [unrolled: 1-line block ×3, first 2 shown]
	s_delay_alu instid0(VALU_DEP_4) | instskip(NEXT) | instid1(VALU_DEP_4)
	v_add3_u32 v2, v2, v11, v12
	v_mad_i32_i24 v9, v83, v155, v9
	v_mul_i32_i24_e32 v11, v173, v103
	v_mul_i32_i24_e32 v12, v174, v104
	s_delay_alu instid0(VALU_DEP_4) | instskip(NEXT) | instid1(VALU_DEP_4)
	v_add3_u32 v2, v2, v13, v14
	v_add3_u32 v7, v9, v8, v7
	v_mul_i32_i24_e32 v8, v169, v97
	v_mul_i32_i24_e32 v9, v170, v98
	;; [unrolled: 1-line block ×3, first 2 shown]
	v_mad_co_u64_u32 v[1:2], null, v2, v198, v[1:2]
	v_add3_u32 v5, v7, v5, v6
	v_mul_i32_i24_e32 v6, v165, v95
	v_mul_i32_i24_e32 v7, v167, v96
	s_delay_alu instid0(VALU_DEP_3) | instskip(SKIP_3) | instid1(VALU_DEP_4)
	v_add3_u32 v3, v5, v4, v3
	v_cvt_f32_i32_e32 v1, v1
	v_mul_i32_i24_e32 v4, v162, v93
	v_mul_i32_i24_e32 v5, v164, v94
	v_cvt_f32_i32_e32 v2, v3
	v_mul_i32_i24_e32 v3, v160, v92
	s_delay_alu instid0(VALU_DEP_2) | instskip(NEXT) | instid1(VALU_DEP_1)
	v_mul_f32_e32 v2, v199, v2
	v_fma_mix_f32 v0, v0, v1, -v2 op_sel_hi:[1,0,0]
	v_mul_i32_i24_e32 v1, v107, v175
	v_mul_i32_i24_e32 v2, v121, v176
	s_wait_loadcnt 0x0
	s_delay_alu instid0(VALU_DEP_3) | instskip(SKIP_1) | instid1(VALU_DEP_1)
	v_fmac_f32_e32 v21, v82, v0
	v_mul_i32_i24_e32 v0, v106, v172
	v_mad_i32_i24 v0, v105, v161, v0
	s_delay_alu instid0(VALU_DEP_1)
	v_add3_u32 v0, v0, v1, v2
	v_mul_i32_i24_e32 v1, v158, v100
	v_mul_i32_i24_e32 v2, v159, v101
	s_clause 0x1
	scratch_load_b32 v158, off, off offset:112
	scratch_load_b32 v159, off, off offset:116
	v_add3_u32 v0, v0, v1, v2
	v_mul_i32_i24_e32 v1, v163, v79
	v_mul_i32_i24_e32 v2, v166, v91
	s_delay_alu instid0(VALU_DEP_3) | instskip(NEXT) | instid1(VALU_DEP_3)
	v_add3_u32 v0, v0, v3, v4
	v_mad_i32_i24 v1, v153, v44, v1
	scratch_load_b32 v153, off, off offset:108 ; 4-byte Folded Reload
	v_mul_i32_i24_e32 v3, v168, v99
	v_mul_i32_i24_e32 v4, v143, v115
	v_add3_u32 v0, v0, v5, v6
	v_mul_i32_i24_e32 v5, v144, v116
	v_mul_i32_i24_e32 v6, v145, v117
	v_add3_u32 v1, v1, v2, v3
	v_mul_i32_i24_e32 v2, v141, v113
	v_add3_u32 v0, v0, v7, v8
	v_mul_i32_i24_e32 v8, v147, v119
	scratch_load_b32 v147, off, off offset:24 ; 4-byte Folded Reload
	v_mul_i32_i24_e32 v3, v142, v114
	v_mul_i32_i24_e32 v7, v146, v118
	v_add3_u32 v0, v0, v9, v10
	v_mul_i32_i24_e32 v9, v148, v120
	scratch_load_b32 v148, off, off offset:80 ; 4-byte Folded Reload
	v_mul_i32_i24_e32 v10, v149, v37
	scratch_load_b32 v149, off, off offset:84 ; 4-byte Folded Reload
	v_add3_u32 v0, v0, v11, v12
	v_mul_i32_i24_e32 v11, v150, v127
	scratch_load_b32 v150, off, off offset:104 ; 4-byte Folded Reload
	v_mul_i32_i24_e32 v12, v151, v18
	s_clause 0x2
	scratch_load_b32 v151, off, off offset:88
	scratch_load_b32 v51, off, off offset:120
	;; [unrolled: 1-line block ×3, first 2 shown]
	v_add3_u32 v1, v1, v2, v3
	v_mul_lo_u32 v0, v0, v177
	v_mul_i32_i24_e32 v2, v85, v140
	v_mul_i32_i24_e32 v3, v86, v139
	s_delay_alu instid0(VALU_DEP_4) | instskip(SKIP_2) | instid1(VALU_DEP_3)
	v_add3_u32 v1, v1, v4, v5
	v_mul_i32_i24_e32 v4, v87, v137
	v_mul_i32_i24_e32 v5, v88, v138
	v_add3_u32 v1, v1, v6, v7
	v_mul_i32_i24_e32 v6, v89, v136
	v_mul_i32_i24_e32 v7, v90, v135
	s_delay_alu instid0(VALU_DEP_3) | instskip(SKIP_1) | instid1(VALU_DEP_2)
	v_add3_u32 v1, v1, v8, v9
	v_mul_i32_i24_e32 v8, v84, v133
	v_add3_u32 v1, v1, v10, v11
	s_delay_alu instid0(VALU_DEP_2) | instskip(NEXT) | instid1(VALU_DEP_2)
	v_mad_i32_i24 v8, v83, v134, v8
	v_add3_u32 v1, v1, v12, v13
	s_delay_alu instid0(VALU_DEP_2) | instskip(NEXT) | instid1(VALU_DEP_2)
	v_add3_u32 v6, v8, v7, v6
	v_mad_co_u64_u32 v[0:1], null, v1, v132, v[0:1]
	s_delay_alu instid0(VALU_DEP_2) | instskip(NEXT) | instid1(VALU_DEP_1)
	v_add3_u32 v4, v6, v4, v5
	v_add3_u32 v2, v4, v3, v2
	s_delay_alu instid0(VALU_DEP_3) | instskip(NEXT) | instid1(VALU_DEP_2)
	v_cvt_f32_i32_e32 v0, v0
	v_cvt_f32_i32_e32 v1, v2
	s_delay_alu instid0(VALU_DEP_1) | instskip(NEXT) | instid1(VALU_DEP_1)
	v_mul_f32_e32 v1, v131, v1
	v_fma_mix_f32 v0, v130, v0, -v1 op_sel_hi:[1,0,0]
	s_delay_alu instid0(VALU_DEP_1)
	v_fmac_f32_e32 v20, v82, v0
	s_cbranch_scc1 .LBB168_10
; %bb.11:                               ;   in Loop: Header=BB168_8 Depth=2
	scratch_load_b32 v0, off, off offset:144 ; 4-byte Folded Reload
	s_wait_loadcnt 0x0
	s_wait_storecnt 0x0
	s_barrier_signal -1
	s_barrier_wait -1
	global_inv scope:SCOPE_SE
	s_add_co_i32 s10, s10, 2
	s_clause 0x3
	scratch_load_b32 v1, off, off offset:156
	scratch_load_b32 v10, off, off offset:172
	;; [unrolled: 1-line block ×3, first 2 shown]
	scratch_load_b64 v[17:18], off, off offset:184
	v_lshl_add_u32 v0, s16, 5, v0
	s_delay_alu instid0(VALU_DEP_1) | instskip(NEXT) | instid1(VALU_DEP_1)
	v_lshrrev_b32_e32 v0, 3, v0
	v_add_nc_u32_e32 v8, s7, v0
	scratch_load_b32 v0, off, off offset:140 ; 4-byte Folded Reload
	s_wait_loadcnt 0x4
	v_add_nc_u32_e32 v2, v8, v1
	scratch_load_b32 v1, off, off offset:160 ; 4-byte Folded Reload
	s_wait_loadcnt 0x4
	;; [unrolled: 3-line block ×3, first 2 shown]
	v_add_nc_u32_e32 v16, v8, v11
	s_wait_loadcnt 0x3
	v_mad_co_i64_i32 v[2:3], null, v2, 36, v[17:18]
	v_mad_co_i64_i32 v[14:15], null, v14, 36, v[17:18]
	s_wait_loadcnt 0x2
	v_lshl_add_u32 v9, s16, 2, v0
	scratch_load_b32 v0, off, off offset:152 ; 4-byte Folded Reload
	s_wait_alu 0xfffe
	s_lshl_b32 s16, s10, 3
	s_wait_loadcnt 0x2
	v_add_nc_u32_e32 v4, v8, v1
	scratch_load_b32 v1, off, off offset:164 ; 4-byte Folded Reload
	s_wait_loadcnt 0x2
	v_add_nc_u32_e32 v10, v8, v10
	v_mad_co_i64_i32 v[4:5], null, v4, 36, v[17:18]
	s_delay_alu instid0(VALU_DEP_2)
	v_mad_co_i64_i32 v[10:11], null, v10, 36, v[17:18]
	s_wait_loadcnt 0x1
	v_add_nc_u32_e32 v0, v8, v0
	s_wait_loadcnt 0x0
	v_add_nc_u32_e32 v6, v8, v1
	scratch_load_b32 v1, off, off offset:168 ; 4-byte Folded Reload
	v_mad_co_i64_i32 v[6:7], null, v6, 36, v[17:18]
	s_wait_loadcnt 0x0
	v_add_nc_u32_e32 v12, v8, v1
	v_mad_co_u64_u32 v[8:9], null, v9, 36, s[2:3]
	v_mad_co_i64_i32 v[0:1], null, v0, 36, v[17:18]
	s_delay_alu instid0(VALU_DEP_3)
	v_mad_co_i64_i32 v[12:13], null, v12, 36, v[17:18]
	v_mad_co_i64_i32 v[16:17], null, v16, 36, v[17:18]
	s_clause 0x8
	global_load_b32 v8, v[8:9], off
	global_load_b32 v9, v[10:11], off offset:4
	global_load_b32 v0, v[0:1], off offset:4
	;; [unrolled: 1-line block ×8, first 2 shown]
	s_wait_loadcnt 0x8
	v_cvt_f32_f16_e32 v7, v8
	scratch_load_b32 v8, off, off offset:220 ; 4-byte Folded Reload
	s_wait_loadcnt 0x0
	ds_store_b32 v8, v9
	scratch_load_b32 v8, off, off offset:192 ; 4-byte Folded Reload
	s_wait_loadcnt 0x0
	ds_store_b32 v8, v0
	;; [unrolled: 3-line block ×9, first 2 shown]
	s_wait_dscnt 0x0
	s_barrier_signal -1
	s_barrier_wait -1
	global_inv scope:SCOPE_SE
.LBB168_12:                             ;   Parent Loop BB168_6 Depth=1
                                        ;     Parent Loop BB168_8 Depth=2
                                        ; =>    This Inner Loop Header: Depth=3
	s_clause 0x5
	scratch_store_b32 off, v39, off offset:20
	scratch_store_b32 off, v122, off offset:16
	;; [unrolled: 1-line block ×5, first 2 shown]
	scratch_store_b32 off, v20, off
	scratch_load_b32 v2, off, off offset:124 ; 4-byte Folded Reload
	s_and_b32 s19, s11, 0x3ffffff8
	s_and_b32 s20, s11, 0x7ffffffe
	s_wait_loadcnt 0x1
	s_wait_alu 0xfffe
	v_lshl_add_u32 v19, s19, 2, v26
	s_add_co_i32 s19, s20, 0x6200
	s_lshl_b32 s17, s11, 2
	s_and_b32 s18, s11, 6
	s_wait_alu 0xfffe
	s_and_b32 s17, s17, 24
	s_lshr_b32 s20, s11, 2
	s_wait_alu 0xfffe
	v_or_b32_e32 v0, s17, v60
	s_and_b32 s20, s20, 0x3ffffffc
	s_add_co_i32 s11, s11, 2
	s_wait_alu 0xfffe
	s_addk_co_i32 s20, 0x7280
	s_cmp_lt_u32 s11, s16
	v_lshlrev_b32_e32 v17, 2, v0
	v_lshrrev_b32_e32 v0, 1, v0
	ds_load_b32 v18, v0 offset:30368
	ds_load_2addr_b32 v[0:1], v19 offset1:1
	s_wait_dscnt 0x0
	v_ashrrev_i32_e32 v3, s18, v0
	v_ashrrev_i32_e32 v4, s18, v1
	ds_load_2addr_b32 v[0:1], v19 offset0:2 offset1:3
	v_and_b32_e32 v76, 3, v3
	v_bfe_u32 v77, v3, 16, 2
	v_bfe_u32 v78, v3, 24, 2
	v_and_b32_e32 v61, 3, v4
	v_bfe_u32 v12, v4, 8, 2
	v_bfe_u32 v65, v4, 16, 2
	;; [unrolled: 1-line block ×3, first 2 shown]
	s_wait_dscnt 0x0
	v_ashrrev_i32_e32 v5, s18, v0
	v_ashrrev_i32_e32 v6, s18, v1
	ds_load_2addr_b32 v[0:1], v19 offset0:4 offset1:5
	v_and_b32_e32 v69, 3, v5
	v_and_b32_e32 v71, 3, v6
	v_bfe_u32 v16, v6, 8, 2
	v_bfe_u32 v14, v5, 8, 2
	;; [unrolled: 1-line block ×4, first 2 shown]
	s_wait_dscnt 0x0
	v_ashrrev_i32_e32 v7, s18, v0
	v_ashrrev_i32_e32 v8, s18, v1
	ds_load_2addr_b32 v[0:1], v19 offset0:6 offset1:7
	v_and_b32_e32 v59, 3, v7
	v_bfe_u32 v60, v7, 24, 2
	v_and_b32_e32 v52, 3, v8
	v_bfe_u32 v4, v8, 8, 2
	v_bfe_u32 v53, v8, 16, 2
	v_bfe_u32 v5, v8, 24, 2
	s_wait_dscnt 0x0
	v_ashrrev_i32_e32 v0, s18, v0
	v_ashrrev_i32_e32 v1, s18, v1
	s_delay_alu instid0(VALU_DEP_2) | instskip(SKIP_1) | instid1(VALU_DEP_3)
	v_and_b32_e32 v54, 3, v0
	v_bfe_u32 v55, v0, 16, 2
	v_and_b32_e32 v57, 3, v1
	v_bfe_u32 v8, v1, 8, 2
	v_bfe_u32 v58, v1, 16, 2
	s_wait_loadcnt 0x0
	v_add3_u32 v9, s19, v2, v73
	scratch_load_b32 v2, off, off offset:128 ; 4-byte Folded Reload
	v_bfe_u32 v73, v6, 16, 2
	s_wait_loadcnt 0x0
	s_wait_alu 0xfffe
	v_add3_u32 v2, s20, v2, v75
	v_bfe_u32 v75, v6, 24, 2
	v_bfe_u32 v6, v0, 8, 2
	ds_load_b32 v2, v2
	ds_load_u16 v9, v9
	ds_load_b128 v[86:89], v17 offset:16896
	ds_load_b128 v[90:93], v17 offset:16912
	s_wait_dscnt 0x1
	v_bfe_i32 v24, v86, 0, 8
	v_lshrrev_b16 v10, 8, v9
	v_bfe_u32 v11, v9, 4, 4
	s_wait_dscnt 0x0
	v_ashrrev_i32_e32 v37, 24, v90
	v_ashrrev_i32_e32 v82, 24, v91
	v_bfe_i32 v25, v86, 16, 8
	v_and_b32_e32 v21, 0xffff, v10
	v_mul_lo_u32 v20, 0x1010101, v11
	v_bfe_u32 v11, v3, 8, 2
	v_bfe_u32 v10, v7, 16, 2
	v_bfe_i32 v94, v87, 0, 8
	v_lshrrev_b32_e32 v3, 4, v21
	v_bfe_i32 v95, v87, 16, 8
	v_bfe_i32 v98, v92, 0, 8
	;; [unrolled: 1-line block ×4, first 2 shown]
	v_mul_lo_u32 v22, 0x1010101, v3
	v_bfe_u32 v3, v7, 8, 2
	v_bfe_u32 v7, v0, 24, 2
	v_lshrrev_b16 v0, 8, v90
	v_ashrrev_i32_e32 v92, 24, v92
	v_bfe_i32 v104, v93, 0, 8
	v_bfe_i32 v105, v93, 8, 8
	;; [unrolled: 1-line block ×4, first 2 shown]
	v_lshrrev_b16 v0, 8, v91
	v_ashrrev_i32_e32 v93, 24, v93
	v_add_nc_u32_e32 v46, v82, v37
	v_ashrrev_i32_e32 v23, 24, v86
	v_bfe_i32 v79, v90, 16, 8
	v_bfe_i32 v85, v0, 0, 8
	v_lshrrev_b16 v0, 8, v88
	v_bfe_i32 v83, v90, 0, 8
	v_bfe_i32 v26, v87, 8, 8
	v_ashrrev_i32_e32 v90, 24, v87
	v_bfe_i32 v96, v86, 8, 8
	v_bfe_i32 v97, v0, 0, 8
	;; [unrolled: 1-line block ×4, first 2 shown]
	v_lshrrev_b16 v0, 8, v89
	v_bfe_i32 v107, v89, 16, 8
	v_bfe_i32 v113, v89, 0, 8
	v_add_nc_u32_e32 v47, v95, v25
	v_add_nc_u32_e32 v48, v94, v24
	v_add3_u32 v117, v46, v92, v93
	v_mul_i32_i24_e32 v46, v61, v94
	v_bfe_i32 v84, v91, 16, 8
	v_bfe_i32 v91, v91, 0, 8
	v_ashrrev_i32_e32 v88, 24, v88
	v_bfe_i32 v103, v0, 0, 8
	v_ashrrev_i32_e32 v89, 24, v89
	v_add_nc_u32_e32 v0, v96, v26
	v_add_nc_u32_e32 v50, v90, v23
	v_add3_u32 v115, v48, v102, v113
	v_add3_u32 v116, v47, v101, v107
	v_mul_i32_i24_e32 v47, v65, v95
	v_mul_i32_i24_e32 v48, v13, v90
	v_mad_i32_i24 v46, v12, v26, v46
	v_and_b32_e32 v49, 15, v9
	v_bfe_u32 v9, v1, 24, 2
	v_add_nc_u32_e32 v1, v91, v83
	v_add_nc_u32_e32 v17, v85, v44
	v_add3_u32 v114, v50, v88, v89
	v_add3_u32 v121, v0, v97, v103
	v_mul_i32_i24_e32 v0, v24, v76
	v_mul_i32_i24_e32 v50, v69, v102
	v_add3_u32 v46, v46, v47, v48
	v_add_nc_u32_e32 v36, v84, v79
	v_add3_u32 v119, v17, v99, v105
	v_add3_u32 v120, v1, v98, v104
	v_mul_i32_i24_e32 v1, v96, v11
	v_mul_i32_i24_e32 v17, v25, v77
	v_add3_u32 v0, v46, v50, v0
	v_add3_u32 v118, v36, v100, v106
	v_mul_i32_i24_e32 v36, v23, v78
	v_mul_i32_i24_e32 v72, v14, v97
	;; [unrolled: 1-line block ×3, first 2 shown]
	v_add3_u32 v0, v0, v1, v17
	v_mul_i32_i24_e32 v81, v15, v88
	v_mul_i32_i24_e32 v86, v71, v113
	;; [unrolled: 1-line block ×4, first 2 shown]
	v_add3_u32 v0, v0, v36, v72
	v_mul_i32_i24_e32 v109, v75, v89
	v_lshrrev_b16 v1, 8, v20
	v_bfe_i32 v17, v20, 16, 8
	v_bfe_i32 v111, v22, 16, 8
	v_add3_u32 v0, v0, v80, v81
	v_lshrrev_b32_e32 v81, 24, v20
	v_bfe_i32 v80, v20, 0, 8
	v_bfe_i32 v110, v22, 8, 8
	;; [unrolled: 1-line block ×3, first 2 shown]
	v_add3_u32 v0, v0, v86, v87
	v_mul_i32_i24_e32 v20, v10, v79
	v_mul_i32_i24_e32 v36, v53, v84
	;; [unrolled: 1-line block ×4, first 2 shown]
	v_add3_u32 v0, v0, v108, v109
	v_bfe_i32 v109, v1, 0, 8
	v_mul_i32_i24_e32 v1, v59, v83
	v_lshrrev_b32_e32 v108, 24, v22
	v_mul_i32_i24_e32 v22, v60, v37
	v_mul_i32_i24_e32 v48, v6, v99
	;; [unrolled: 1-line block ×3, first 2 shown]
	v_mad_i32_i24 v1, v3, v44, v1
	v_mul_i32_i24_e32 v72, v7, v92
	v_mul_i32_i24_e32 v86, v57, v104
	;; [unrolled: 1-line block ×4, first 2 shown]
	v_add3_u32 v1, v1, v20, v22
	v_mul_i32_i24_e32 v20, v52, v91
	v_mul_i32_i24_e32 v22, v4, v85
	;; [unrolled: 1-line block ×3, first 2 shown]
	v_mul_lo_u32 v0, v0, v49
	s_delay_alu instid0(VALU_DEP_3) | instskip(SKIP_2) | instid1(VALU_DEP_3)
	v_add3_u32 v1, v1, v20, v22
	v_mul_i32_i24_e32 v20, v121, v109
	v_mul_i32_i24_e32 v22, v120, v112
	v_add3_u32 v1, v1, v36, v46
	v_mul_i32_i24_e32 v36, v119, v110
	v_mul_i32_i24_e32 v46, v118, v111
	s_delay_alu instid0(VALU_DEP_4) | instskip(NEXT) | instid1(VALU_DEP_4)
	v_mad_i32_i24 v22, v115, v80, v22
	v_add3_u32 v1, v1, v47, v48
	v_mul_i32_i24_e32 v47, v117, v108
	s_delay_alu instid0(VALU_DEP_4) | instskip(NEXT) | instid1(VALU_DEP_3)
	v_mad_i32_i24 v46, v116, v17, v46
	v_add3_u32 v1, v1, v50, v72
	s_delay_alu instid0(VALU_DEP_3) | instskip(SKIP_1) | instid1(VALU_DEP_3)
	v_mad_i32_i24 v47, v114, v81, v47
	v_and_b32_e32 v72, 15, v21
	v_add3_u32 v1, v1, v86, v87
	s_delay_alu instid0(VALU_DEP_3) | instskip(NEXT) | instid1(VALU_DEP_2)
	v_add3_u32 v20, v20, v36, v47
	v_add3_u32 v1, v1, v122, v123
	s_delay_alu instid0(VALU_DEP_2) | instskip(NEXT) | instid1(VALU_DEP_2)
	v_add3_u32 v20, v22, v46, v20
	v_mad_co_u64_u32 v[0:1], null, v1, v72, v[0:1]
	v_lshrrev_b32_e32 v1, 16, v2
	s_delay_alu instid0(VALU_DEP_1) | instskip(NEXT) | instid1(VALU_DEP_4)
	v_cvt_f32_f16_e32 v46, v1
	v_cvt_f32_i32_e32 v1, v20
	s_delay_alu instid0(VALU_DEP_4) | instskip(NEXT) | instid1(VALU_DEP_2)
	v_cvt_f32_i32_e32 v0, v0
	v_mul_f32_e32 v1, v46, v1
	s_delay_alu instid0(VALU_DEP_1) | instskip(NEXT) | instid1(VALU_DEP_1)
	v_fma_mix_f32 v0, v2, v0, -v1 op_sel_hi:[1,0,0]
	v_fmac_f32_e32 v124, v18, v0
	s_delay_alu instid0(VALU_DEP_1)
	v_dual_mov_b32 v39, v124 :: v_dual_add_nc_u32 v0, 0x1080, v19
	ds_load_2addr_b32 v[0:1], v0 offset1:1
	s_wait_dscnt 0x0
	v_ashrrev_i32_e32 v20, s18, v0
	v_add_nc_u32_e32 v0, 0x1088, v19
	v_ashrrev_i32_e32 v21, s18, v1
	s_delay_alu instid0(VALU_DEP_3)
	v_and_b32_e32 v255, 3, v20
	ds_load_2addr_b32 v[0:1], v0 offset1:1
	v_and_b32_e32 v244, 3, v21
	v_bfe_u32 v245, v21, 8, 2
	v_bfe_u32 v246, v21, 16, 2
	;; [unrolled: 1-line block ×3, first 2 shown]
	v_mul_i32_i24_e32 v48, v24, v255
	v_mul_i32_i24_e32 v127, v244, v94
	v_bfe_u32 v247, v20, 8, 2
	v_bfe_u32 v47, v20, 16, 2
	v_mul_i32_i24_e32 v21, v248, v90
	s_delay_alu instid0(VALU_DEP_4) | instskip(SKIP_4) | instid1(VALU_DEP_3)
	v_mad_i32_i24 v127, v245, v26, v127
	s_wait_dscnt 0x0
	v_ashrrev_i32_e32 v22, s18, v0
	v_add_nc_u32_e32 v0, 0x1090, v19
	v_ashrrev_i32_e32 v36, s18, v1
	v_and_b32_e32 v249, 3, v22
	ds_load_2addr_b32 v[0:1], v0 offset1:1
	v_bfe_u32 v250, v22, 8, 2
	v_bfe_u32 v251, v22, 16, 2
	v_bfe_u32 v252, v22, 24, 2
	v_and_b32_e32 v253, 3, v36
	v_bfe_u32 v254, v36, 8, 2
	v_mul_i32_i24_e32 v130, v250, v97
	v_mul_i32_i24_e32 v131, v251, v101
	;; [unrolled: 1-line block ×5, first 2 shown]
	v_bfe_u32 v50, v36, 16, 2
	v_bfe_u32 v36, v36, 24, 2
	s_delay_alu instid0(VALU_DEP_2) | instskip(NEXT) | instid1(VALU_DEP_2)
	v_mul_i32_i24_e32 v134, v50, v107
	v_mul_i32_i24_e32 v135, v36, v89
	s_wait_dscnt 0x0
	v_ashrrev_i32_e32 v86, s18, v0
	v_add_nc_u32_e32 v0, 0x1098, v19
	v_ashrrev_i32_e32 v87, s18, v1
	s_delay_alu instid0(VALU_DEP_3)
	v_and_b32_e32 v235, 3, v86
	ds_load_2addr_b32 v[0:1], v0 offset1:1
	v_bfe_u32 v227, v86, 8, 2
	v_bfe_u32 v238, v86, 16, 2
	;; [unrolled: 1-line block ×3, first 2 shown]
	v_and_b32_e32 v226, 3, v87
	v_bfe_u32 v228, v87, 8, 2
	v_bfe_u32 v229, v87, 16, 2
	;; [unrolled: 1-line block ×3, first 2 shown]
	v_mul_i32_i24_e32 v86, v240, v37
	s_delay_alu instid0(VALU_DEP_2)
	v_mul_i32_i24_e32 v87, v230, v82
	s_wait_dscnt 0x0
	v_ashrrev_i32_e32 v123, s18, v1
	v_add3_u32 v1, s20, v129, v126
	v_ashrrev_i32_e32 v122, s18, v0
	v_add3_u32 v0, s19, v128, v125
	ds_load_b32 v200, v1
	ds_load_u16 v0, v0
	v_mul_i32_i24_e32 v128, v246, v95
	v_mul_i32_i24_e32 v129, v249, v102
	;; [unrolled: 1-line block ×4, first 2 shown]
	v_and_b32_e32 v231, 3, v122
	v_add3_u32 v21, v127, v128, v21
	v_bfe_u32 v232, v122, 8, 2
	v_bfe_u32 v233, v122, 16, 2
	;; [unrolled: 1-line block ×3, first 2 shown]
	v_and_b32_e32 v236, 3, v123
	v_add3_u32 v21, v21, v129, v48
	v_bfe_u32 v237, v123, 8, 2
	v_mul_i32_i24_e32 v127, v233, v100
	v_mul_i32_i24_e32 v122, v234, v92
	;; [unrolled: 1-line block ×3, first 2 shown]
	v_add3_u32 v21, v21, v125, v126
	v_mul_i32_i24_e32 v125, v231, v98
	v_mul_i32_i24_e32 v126, v232, v99
	;; [unrolled: 1-line block ×3, first 2 shown]
	s_wait_dscnt 0x0
	v_bfe_u32 v1, v0, 4, 4
	v_lshrrev_b16 v124, 8, v0
	v_and_b32_e32 v48, 15, v0
	v_bfe_u32 v239, v123, 16, 2
	v_bfe_u32 v241, v123, 24, 2
	v_mul_lo_u32 v1, 0x1010101, v1
	s_delay_alu instid0(VALU_DEP_2) | instskip(NEXT) | instid1(VALU_DEP_2)
	v_mul_i32_i24_e32 v123, v241, v93
	v_bfe_i32 v201, v1, 0, 8
	v_bfe_i32 v202, v1, 8, 8
	;; [unrolled: 1-line block ×3, first 2 shown]
	v_lshrrev_b32_e32 v204, 24, v1
	v_bfe_u32 v1, v20, 24, 2
	s_delay_alu instid0(VALU_DEP_1) | instskip(NEXT) | instid1(VALU_DEP_1)
	v_mul_i32_i24_e32 v20, v23, v1
	v_add3_u32 v20, v21, v20, v130
	v_mul_i32_i24_e32 v130, v239, v106
	s_delay_alu instid0(VALU_DEP_2) | instskip(SKIP_1) | instid1(VALU_DEP_2)
	v_add3_u32 v20, v20, v131, v22
	v_mul_i32_i24_e32 v22, v238, v79
	v_add3_u32 v20, v20, v132, v133
	s_delay_alu instid0(VALU_DEP_1) | instskip(NEXT) | instid1(VALU_DEP_1)
	v_add3_u32 v20, v20, v134, v135
	v_mul_lo_u32 v0, v20, v48
	v_and_b32_e32 v20, 0xffff, v124
	v_mul_i32_i24_e32 v124, v229, v84
	s_delay_alu instid0(VALU_DEP_2) | instskip(SKIP_1) | instid1(VALU_DEP_2)
	v_lshrrev_b32_e32 v21, 4, v20
	v_and_b32_e32 v242, 15, v20
	v_mul_lo_u32 v21, 0x1010101, v21
	s_delay_alu instid0(VALU_DEP_1) | instskip(SKIP_4) | instid1(VALU_DEP_1)
	v_bfe_i32 v222, v21, 0, 8
	v_bfe_i32 v223, v21, 8, 8
	;; [unrolled: 1-line block ×3, first 2 shown]
	v_lshrrev_b32_e32 v225, 24, v21
	v_mul_i32_i24_e32 v21, v235, v83
	v_mad_i32_i24 v21, v227, v44, v21
	s_delay_alu instid0(VALU_DEP_1) | instskip(SKIP_2) | instid1(VALU_DEP_1)
	v_add3_u32 v21, v21, v22, v86
	v_mul_i32_i24_e32 v22, v226, v91
	v_mul_i32_i24_e32 v86, v228, v85
	v_add3_u32 v21, v21, v22, v86
	v_mul_i32_i24_e32 v22, v117, v225
	v_mul_i32_i24_e32 v86, v118, v224
	s_delay_alu instid0(VALU_DEP_3) | instskip(SKIP_2) | instid1(VALU_DEP_3)
	v_add3_u32 v21, v21, v124, v87
	v_mul_i32_i24_e32 v124, v116, v203
	v_mul_i32_i24_e32 v87, v120, v222
	v_add3_u32 v21, v21, v125, v126
	v_mul_i32_i24_e32 v125, v115, v201
	s_delay_alu instid0(VALU_DEP_2) | instskip(NEXT) | instid1(VALU_DEP_2)
	v_add3_u32 v21, v21, v127, v122
	v_mad_i32_i24 v125, v121, v202, v125
	v_mul_i32_i24_e32 v122, v119, v223
	s_delay_alu instid0(VALU_DEP_3) | instskip(NEXT) | instid1(VALU_DEP_1)
	v_add3_u32 v21, v21, v128, v129
	v_add3_u32 v21, v21, v130, v123
	v_mul_i32_i24_e32 v123, v114, v204
	s_delay_alu instid0(VALU_DEP_1) | instskip(NEXT) | instid1(VALU_DEP_1)
	v_add3_u32 v123, v125, v124, v123
	v_add3_u32 v87, v123, v87, v122
	s_delay_alu instid0(VALU_DEP_1) | instskip(SKIP_2) | instid1(VALU_DEP_3)
	v_add3_u32 v22, v87, v86, v22
	v_mad_co_u64_u32 v[86:87], null, v21, v242, v[0:1]
	v_lshrrev_b32_e32 v0, 16, v200
	v_cvt_f32_i32_e32 v20, v22
	s_delay_alu instid0(VALU_DEP_2) | instskip(NEXT) | instid1(VALU_DEP_4)
	v_cvt_f32_f16_e64 v243, v0
	v_cvt_f32_i32_e32 v0, v86
	s_delay_alu instid0(VALU_DEP_2) | instskip(NEXT) | instid1(VALU_DEP_1)
	v_mul_f32_e32 v20, v243, v20
	v_fma_mix_f32 v0, v200, v0, -v20 op_sel_hi:[1,0,0]
	s_delay_alu instid0(VALU_DEP_1)
	v_dual_fmac_f32 v147, v18, v0 :: v_dual_add_nc_u32 v0, 0x2100, v19
	scratch_store_b32 off, v147, off offset:24 ; 4-byte Folded Spill
	ds_load_2addr_b32 v[86:87], v0 offset1:1
	v_add_nc_u32_e32 v0, 0x2108, v19
	s_wait_dscnt 0x0
	v_ashrrev_i32_e32 v20, s18, v86
	v_ashrrev_i32_e32 v21, s18, v87
	ds_load_2addr_b32 v[86:87], v0 offset1:1
	v_add_nc_u32_e32 v0, 0x2110, v19
	v_and_b32_e32 v216, 3, v20
	v_and_b32_e32 v205, 3, v21
	v_bfe_u32 v206, v21, 8, 2
	v_bfe_u32 v207, v21, 16, 2
	;; [unrolled: 1-line block ×4, first 2 shown]
	v_mul_i32_i24_e32 v130, v205, v94
	v_bfe_u32 v219, v20, 16, 2
	v_mul_i32_i24_e32 v131, v207, v95
	v_mul_i32_i24_e32 v21, v209, v90
	;; [unrolled: 1-line block ×3, first 2 shown]
	v_mad_i32_i24 v130, v206, v26, v130
	v_mul_i32_i24_e32 v129, v25, v219
	v_bfe_u32 v220, v20, 24, 2
	s_delay_alu instid0(VALU_DEP_3)
	v_add3_u32 v21, v130, v131, v21
	s_wait_dscnt 0x0
	v_ashrrev_i32_e32 v22, s18, v86
	v_ashrrev_i32_e32 v122, s18, v87
	ds_load_2addr_b32 v[86:87], v0 offset1:1
	v_add_nc_u32_e32 v0, 0x2118, v19
	v_mul_i32_i24_e32 v20, v23, v220
	v_and_b32_e32 v210, 3, v22
	v_bfe_u32 v211, v22, 8, 2
	v_bfe_u32 v212, v22, 16, 2
	;; [unrolled: 1-line block ×3, first 2 shown]
	v_and_b32_e32 v214, 3, v122
	v_mul_i32_i24_e32 v132, v210, v102
	v_mul_i32_i24_e32 v133, v211, v97
	;; [unrolled: 1-line block ×4, first 2 shown]
	v_bfe_u32 v215, v122, 8, 2
	v_mul_i32_i24_e32 v135, v214, v113
	v_bfe_u32 v217, v122, 16, 2
	v_bfe_u32 v218, v122, 24, 2
	s_delay_alu instid0(VALU_DEP_4) | instskip(NEXT) | instid1(VALU_DEP_3)
	v_mul_i32_i24_e32 v136, v215, v103
	v_mul_i32_i24_e32 v137, v217, v107
	s_wait_dscnt 0x0
	v_ashrrev_i32_e32 v123, s18, v86
	v_ashrrev_i32_e32 v124, s18, v87
	ds_load_2addr_b32 v[86:87], v0 offset1:1
	v_add3_u32 v0, s20, v153, v149
	v_mul_i32_i24_e32 v122, v218, v89
	v_and_b32_e32 v191, 3, v123
	v_bfe_u32 v183, v123, 8, 2
	v_bfe_u32 v194, v123, 16, 2
	;; [unrolled: 1-line block ×6, first 2 shown]
	s_delay_alu instid0(VALU_DEP_2)
	v_mul_i32_i24_e32 v123, v185, v84
	s_wait_dscnt 0x0
	v_ashrrev_i32_e32 v125, s18, v86
	v_add3_u32 v86, s19, v150, v148
	ds_load_b32 v0, v0
	ds_load_u16 v86, v86
	v_and_b32_e32 v187, 3, v125
	v_bfe_u32 v188, v125, 8, 2
	v_ashrrev_i32_e32 v87, s18, v87
	v_bfe_u32 v189, v125, 16, 2
	v_bfe_u32 v190, v125, 24, 2
	s_delay_alu instid0(VALU_DEP_3) | instskip(SKIP_1) | instid1(VALU_DEP_3)
	v_and_b32_e32 v192, 3, v87
	v_bfe_u32 v193, v87, 8, 2
	v_mul_i32_i24_e32 v125, v190, v92
	v_bfe_u32 v195, v87, 16, 2
	v_bfe_u32 v197, v87, 24, 2
	s_delay_alu instid0(VALU_DEP_4) | instskip(NEXT) | instid1(VALU_DEP_3)
	v_mul_i32_i24_e32 v130, v193, v105
	v_mul_i32_i24_e32 v131, v195, v106
	s_delay_alu instid0(VALU_DEP_3) | instskip(SKIP_4) | instid1(VALU_DEP_3)
	v_mul_i32_i24_e32 v87, v197, v93
	s_wait_dscnt 0x0
	v_bfe_u32 v127, v86, 4, 4
	v_lshrrev_b16 v126, 8, v86
	v_and_b32_e32 v221, 15, v86
	v_mul_lo_u32 v127, 0x1010101, v127
	s_delay_alu instid0(VALU_DEP_1) | instskip(SKIP_4) | instid1(VALU_DEP_1)
	v_bfe_i32 v154, v127, 0, 8
	v_bfe_i32 v155, v127, 8, 8
	;; [unrolled: 1-line block ×3, first 2 shown]
	v_lshrrev_b32_e32 v157, 24, v127
	v_mul_i32_i24_e32 v127, v24, v216
	v_add3_u32 v21, v21, v132, v127
	v_mul_i32_i24_e32 v127, v188, v99
	s_delay_alu instid0(VALU_DEP_2) | instskip(SKIP_2) | instid1(VALU_DEP_3)
	v_add3_u32 v21, v21, v128, v129
	v_mul_i32_i24_e32 v128, v189, v100
	v_mul_i32_i24_e32 v129, v192, v104
	v_add3_u32 v20, v21, v20, v133
	s_delay_alu instid0(VALU_DEP_1) | instskip(SKIP_1) | instid1(VALU_DEP_2)
	v_add3_u32 v20, v20, v134, v22
	v_mul_i32_i24_e32 v22, v194, v79
	v_add3_u32 v20, v20, v135, v136
	s_delay_alu instid0(VALU_DEP_1) | instskip(SKIP_1) | instid1(VALU_DEP_2)
	v_add3_u32 v20, v20, v137, v122
	v_mul_i32_i24_e32 v122, v196, v37
	v_mul_lo_u32 v86, v20, v221
	v_and_b32_e32 v20, 0xffff, v126
	v_mul_i32_i24_e32 v126, v187, v98
	s_delay_alu instid0(VALU_DEP_2) | instskip(SKIP_2) | instid1(VALU_DEP_3)
	v_lshrrev_b32_e32 v21, 4, v20
	v_and_b32_e32 v198, 15, v20
	v_lshrrev_b32_e32 v20, 16, v0
	v_mul_lo_u32 v21, 0x1010101, v21
	s_delay_alu instid0(VALU_DEP_2) | instskip(SKIP_2) | instid1(VALU_DEP_4)
	v_cvt_f32_f16_e64 v199, v20
	v_and_b32_e32 v182, 3, v124
	v_mul_i32_i24_e32 v124, v186, v82
	v_bfe_i32 v178, v21, 0, 8
	v_bfe_i32 v179, v21, 8, 8
	;; [unrolled: 1-line block ×3, first 2 shown]
	v_lshrrev_b32_e32 v181, 24, v21
	v_mul_i32_i24_e32 v21, v191, v83
	s_delay_alu instid0(VALU_DEP_1) | instskip(NEXT) | instid1(VALU_DEP_1)
	v_mad_i32_i24 v21, v183, v44, v21
	v_add3_u32 v21, v21, v22, v122
	v_mul_i32_i24_e32 v22, v182, v91
	v_mul_i32_i24_e32 v122, v184, v85
	s_delay_alu instid0(VALU_DEP_1) | instskip(SKIP_2) | instid1(VALU_DEP_3)
	v_add3_u32 v21, v21, v22, v122
	v_mul_i32_i24_e32 v122, v120, v178
	v_mul_i32_i24_e32 v22, v117, v181
	v_add3_u32 v21, v21, v123, v124
	v_mul_i32_i24_e32 v124, v114, v157
	v_mul_i32_i24_e32 v123, v119, v179
	s_delay_alu instid0(VALU_DEP_3) | instskip(SKIP_1) | instid1(VALU_DEP_2)
	v_add3_u32 v21, v21, v126, v127
	v_mul_i32_i24_e32 v126, v115, v154
	v_add3_u32 v21, v21, v128, v125
	v_mul_i32_i24_e32 v125, v116, v156
	s_delay_alu instid0(VALU_DEP_3) | instskip(NEXT) | instid1(VALU_DEP_3)
	v_mad_i32_i24 v126, v121, v155, v126
	v_add3_u32 v21, v21, v129, v130
	s_delay_alu instid0(VALU_DEP_2) | instskip(SKIP_1) | instid1(VALU_DEP_3)
	v_add3_u32 v124, v126, v125, v124
	v_add3_u32 v125, s20, v159, v152
	;; [unrolled: 1-line block ×3, first 2 shown]
	v_mul_i32_i24_e32 v87, v118, v180
	s_delay_alu instid0(VALU_DEP_4) | instskip(NEXT) | instid1(VALU_DEP_1)
	v_add3_u32 v122, v124, v122, v123
	v_add3_u32 v22, v122, v87, v22
	s_delay_alu instid0(VALU_DEP_4) | instskip(NEXT) | instid1(VALU_DEP_2)
	v_mad_co_u64_u32 v[86:87], null, v21, v198, v[86:87]
	v_cvt_f32_i32_e32 v21, v22
	v_add_nc_u32_e32 v22, 0x3188, v19
	s_delay_alu instid0(VALU_DEP_3) | instskip(NEXT) | instid1(VALU_DEP_3)
	v_cvt_f32_i32_e32 v20, v86
	v_mul_f32_e32 v21, v199, v21
	s_delay_alu instid0(VALU_DEP_1) | instskip(NEXT) | instid1(VALU_DEP_1)
	v_fma_mix_f32 v20, v0, v20, -v21 op_sel_hi:[1,0,0]
	v_dual_fmac_f32 v51, v18, v20 :: v_dual_add_nc_u32 v20, 0x3180, v19
	ds_load_2addr_b32 v[86:87], v20 offset1:1
	s_wait_dscnt 0x0
	v_ashrrev_i32_e32 v20, s18, v86
	v_ashrrev_i32_e32 v21, s18, v87
	ds_load_2addr_b32 v[86:87], v22 offset1:1
	v_bfe_u32 v176, v20, 24, 2
	v_and_b32_e32 v172, 3, v20
	v_bfe_u32 v161, v20, 8, 2
	v_bfe_u32 v175, v20, 16, 2
	;; [unrolled: 1-line block ×3, first 2 shown]
	v_mul_i32_i24_e32 v20, v23, v176
	v_bfe_u32 v160, v21, 16, 2
	v_bfe_u32 v162, v21, 24, 2
	v_mul_i32_i24_e32 v24, v24, v172
	v_mul_i32_i24_e32 v96, v96, v161
	;; [unrolled: 1-line block ×3, first 2 shown]
	s_wait_dscnt 0x0
	v_ashrrev_i32_e32 v22, s18, v86
	v_add_nc_u32_e32 v86, 0x3190, v19
	v_ashrrev_i32_e32 v122, s18, v87
	v_add_nc_u32_e32 v19, 0x3198, v19
	s_delay_alu instid0(VALU_DEP_4)
	v_and_b32_e32 v164, 3, v22
	ds_load_2addr_b32 v[86:87], v86 offset1:1
	v_bfe_u32 v165, v22, 8, 2
	v_bfe_u32 v167, v22, 16, 2
	;; [unrolled: 1-line block ×3, first 2 shown]
	v_and_b32_e32 v170, 3, v122
	v_bfe_u32 v171, v122, 8, 2
	v_bfe_u32 v173, v122, 16, 2
	;; [unrolled: 1-line block ×3, first 2 shown]
	v_mul_i32_i24_e32 v22, v169, v88
	v_mul_i32_i24_e32 v88, v170, v113
	s_delay_alu instid0(VALU_DEP_3)
	v_mul_i32_i24_e32 v89, v174, v89
	s_wait_dscnt 0x0
	v_ashrrev_i32_e32 v123, s18, v86
	v_ashrrev_i32_e32 v124, s18, v87
	ds_load_2addr_b32 v[86:87], v19 offset1:1
	v_add3_u32 v19, s19, v158, v151
	v_and_b32_e32 v158, 3, v21
	v_mul_i32_i24_e32 v21, v162, v90
	v_mul_i32_i24_e32 v90, v164, v102
	ds_load_b32 v130, v125
	ds_load_u16 v19, v19
	v_mul_i32_i24_e32 v102, v173, v107
	v_mul_i32_i24_e32 v23, v158, v94
	;; [unrolled: 1-line block ×6, first 2 shown]
	v_mad_i32_i24 v23, v159, v26, v23
	v_and_b32_e32 v163, 3, v123
	v_bfe_u32 v153, v123, 8, 2
	v_bfe_u32 v166, v123, 16, 2
	;; [unrolled: 1-line block ×3, first 2 shown]
	v_add3_u32 v21, v23, v94, v21
	v_and_b32_e32 v141, 3, v124
	v_bfe_u32 v142, v124, 8, 2
	s_wait_dscnt 0x2
	v_ashrrev_i32_e32 v86, s18, v86
	v_mul_i32_i24_e32 v23, v168, v37
	v_add3_u32 v21, v21, v90, v24
	v_bfe_u32 v143, v124, 16, 2
	v_bfe_u32 v144, v124, 24, 2
	s_wait_dscnt 0x0
	v_lshrrev_b16 v125, 8, v19
	v_and_b32_e32 v177, 15, v19
	v_add3_u32 v21, v21, v96, v25
	v_bfe_u32 v126, v19, 4, 4
	v_mul_i32_i24_e32 v24, v143, v84
	v_mul_i32_i24_e32 v25, v144, v82
	v_and_b32_e32 v145, 3, v86
	v_add3_u32 v20, v21, v20, v95
	v_bfe_u32 v146, v86, 8, 2
	v_mul_lo_u32 v126, 0x1010101, v126
	v_bfe_u32 v147, v86, 16, 2
	v_mul_i32_i24_e32 v26, v145, v98
	v_add3_u32 v20, v20, v97, v22
	v_mul_i32_i24_e32 v22, v166, v79
	v_mul_i32_i24_e32 v37, v146, v99
	v_bfe_u32 v148, v86, 24, 2
	v_ashrrev_i32_e32 v87, s18, v87
	v_add3_u32 v20, v20, v88, v101
	v_bfe_i32 v133, v126, 0, 8
	v_bfe_i32 v134, v126, 8, 8
	v_mul_i32_i24_e32 v79, v148, v92
	v_bfe_i32 v135, v126, 16, 8
	v_add3_u32 v20, v20, v102, v89
	v_lshrrev_b32_e32 v136, 24, v126
	v_and_b32_e32 v149, 3, v87
	v_bfe_u32 v150, v87, 8, 2
	v_bfe_u32 v151, v87, 16, 2
	v_mul_lo_u32 v19, v20, v177
	v_and_b32_e32 v20, 0xffff, v125
	v_mul_i32_i24_e32 v82, v149, v104
	v_bfe_u32 v152, v87, 24, 2
	v_mul_i32_i24_e32 v84, v151, v106
	s_delay_alu instid0(VALU_DEP_4) | instskip(SKIP_1) | instid1(VALU_DEP_2)
	v_lshrrev_b32_e32 v21, 4, v20
	v_and_b32_e32 v132, 15, v20
                                        ; kill: def $vgpr20 killed $sgpr0 killed $exec
	v_mul_lo_u32 v21, 0x1010101, v21
	s_delay_alu instid0(VALU_DEP_1)
	v_bfe_i32 v137, v21, 0, 8
	v_bfe_i32 v138, v21, 8, 8
	;; [unrolled: 1-line block ×3, first 2 shown]
	v_lshrrev_b32_e32 v140, 24, v21
	v_mul_i32_i24_e32 v21, v163, v83
	v_mul_i32_i24_e32 v83, v150, v105
	s_delay_alu instid0(VALU_DEP_2) | instskip(SKIP_1) | instid1(VALU_DEP_2)
	v_mad_i32_i24 v21, v153, v44, v21
	v_mul_i32_i24_e32 v44, v147, v100
	v_add3_u32 v21, v21, v22, v23
	v_mul_i32_i24_e32 v22, v141, v91
	v_mul_i32_i24_e32 v23, v142, v85
	;; [unrolled: 1-line block ×3, first 2 shown]
	s_delay_alu instid0(VALU_DEP_2) | instskip(SKIP_2) | instid1(VALU_DEP_3)
	v_add3_u32 v21, v21, v22, v23
	v_mul_i32_i24_e32 v22, v117, v140
	v_mul_i32_i24_e32 v23, v118, v139
	v_add3_u32 v21, v21, v24, v25
	v_mul_i32_i24_e32 v24, v120, v137
	v_mul_i32_i24_e32 v25, v119, v138
	s_delay_alu instid0(VALU_DEP_3) | instskip(SKIP_2) | instid1(VALU_DEP_3)
	v_add3_u32 v21, v21, v26, v37
	v_mul_i32_i24_e32 v26, v114, v136
	v_mul_i32_i24_e32 v37, v116, v135
	v_add3_u32 v21, v21, v44, v79
	v_mul_i32_i24_e32 v44, v115, v133
	s_delay_alu instid0(VALU_DEP_2) | instskip(NEXT) | instid1(VALU_DEP_2)
	v_add3_u32 v21, v21, v82, v83
	v_mad_i32_i24 v44, v121, v134, v44
	s_delay_alu instid0(VALU_DEP_2) | instskip(NEXT) | instid1(VALU_DEP_2)
	v_add3_u32 v21, v21, v84, v85
	v_add3_u32 v26, v44, v37, v26
	s_delay_alu instid0(VALU_DEP_2) | instskip(NEXT) | instid1(VALU_DEP_2)
	v_mad_co_u64_u32 v[82:83], null, v21, v132, v[19:20]
	v_add3_u32 v24, v26, v24, v25
	v_lshrrev_b32_e32 v19, 16, v130
	s_delay_alu instid0(VALU_DEP_2) | instskip(NEXT) | instid1(VALU_DEP_2)
	v_add3_u32 v22, v24, v23, v22
	v_cvt_f32_f16_e64 v131, v19
	v_cvt_f32_i32_e32 v19, v82
	s_delay_alu instid0(VALU_DEP_3) | instskip(NEXT) | instid1(VALU_DEP_1)
	v_cvt_f32_i32_e32 v20, v22
	v_mul_f32_e32 v20, v131, v20
	s_delay_alu instid0(VALU_DEP_1) | instskip(NEXT) | instid1(VALU_DEP_1)
	v_fma_mix_f32 v19, v130, v19, -v20 op_sel_hi:[1,0,0]
	v_fmac_f32_e32 v74, v18, v19
	scratch_load_b32 v18, off, off offset:48 ; 4-byte Folded Reload
	s_wait_loadcnt 0x0
	v_or_b32_e32 v18, s17, v18
	s_delay_alu instid0(VALU_DEP_1)
	v_lshlrev_b32_e32 v19, 2, v18
	v_lshrrev_b32_e32 v18, 1, v18
	ds_load_b32 v20, v18 offset:30368
	ds_load_b128 v[82:85], v19 offset:16896
	ds_load_b128 v[86:89], v19 offset:16912
	s_wait_dscnt 0x1
	v_ashrrev_i32_e32 v21, 24, v82
	s_wait_dscnt 0x0
	v_lshrrev_b16 v18, 8, v86
	v_bfe_i32 v22, v82, 0, 8
	v_bfe_i32 v23, v82, 16, 8
	;; [unrolled: 1-line block ×5, first 2 shown]
	v_lshrrev_b16 v18, 8, v87
	v_bfe_i32 v37, v86, 0, 8
	v_ashrrev_i32_e32 v90, 24, v87
	v_bfe_i32 v91, v87, 16, 8
	v_bfe_i32 v87, v87, 0, 8
	;; [unrolled: 1-line block ×3, first 2 shown]
	v_lshrrev_b16 v18, 8, v84
	v_bfe_i32 v94, v88, 0, 8
	v_bfe_i32 v100, v89, 0, 8
	v_add_nc_u32_e32 v19, v87, v37
	v_ashrrev_i32_e32 v24, 24, v86
	v_bfe_i32 v93, v18, 0, 8
	v_lshrrev_b16 v18, 8, v85
	v_bfe_i32 v25, v86, 16, 8
	v_bfe_i32 v86, v83, 0, 8
	v_add3_u32 v116, v19, v94, v100
	v_mul_i32_i24_e32 v19, v23, v77
	v_bfe_i32 v99, v18, 0, 8
	v_add_nc_u32_e32 v18, v82, v44
	v_mul_i32_i24_e32 v118, v21, v78
	v_ashrrev_i32_e32 v79, 24, v83
	v_bfe_i32 v83, v83, 16, 8
	v_bfe_i32 v98, v84, 0, 8
	v_add3_u32 v117, v18, v93, v99
	v_mul_i32_i24_e32 v18, v22, v76
	v_mul_i32_i24_e32 v120, v13, v79
	;; [unrolled: 1-line block ×3, first 2 shown]
	v_bfe_i32 v97, v84, 16, 8
	v_ashrrev_i32_e32 v84, 24, v84
	v_mad_i32_i24 v18, v82, v11, v18
	v_mul_i32_i24_e32 v121, v69, v98
	v_mul_i32_i24_e32 v122, v14, v93
	v_bfe_i32 v95, v88, 8, 8
	v_bfe_i32 v104, v85, 0, 8
	v_add3_u32 v18, v18, v19, v118
	v_mul_i32_i24_e32 v19, v61, v86
	v_mul_i32_i24_e32 v118, v12, v44
	;; [unrolled: 1-line block ×4, first 2 shown]
	v_bfe_i32 v96, v88, 16, 8
	v_ashrrev_i32_e32 v88, 24, v88
	v_add3_u32 v18, v18, v19, v118
	v_mul_i32_i24_e32 v19, v59, v37
	v_mul_i32_i24_e32 v118, v10, v25
	v_bfe_i32 v101, v89, 8, 8
	v_bfe_i32 v102, v89, 16, 8
	v_add3_u32 v18, v18, v119, v120
	v_mul_i32_i24_e32 v119, v60, v24
	v_mad_i32_i24 v19, v3, v26, v19
	v_mul_i32_i24_e32 v120, v53, v91
	v_ashrrev_i32_e32 v89, 24, v89
	v_add3_u32 v18, v18, v121, v122
	v_mul_i32_i24_e32 v121, v5, v90
	v_add3_u32 v19, v19, v118, v119
	v_mul_i32_i24_e32 v118, v52, v87
	v_mul_i32_i24_e32 v119, v4, v92
	v_add_nc_u32_e32 v107, v90, v24
	v_bfe_i32 v103, v85, 16, 8
	v_ashrrev_i32_e32 v85, 24, v85
	v_mul_i32_i24_e32 v125, v71, v104
	v_add3_u32 v19, v19, v118, v119
	v_mul_i32_i24_e32 v126, v16, v99
	v_add3_u32 v18, v18, v123, v124
	v_mul_i32_i24_e32 v122, v54, v94
	v_mul_i32_i24_e32 v123, v6, v95
	v_add3_u32 v19, v19, v120, v121
	v_add_nc_u32_e32 v105, v92, v26
	v_add_nc_u32_e32 v106, v91, v25
	;; [unrolled: 1-line block ×3, first 2 shown]
	v_add3_u32 v107, v107, v88, v89
	v_mul_i32_i24_e32 v127, v73, v103
	v_mul_i32_i24_e32 v128, v75, v85
	v_add3_u32 v18, v18, v125, v126
	v_mul_i32_i24_e32 v124, v55, v96
	v_mul_i32_i24_e32 v125, v7, v88
	v_add3_u32 v19, v19, v122, v123
	v_add_nc_u32_e32 v113, v83, v23
	v_add_nc_u32_e32 v114, v86, v22
	v_add3_u32 v115, v115, v84, v85
	v_add3_u32 v106, v106, v96, v102
	;; [unrolled: 1-line block ×3, first 2 shown]
	v_mul_i32_i24_e32 v122, v107, v108
	v_add3_u32 v18, v18, v127, v128
	v_mul_i32_i24_e32 v126, v57, v100
	v_mul_i32_i24_e32 v127, v8, v101
	v_add3_u32 v19, v19, v124, v125
	v_add3_u32 v114, v114, v98, v104
	;; [unrolled: 1-line block ×3, first 2 shown]
	v_mul_i32_i24_e32 v118, v117, v109
	v_mul_i32_i24_e32 v119, v116, v112
	;; [unrolled: 1-line block ×4, first 2 shown]
	v_mad_i32_i24 v122, v115, v81, v122
	v_mul_i32_i24_e32 v128, v58, v102
	v_mul_i32_i24_e32 v129, v9, v89
	v_add3_u32 v19, v19, v126, v127
	v_mul_lo_u32 v18, v18, v49
	v_mad_i32_i24 v121, v113, v17, v121
	v_mad_i32_i24 v119, v114, v80, v119
	v_add3_u32 v118, v118, v120, v122
	v_add3_u32 v19, v19, v128, v129
	v_mul_i32_i24_e32 v120, v248, v79
	v_mul_i32_i24_e32 v122, v250, v93
	;; [unrolled: 1-line block ×3, first 2 shown]
	v_add3_u32 v118, v119, v121, v118
	v_mad_co_u64_u32 v[18:19], null, v19, v72, v[18:19]
	v_mul_i32_i24_e32 v119, v246, v83
	v_mul_i32_i24_e32 v121, v249, v98
	s_delay_alu instid0(VALU_DEP_4)
	v_cvt_f32_i32_e32 v19, v118
	v_mul_i32_i24_e32 v118, v21, v1
	v_mul_i32_i24_e32 v124, v252, v84
	v_mul_i32_i24_e32 v125, v253, v104
	v_cvt_f32_i32_e32 v18, v18
	v_mul_f32_e32 v19, v46, v19
	v_mul_i32_i24_e32 v126, v254, v99
	v_mul_i32_i24_e32 v127, v50, v103
	;; [unrolled: 1-line block ×4, first 2 shown]
	v_fma_mix_f32 v18, v2, v18, -v19 op_sel_hi:[1,0,0]
	v_mul_i32_i24_e32 v19, v23, v47
	s_delay_alu instid0(VALU_DEP_2) | instskip(SKIP_1) | instid1(VALU_DEP_1)
	v_fmac_f32_e32 v68, v20, v18
	v_mul_i32_i24_e32 v18, v22, v255
	v_mad_i32_i24 v18, v82, v247, v18
	s_delay_alu instid0(VALU_DEP_1) | instskip(SKIP_2) | instid1(VALU_DEP_1)
	v_add3_u32 v18, v18, v19, v118
	v_mul_i32_i24_e32 v19, v244, v86
	v_mul_i32_i24_e32 v118, v245, v44
	v_add3_u32 v18, v18, v19, v118
	v_mul_i32_i24_e32 v19, v235, v37
	v_mul_i32_i24_e32 v118, v238, v25
	s_delay_alu instid0(VALU_DEP_3) | instskip(SKIP_1) | instid1(VALU_DEP_4)
	v_add3_u32 v18, v18, v119, v120
	v_mul_i32_i24_e32 v119, v240, v24
	v_mad_i32_i24 v19, v227, v26, v19
	v_mul_i32_i24_e32 v120, v229, v91
	s_delay_alu instid0(VALU_DEP_4) | instskip(SKIP_1) | instid1(VALU_DEP_4)
	v_add3_u32 v18, v18, v121, v122
	v_mul_i32_i24_e32 v121, v230, v90
	v_add3_u32 v19, v19, v118, v119
	v_mul_i32_i24_e32 v118, v226, v87
	v_mul_i32_i24_e32 v119, v228, v92
	v_add3_u32 v18, v18, v123, v124
	v_mul_i32_i24_e32 v122, v231, v94
	v_mul_i32_i24_e32 v123, v232, v95
	v_mul_i32_i24_e32 v124, v233, v96
	v_add3_u32 v19, v19, v118, v119
	v_add3_u32 v18, v18, v125, v126
	v_mul_i32_i24_e32 v125, v234, v88
	v_mul_i32_i24_e32 v126, v236, v100
	v_mul_i32_i24_e32 v118, v107, v225
	v_add3_u32 v19, v19, v120, v121
	;; [unrolled: 5-line block ×3, first 2 shown]
	v_mul_i32_i24_e32 v122, v115, v204
	v_mul_i32_i24_e32 v123, v113, v203
	v_mul_i32_i24_e32 v128, v239, v102
	v_mul_lo_u32 v18, v18, v48
	v_add3_u32 v19, v19, v124, v125
	v_mul_i32_i24_e32 v124, v114, v201
	v_mul_i32_i24_e32 v119, v106, v224
	;; [unrolled: 1-line block ×3, first 2 shown]
	s_delay_alu instid0(VALU_DEP_4) | instskip(NEXT) | instid1(VALU_DEP_4)
	v_add3_u32 v19, v19, v126, v127
	v_mad_i32_i24 v124, v117, v202, v124
	v_mul_i32_i24_e32 v126, v215, v99
	v_mul_i32_i24_e32 v127, v217, v103
	s_delay_alu instid0(VALU_DEP_4) | instskip(NEXT) | instid1(VALU_DEP_4)
	v_add3_u32 v19, v19, v128, v129
	v_add3_u32 v122, v124, v123, v122
	v_mul_i32_i24_e32 v123, v212, v97
	v_mul_i32_i24_e32 v124, v213, v84
	;; [unrolled: 1-line block ×3, first 2 shown]
	v_mad_co_u64_u32 v[18:19], null, v19, v242, v[18:19]
	v_add3_u32 v120, v122, v120, v121
	v_mul_i32_i24_e32 v121, v210, v98
	v_mul_i32_i24_e32 v122, v211, v93
	;; [unrolled: 1-line block ×4, first 2 shown]
	v_add3_u32 v118, v120, v119, v118
	v_cvt_f32_i32_e32 v18, v18
	v_mul_i32_i24_e32 v119, v207, v83
	v_mul_i32_i24_e32 v120, v209, v79
	s_delay_alu instid0(VALU_DEP_4) | instskip(SKIP_2) | instid1(VALU_DEP_3)
	v_cvt_f32_i32_e32 v19, v118
	v_mul_i32_i24_e32 v118, v21, v220
	v_mul_i32_i24_e32 v21, v21, v176
	v_mul_f32_e32 v19, v243, v19
	s_delay_alu instid0(VALU_DEP_1) | instskip(SKIP_1) | instid1(VALU_DEP_2)
	v_fma_mix_f32 v18, v200, v18, -v19 op_sel_hi:[1,0,0]
	v_mul_i32_i24_e32 v19, v23, v219
	v_fmac_f32_e32 v67, v20, v18
	v_mul_i32_i24_e32 v18, v22, v216
	s_delay_alu instid0(VALU_DEP_1) | instskip(NEXT) | instid1(VALU_DEP_1)
	v_mad_i32_i24 v18, v82, v208, v18
	v_add3_u32 v18, v18, v19, v118
	v_mul_i32_i24_e32 v19, v205, v86
	v_mul_i32_i24_e32 v118, v206, v44
	s_delay_alu instid0(VALU_DEP_1) | instskip(SKIP_2) | instid1(VALU_DEP_3)
	v_add3_u32 v18, v18, v19, v118
	v_mul_i32_i24_e32 v19, v191, v37
	v_mul_i32_i24_e32 v118, v194, v25
	v_add3_u32 v18, v18, v119, v120
	v_mul_i32_i24_e32 v119, v196, v24
	s_delay_alu instid0(VALU_DEP_4) | instskip(SKIP_1) | instid1(VALU_DEP_4)
	v_mad_i32_i24 v19, v183, v26, v19
	v_mul_i32_i24_e32 v120, v185, v91
	v_add3_u32 v18, v18, v121, v122
	v_mul_i32_i24_e32 v121, v186, v90
	s_delay_alu instid0(VALU_DEP_4)
	v_add3_u32 v19, v19, v118, v119
	v_mul_i32_i24_e32 v118, v182, v87
	v_mul_i32_i24_e32 v119, v184, v92
	v_add3_u32 v18, v18, v123, v124
	v_mul_i32_i24_e32 v122, v187, v94
	v_mul_i32_i24_e32 v123, v188, v95
	v_mul_i32_i24_e32 v124, v189, v96
	v_add3_u32 v19, v19, v118, v119
	v_add3_u32 v18, v18, v125, v126
	v_mul_i32_i24_e32 v125, v190, v88
	v_mul_i32_i24_e32 v126, v192, v100
	v_mul_i32_i24_e32 v118, v107, v181
	v_add3_u32 v19, v19, v120, v121
	v_add3_u32 v18, v18, v127, v128
	v_mul_i32_i24_e32 v127, v193, v101
	v_mul_i32_i24_e32 v120, v116, v178
	v_mul_i32_i24_e32 v121, v105, v179
	v_add3_u32 v19, v19, v122, v123
	v_mul_i32_i24_e32 v122, v115, v157
	v_mul_i32_i24_e32 v123, v113, v156
	;; [unrolled: 1-line block ×3, first 2 shown]
	v_mul_lo_u32 v18, v18, v221
	v_add3_u32 v19, v19, v124, v125
	v_mul_i32_i24_e32 v124, v114, v154
	v_mul_i32_i24_e32 v119, v106, v180
	s_delay_alu instid0(VALU_DEP_3) | instskip(NEXT) | instid1(VALU_DEP_3)
	v_add3_u32 v19, v19, v126, v127
	v_mad_i32_i24 v124, v117, v155, v124
	s_delay_alu instid0(VALU_DEP_2) | instskip(NEXT) | instid1(VALU_DEP_2)
	v_add3_u32 v19, v19, v128, v129
	v_add3_u32 v122, v124, v123, v122
	s_delay_alu instid0(VALU_DEP_2) | instskip(NEXT) | instid1(VALU_DEP_2)
	v_mad_co_u64_u32 v[18:19], null, v19, v198, v[18:19]
	v_add3_u32 v120, v122, v120, v121
	s_delay_alu instid0(VALU_DEP_1) | instskip(NEXT) | instid1(VALU_DEP_3)
	v_add3_u32 v118, v120, v119, v118
	v_cvt_f32_i32_e32 v18, v18
	s_delay_alu instid0(VALU_DEP_2) | instskip(NEXT) | instid1(VALU_DEP_1)
	v_cvt_f32_i32_e32 v19, v118
	v_mul_f32_e32 v19, v199, v19
	s_delay_alu instid0(VALU_DEP_1)
	v_fma_mix_f32 v18, v0, v18, -v19 op_sel_hi:[1,0,0]
	v_mul_i32_i24_e32 v19, v23, v175
	v_mul_i32_i24_e32 v23, v162, v79
	;; [unrolled: 1-line block ×4, first 2 shown]
	v_fmac_f32_e32 v66, v20, v18
	v_mul_i32_i24_e32 v18, v22, v172
	v_mul_i32_i24_e32 v22, v160, v83
	;; [unrolled: 1-line block ×4, first 2 shown]
	s_delay_alu instid0(VALU_DEP_4) | instskip(SKIP_1) | instid1(VALU_DEP_2)
	v_mad_i32_i24 v18, v82, v161, v18
	v_mul_i32_i24_e32 v82, v167, v97
	v_add3_u32 v18, v18, v19, v21
	v_mul_i32_i24_e32 v19, v158, v86
	v_mul_i32_i24_e32 v21, v159, v44
	;; [unrolled: 1-line block ×4, first 2 shown]
	s_delay_alu instid0(VALU_DEP_3)
	v_add3_u32 v18, v18, v19, v21
	v_mul_i32_i24_e32 v19, v163, v37
	v_mul_i32_i24_e32 v21, v166, v25
	;; [unrolled: 1-line block ×4, first 2 shown]
	v_add3_u32 v18, v18, v22, v23
	v_mul_i32_i24_e32 v22, v168, v24
	v_mad_i32_i24 v19, v153, v26, v19
	v_mul_i32_i24_e32 v23, v143, v91
	v_mul_i32_i24_e32 v24, v144, v90
	;; [unrolled: 1-line block ×3, first 2 shown]
	v_add3_u32 v18, v18, v44, v79
	v_add3_u32 v19, v19, v21, v22
	v_mul_i32_i24_e32 v21, v141, v87
	v_mul_i32_i24_e32 v22, v142, v92
	v_mul_i32_i24_e32 v44, v148, v88
	v_add3_u32 v18, v18, v82, v83
	v_mul_i32_i24_e32 v79, v149, v100
	v_mul_i32_i24_e32 v82, v150, v101
	v_add3_u32 v19, v19, v21, v22
	v_mul_i32_i24_e32 v83, v151, v102
	v_add3_u32 v18, v18, v84, v86
	v_mul_i32_i24_e32 v84, v152, v89
	v_mul_i32_i24_e32 v21, v107, v140
	v_add3_u32 v19, v19, v23, v24
	v_mul_i32_i24_e32 v23, v116, v137
	;; [unrolled: 5-line block ×3, first 2 shown]
	v_mul_i32_i24_e32 v26, v113, v135
	v_mul_lo_u32 v18, v18, v177
	s_delay_alu instid0(VALU_DEP_4) | instskip(SKIP_1) | instid1(VALU_DEP_2)
	v_add3_u32 v19, v19, v37, v44
	v_mul_i32_i24_e32 v37, v114, v133
	v_add3_u32 v19, v19, v79, v82
	s_delay_alu instid0(VALU_DEP_2) | instskip(NEXT) | instid1(VALU_DEP_2)
	v_mad_i32_i24 v37, v117, v134, v37
	v_add3_u32 v19, v19, v83, v84
	s_delay_alu instid0(VALU_DEP_2) | instskip(NEXT) | instid1(VALU_DEP_2)
	v_add3_u32 v25, v37, v26, v25
	v_mad_co_u64_u32 v[18:19], null, v19, v132, v[18:19]
	s_delay_alu instid0(VALU_DEP_2) | instskip(NEXT) | instid1(VALU_DEP_1)
	v_add3_u32 v23, v25, v23, v24
	v_add3_u32 v21, v23, v22, v21
	s_delay_alu instid0(VALU_DEP_3) | instskip(NEXT) | instid1(VALU_DEP_2)
	v_cvt_f32_i32_e32 v18, v18
	v_cvt_f32_i32_e32 v19, v21
	s_delay_alu instid0(VALU_DEP_1) | instskip(NEXT) | instid1(VALU_DEP_1)
	v_mul_f32_e32 v19, v131, v19
	v_fma_mix_f32 v18, v130, v18, -v19 op_sel_hi:[1,0,0]
	s_delay_alu instid0(VALU_DEP_1) | instskip(SKIP_3) | instid1(VALU_DEP_1)
	v_fmac_f32_e32 v64, v20, v18
	scratch_load_b32 v18, off, off offset:40 ; 4-byte Folded Reload
	s_wait_loadcnt 0x0
	v_or_b32_e32 v18, s17, v18
	v_lshlrev_b32_e32 v19, 2, v18
	v_lshrrev_b32_e32 v18, 1, v18
	ds_load_b32 v20, v18 offset:30368
	ds_load_b128 v[82:85], v19 offset:16896
	ds_load_b128 v[86:89], v19 offset:16912
	s_wait_dscnt 0x1
	v_ashrrev_i32_e32 v21, 24, v82
	s_wait_dscnt 0x0
	v_lshrrev_b16 v18, 8, v86
	v_bfe_i32 v22, v82, 0, 8
	v_bfe_i32 v23, v82, 16, 8
	;; [unrolled: 1-line block ×5, first 2 shown]
	v_lshrrev_b16 v18, 8, v87
	v_bfe_i32 v37, v86, 0, 8
	v_ashrrev_i32_e32 v90, 24, v87
	v_bfe_i32 v91, v87, 16, 8
	v_bfe_i32 v87, v87, 0, 8
	;; [unrolled: 1-line block ×3, first 2 shown]
	v_lshrrev_b16 v18, 8, v84
	v_bfe_i32 v94, v88, 0, 8
	v_bfe_i32 v100, v89, 0, 8
	v_add_nc_u32_e32 v19, v87, v37
	v_ashrrev_i32_e32 v24, 24, v86
	v_bfe_i32 v93, v18, 0, 8
	v_lshrrev_b16 v18, 8, v85
	v_bfe_i32 v25, v86, 16, 8
	v_bfe_i32 v86, v83, 0, 8
	v_add3_u32 v116, v19, v94, v100
	v_mul_i32_i24_e32 v19, v23, v77
	v_bfe_i32 v99, v18, 0, 8
	v_add_nc_u32_e32 v18, v82, v44
	v_mul_i32_i24_e32 v118, v21, v78
	v_ashrrev_i32_e32 v79, 24, v83
	v_bfe_i32 v83, v83, 16, 8
	v_bfe_i32 v98, v84, 0, 8
	v_add3_u32 v117, v18, v93, v99
	v_mul_i32_i24_e32 v18, v22, v76
	v_mul_i32_i24_e32 v120, v13, v79
	;; [unrolled: 1-line block ×3, first 2 shown]
	v_bfe_i32 v97, v84, 16, 8
	v_ashrrev_i32_e32 v84, 24, v84
	v_mad_i32_i24 v18, v82, v11, v18
	v_mul_i32_i24_e32 v121, v69, v98
	v_mul_i32_i24_e32 v122, v14, v93
	v_bfe_i32 v95, v88, 8, 8
	v_bfe_i32 v104, v85, 0, 8
	v_add3_u32 v18, v18, v19, v118
	v_mul_i32_i24_e32 v19, v61, v86
	v_mul_i32_i24_e32 v118, v12, v44
	;; [unrolled: 1-line block ×4, first 2 shown]
	v_bfe_i32 v96, v88, 16, 8
	v_ashrrev_i32_e32 v88, 24, v88
	v_add3_u32 v18, v18, v19, v118
	v_mul_i32_i24_e32 v19, v59, v37
	v_mul_i32_i24_e32 v118, v10, v25
	v_bfe_i32 v101, v89, 8, 8
	v_bfe_i32 v102, v89, 16, 8
	v_add3_u32 v18, v18, v119, v120
	v_mul_i32_i24_e32 v119, v60, v24
	v_mad_i32_i24 v19, v3, v26, v19
	v_mul_i32_i24_e32 v120, v53, v91
	v_ashrrev_i32_e32 v89, 24, v89
	v_add3_u32 v18, v18, v121, v122
	v_mul_i32_i24_e32 v121, v5, v90
	v_add3_u32 v19, v19, v118, v119
	v_mul_i32_i24_e32 v118, v52, v87
	v_mul_i32_i24_e32 v119, v4, v92
	v_add_nc_u32_e32 v107, v90, v24
	v_bfe_i32 v103, v85, 16, 8
	v_ashrrev_i32_e32 v85, 24, v85
	v_mul_i32_i24_e32 v125, v71, v104
	v_add3_u32 v19, v19, v118, v119
	v_mul_i32_i24_e32 v126, v16, v99
	v_add3_u32 v18, v18, v123, v124
	v_mul_i32_i24_e32 v122, v54, v94
	v_mul_i32_i24_e32 v123, v6, v95
	v_add3_u32 v19, v19, v120, v121
	v_add_nc_u32_e32 v105, v92, v26
	v_add_nc_u32_e32 v106, v91, v25
	;; [unrolled: 1-line block ×3, first 2 shown]
	v_add3_u32 v107, v107, v88, v89
	v_mul_i32_i24_e32 v127, v73, v103
	v_mul_i32_i24_e32 v128, v75, v85
	v_add3_u32 v18, v18, v125, v126
	v_mul_i32_i24_e32 v124, v55, v96
	v_mul_i32_i24_e32 v125, v7, v88
	v_add3_u32 v19, v19, v122, v123
	v_add_nc_u32_e32 v113, v83, v23
	v_add_nc_u32_e32 v114, v86, v22
	v_add3_u32 v115, v115, v84, v85
	v_add3_u32 v106, v106, v96, v102
	;; [unrolled: 1-line block ×3, first 2 shown]
	v_mul_i32_i24_e32 v122, v107, v108
	v_add3_u32 v18, v18, v127, v128
	v_mul_i32_i24_e32 v126, v57, v100
	v_mul_i32_i24_e32 v127, v8, v101
	v_add3_u32 v19, v19, v124, v125
	v_add3_u32 v114, v114, v98, v104
	;; [unrolled: 1-line block ×3, first 2 shown]
	v_mul_i32_i24_e32 v118, v117, v109
	v_mul_i32_i24_e32 v119, v116, v112
	;; [unrolled: 1-line block ×4, first 2 shown]
	v_mad_i32_i24 v122, v115, v81, v122
	v_mul_i32_i24_e32 v128, v58, v102
	v_mul_i32_i24_e32 v129, v9, v89
	v_add3_u32 v19, v19, v126, v127
	v_mul_lo_u32 v18, v18, v49
	v_mad_i32_i24 v121, v113, v17, v121
	v_mad_i32_i24 v119, v114, v80, v119
	v_add3_u32 v118, v118, v120, v122
	v_add3_u32 v19, v19, v128, v129
	v_mul_i32_i24_e32 v120, v248, v79
	v_mul_i32_i24_e32 v122, v250, v93
	;; [unrolled: 1-line block ×3, first 2 shown]
	v_add3_u32 v118, v119, v121, v118
	v_mad_co_u64_u32 v[18:19], null, v19, v72, v[18:19]
	v_mul_i32_i24_e32 v119, v246, v83
	v_mul_i32_i24_e32 v121, v249, v98
	s_delay_alu instid0(VALU_DEP_4)
	v_cvt_f32_i32_e32 v19, v118
	v_mul_i32_i24_e32 v118, v21, v1
	v_mul_i32_i24_e32 v124, v252, v84
	;; [unrolled: 1-line block ×3, first 2 shown]
	v_cvt_f32_i32_e32 v18, v18
	v_mul_f32_e32 v19, v46, v19
	v_mul_i32_i24_e32 v126, v254, v99
	v_mul_i32_i24_e32 v127, v50, v103
	;; [unrolled: 1-line block ×4, first 2 shown]
	v_fma_mix_f32 v18, v2, v18, -v19 op_sel_hi:[1,0,0]
	v_mul_i32_i24_e32 v19, v23, v47
	s_delay_alu instid0(VALU_DEP_2) | instskip(SKIP_1) | instid1(VALU_DEP_1)
	v_fmac_f32_e32 v63, v20, v18
	v_mul_i32_i24_e32 v18, v22, v255
	v_mad_i32_i24 v18, v82, v247, v18
	s_delay_alu instid0(VALU_DEP_1) | instskip(SKIP_2) | instid1(VALU_DEP_1)
	v_add3_u32 v18, v18, v19, v118
	v_mul_i32_i24_e32 v19, v244, v86
	v_mul_i32_i24_e32 v118, v245, v44
	v_add3_u32 v18, v18, v19, v118
	v_mul_i32_i24_e32 v19, v235, v37
	v_mul_i32_i24_e32 v118, v238, v25
	s_delay_alu instid0(VALU_DEP_3) | instskip(SKIP_1) | instid1(VALU_DEP_4)
	v_add3_u32 v18, v18, v119, v120
	v_mul_i32_i24_e32 v119, v240, v24
	v_mad_i32_i24 v19, v227, v26, v19
	v_mul_i32_i24_e32 v120, v229, v91
	s_delay_alu instid0(VALU_DEP_4) | instskip(SKIP_1) | instid1(VALU_DEP_4)
	v_add3_u32 v18, v18, v121, v122
	v_mul_i32_i24_e32 v121, v230, v90
	v_add3_u32 v19, v19, v118, v119
	v_mul_i32_i24_e32 v118, v226, v87
	v_mul_i32_i24_e32 v119, v228, v92
	v_add3_u32 v18, v18, v123, v124
	v_mul_i32_i24_e32 v122, v231, v94
	v_mul_i32_i24_e32 v123, v232, v95
	v_mul_i32_i24_e32 v124, v233, v96
	v_add3_u32 v19, v19, v118, v119
	v_add3_u32 v18, v18, v125, v126
	v_mul_i32_i24_e32 v125, v234, v88
	v_mul_i32_i24_e32 v126, v236, v100
	v_mul_i32_i24_e32 v118, v107, v225
	v_add3_u32 v19, v19, v120, v121
	;; [unrolled: 5-line block ×3, first 2 shown]
	v_mul_i32_i24_e32 v122, v115, v204
	v_mul_i32_i24_e32 v123, v113, v203
	;; [unrolled: 1-line block ×3, first 2 shown]
	v_mul_lo_u32 v18, v18, v48
	v_add3_u32 v19, v19, v124, v125
	v_mul_i32_i24_e32 v124, v114, v201
	v_mul_i32_i24_e32 v119, v106, v224
	;; [unrolled: 1-line block ×3, first 2 shown]
	s_delay_alu instid0(VALU_DEP_4) | instskip(NEXT) | instid1(VALU_DEP_4)
	v_add3_u32 v19, v19, v126, v127
	v_mad_i32_i24 v124, v117, v202, v124
	v_mul_i32_i24_e32 v126, v215, v99
	v_mul_i32_i24_e32 v127, v217, v103
	s_delay_alu instid0(VALU_DEP_4) | instskip(NEXT) | instid1(VALU_DEP_4)
	v_add3_u32 v19, v19, v128, v129
	v_add3_u32 v122, v124, v123, v122
	v_mul_i32_i24_e32 v123, v212, v97
	v_mul_i32_i24_e32 v124, v213, v84
	;; [unrolled: 1-line block ×3, first 2 shown]
	v_mad_co_u64_u32 v[18:19], null, v19, v242, v[18:19]
	v_add3_u32 v120, v122, v120, v121
	v_mul_i32_i24_e32 v121, v210, v98
	v_mul_i32_i24_e32 v122, v211, v93
	;; [unrolled: 1-line block ×4, first 2 shown]
	v_add3_u32 v118, v120, v119, v118
	v_cvt_f32_i32_e32 v18, v18
	v_mul_i32_i24_e32 v119, v207, v83
	v_mul_i32_i24_e32 v120, v209, v79
	s_delay_alu instid0(VALU_DEP_4) | instskip(SKIP_2) | instid1(VALU_DEP_3)
	v_cvt_f32_i32_e32 v19, v118
	v_mul_i32_i24_e32 v118, v21, v220
	v_mul_i32_i24_e32 v21, v21, v176
	v_mul_f32_e32 v19, v243, v19
	s_delay_alu instid0(VALU_DEP_1) | instskip(SKIP_1) | instid1(VALU_DEP_2)
	v_fma_mix_f32 v18, v200, v18, -v19 op_sel_hi:[1,0,0]
	v_mul_i32_i24_e32 v19, v23, v219
	v_fmac_f32_e32 v62, v20, v18
	v_mul_i32_i24_e32 v18, v22, v216
	s_delay_alu instid0(VALU_DEP_1) | instskip(NEXT) | instid1(VALU_DEP_1)
	v_mad_i32_i24 v18, v82, v208, v18
	v_add3_u32 v18, v18, v19, v118
	v_mul_i32_i24_e32 v19, v205, v86
	v_mul_i32_i24_e32 v118, v206, v44
	s_delay_alu instid0(VALU_DEP_1) | instskip(SKIP_2) | instid1(VALU_DEP_3)
	v_add3_u32 v18, v18, v19, v118
	v_mul_i32_i24_e32 v19, v191, v37
	v_mul_i32_i24_e32 v118, v194, v25
	v_add3_u32 v18, v18, v119, v120
	v_mul_i32_i24_e32 v119, v196, v24
	s_delay_alu instid0(VALU_DEP_4) | instskip(SKIP_1) | instid1(VALU_DEP_4)
	v_mad_i32_i24 v19, v183, v26, v19
	v_mul_i32_i24_e32 v120, v185, v91
	v_add3_u32 v18, v18, v121, v122
	v_mul_i32_i24_e32 v121, v186, v90
	s_delay_alu instid0(VALU_DEP_4)
	v_add3_u32 v19, v19, v118, v119
	v_mul_i32_i24_e32 v118, v182, v87
	v_mul_i32_i24_e32 v119, v184, v92
	v_add3_u32 v18, v18, v123, v124
	v_mul_i32_i24_e32 v122, v187, v94
	v_mul_i32_i24_e32 v123, v188, v95
	v_mul_i32_i24_e32 v124, v189, v96
	v_add3_u32 v19, v19, v118, v119
	v_add3_u32 v18, v18, v125, v126
	v_mul_i32_i24_e32 v125, v190, v88
	v_mul_i32_i24_e32 v126, v192, v100
	v_mul_i32_i24_e32 v118, v107, v181
	v_add3_u32 v19, v19, v120, v121
	;; [unrolled: 5-line block ×3, first 2 shown]
	v_mul_i32_i24_e32 v122, v115, v157
	v_mul_i32_i24_e32 v123, v113, v156
	;; [unrolled: 1-line block ×3, first 2 shown]
	v_mul_lo_u32 v18, v18, v221
	v_add3_u32 v19, v19, v124, v125
	v_mul_i32_i24_e32 v124, v114, v154
	v_mul_i32_i24_e32 v119, v106, v180
	s_delay_alu instid0(VALU_DEP_3) | instskip(NEXT) | instid1(VALU_DEP_3)
	v_add3_u32 v19, v19, v126, v127
	v_mad_i32_i24 v124, v117, v155, v124
	s_delay_alu instid0(VALU_DEP_2) | instskip(NEXT) | instid1(VALU_DEP_2)
	v_add3_u32 v19, v19, v128, v129
	v_add3_u32 v122, v124, v123, v122
	s_delay_alu instid0(VALU_DEP_2) | instskip(NEXT) | instid1(VALU_DEP_2)
	v_mad_co_u64_u32 v[18:19], null, v19, v198, v[18:19]
	v_add3_u32 v120, v122, v120, v121
	s_delay_alu instid0(VALU_DEP_1) | instskip(NEXT) | instid1(VALU_DEP_3)
	v_add3_u32 v118, v120, v119, v118
	v_cvt_f32_i32_e32 v18, v18
	s_delay_alu instid0(VALU_DEP_2) | instskip(NEXT) | instid1(VALU_DEP_1)
	v_cvt_f32_i32_e32 v19, v118
	v_mul_f32_e32 v19, v199, v19
	s_delay_alu instid0(VALU_DEP_1)
	v_fma_mix_f32 v18, v0, v18, -v19 op_sel_hi:[1,0,0]
	v_mul_i32_i24_e32 v19, v23, v175
	v_mul_i32_i24_e32 v23, v162, v79
	;; [unrolled: 1-line block ×4, first 2 shown]
	v_fmac_f32_e32 v56, v20, v18
	v_mul_i32_i24_e32 v18, v22, v172
	v_mul_i32_i24_e32 v22, v160, v83
	;; [unrolled: 1-line block ×4, first 2 shown]
	s_delay_alu instid0(VALU_DEP_4) | instskip(SKIP_1) | instid1(VALU_DEP_2)
	v_mad_i32_i24 v18, v82, v161, v18
	v_mul_i32_i24_e32 v82, v167, v97
	v_add3_u32 v18, v18, v19, v21
	v_mul_i32_i24_e32 v19, v158, v86
	v_mul_i32_i24_e32 v21, v159, v44
	;; [unrolled: 1-line block ×4, first 2 shown]
	s_delay_alu instid0(VALU_DEP_3)
	v_add3_u32 v18, v18, v19, v21
	v_mul_i32_i24_e32 v19, v163, v37
	v_mul_i32_i24_e32 v21, v166, v25
	;; [unrolled: 1-line block ×4, first 2 shown]
	v_add3_u32 v18, v18, v22, v23
	v_mul_i32_i24_e32 v22, v168, v24
	v_mad_i32_i24 v19, v153, v26, v19
	v_mul_i32_i24_e32 v23, v143, v91
	v_mul_i32_i24_e32 v24, v144, v90
	;; [unrolled: 1-line block ×3, first 2 shown]
	v_add3_u32 v18, v18, v44, v79
	v_add3_u32 v19, v19, v21, v22
	v_mul_i32_i24_e32 v21, v141, v87
	v_mul_i32_i24_e32 v22, v142, v92
	v_mul_i32_i24_e32 v44, v148, v88
	v_add3_u32 v18, v18, v82, v83
	v_mul_i32_i24_e32 v79, v149, v100
	v_mul_i32_i24_e32 v82, v150, v101
	v_add3_u32 v19, v19, v21, v22
	v_mul_i32_i24_e32 v83, v151, v102
	v_add3_u32 v18, v18, v84, v86
	v_mul_i32_i24_e32 v84, v152, v89
	v_mul_i32_i24_e32 v21, v107, v140
	v_add3_u32 v19, v19, v23, v24
	v_mul_i32_i24_e32 v23, v116, v137
	;; [unrolled: 5-line block ×3, first 2 shown]
	v_mul_i32_i24_e32 v26, v113, v135
	v_mul_lo_u32 v18, v18, v177
	s_delay_alu instid0(VALU_DEP_4) | instskip(SKIP_1) | instid1(VALU_DEP_2)
	v_add3_u32 v19, v19, v37, v44
	v_mul_i32_i24_e32 v37, v114, v133
	v_add3_u32 v19, v19, v79, v82
	s_delay_alu instid0(VALU_DEP_2) | instskip(NEXT) | instid1(VALU_DEP_2)
	v_mad_i32_i24 v37, v117, v134, v37
	v_add3_u32 v19, v19, v83, v84
	s_delay_alu instid0(VALU_DEP_2) | instskip(NEXT) | instid1(VALU_DEP_2)
	v_add3_u32 v25, v37, v26, v25
	v_mad_co_u64_u32 v[18:19], null, v19, v132, v[18:19]
	s_delay_alu instid0(VALU_DEP_2) | instskip(NEXT) | instid1(VALU_DEP_1)
	v_add3_u32 v23, v25, v23, v24
	v_add3_u32 v21, v23, v22, v21
	s_delay_alu instid0(VALU_DEP_3) | instskip(NEXT) | instid1(VALU_DEP_2)
	v_cvt_f32_i32_e32 v18, v18
	v_cvt_f32_i32_e32 v19, v21
	s_delay_alu instid0(VALU_DEP_1) | instskip(NEXT) | instid1(VALU_DEP_1)
	v_mul_f32_e32 v19, v131, v19
	v_fma_mix_f32 v18, v130, v18, -v19 op_sel_hi:[1,0,0]
	s_delay_alu instid0(VALU_DEP_1) | instskip(SKIP_3) | instid1(VALU_DEP_1)
	v_fmac_f32_e32 v45, v20, v18
	scratch_load_b32 v18, off, off offset:44 ; 4-byte Folded Reload
	s_wait_loadcnt 0x0
	v_or_b32_e32 v18, s17, v18
	v_lshlrev_b32_e32 v19, 2, v18
	v_lshrrev_b32_e32 v18, 1, v18
	ds_load_b32 v20, v18 offset:30368
	ds_load_b128 v[82:85], v19 offset:16896
	ds_load_b128 v[86:89], v19 offset:16912
	s_wait_dscnt 0x1
	v_ashrrev_i32_e32 v24, 24, v82
	s_wait_dscnt 0x0
	v_bfe_i32 v93, v86, 0, 8
	v_bfe_i32 v94, v86, 8, 8
	v_bfe_i32 v95, v86, 16, 8
	v_ashrrev_i32_e32 v86, 24, v86
	v_bfe_i32 v96, v87, 0, 8
	v_bfe_i32 v97, v87, 8, 8
	v_bfe_i32 v98, v87, 16, 8
	v_ashrrev_i32_e32 v87, 24, v87
	;; [unrolled: 4-line block ×4, first 2 shown]
	v_add_nc_u32_e32 v18, v87, v86
	v_ashrrev_i32_e32 v44, 24, v83
	v_bfe_i32 v21, v82, 0, 8
	v_bfe_i32 v22, v82, 8, 8
	;; [unrolled: 1-line block ×3, first 2 shown]
	v_add3_u32 v105, v18, v88, v89
	v_add_nc_u32_e32 v18, v98, v95
	v_bfe_i32 v25, v83, 0, 8
	v_bfe_i32 v26, v83, 8, 8
	;; [unrolled: 1-line block ×4, first 2 shown]
	v_add3_u32 v106, v18, v101, v104
	v_add_nc_u32_e32 v18, v96, v93
	v_bfe_i32 v82, v84, 8, 8
	v_bfe_i32 v83, v84, 16, 8
	v_ashrrev_i32_e32 v84, 24, v84
	v_bfe_i32 v90, v85, 0, 8
	v_add3_u32 v107, v18, v99, v102
	v_add_nc_u32_e32 v18, v97, v94
	v_bfe_i32 v91, v85, 8, 8
	v_bfe_i32 v92, v85, 16, 8
	v_ashrrev_i32_e32 v85, 24, v85
	v_mul_i32_i24_e32 v19, v23, v77
	v_add3_u32 v113, v18, v100, v103
	v_add_nc_u32_e32 v18, v44, v24
	v_mul_i32_i24_e32 v118, v24, v78
	v_mul_i32_i24_e32 v119, v65, v37
	v_mul_i32_i24_e32 v120, v13, v44
	v_mul_i32_i24_e32 v121, v69, v79
	v_add3_u32 v114, v18, v84, v85
	v_add_nc_u32_e32 v18, v37, v23
	v_mul_i32_i24_e32 v122, v14, v82
	v_mul_i32_i24_e32 v123, v70, v83
	v_mul_i32_i24_e32 v124, v15, v84
	;; [unrolled: 6-line block ×3, first 2 shown]
	v_mul_i32_i24_e32 v129, v9, v89
	v_add3_u32 v116, v18, v82, v91
	v_add_nc_u32_e32 v18, v25, v21
	s_delay_alu instid0(VALU_DEP_1) | instskip(SKIP_1) | instid1(VALU_DEP_1)
	v_add3_u32 v117, v18, v79, v90
	v_mul_i32_i24_e32 v18, v21, v76
	v_mad_i32_i24 v18, v22, v11, v18
	s_delay_alu instid0(VALU_DEP_1) | instskip(SKIP_2) | instid1(VALU_DEP_1)
	v_add3_u32 v18, v18, v19, v118
	v_mul_i32_i24_e32 v19, v61, v25
	v_mul_i32_i24_e32 v118, v12, v26
	v_add3_u32 v18, v18, v19, v118
	v_mul_i32_i24_e32 v19, v59, v93
	v_mul_i32_i24_e32 v118, v10, v95
	s_delay_alu instid0(VALU_DEP_3) | instskip(SKIP_1) | instid1(VALU_DEP_4)
	v_add3_u32 v18, v18, v119, v120
	v_mul_i32_i24_e32 v119, v60, v86
	v_mad_i32_i24 v19, v3, v94, v19
	v_mul_i32_i24_e32 v120, v53, v98
	s_delay_alu instid0(VALU_DEP_4) | instskip(SKIP_1) | instid1(VALU_DEP_4)
	v_add3_u32 v18, v18, v121, v122
	v_mul_i32_i24_e32 v121, v5, v87
	v_add3_u32 v19, v19, v118, v119
	v_mul_i32_i24_e32 v118, v52, v96
	v_mul_i32_i24_e32 v119, v4, v97
	v_add3_u32 v18, v18, v123, v124
	v_mul_i32_i24_e32 v122, v54, v99
	v_mul_i32_i24_e32 v123, v6, v100
	v_mul_i32_i24_e32 v124, v55, v101
	v_add3_u32 v19, v19, v118, v119
	v_add3_u32 v18, v18, v125, v126
	v_mul_i32_i24_e32 v125, v7, v88
	v_mul_i32_i24_e32 v126, v57, v102
	v_mul_i32_i24_e32 v118, v105, v108
	v_add3_u32 v19, v19, v120, v121
	;; [unrolled: 5-line block ×3, first 2 shown]
	v_mul_i32_i24_e32 v122, v114, v81
	v_mul_i32_i24_e32 v123, v115, v17
	;; [unrolled: 1-line block ×3, first 2 shown]
	v_mul_lo_u32 v18, v18, v49
	v_add3_u32 v19, v19, v124, v125
	v_mul_i32_i24_e32 v124, v117, v80
	v_mul_i32_i24_e32 v119, v106, v111
	;; [unrolled: 1-line block ×3, first 2 shown]
	s_delay_alu instid0(VALU_DEP_4) | instskip(NEXT) | instid1(VALU_DEP_4)
	v_add3_u32 v19, v19, v126, v127
	v_mad_i32_i24 v124, v116, v109, v124
	v_mul_i32_i24_e32 v126, v254, v91
	v_mul_i32_i24_e32 v127, v50, v92
	s_delay_alu instid0(VALU_DEP_4) | instskip(NEXT) | instid1(VALU_DEP_4)
	v_add3_u32 v19, v19, v128, v129
	v_add3_u32 v122, v124, v123, v122
	v_mul_i32_i24_e32 v123, v251, v83
	v_mul_i32_i24_e32 v124, v252, v84
	v_mul_i32_i24_e32 v128, v36, v85
	v_mad_co_u64_u32 v[18:19], null, v19, v72, v[18:19]
	v_add3_u32 v120, v122, v120, v121
	v_mul_i32_i24_e32 v121, v249, v79
	v_mul_i32_i24_e32 v122, v250, v82
	;; [unrolled: 1-line block ×3, first 2 shown]
	s_delay_alu instid0(VALU_DEP_4) | instskip(SKIP_3) | instid1(VALU_DEP_4)
	v_add3_u32 v118, v120, v119, v118
	v_cvt_f32_i32_e32 v18, v18
	v_mul_i32_i24_e32 v119, v246, v37
	v_mul_i32_i24_e32 v120, v248, v44
	v_cvt_f32_i32_e32 v19, v118
	v_mul_i32_i24_e32 v118, v24, v1
	s_delay_alu instid0(VALU_DEP_2) | instskip(NEXT) | instid1(VALU_DEP_1)
	v_mul_f32_e32 v19, v46, v19
	v_fma_mix_f32 v18, v2, v18, -v19 op_sel_hi:[1,0,0]
	v_mul_i32_i24_e32 v19, v23, v47
	s_delay_alu instid0(VALU_DEP_2) | instskip(SKIP_1) | instid1(VALU_DEP_1)
	v_fmac_f32_e32 v43, v20, v18
	v_mul_i32_i24_e32 v18, v21, v255
	v_mad_i32_i24 v18, v22, v247, v18
	s_delay_alu instid0(VALU_DEP_1) | instskip(SKIP_2) | instid1(VALU_DEP_1)
	v_add3_u32 v18, v18, v19, v118
	v_mul_i32_i24_e32 v19, v244, v25
	v_mul_i32_i24_e32 v118, v245, v26
	v_add3_u32 v18, v18, v19, v118
	v_mul_i32_i24_e32 v19, v235, v93
	v_mul_i32_i24_e32 v118, v238, v95
	s_delay_alu instid0(VALU_DEP_3) | instskip(SKIP_1) | instid1(VALU_DEP_4)
	v_add3_u32 v18, v18, v119, v120
	v_mul_i32_i24_e32 v119, v240, v86
	v_mad_i32_i24 v19, v227, v94, v19
	v_mul_i32_i24_e32 v120, v229, v98
	s_delay_alu instid0(VALU_DEP_4) | instskip(SKIP_1) | instid1(VALU_DEP_4)
	v_add3_u32 v18, v18, v121, v122
	v_mul_i32_i24_e32 v121, v230, v87
	v_add3_u32 v19, v19, v118, v119
	v_mul_i32_i24_e32 v118, v226, v96
	v_mul_i32_i24_e32 v119, v228, v97
	v_add3_u32 v18, v18, v123, v124
	v_mul_i32_i24_e32 v122, v231, v99
	v_mul_i32_i24_e32 v123, v232, v100
	v_mul_i32_i24_e32 v124, v233, v101
	v_add3_u32 v19, v19, v118, v119
	v_add3_u32 v18, v18, v125, v126
	v_mul_i32_i24_e32 v125, v234, v88
	v_mul_i32_i24_e32 v126, v236, v102
	v_mul_i32_i24_e32 v118, v105, v225
	v_add3_u32 v19, v19, v120, v121
	;; [unrolled: 5-line block ×3, first 2 shown]
	v_mul_i32_i24_e32 v122, v114, v204
	v_mul_i32_i24_e32 v123, v115, v203
	;; [unrolled: 1-line block ×3, first 2 shown]
	v_mul_lo_u32 v18, v18, v48
	v_add3_u32 v19, v19, v124, v125
	v_mul_i32_i24_e32 v124, v117, v201
	v_mul_i32_i24_e32 v119, v106, v224
	;; [unrolled: 1-line block ×3, first 2 shown]
	s_delay_alu instid0(VALU_DEP_4) | instskip(NEXT) | instid1(VALU_DEP_4)
	v_add3_u32 v19, v19, v126, v127
	v_mad_i32_i24 v124, v116, v202, v124
	v_mul_i32_i24_e32 v126, v215, v91
	v_mul_i32_i24_e32 v127, v217, v92
	s_delay_alu instid0(VALU_DEP_4) | instskip(NEXT) | instid1(VALU_DEP_4)
	v_add3_u32 v19, v19, v128, v129
	v_add3_u32 v122, v124, v123, v122
	v_mul_i32_i24_e32 v123, v212, v83
	v_mul_i32_i24_e32 v124, v213, v84
	;; [unrolled: 1-line block ×3, first 2 shown]
	v_mad_co_u64_u32 v[18:19], null, v19, v242, v[18:19]
	v_add3_u32 v120, v122, v120, v121
	v_mul_i32_i24_e32 v121, v210, v79
	v_mul_i32_i24_e32 v122, v211, v82
	;; [unrolled: 1-line block ×3, first 2 shown]
	s_delay_alu instid0(VALU_DEP_4) | instskip(SKIP_3) | instid1(VALU_DEP_4)
	v_add3_u32 v118, v120, v119, v118
	v_cvt_f32_i32_e32 v18, v18
	v_mul_i32_i24_e32 v119, v207, v37
	v_mul_i32_i24_e32 v120, v209, v44
	v_cvt_f32_i32_e32 v19, v118
	v_mul_i32_i24_e32 v118, v24, v220
	s_delay_alu instid0(VALU_DEP_2) | instskip(NEXT) | instid1(VALU_DEP_1)
	v_mul_f32_e32 v19, v243, v19
	v_fma_mix_f32 v18, v200, v18, -v19 op_sel_hi:[1,0,0]
	v_mul_i32_i24_e32 v19, v23, v219
	s_delay_alu instid0(VALU_DEP_2) | instskip(SKIP_1) | instid1(VALU_DEP_1)
	v_fmac_f32_e32 v42, v20, v18
	v_mul_i32_i24_e32 v18, v21, v216
	v_mad_i32_i24 v18, v22, v208, v18
	s_delay_alu instid0(VALU_DEP_1) | instskip(SKIP_2) | instid1(VALU_DEP_1)
	v_add3_u32 v18, v18, v19, v118
	v_mul_i32_i24_e32 v19, v205, v25
	v_mul_i32_i24_e32 v118, v206, v26
	v_add3_u32 v18, v18, v19, v118
	v_mul_i32_i24_e32 v19, v191, v93
	v_mul_i32_i24_e32 v118, v194, v95
	s_delay_alu instid0(VALU_DEP_3) | instskip(SKIP_1) | instid1(VALU_DEP_4)
	v_add3_u32 v18, v18, v119, v120
	v_mul_i32_i24_e32 v119, v196, v86
	v_mad_i32_i24 v19, v183, v94, v19
	v_mul_i32_i24_e32 v120, v185, v98
	s_delay_alu instid0(VALU_DEP_4) | instskip(SKIP_1) | instid1(VALU_DEP_4)
	v_add3_u32 v18, v18, v121, v122
	v_mul_i32_i24_e32 v121, v186, v87
	v_add3_u32 v19, v19, v118, v119
	v_mul_i32_i24_e32 v118, v182, v96
	v_mul_i32_i24_e32 v119, v184, v97
	v_add3_u32 v18, v18, v123, v124
	v_mul_i32_i24_e32 v122, v187, v99
	v_mul_i32_i24_e32 v123, v188, v100
	v_mul_i32_i24_e32 v124, v189, v101
	v_add3_u32 v19, v19, v118, v119
	v_add3_u32 v18, v18, v125, v126
	v_mul_i32_i24_e32 v125, v190, v88
	v_mul_i32_i24_e32 v126, v192, v102
	v_mul_i32_i24_e32 v118, v105, v181
	v_add3_u32 v19, v19, v120, v121
	;; [unrolled: 5-line block ×3, first 2 shown]
	v_mul_i32_i24_e32 v122, v114, v157
	v_mul_i32_i24_e32 v123, v115, v156
	;; [unrolled: 1-line block ×3, first 2 shown]
	v_mul_lo_u32 v18, v18, v221
	v_add3_u32 v19, v19, v124, v125
	v_mul_i32_i24_e32 v124, v117, v154
	v_mul_i32_i24_e32 v119, v106, v180
	s_delay_alu instid0(VALU_DEP_3) | instskip(NEXT) | instid1(VALU_DEP_3)
	v_add3_u32 v19, v19, v126, v127
	v_mad_i32_i24 v124, v116, v155, v124
	s_delay_alu instid0(VALU_DEP_2) | instskip(NEXT) | instid1(VALU_DEP_2)
	v_add3_u32 v19, v19, v128, v129
	v_add3_u32 v122, v124, v123, v122
	s_delay_alu instid0(VALU_DEP_2) | instskip(NEXT) | instid1(VALU_DEP_2)
	v_mad_co_u64_u32 v[18:19], null, v19, v198, v[18:19]
	v_add3_u32 v120, v122, v120, v121
	s_delay_alu instid0(VALU_DEP_1) | instskip(NEXT) | instid1(VALU_DEP_3)
	v_add3_u32 v118, v120, v119, v118
	v_cvt_f32_i32_e32 v18, v18
	s_delay_alu instid0(VALU_DEP_2) | instskip(NEXT) | instid1(VALU_DEP_1)
	v_cvt_f32_i32_e32 v19, v118
	v_mul_f32_e32 v19, v199, v19
	s_delay_alu instid0(VALU_DEP_1) | instskip(SKIP_3) | instid1(VALU_DEP_4)
	v_fma_mix_f32 v18, v0, v18, -v19 op_sel_hi:[1,0,0]
	v_mul_i32_i24_e32 v19, v23, v175
	v_mul_i32_i24_e32 v23, v162, v44
	;; [unrolled: 1-line block ×3, first 2 shown]
	v_fmac_f32_e32 v41, v20, v18
	v_mul_i32_i24_e32 v18, v21, v172
	v_mul_i32_i24_e32 v21, v24, v176
	;; [unrolled: 1-line block ×4, first 2 shown]
	s_delay_alu instid0(VALU_DEP_4) | instskip(SKIP_3) | instid1(VALU_DEP_4)
	v_mad_i32_i24 v18, v22, v161, v18
	v_mul_i32_i24_e32 v22, v160, v37
	v_mul_i32_i24_e32 v37, v169, v84
	;; [unrolled: 1-line block ×3, first 2 shown]
	v_add3_u32 v18, v18, v19, v21
	v_mul_i32_i24_e32 v19, v158, v25
	v_mul_i32_i24_e32 v21, v159, v26
	;; [unrolled: 1-line block ×6, first 2 shown]
	v_add3_u32 v18, v18, v19, v21
	v_mul_i32_i24_e32 v19, v163, v93
	v_mul_i32_i24_e32 v21, v166, v95
	s_delay_alu instid0(VALU_DEP_3) | instskip(SKIP_1) | instid1(VALU_DEP_4)
	v_add3_u32 v18, v18, v22, v23
	v_mul_i32_i24_e32 v22, v168, v86
	v_mad_i32_i24 v19, v153, v94, v19
	v_mul_i32_i24_e32 v23, v143, v98
	s_delay_alu instid0(VALU_DEP_4) | instskip(SKIP_1) | instid1(VALU_DEP_4)
	v_add3_u32 v18, v18, v24, v25
	v_mul_i32_i24_e32 v24, v144, v87
	v_add3_u32 v19, v19, v21, v22
	v_mul_i32_i24_e32 v21, v141, v96
	v_mul_i32_i24_e32 v22, v142, v97
	v_add3_u32 v18, v18, v26, v37
	v_mul_i32_i24_e32 v25, v145, v99
	v_mul_i32_i24_e32 v26, v146, v100
	v_mul_i32_i24_e32 v37, v147, v101
	v_add3_u32 v19, v19, v21, v22
	v_add3_u32 v18, v18, v44, v79
	v_mul_i32_i24_e32 v44, v148, v88
	v_mul_i32_i24_e32 v79, v149, v102
	v_mul_i32_i24_e32 v21, v105, v140
	v_add3_u32 v19, v19, v23, v24
	;; [unrolled: 5-line block ×3, first 2 shown]
	v_mul_i32_i24_e32 v25, v114, v136
	v_mul_i32_i24_e32 v26, v115, v135
	;; [unrolled: 1-line block ×3, first 2 shown]
	v_mul_lo_u32 v18, v18, v177
	v_add3_u32 v19, v19, v37, v44
	v_mul_i32_i24_e32 v37, v117, v133
	v_mul_i32_i24_e32 v22, v106, v139
	s_delay_alu instid0(VALU_DEP_3) | instskip(NEXT) | instid1(VALU_DEP_3)
	v_add3_u32 v19, v19, v79, v82
	v_mad_i32_i24 v37, v116, v134, v37
	s_delay_alu instid0(VALU_DEP_2) | instskip(NEXT) | instid1(VALU_DEP_2)
	v_add3_u32 v19, v19, v83, v84
	v_add3_u32 v25, v37, v26, v25
	s_delay_alu instid0(VALU_DEP_2) | instskip(NEXT) | instid1(VALU_DEP_2)
	v_mad_co_u64_u32 v[18:19], null, v19, v132, v[18:19]
	v_add3_u32 v23, v25, v23, v24
	s_delay_alu instid0(VALU_DEP_1) | instskip(NEXT) | instid1(VALU_DEP_3)
	v_add3_u32 v21, v23, v22, v21
	v_cvt_f32_i32_e32 v18, v18
	s_delay_alu instid0(VALU_DEP_2) | instskip(NEXT) | instid1(VALU_DEP_1)
	v_cvt_f32_i32_e32 v19, v21
	v_mul_f32_e32 v19, v131, v19
	s_delay_alu instid0(VALU_DEP_1) | instskip(NEXT) | instid1(VALU_DEP_1)
	v_fma_mix_f32 v18, v130, v18, -v19 op_sel_hi:[1,0,0]
	v_fmac_f32_e32 v40, v20, v18
	scratch_load_b32 v18, off, off offset:32 ; 4-byte Folded Reload
	s_wait_loadcnt 0x0
	v_or_b32_e32 v18, s17, v18
	s_delay_alu instid0(VALU_DEP_1)
	v_lshlrev_b32_e32 v19, 2, v18
	v_lshrrev_b32_e32 v18, 1, v18
	ds_load_b32 v20, v18 offset:30368
	ds_load_b128 v[82:85], v19 offset:16896
	ds_load_b128 v[86:89], v19 offset:16912
	s_wait_dscnt 0x1
	v_ashrrev_i32_e32 v24, 24, v82
	s_wait_dscnt 0x0
	v_bfe_i32 v93, v86, 0, 8
	v_bfe_i32 v94, v86, 8, 8
	v_bfe_i32 v95, v86, 16, 8
	v_ashrrev_i32_e32 v86, 24, v86
	v_bfe_i32 v96, v87, 0, 8
	v_bfe_i32 v97, v87, 8, 8
	v_bfe_i32 v98, v87, 16, 8
	v_ashrrev_i32_e32 v87, 24, v87
	;; [unrolled: 4-line block ×4, first 2 shown]
	v_add_nc_u32_e32 v18, v87, v86
	v_ashrrev_i32_e32 v44, 24, v83
	v_bfe_i32 v21, v82, 0, 8
	v_bfe_i32 v22, v82, 8, 8
	;; [unrolled: 1-line block ×3, first 2 shown]
	v_add3_u32 v105, v18, v88, v89
	v_add_nc_u32_e32 v18, v98, v95
	v_bfe_i32 v25, v83, 0, 8
	v_bfe_i32 v26, v83, 8, 8
	;; [unrolled: 1-line block ×4, first 2 shown]
	v_add3_u32 v106, v18, v101, v104
	v_add_nc_u32_e32 v18, v96, v93
	v_bfe_i32 v82, v84, 8, 8
	v_bfe_i32 v83, v84, 16, 8
	v_ashrrev_i32_e32 v84, 24, v84
	v_bfe_i32 v90, v85, 0, 8
	v_add3_u32 v107, v18, v99, v102
	v_add_nc_u32_e32 v18, v97, v94
	v_bfe_i32 v91, v85, 8, 8
	v_bfe_i32 v92, v85, 16, 8
	v_ashrrev_i32_e32 v85, 24, v85
	v_mul_i32_i24_e32 v19, v23, v77
	v_add3_u32 v113, v18, v100, v103
	v_add_nc_u32_e32 v18, v44, v24
	v_mul_i32_i24_e32 v118, v24, v78
	v_mul_i32_i24_e32 v119, v65, v37
	v_mul_i32_i24_e32 v120, v13, v44
	v_mul_i32_i24_e32 v121, v69, v79
	v_add3_u32 v114, v18, v84, v85
	v_add_nc_u32_e32 v18, v37, v23
	v_mul_i32_i24_e32 v122, v14, v82
	v_mul_i32_i24_e32 v123, v70, v83
	v_mul_i32_i24_e32 v124, v15, v84
	;; [unrolled: 6-line block ×3, first 2 shown]
	v_mul_i32_i24_e32 v129, v9, v89
	v_add3_u32 v116, v18, v82, v91
	v_add_nc_u32_e32 v18, v25, v21
	s_delay_alu instid0(VALU_DEP_1) | instskip(SKIP_1) | instid1(VALU_DEP_1)
	v_add3_u32 v117, v18, v79, v90
	v_mul_i32_i24_e32 v18, v21, v76
	v_mad_i32_i24 v18, v22, v11, v18
	s_delay_alu instid0(VALU_DEP_1) | instskip(SKIP_2) | instid1(VALU_DEP_1)
	v_add3_u32 v18, v18, v19, v118
	v_mul_i32_i24_e32 v19, v61, v25
	v_mul_i32_i24_e32 v118, v12, v26
	v_add3_u32 v18, v18, v19, v118
	v_mul_i32_i24_e32 v19, v59, v93
	v_mul_i32_i24_e32 v118, v10, v95
	s_delay_alu instid0(VALU_DEP_3) | instskip(SKIP_1) | instid1(VALU_DEP_4)
	v_add3_u32 v18, v18, v119, v120
	v_mul_i32_i24_e32 v119, v60, v86
	v_mad_i32_i24 v19, v3, v94, v19
	v_mul_i32_i24_e32 v120, v53, v98
	s_delay_alu instid0(VALU_DEP_4) | instskip(SKIP_1) | instid1(VALU_DEP_4)
	v_add3_u32 v18, v18, v121, v122
	v_mul_i32_i24_e32 v121, v5, v87
	v_add3_u32 v19, v19, v118, v119
	v_mul_i32_i24_e32 v118, v52, v96
	v_mul_i32_i24_e32 v119, v4, v97
	v_add3_u32 v18, v18, v123, v124
	v_mul_i32_i24_e32 v122, v54, v99
	v_mul_i32_i24_e32 v123, v6, v100
	v_mul_i32_i24_e32 v124, v55, v101
	v_add3_u32 v19, v19, v118, v119
	v_add3_u32 v18, v18, v125, v126
	v_mul_i32_i24_e32 v125, v7, v88
	v_mul_i32_i24_e32 v126, v57, v102
	v_mul_i32_i24_e32 v118, v105, v108
	v_add3_u32 v19, v19, v120, v121
	;; [unrolled: 5-line block ×3, first 2 shown]
	v_mul_i32_i24_e32 v122, v114, v81
	v_mul_i32_i24_e32 v123, v115, v17
	;; [unrolled: 1-line block ×3, first 2 shown]
	v_mul_lo_u32 v18, v18, v49
	v_add3_u32 v19, v19, v124, v125
	v_mul_i32_i24_e32 v124, v117, v80
	v_mul_i32_i24_e32 v119, v106, v111
	s_delay_alu instid0(VALU_DEP_3) | instskip(NEXT) | instid1(VALU_DEP_3)
	v_add3_u32 v19, v19, v126, v127
	v_mad_i32_i24 v124, v116, v109, v124
	v_mul_i32_i24_e32 v126, v254, v91
	v_mul_i32_i24_e32 v127, v50, v92
	s_delay_alu instid0(VALU_DEP_4) | instskip(NEXT) | instid1(VALU_DEP_4)
	v_add3_u32 v19, v19, v128, v129
	v_add3_u32 v122, v124, v123, v122
	v_mul_i32_i24_e32 v123, v251, v83
	v_mul_i32_i24_e32 v124, v252, v84
	;; [unrolled: 1-line block ×3, first 2 shown]
	v_mad_co_u64_u32 v[18:19], null, v19, v72, v[18:19]
	v_add3_u32 v120, v122, v120, v121
	v_mul_i32_i24_e32 v121, v249, v79
	v_mul_i32_i24_e32 v122, v250, v82
	;; [unrolled: 1-line block ×3, first 2 shown]
	s_delay_alu instid0(VALU_DEP_4) | instskip(SKIP_3) | instid1(VALU_DEP_4)
	v_add3_u32 v118, v120, v119, v118
	v_cvt_f32_i32_e32 v18, v18
	v_mul_i32_i24_e32 v119, v246, v37
	v_mul_i32_i24_e32 v120, v248, v44
	v_cvt_f32_i32_e32 v19, v118
	v_mul_i32_i24_e32 v118, v24, v1
	s_delay_alu instid0(VALU_DEP_2) | instskip(NEXT) | instid1(VALU_DEP_1)
	v_mul_f32_e32 v19, v46, v19
	v_fma_mix_f32 v18, v2, v18, -v19 op_sel_hi:[1,0,0]
	v_mul_i32_i24_e32 v19, v23, v47
	s_delay_alu instid0(VALU_DEP_2) | instskip(SKIP_2) | instid1(VALU_DEP_2)
	v_fmac_f32_e32 v38, v20, v18
	v_mul_i32_i24_e32 v18, v21, v255
	v_mul_i32_i24_e32 v125, v253, v90
	v_mad_i32_i24 v18, v22, v247, v18
	s_delay_alu instid0(VALU_DEP_1) | instskip(SKIP_2) | instid1(VALU_DEP_1)
	v_add3_u32 v18, v18, v19, v118
	v_mul_i32_i24_e32 v19, v244, v25
	v_mul_i32_i24_e32 v118, v245, v26
	v_add3_u32 v18, v18, v19, v118
	v_mul_i32_i24_e32 v19, v235, v93
	v_mul_i32_i24_e32 v118, v238, v95
	s_delay_alu instid0(VALU_DEP_3) | instskip(SKIP_1) | instid1(VALU_DEP_4)
	v_add3_u32 v18, v18, v119, v120
	v_mul_i32_i24_e32 v119, v240, v86
	v_mad_i32_i24 v19, v227, v94, v19
	v_mul_i32_i24_e32 v120, v229, v98
	s_delay_alu instid0(VALU_DEP_4) | instskip(SKIP_1) | instid1(VALU_DEP_4)
	v_add3_u32 v18, v18, v121, v122
	v_mul_i32_i24_e32 v121, v230, v87
	v_add3_u32 v19, v19, v118, v119
	v_mul_i32_i24_e32 v118, v226, v96
	v_mul_i32_i24_e32 v119, v228, v97
	v_add3_u32 v18, v18, v123, v124
	v_mul_i32_i24_e32 v122, v231, v99
	v_mul_i32_i24_e32 v123, v232, v100
	v_mul_i32_i24_e32 v124, v233, v101
	v_add3_u32 v19, v19, v118, v119
	v_add3_u32 v18, v18, v125, v126
	v_mul_i32_i24_e32 v125, v234, v88
	v_mul_i32_i24_e32 v126, v236, v102
	v_mul_i32_i24_e32 v118, v105, v225
	v_add3_u32 v19, v19, v120, v121
	;; [unrolled: 5-line block ×3, first 2 shown]
	v_mul_i32_i24_e32 v122, v114, v204
	v_mul_i32_i24_e32 v123, v115, v203
	;; [unrolled: 1-line block ×3, first 2 shown]
	v_mul_lo_u32 v18, v18, v48
	v_add3_u32 v19, v19, v124, v125
	v_mul_i32_i24_e32 v124, v117, v201
	v_mul_i32_i24_e32 v119, v106, v224
	;; [unrolled: 1-line block ×3, first 2 shown]
	s_delay_alu instid0(VALU_DEP_4) | instskip(NEXT) | instid1(VALU_DEP_4)
	v_add3_u32 v19, v19, v126, v127
	v_mad_i32_i24 v124, v116, v202, v124
	v_mul_i32_i24_e32 v126, v215, v91
	v_mul_i32_i24_e32 v127, v217, v92
	s_delay_alu instid0(VALU_DEP_4) | instskip(NEXT) | instid1(VALU_DEP_4)
	v_add3_u32 v19, v19, v128, v129
	v_add3_u32 v122, v124, v123, v122
	v_mul_i32_i24_e32 v123, v212, v83
	v_mul_i32_i24_e32 v124, v213, v84
	;; [unrolled: 1-line block ×3, first 2 shown]
	v_mad_co_u64_u32 v[18:19], null, v19, v242, v[18:19]
	v_add3_u32 v120, v122, v120, v121
	v_mul_i32_i24_e32 v121, v210, v79
	v_mul_i32_i24_e32 v122, v211, v82
	;; [unrolled: 1-line block ×3, first 2 shown]
	s_delay_alu instid0(VALU_DEP_4) | instskip(SKIP_3) | instid1(VALU_DEP_4)
	v_add3_u32 v118, v120, v119, v118
	v_cvt_f32_i32_e32 v18, v18
	v_mul_i32_i24_e32 v119, v207, v37
	v_mul_i32_i24_e32 v120, v209, v44
	v_cvt_f32_i32_e32 v19, v118
	v_mul_i32_i24_e32 v118, v24, v220
	s_delay_alu instid0(VALU_DEP_2) | instskip(NEXT) | instid1(VALU_DEP_1)
	v_mul_f32_e32 v19, v243, v19
	v_fma_mix_f32 v18, v200, v18, -v19 op_sel_hi:[1,0,0]
	v_mul_i32_i24_e32 v19, v23, v219
	s_delay_alu instid0(VALU_DEP_2) | instskip(SKIP_1) | instid1(VALU_DEP_1)
	v_fmac_f32_e32 v35, v20, v18
	v_mul_i32_i24_e32 v18, v21, v216
	v_mad_i32_i24 v18, v22, v208, v18
	s_delay_alu instid0(VALU_DEP_1) | instskip(SKIP_2) | instid1(VALU_DEP_1)
	v_add3_u32 v18, v18, v19, v118
	v_mul_i32_i24_e32 v19, v205, v25
	v_mul_i32_i24_e32 v118, v206, v26
	v_add3_u32 v18, v18, v19, v118
	v_mul_i32_i24_e32 v19, v191, v93
	v_mul_i32_i24_e32 v118, v194, v95
	s_delay_alu instid0(VALU_DEP_3) | instskip(SKIP_1) | instid1(VALU_DEP_4)
	v_add3_u32 v18, v18, v119, v120
	v_mul_i32_i24_e32 v119, v196, v86
	v_mad_i32_i24 v19, v183, v94, v19
	v_mul_i32_i24_e32 v120, v185, v98
	s_delay_alu instid0(VALU_DEP_4) | instskip(SKIP_1) | instid1(VALU_DEP_4)
	v_add3_u32 v18, v18, v121, v122
	v_mul_i32_i24_e32 v121, v186, v87
	v_add3_u32 v19, v19, v118, v119
	v_mul_i32_i24_e32 v118, v182, v96
	v_mul_i32_i24_e32 v119, v184, v97
	v_add3_u32 v18, v18, v123, v124
	v_mul_i32_i24_e32 v122, v187, v99
	v_mul_i32_i24_e32 v123, v188, v100
	v_mul_i32_i24_e32 v124, v189, v101
	v_add3_u32 v19, v19, v118, v119
	v_add3_u32 v18, v18, v125, v126
	v_mul_i32_i24_e32 v125, v190, v88
	v_mul_i32_i24_e32 v126, v192, v102
	v_mul_i32_i24_e32 v118, v105, v181
	v_add3_u32 v19, v19, v120, v121
	;; [unrolled: 5-line block ×3, first 2 shown]
	v_mul_i32_i24_e32 v122, v114, v157
	v_mul_i32_i24_e32 v123, v115, v156
	;; [unrolled: 1-line block ×3, first 2 shown]
	v_mul_lo_u32 v18, v18, v221
	v_add3_u32 v19, v19, v124, v125
	v_mul_i32_i24_e32 v124, v117, v154
	v_mul_i32_i24_e32 v119, v106, v180
	s_delay_alu instid0(VALU_DEP_3) | instskip(NEXT) | instid1(VALU_DEP_3)
	v_add3_u32 v19, v19, v126, v127
	v_mad_i32_i24 v124, v116, v155, v124
	s_delay_alu instid0(VALU_DEP_2) | instskip(NEXT) | instid1(VALU_DEP_2)
	v_add3_u32 v19, v19, v128, v129
	v_add3_u32 v122, v124, v123, v122
	s_delay_alu instid0(VALU_DEP_2) | instskip(NEXT) | instid1(VALU_DEP_2)
	v_mad_co_u64_u32 v[18:19], null, v19, v198, v[18:19]
	v_add3_u32 v120, v122, v120, v121
	s_delay_alu instid0(VALU_DEP_1) | instskip(NEXT) | instid1(VALU_DEP_3)
	v_add3_u32 v118, v120, v119, v118
	v_cvt_f32_i32_e32 v18, v18
	s_delay_alu instid0(VALU_DEP_2) | instskip(NEXT) | instid1(VALU_DEP_1)
	v_cvt_f32_i32_e32 v19, v118
	v_mul_f32_e32 v19, v199, v19
	s_delay_alu instid0(VALU_DEP_1) | instskip(SKIP_3) | instid1(VALU_DEP_4)
	v_fma_mix_f32 v18, v0, v18, -v19 op_sel_hi:[1,0,0]
	v_mul_i32_i24_e32 v19, v23, v175
	v_mul_i32_i24_e32 v23, v162, v44
	;; [unrolled: 1-line block ×3, first 2 shown]
	v_fmac_f32_e32 v34, v20, v18
	v_mul_i32_i24_e32 v18, v21, v172
	v_mul_i32_i24_e32 v21, v24, v176
	;; [unrolled: 1-line block ×4, first 2 shown]
	s_delay_alu instid0(VALU_DEP_4) | instskip(SKIP_3) | instid1(VALU_DEP_4)
	v_mad_i32_i24 v18, v22, v161, v18
	v_mul_i32_i24_e32 v22, v160, v37
	v_mul_i32_i24_e32 v37, v169, v84
	;; [unrolled: 1-line block ×3, first 2 shown]
	v_add3_u32 v18, v18, v19, v21
	v_mul_i32_i24_e32 v19, v158, v25
	v_mul_i32_i24_e32 v21, v159, v26
	;; [unrolled: 1-line block ×6, first 2 shown]
	v_add3_u32 v18, v18, v19, v21
	v_mul_i32_i24_e32 v19, v163, v93
	v_mul_i32_i24_e32 v21, v166, v95
	s_delay_alu instid0(VALU_DEP_3) | instskip(SKIP_1) | instid1(VALU_DEP_4)
	v_add3_u32 v18, v18, v22, v23
	v_mul_i32_i24_e32 v22, v168, v86
	v_mad_i32_i24 v19, v153, v94, v19
	v_mul_i32_i24_e32 v23, v143, v98
	s_delay_alu instid0(VALU_DEP_4) | instskip(SKIP_1) | instid1(VALU_DEP_4)
	v_add3_u32 v18, v18, v24, v25
	v_mul_i32_i24_e32 v24, v144, v87
	v_add3_u32 v19, v19, v21, v22
	v_mul_i32_i24_e32 v21, v141, v96
	v_mul_i32_i24_e32 v22, v142, v97
	v_add3_u32 v18, v18, v26, v37
	v_mul_i32_i24_e32 v25, v145, v99
	v_mul_i32_i24_e32 v26, v146, v100
	v_mul_i32_i24_e32 v37, v147, v101
	v_add3_u32 v19, v19, v21, v22
	v_add3_u32 v18, v18, v44, v79
	v_mul_i32_i24_e32 v44, v148, v88
	v_mul_i32_i24_e32 v79, v149, v102
	v_mul_i32_i24_e32 v21, v105, v140
	v_add3_u32 v19, v19, v23, v24
	;; [unrolled: 5-line block ×3, first 2 shown]
	v_mul_i32_i24_e32 v25, v114, v136
	v_mul_i32_i24_e32 v26, v115, v135
	;; [unrolled: 1-line block ×3, first 2 shown]
	v_mul_lo_u32 v18, v18, v177
	v_add3_u32 v19, v19, v37, v44
	v_mul_i32_i24_e32 v37, v117, v133
	v_mul_i32_i24_e32 v22, v106, v139
	s_delay_alu instid0(VALU_DEP_3) | instskip(NEXT) | instid1(VALU_DEP_3)
	v_add3_u32 v19, v19, v79, v82
	v_mad_i32_i24 v37, v116, v134, v37
	s_delay_alu instid0(VALU_DEP_2) | instskip(NEXT) | instid1(VALU_DEP_2)
	v_add3_u32 v19, v19, v83, v84
	v_add3_u32 v25, v37, v26, v25
	s_delay_alu instid0(VALU_DEP_2) | instskip(NEXT) | instid1(VALU_DEP_2)
	v_mad_co_u64_u32 v[18:19], null, v19, v132, v[18:19]
	v_add3_u32 v23, v25, v23, v24
	s_delay_alu instid0(VALU_DEP_1) | instskip(NEXT) | instid1(VALU_DEP_3)
	v_add3_u32 v21, v23, v22, v21
	v_cvt_f32_i32_e32 v18, v18
	s_delay_alu instid0(VALU_DEP_2) | instskip(NEXT) | instid1(VALU_DEP_1)
	v_cvt_f32_i32_e32 v19, v21
	v_mul_f32_e32 v19, v131, v19
	s_delay_alu instid0(VALU_DEP_1) | instskip(NEXT) | instid1(VALU_DEP_1)
	v_fma_mix_f32 v18, v130, v18, -v19 op_sel_hi:[1,0,0]
	v_fmac_f32_e32 v33, v20, v18
	scratch_load_b32 v18, off, off offset:36 ; 4-byte Folded Reload
	s_wait_loadcnt 0x0
	v_or_b32_e32 v18, s17, v18
	s_delay_alu instid0(VALU_DEP_1)
	v_lshlrev_b32_e32 v19, 2, v18
	v_lshrrev_b32_e32 v18, 1, v18
	ds_load_b32 v20, v18 offset:30368
	ds_load_b128 v[82:85], v19 offset:16896
	ds_load_b128 v[86:89], v19 offset:16912
	s_wait_dscnt 0x1
	v_ashrrev_i32_e32 v24, 24, v82
	s_wait_dscnt 0x0
	v_bfe_i32 v93, v86, 0, 8
	v_bfe_i32 v94, v86, 8, 8
	v_bfe_i32 v95, v86, 16, 8
	v_ashrrev_i32_e32 v86, 24, v86
	v_bfe_i32 v96, v87, 0, 8
	v_bfe_i32 v97, v87, 8, 8
	v_bfe_i32 v98, v87, 16, 8
	v_ashrrev_i32_e32 v87, 24, v87
	;; [unrolled: 4-line block ×4, first 2 shown]
	v_add_nc_u32_e32 v18, v87, v86
	v_ashrrev_i32_e32 v44, 24, v83
	v_bfe_i32 v21, v82, 0, 8
	v_bfe_i32 v22, v82, 8, 8
	;; [unrolled: 1-line block ×3, first 2 shown]
	v_add3_u32 v105, v18, v88, v89
	v_add_nc_u32_e32 v18, v98, v95
	v_bfe_i32 v25, v83, 0, 8
	v_bfe_i32 v26, v83, 8, 8
	;; [unrolled: 1-line block ×4, first 2 shown]
	v_add3_u32 v106, v18, v101, v104
	v_add_nc_u32_e32 v18, v96, v93
	v_bfe_i32 v82, v84, 8, 8
	v_bfe_i32 v83, v84, 16, 8
	v_ashrrev_i32_e32 v84, 24, v84
	v_bfe_i32 v90, v85, 0, 8
	v_add3_u32 v107, v18, v99, v102
	v_add_nc_u32_e32 v18, v97, v94
	v_bfe_i32 v91, v85, 8, 8
	v_bfe_i32 v92, v85, 16, 8
	v_ashrrev_i32_e32 v85, 24, v85
	v_mul_i32_i24_e32 v19, v23, v77
	v_add3_u32 v113, v18, v100, v103
	v_add_nc_u32_e32 v18, v44, v24
	v_mul_i32_i24_e32 v118, v24, v78
	v_mul_i32_i24_e32 v119, v65, v37
	v_mul_i32_i24_e32 v120, v13, v44
	v_mul_i32_i24_e32 v121, v69, v79
	v_add3_u32 v114, v18, v84, v85
	v_add_nc_u32_e32 v18, v37, v23
	v_mul_i32_i24_e32 v122, v14, v82
	v_mul_i32_i24_e32 v123, v70, v83
	v_mul_i32_i24_e32 v124, v15, v84
	;; [unrolled: 6-line block ×3, first 2 shown]
	v_mul_i32_i24_e32 v129, v9, v89
	v_add3_u32 v116, v18, v82, v91
	v_add_nc_u32_e32 v18, v25, v21
	s_delay_alu instid0(VALU_DEP_1) | instskip(SKIP_1) | instid1(VALU_DEP_1)
	v_add3_u32 v117, v18, v79, v90
	v_mul_i32_i24_e32 v18, v21, v76
	v_mad_i32_i24 v18, v22, v11, v18
	s_delay_alu instid0(VALU_DEP_1) | instskip(SKIP_2) | instid1(VALU_DEP_1)
	v_add3_u32 v18, v18, v19, v118
	v_mul_i32_i24_e32 v19, v61, v25
	v_mul_i32_i24_e32 v118, v12, v26
	v_add3_u32 v18, v18, v19, v118
	v_mul_i32_i24_e32 v19, v59, v93
	v_mul_i32_i24_e32 v118, v10, v95
	s_delay_alu instid0(VALU_DEP_3) | instskip(SKIP_1) | instid1(VALU_DEP_4)
	v_add3_u32 v18, v18, v119, v120
	v_mul_i32_i24_e32 v119, v60, v86
	v_mad_i32_i24 v19, v3, v94, v19
	v_mul_i32_i24_e32 v120, v53, v98
	s_delay_alu instid0(VALU_DEP_4) | instskip(SKIP_1) | instid1(VALU_DEP_4)
	v_add3_u32 v18, v18, v121, v122
	v_mul_i32_i24_e32 v121, v5, v87
	v_add3_u32 v19, v19, v118, v119
	v_mul_i32_i24_e32 v118, v52, v96
	v_mul_i32_i24_e32 v119, v4, v97
	v_add3_u32 v18, v18, v123, v124
	v_mul_i32_i24_e32 v122, v54, v99
	v_mul_i32_i24_e32 v123, v6, v100
	v_mul_i32_i24_e32 v124, v55, v101
	v_add3_u32 v19, v19, v118, v119
	v_add3_u32 v18, v18, v125, v126
	v_mul_i32_i24_e32 v125, v7, v88
	v_mul_i32_i24_e32 v126, v57, v102
	v_mul_i32_i24_e32 v118, v105, v108
	v_add3_u32 v19, v19, v120, v121
	v_add3_u32 v18, v18, v127, v128
	v_mul_i32_i24_e32 v127, v8, v103
	v_mul_i32_i24_e32 v120, v107, v112
	v_mul_i32_i24_e32 v121, v113, v110
	v_add3_u32 v19, v19, v122, v123
	v_mul_i32_i24_e32 v122, v114, v81
	v_mul_i32_i24_e32 v123, v115, v17
	;; [unrolled: 1-line block ×3, first 2 shown]
	v_mul_lo_u32 v18, v18, v49
	v_add3_u32 v19, v19, v124, v125
	v_mul_i32_i24_e32 v124, v117, v80
	v_mul_i32_i24_e32 v119, v106, v111
	;; [unrolled: 1-line block ×3, first 2 shown]
	s_delay_alu instid0(VALU_DEP_4) | instskip(NEXT) | instid1(VALU_DEP_4)
	v_add3_u32 v19, v19, v126, v127
	v_mad_i32_i24 v124, v116, v109, v124
	v_mul_i32_i24_e32 v126, v254, v91
	v_mul_i32_i24_e32 v127, v50, v92
	s_delay_alu instid0(VALU_DEP_4) | instskip(NEXT) | instid1(VALU_DEP_4)
	v_add3_u32 v19, v19, v128, v129
	v_add3_u32 v122, v124, v123, v122
	v_mul_i32_i24_e32 v123, v251, v83
	v_mul_i32_i24_e32 v124, v252, v84
	;; [unrolled: 1-line block ×3, first 2 shown]
	v_mad_co_u64_u32 v[18:19], null, v19, v72, v[18:19]
	v_add3_u32 v120, v122, v120, v121
	v_mul_i32_i24_e32 v121, v249, v79
	v_mul_i32_i24_e32 v122, v250, v82
	;; [unrolled: 1-line block ×3, first 2 shown]
	s_delay_alu instid0(VALU_DEP_4) | instskip(SKIP_3) | instid1(VALU_DEP_4)
	v_add3_u32 v118, v120, v119, v118
	v_cvt_f32_i32_e32 v18, v18
	v_mul_i32_i24_e32 v119, v246, v37
	v_mul_i32_i24_e32 v120, v248, v44
	v_cvt_f32_i32_e32 v19, v118
	v_mul_i32_i24_e32 v118, v24, v1
	s_delay_alu instid0(VALU_DEP_2) | instskip(NEXT) | instid1(VALU_DEP_1)
	v_mul_f32_e32 v19, v46, v19
	v_fma_mix_f32 v18, v2, v18, -v19 op_sel_hi:[1,0,0]
	v_mul_i32_i24_e32 v19, v23, v47
	s_delay_alu instid0(VALU_DEP_2) | instskip(SKIP_1) | instid1(VALU_DEP_1)
	v_fmac_f32_e32 v32, v20, v18
	v_mul_i32_i24_e32 v18, v21, v255
	v_mad_i32_i24 v18, v22, v247, v18
	s_delay_alu instid0(VALU_DEP_1) | instskip(SKIP_2) | instid1(VALU_DEP_1)
	v_add3_u32 v18, v18, v19, v118
	v_mul_i32_i24_e32 v19, v244, v25
	v_mul_i32_i24_e32 v118, v245, v26
	v_add3_u32 v18, v18, v19, v118
	v_mul_i32_i24_e32 v19, v235, v93
	v_mul_i32_i24_e32 v118, v238, v95
	s_delay_alu instid0(VALU_DEP_3) | instskip(SKIP_1) | instid1(VALU_DEP_4)
	v_add3_u32 v18, v18, v119, v120
	v_mul_i32_i24_e32 v119, v240, v86
	v_mad_i32_i24 v19, v227, v94, v19
	v_mul_i32_i24_e32 v120, v229, v98
	s_delay_alu instid0(VALU_DEP_4) | instskip(SKIP_1) | instid1(VALU_DEP_4)
	v_add3_u32 v18, v18, v121, v122
	v_mul_i32_i24_e32 v121, v230, v87
	v_add3_u32 v19, v19, v118, v119
	v_mul_i32_i24_e32 v118, v226, v96
	v_mul_i32_i24_e32 v119, v228, v97
	v_add3_u32 v18, v18, v123, v124
	v_mul_i32_i24_e32 v122, v231, v99
	v_mul_i32_i24_e32 v123, v232, v100
	v_mul_i32_i24_e32 v124, v233, v101
	v_add3_u32 v19, v19, v118, v119
	v_add3_u32 v18, v18, v125, v126
	v_mul_i32_i24_e32 v125, v234, v88
	v_mul_i32_i24_e32 v126, v236, v102
	v_mul_i32_i24_e32 v118, v105, v225
	v_add3_u32 v19, v19, v120, v121
	;; [unrolled: 5-line block ×3, first 2 shown]
	v_mul_i32_i24_e32 v122, v114, v204
	v_mul_i32_i24_e32 v123, v115, v203
	;; [unrolled: 1-line block ×3, first 2 shown]
	v_mul_lo_u32 v18, v18, v48
	v_add3_u32 v19, v19, v124, v125
	v_mul_i32_i24_e32 v124, v117, v201
	v_mul_i32_i24_e32 v119, v106, v224
	v_mul_i32_i24_e32 v125, v214, v90
	s_delay_alu instid0(VALU_DEP_4) | instskip(NEXT) | instid1(VALU_DEP_4)
	v_add3_u32 v19, v19, v126, v127
	v_mad_i32_i24 v124, v116, v202, v124
	v_mul_i32_i24_e32 v126, v215, v91
	v_mul_i32_i24_e32 v127, v217, v92
	s_delay_alu instid0(VALU_DEP_4) | instskip(NEXT) | instid1(VALU_DEP_4)
	v_add3_u32 v19, v19, v128, v129
	v_add3_u32 v122, v124, v123, v122
	v_mul_i32_i24_e32 v123, v212, v83
	v_mul_i32_i24_e32 v124, v213, v84
	;; [unrolled: 1-line block ×3, first 2 shown]
	v_mad_co_u64_u32 v[18:19], null, v19, v242, v[18:19]
	v_add3_u32 v120, v122, v120, v121
	v_mul_i32_i24_e32 v121, v210, v79
	v_mul_i32_i24_e32 v122, v211, v82
	;; [unrolled: 1-line block ×3, first 2 shown]
	s_delay_alu instid0(VALU_DEP_4) | instskip(SKIP_3) | instid1(VALU_DEP_4)
	v_add3_u32 v118, v120, v119, v118
	v_cvt_f32_i32_e32 v18, v18
	v_mul_i32_i24_e32 v119, v207, v37
	v_mul_i32_i24_e32 v120, v209, v44
	v_cvt_f32_i32_e32 v19, v118
	v_mul_i32_i24_e32 v118, v24, v220
	s_delay_alu instid0(VALU_DEP_2) | instskip(NEXT) | instid1(VALU_DEP_1)
	v_mul_f32_e32 v19, v243, v19
	v_fma_mix_f32 v18, v200, v18, -v19 op_sel_hi:[1,0,0]
	v_mul_i32_i24_e32 v19, v23, v219
	s_delay_alu instid0(VALU_DEP_2) | instskip(SKIP_1) | instid1(VALU_DEP_1)
	v_fmac_f32_e32 v31, v20, v18
	v_mul_i32_i24_e32 v18, v21, v216
	v_mad_i32_i24 v18, v22, v208, v18
	s_delay_alu instid0(VALU_DEP_1) | instskip(SKIP_2) | instid1(VALU_DEP_1)
	v_add3_u32 v18, v18, v19, v118
	v_mul_i32_i24_e32 v19, v205, v25
	v_mul_i32_i24_e32 v118, v206, v26
	v_add3_u32 v18, v18, v19, v118
	v_mul_i32_i24_e32 v19, v191, v93
	v_mul_i32_i24_e32 v118, v194, v95
	s_delay_alu instid0(VALU_DEP_3) | instskip(SKIP_1) | instid1(VALU_DEP_4)
	v_add3_u32 v18, v18, v119, v120
	v_mul_i32_i24_e32 v119, v196, v86
	v_mad_i32_i24 v19, v183, v94, v19
	v_mul_i32_i24_e32 v120, v185, v98
	s_delay_alu instid0(VALU_DEP_4) | instskip(SKIP_1) | instid1(VALU_DEP_4)
	v_add3_u32 v18, v18, v121, v122
	v_mul_i32_i24_e32 v121, v186, v87
	v_add3_u32 v19, v19, v118, v119
	v_mul_i32_i24_e32 v118, v182, v96
	v_mul_i32_i24_e32 v119, v184, v97
	v_add3_u32 v18, v18, v123, v124
	v_mul_i32_i24_e32 v122, v187, v99
	v_mul_i32_i24_e32 v123, v188, v100
	v_mul_i32_i24_e32 v124, v189, v101
	v_add3_u32 v19, v19, v118, v119
	v_add3_u32 v18, v18, v125, v126
	v_mul_i32_i24_e32 v125, v190, v88
	v_mul_i32_i24_e32 v126, v192, v102
	v_mul_i32_i24_e32 v118, v105, v181
	v_add3_u32 v19, v19, v120, v121
	;; [unrolled: 5-line block ×3, first 2 shown]
	v_mul_i32_i24_e32 v122, v114, v157
	v_mul_i32_i24_e32 v123, v115, v156
	;; [unrolled: 1-line block ×3, first 2 shown]
	v_mul_lo_u32 v18, v18, v221
	v_add3_u32 v19, v19, v124, v125
	v_mul_i32_i24_e32 v124, v117, v154
	v_mul_i32_i24_e32 v119, v106, v180
	s_delay_alu instid0(VALU_DEP_3) | instskip(NEXT) | instid1(VALU_DEP_3)
	v_add3_u32 v19, v19, v126, v127
	v_mad_i32_i24 v124, v116, v155, v124
	s_delay_alu instid0(VALU_DEP_2) | instskip(NEXT) | instid1(VALU_DEP_2)
	v_add3_u32 v19, v19, v128, v129
	v_add3_u32 v122, v124, v123, v122
	s_delay_alu instid0(VALU_DEP_2) | instskip(NEXT) | instid1(VALU_DEP_2)
	v_mad_co_u64_u32 v[18:19], null, v19, v198, v[18:19]
	v_add3_u32 v120, v122, v120, v121
	s_delay_alu instid0(VALU_DEP_1) | instskip(NEXT) | instid1(VALU_DEP_3)
	v_add3_u32 v118, v120, v119, v118
	v_cvt_f32_i32_e32 v18, v18
	s_delay_alu instid0(VALU_DEP_2) | instskip(NEXT) | instid1(VALU_DEP_1)
	v_cvt_f32_i32_e32 v19, v118
	v_mul_f32_e32 v19, v199, v19
	s_delay_alu instid0(VALU_DEP_1) | instskip(SKIP_3) | instid1(VALU_DEP_4)
	v_fma_mix_f32 v18, v0, v18, -v19 op_sel_hi:[1,0,0]
	v_mul_i32_i24_e32 v19, v23, v175
	v_mul_i32_i24_e32 v23, v162, v44
	v_mul_i32_i24_e32 v44, v170, v90
	v_fmac_f32_e32 v30, v20, v18
	v_mul_i32_i24_e32 v18, v21, v172
	v_mul_i32_i24_e32 v21, v24, v176
	;; [unrolled: 1-line block ×4, first 2 shown]
	s_delay_alu instid0(VALU_DEP_4) | instskip(SKIP_3) | instid1(VALU_DEP_4)
	v_mad_i32_i24 v18, v22, v161, v18
	v_mul_i32_i24_e32 v22, v160, v37
	v_mul_i32_i24_e32 v37, v169, v84
	;; [unrolled: 1-line block ×3, first 2 shown]
	v_add3_u32 v18, v18, v19, v21
	v_mul_i32_i24_e32 v19, v158, v25
	v_mul_i32_i24_e32 v21, v159, v26
	;; [unrolled: 1-line block ×6, first 2 shown]
	v_add3_u32 v18, v18, v19, v21
	v_mul_i32_i24_e32 v19, v163, v93
	v_mul_i32_i24_e32 v21, v166, v95
	s_delay_alu instid0(VALU_DEP_3) | instskip(SKIP_1) | instid1(VALU_DEP_4)
	v_add3_u32 v18, v18, v22, v23
	v_mul_i32_i24_e32 v22, v168, v86
	v_mad_i32_i24 v19, v153, v94, v19
	v_mul_i32_i24_e32 v23, v143, v98
	s_delay_alu instid0(VALU_DEP_4) | instskip(SKIP_1) | instid1(VALU_DEP_4)
	v_add3_u32 v18, v18, v24, v25
	v_mul_i32_i24_e32 v24, v144, v87
	v_add3_u32 v19, v19, v21, v22
	v_mul_i32_i24_e32 v21, v141, v96
	v_mul_i32_i24_e32 v22, v142, v97
	v_add3_u32 v18, v18, v26, v37
	v_mul_i32_i24_e32 v25, v145, v99
	v_mul_i32_i24_e32 v26, v146, v100
	v_mul_i32_i24_e32 v37, v147, v101
	v_add3_u32 v19, v19, v21, v22
	v_add3_u32 v18, v18, v44, v79
	v_mul_i32_i24_e32 v44, v148, v88
	v_mul_i32_i24_e32 v79, v149, v102
	v_mul_i32_i24_e32 v21, v105, v140
	v_add3_u32 v19, v19, v23, v24
	;; [unrolled: 5-line block ×3, first 2 shown]
	v_mul_i32_i24_e32 v25, v114, v136
	v_mul_i32_i24_e32 v26, v115, v135
	;; [unrolled: 1-line block ×3, first 2 shown]
	v_mul_lo_u32 v18, v18, v177
	v_add3_u32 v19, v19, v37, v44
	v_mul_i32_i24_e32 v37, v117, v133
	v_mul_i32_i24_e32 v22, v106, v139
	s_delay_alu instid0(VALU_DEP_3) | instskip(NEXT) | instid1(VALU_DEP_3)
	v_add3_u32 v19, v19, v79, v82
	v_mad_i32_i24 v37, v116, v134, v37
	s_delay_alu instid0(VALU_DEP_2) | instskip(NEXT) | instid1(VALU_DEP_2)
	v_add3_u32 v19, v19, v83, v84
	v_add3_u32 v25, v37, v26, v25
	s_delay_alu instid0(VALU_DEP_2) | instskip(NEXT) | instid1(VALU_DEP_2)
	v_mad_co_u64_u32 v[18:19], null, v19, v132, v[18:19]
	v_add3_u32 v23, v25, v23, v24
	s_delay_alu instid0(VALU_DEP_1) | instskip(NEXT) | instid1(VALU_DEP_3)
	v_add3_u32 v21, v23, v22, v21
	v_cvt_f32_i32_e32 v18, v18
	s_delay_alu instid0(VALU_DEP_2) | instskip(NEXT) | instid1(VALU_DEP_1)
	v_cvt_f32_i32_e32 v19, v21
	v_mul_f32_e32 v19, v131, v19
	s_delay_alu instid0(VALU_DEP_1) | instskip(NEXT) | instid1(VALU_DEP_1)
	v_fma_mix_f32 v18, v130, v18, -v19 op_sel_hi:[1,0,0]
	v_fmac_f32_e32 v29, v20, v18
	scratch_load_b32 v18, off, off offset:28 ; 4-byte Folded Reload
	s_wait_loadcnt 0x0
	v_or_b32_e32 v18, s17, v18
	s_delay_alu instid0(VALU_DEP_1)
	v_lshlrev_b32_e32 v19, 2, v18
	v_lshrrev_b32_e32 v18, 1, v18
	ds_load_b32 v20, v18 offset:30368
	ds_load_b128 v[82:85], v19 offset:16896
	ds_load_b128 v[86:89], v19 offset:16912
	s_wait_dscnt 0x1
	v_ashrrev_i32_e32 v24, 24, v82
	s_wait_dscnt 0x0
	v_bfe_i32 v93, v86, 0, 8
	v_bfe_i32 v94, v86, 8, 8
	v_bfe_i32 v95, v86, 16, 8
	v_ashrrev_i32_e32 v86, 24, v86
	v_bfe_i32 v96, v87, 0, 8
	v_bfe_i32 v97, v87, 8, 8
	v_bfe_i32 v98, v87, 16, 8
	v_ashrrev_i32_e32 v87, 24, v87
	;; [unrolled: 4-line block ×4, first 2 shown]
	v_add_nc_u32_e32 v18, v87, v86
	v_ashrrev_i32_e32 v44, 24, v83
	v_bfe_i32 v21, v82, 0, 8
	v_bfe_i32 v22, v82, 8, 8
	v_bfe_i32 v23, v82, 16, 8
	v_add3_u32 v105, v18, v88, v89
	v_add_nc_u32_e32 v18, v98, v95
	v_bfe_i32 v25, v83, 0, 8
	v_bfe_i32 v26, v83, 8, 8
	;; [unrolled: 1-line block ×4, first 2 shown]
	v_add3_u32 v106, v18, v101, v104
	v_add_nc_u32_e32 v18, v96, v93
	v_bfe_i32 v82, v84, 8, 8
	v_bfe_i32 v83, v84, 16, 8
	v_ashrrev_i32_e32 v84, 24, v84
	v_bfe_i32 v90, v85, 0, 8
	v_add3_u32 v107, v18, v99, v102
	v_add_nc_u32_e32 v18, v97, v94
	v_bfe_i32 v91, v85, 8, 8
	v_bfe_i32 v92, v85, 16, 8
	v_ashrrev_i32_e32 v85, 24, v85
	v_mul_i32_i24_e32 v19, v23, v77
	v_add3_u32 v113, v18, v100, v103
	v_add_nc_u32_e32 v18, v44, v24
	v_mul_i32_i24_e32 v118, v24, v78
	v_mul_i32_i24_e32 v119, v65, v37
	v_mul_i32_i24_e32 v120, v13, v44
	v_mul_i32_i24_e32 v121, v69, v79
	v_add3_u32 v114, v18, v84, v85
	v_add_nc_u32_e32 v18, v37, v23
	v_mul_i32_i24_e32 v122, v14, v82
	v_mul_i32_i24_e32 v123, v70, v83
	v_mul_i32_i24_e32 v124, v15, v84
	;; [unrolled: 6-line block ×3, first 2 shown]
	v_mul_i32_i24_e32 v129, v9, v89
	v_add3_u32 v116, v18, v82, v91
	v_add_nc_u32_e32 v18, v25, v21
	s_delay_alu instid0(VALU_DEP_1) | instskip(SKIP_1) | instid1(VALU_DEP_1)
	v_add3_u32 v117, v18, v79, v90
	v_mul_i32_i24_e32 v18, v21, v76
	v_mad_i32_i24 v18, v22, v11, v18
	s_delay_alu instid0(VALU_DEP_1) | instskip(SKIP_2) | instid1(VALU_DEP_1)
	v_add3_u32 v18, v18, v19, v118
	v_mul_i32_i24_e32 v19, v61, v25
	v_mul_i32_i24_e32 v118, v12, v26
	v_add3_u32 v18, v18, v19, v118
	v_mul_i32_i24_e32 v19, v59, v93
	v_mul_i32_i24_e32 v118, v10, v95
	s_delay_alu instid0(VALU_DEP_3) | instskip(SKIP_1) | instid1(VALU_DEP_4)
	v_add3_u32 v18, v18, v119, v120
	v_mul_i32_i24_e32 v119, v60, v86
	v_mad_i32_i24 v19, v3, v94, v19
	v_mul_i32_i24_e32 v120, v53, v98
	s_delay_alu instid0(VALU_DEP_4) | instskip(SKIP_1) | instid1(VALU_DEP_4)
	v_add3_u32 v18, v18, v121, v122
	v_mul_i32_i24_e32 v121, v5, v87
	v_add3_u32 v19, v19, v118, v119
	v_mul_i32_i24_e32 v118, v52, v96
	v_mul_i32_i24_e32 v119, v4, v97
	v_add3_u32 v18, v18, v123, v124
	v_mul_i32_i24_e32 v122, v54, v99
	v_mul_i32_i24_e32 v123, v6, v100
	v_mul_i32_i24_e32 v124, v55, v101
	v_add3_u32 v19, v19, v118, v119
	v_add3_u32 v18, v18, v125, v126
	v_mul_i32_i24_e32 v125, v7, v88
	v_mul_i32_i24_e32 v126, v57, v102
	v_mul_i32_i24_e32 v118, v105, v108
	v_add3_u32 v19, v19, v120, v121
	;; [unrolled: 5-line block ×3, first 2 shown]
	v_mul_i32_i24_e32 v122, v114, v81
	v_mul_i32_i24_e32 v123, v115, v17
	;; [unrolled: 1-line block ×3, first 2 shown]
	v_mul_lo_u32 v18, v18, v49
	v_add3_u32 v19, v19, v124, v125
	v_mul_i32_i24_e32 v124, v117, v80
	v_mul_i32_i24_e32 v119, v106, v111
	v_mul_i32_i24_e32 v125, v253, v90
	s_delay_alu instid0(VALU_DEP_4) | instskip(NEXT) | instid1(VALU_DEP_4)
	v_add3_u32 v19, v19, v126, v127
	v_mad_i32_i24 v124, v116, v109, v124
	v_mul_i32_i24_e32 v126, v254, v91
	v_mul_i32_i24_e32 v127, v50, v92
	s_delay_alu instid0(VALU_DEP_4) | instskip(NEXT) | instid1(VALU_DEP_4)
	v_add3_u32 v19, v19, v128, v129
	v_add3_u32 v122, v124, v123, v122
	v_mul_i32_i24_e32 v123, v251, v83
	v_mul_i32_i24_e32 v124, v252, v84
	;; [unrolled: 1-line block ×3, first 2 shown]
	v_mad_co_u64_u32 v[18:19], null, v19, v72, v[18:19]
	v_add3_u32 v120, v122, v120, v121
	v_mul_i32_i24_e32 v121, v249, v79
	v_mul_i32_i24_e32 v122, v250, v82
	;; [unrolled: 1-line block ×3, first 2 shown]
	s_delay_alu instid0(VALU_DEP_4) | instskip(SKIP_3) | instid1(VALU_DEP_4)
	v_add3_u32 v118, v120, v119, v118
	v_cvt_f32_i32_e32 v18, v18
	v_mul_i32_i24_e32 v119, v246, v37
	v_mul_i32_i24_e32 v120, v248, v44
	v_cvt_f32_i32_e32 v19, v118
	v_mul_i32_i24_e32 v118, v24, v1
	s_delay_alu instid0(VALU_DEP_2) | instskip(NEXT) | instid1(VALU_DEP_1)
	v_mul_f32_e32 v19, v46, v19
	v_fma_mix_f32 v18, v2, v18, -v19 op_sel_hi:[1,0,0]
	v_mul_i32_i24_e32 v19, v23, v47
	s_delay_alu instid0(VALU_DEP_2) | instskip(SKIP_1) | instid1(VALU_DEP_1)
	v_fmac_f32_e32 v28, v20, v18
	v_mul_i32_i24_e32 v18, v21, v255
	v_mad_i32_i24 v18, v22, v247, v18
	s_delay_alu instid0(VALU_DEP_1) | instskip(SKIP_2) | instid1(VALU_DEP_1)
	v_add3_u32 v18, v18, v19, v118
	v_mul_i32_i24_e32 v19, v244, v25
	v_mul_i32_i24_e32 v118, v245, v26
	v_add3_u32 v18, v18, v19, v118
	v_mul_i32_i24_e32 v19, v235, v93
	v_mul_i32_i24_e32 v118, v238, v95
	s_delay_alu instid0(VALU_DEP_3) | instskip(SKIP_1) | instid1(VALU_DEP_4)
	v_add3_u32 v18, v18, v119, v120
	v_mul_i32_i24_e32 v119, v240, v86
	v_mad_i32_i24 v19, v227, v94, v19
	v_mul_i32_i24_e32 v120, v229, v98
	s_delay_alu instid0(VALU_DEP_4) | instskip(SKIP_1) | instid1(VALU_DEP_4)
	v_add3_u32 v18, v18, v121, v122
	v_mul_i32_i24_e32 v121, v230, v87
	v_add3_u32 v19, v19, v118, v119
	v_mul_i32_i24_e32 v118, v226, v96
	v_mul_i32_i24_e32 v119, v228, v97
	v_add3_u32 v18, v18, v123, v124
	v_mul_i32_i24_e32 v122, v231, v99
	v_mul_i32_i24_e32 v123, v232, v100
	v_mul_i32_i24_e32 v124, v233, v101
	v_add3_u32 v19, v19, v118, v119
	v_add3_u32 v18, v18, v125, v126
	v_mul_i32_i24_e32 v125, v234, v88
	v_mul_i32_i24_e32 v126, v236, v102
	v_mul_i32_i24_e32 v118, v105, v225
	v_add3_u32 v19, v19, v120, v121
	;; [unrolled: 5-line block ×3, first 2 shown]
	v_mul_i32_i24_e32 v122, v114, v204
	v_mul_i32_i24_e32 v123, v115, v203
	;; [unrolled: 1-line block ×3, first 2 shown]
	v_mul_lo_u32 v18, v18, v48
	v_add3_u32 v19, v19, v124, v125
	v_mul_i32_i24_e32 v124, v117, v201
	v_mul_i32_i24_e32 v119, v106, v224
	;; [unrolled: 1-line block ×3, first 2 shown]
	s_delay_alu instid0(VALU_DEP_4) | instskip(NEXT) | instid1(VALU_DEP_4)
	v_add3_u32 v19, v19, v126, v127
	v_mad_i32_i24 v124, v116, v202, v124
	v_mul_i32_i24_e32 v126, v215, v91
	v_mul_i32_i24_e32 v127, v217, v92
	s_delay_alu instid0(VALU_DEP_4) | instskip(NEXT) | instid1(VALU_DEP_4)
	v_add3_u32 v19, v19, v128, v129
	v_add3_u32 v122, v124, v123, v122
	v_mul_i32_i24_e32 v123, v212, v83
	v_mul_i32_i24_e32 v124, v213, v84
	;; [unrolled: 1-line block ×3, first 2 shown]
	v_mad_co_u64_u32 v[18:19], null, v19, v242, v[18:19]
	v_add3_u32 v120, v122, v120, v121
	v_mul_i32_i24_e32 v121, v210, v79
	v_mul_i32_i24_e32 v122, v211, v82
	;; [unrolled: 1-line block ×3, first 2 shown]
	s_delay_alu instid0(VALU_DEP_4) | instskip(SKIP_3) | instid1(VALU_DEP_4)
	v_add3_u32 v118, v120, v119, v118
	v_cvt_f32_i32_e32 v18, v18
	v_mul_i32_i24_e32 v119, v207, v37
	v_mul_i32_i24_e32 v120, v209, v44
	v_cvt_f32_i32_e32 v19, v118
	v_mul_i32_i24_e32 v118, v24, v220
	s_delay_alu instid0(VALU_DEP_2) | instskip(NEXT) | instid1(VALU_DEP_1)
	v_mul_f32_e32 v19, v243, v19
	v_fma_mix_f32 v18, v200, v18, -v19 op_sel_hi:[1,0,0]
	v_mul_i32_i24_e32 v19, v23, v219
	s_delay_alu instid0(VALU_DEP_2) | instskip(SKIP_1) | instid1(VALU_DEP_1)
	v_fmac_f32_e32 v27, v20, v18
	v_mul_i32_i24_e32 v18, v21, v216
	v_mad_i32_i24 v18, v22, v208, v18
	s_delay_alu instid0(VALU_DEP_1) | instskip(SKIP_2) | instid1(VALU_DEP_1)
	v_add3_u32 v18, v18, v19, v118
	v_mul_i32_i24_e32 v19, v205, v25
	v_mul_i32_i24_e32 v118, v206, v26
	v_add3_u32 v18, v18, v19, v118
	v_mul_i32_i24_e32 v19, v191, v93
	v_mul_i32_i24_e32 v118, v194, v95
	s_delay_alu instid0(VALU_DEP_3) | instskip(SKIP_1) | instid1(VALU_DEP_4)
	v_add3_u32 v18, v18, v119, v120
	v_mul_i32_i24_e32 v119, v196, v86
	v_mad_i32_i24 v19, v183, v94, v19
	v_mul_i32_i24_e32 v120, v185, v98
	s_delay_alu instid0(VALU_DEP_4) | instskip(SKIP_1) | instid1(VALU_DEP_4)
	v_add3_u32 v18, v18, v121, v122
	v_mul_i32_i24_e32 v121, v186, v87
	v_add3_u32 v19, v19, v118, v119
	v_mul_i32_i24_e32 v118, v182, v96
	v_mul_i32_i24_e32 v119, v184, v97
	v_add3_u32 v18, v18, v123, v124
	v_mul_i32_i24_e32 v122, v187, v99
	v_mul_i32_i24_e32 v123, v188, v100
	v_mul_i32_i24_e32 v124, v189, v101
	v_add3_u32 v19, v19, v118, v119
	v_add3_u32 v18, v18, v125, v126
	v_mul_i32_i24_e32 v125, v190, v88
	v_mul_i32_i24_e32 v126, v192, v102
	v_mul_i32_i24_e32 v118, v105, v181
	v_add3_u32 v19, v19, v120, v121
	;; [unrolled: 5-line block ×3, first 2 shown]
	v_mul_i32_i24_e32 v122, v114, v157
	v_mul_i32_i24_e32 v123, v115, v156
	;; [unrolled: 1-line block ×3, first 2 shown]
	v_mul_lo_u32 v18, v18, v221
	v_add3_u32 v19, v19, v124, v125
	v_mul_i32_i24_e32 v124, v117, v154
	scratch_load_b32 v125, off, off offset:72 ; 4-byte Folded Reload
	v_mul_i32_i24_e32 v119, v106, v180
	v_add3_u32 v19, v19, v126, v127
	v_mad_i32_i24 v124, v116, v155, v124
	scratch_load_b32 v126, off, off offset:76 ; 4-byte Folded Reload
	v_add3_u32 v19, v19, v128, v129
	s_clause 0x1
	scratch_load_b32 v129, off, off offset:100
	scratch_load_b32 v128, off, off offset:96
	v_add3_u32 v122, v124, v123, v122
	scratch_load_b32 v123, off, off offset:56 ; 4-byte Folded Reload
	v_mov_b32_e32 v124, v39
	scratch_load_b32 v39, off, off offset:20 th:TH_LOAD_LU ; 4-byte Folded Reload
	v_mad_co_u64_u32 v[18:19], null, v19, v198, v[18:19]
	v_add3_u32 v120, v122, v120, v121
	scratch_load_b32 v122, off, off offset:16 th:TH_LOAD_LU ; 4-byte Folded Reload
	v_add3_u32 v118, v120, v119, v118
	v_cvt_f32_i32_e32 v18, v18
	s_delay_alu instid0(VALU_DEP_2) | instskip(NEXT) | instid1(VALU_DEP_1)
	v_cvt_f32_i32_e32 v19, v118
	v_mul_f32_e32 v19, v199, v19
	s_delay_alu instid0(VALU_DEP_1)
	v_fma_mix_f32 v18, v0, v18, -v19 op_sel_hi:[1,0,0]
	v_mul_i32_i24_e32 v19, v23, v175
	v_mul_i32_i24_e32 v23, v162, v44
	;; [unrolled: 1-line block ×3, first 2 shown]
	s_wait_loadcnt 0x1
	v_fmac_f32_e32 v39, v20, v18
	v_mul_i32_i24_e32 v18, v21, v172
	v_mul_i32_i24_e32 v21, v24, v176
	;; [unrolled: 1-line block ×4, first 2 shown]
	s_delay_alu instid0(VALU_DEP_4) | instskip(SKIP_3) | instid1(VALU_DEP_4)
	v_mad_i32_i24 v18, v22, v161, v18
	v_mul_i32_i24_e32 v22, v160, v37
	v_mul_i32_i24_e32 v37, v169, v84
	;; [unrolled: 1-line block ×3, first 2 shown]
	v_add3_u32 v18, v18, v19, v21
	v_mul_i32_i24_e32 v19, v158, v25
	v_mul_i32_i24_e32 v21, v159, v26
	v_mul_i32_i24_e32 v25, v165, v82
	v_mul_i32_i24_e32 v26, v167, v83
	v_mul_i32_i24_e32 v82, v173, v92
	v_mul_i32_i24_e32 v83, v174, v85
	v_add3_u32 v18, v18, v19, v21
	v_mul_i32_i24_e32 v19, v163, v93
	v_mul_i32_i24_e32 v21, v166, v95
	s_delay_alu instid0(VALU_DEP_3) | instskip(SKIP_1) | instid1(VALU_DEP_4)
	v_add3_u32 v18, v18, v22, v23
	v_mul_i32_i24_e32 v22, v168, v86
	v_mad_i32_i24 v19, v153, v94, v19
	v_mul_i32_i24_e32 v23, v143, v98
	s_delay_alu instid0(VALU_DEP_4) | instskip(SKIP_1) | instid1(VALU_DEP_4)
	v_add3_u32 v18, v18, v24, v25
	v_mul_i32_i24_e32 v24, v144, v87
	v_add3_u32 v19, v19, v21, v22
	v_mul_i32_i24_e32 v21, v141, v96
	v_mul_i32_i24_e32 v22, v142, v97
	v_add3_u32 v18, v18, v26, v37
	v_mul_i32_i24_e32 v25, v145, v99
	v_mul_i32_i24_e32 v26, v146, v100
	v_mul_i32_i24_e32 v37, v147, v101
	v_add3_u32 v19, v19, v21, v22
	v_add3_u32 v18, v18, v44, v79
	v_mul_i32_i24_e32 v44, v148, v88
	v_mul_i32_i24_e32 v79, v149, v102
	v_mul_i32_i24_e32 v21, v105, v140
	v_add3_u32 v19, v19, v23, v24
	;; [unrolled: 5-line block ×3, first 2 shown]
	v_mul_i32_i24_e32 v25, v114, v136
	v_mul_i32_i24_e32 v26, v115, v135
	;; [unrolled: 1-line block ×3, first 2 shown]
	v_mul_lo_u32 v18, v18, v177
	v_add3_u32 v19, v19, v37, v44
	v_mul_i32_i24_e32 v37, v117, v133
	v_mul_i32_i24_e32 v22, v106, v139
	s_delay_alu instid0(VALU_DEP_3) | instskip(NEXT) | instid1(VALU_DEP_3)
	v_add3_u32 v19, v19, v79, v82
	v_mad_i32_i24 v37, v116, v134, v37
	s_delay_alu instid0(VALU_DEP_2) | instskip(NEXT) | instid1(VALU_DEP_2)
	v_add3_u32 v19, v19, v83, v84
	v_add3_u32 v25, v37, v26, v25
	s_delay_alu instid0(VALU_DEP_2) | instskip(NEXT) | instid1(VALU_DEP_2)
	v_mad_co_u64_u32 v[18:19], null, v19, v132, v[18:19]
	v_add3_u32 v23, v25, v23, v24
	s_delay_alu instid0(VALU_DEP_1) | instskip(NEXT) | instid1(VALU_DEP_3)
	v_add3_u32 v21, v23, v22, v21
	v_cvt_f32_i32_e32 v18, v18
	s_delay_alu instid0(VALU_DEP_2) | instskip(NEXT) | instid1(VALU_DEP_1)
	v_cvt_f32_i32_e32 v19, v21
	v_mul_f32_e32 v19, v131, v19
	s_delay_alu instid0(VALU_DEP_1) | instskip(SKIP_1) | instid1(VALU_DEP_1)
	v_fma_mix_f32 v18, v130, v18, -v19 op_sel_hi:[1,0,0]
	s_wait_loadcnt 0x0
	v_fmac_f32_e32 v122, v20, v18
	v_or_b32_e32 v18, s17, v123
	s_delay_alu instid0(VALU_DEP_1)
	v_lshlrev_b32_e32 v19, 2, v18
	v_lshrrev_b32_e32 v18, 1, v18
	ds_load_b32 v82, v18 offset:30368
	ds_load_b128 v[83:86], v19 offset:16896
	ds_load_b128 v[87:90], v19 offset:16912
	s_wait_dscnt 0x1
	v_bfe_i32 v96, v85, 0, 8
	s_wait_dscnt 0x0
	v_ashrrev_i32_e32 v99, 24, v87
	v_ashrrev_i32_e32 v113, 24, v88
	v_bfe_i32 v91, v87, 16, 8
	v_bfe_i32 v37, v88, 16, 8
	v_ashrrev_i32_e32 v117, 24, v89
	v_ashrrev_i32_e32 v127, 24, v90
	v_add_nc_u32_e32 v20, v113, v99
	v_bfe_i32 v97, v85, 8, 8
	v_bfe_i32 v98, v85, 16, 8
	v_ashrrev_i32_e32 v100, 24, v85
	v_bfe_i32 v79, v87, 0, 8
	v_bfe_i32 v18, v88, 0, 8
	;; [unrolled: 1-line block ×4, first 2 shown]
	v_add3_u32 v85, v20, v117, v127
	v_add_nc_u32_e32 v20, v37, v91
	v_bfe_i32 v101, v86, 0, 8
	v_bfe_i32 v102, v86, 8, 8
	v_bfe_i32 v103, v86, 16, 8
	v_ashrrev_i32_e32 v104, 24, v86
	v_bfe_i32 v44, v87, 8, 8
	v_bfe_i32 v19, v88, 8, 8
	;; [unrolled: 1-line block ×4, first 2 shown]
	v_add3_u32 v86, v20, v116, v120
	v_add_nc_u32_e32 v20, v18, v79
	v_ashrrev_i32_e32 v121, 24, v83
	v_ashrrev_i32_e32 v95, 24, v84
	v_bfe_i32 v115, v89, 8, 8
	v_bfe_i32 v119, v90, 8, 8
	v_add3_u32 v87, v20, v114, v118
	v_add_nc_u32_e32 v20, v19, v44
	v_bfe_i32 v107, v83, 16, 8
	v_bfe_i32 v94, v84, 16, 8
	v_bfe_i32 v105, v83, 8, 8
	v_bfe_i32 v93, v84, 8, 8
	v_add3_u32 v88, v20, v115, v119
	v_add_nc_u32_e32 v20, v95, v121
	v_bfe_i32 v106, v83, 0, 8
	v_bfe_i32 v92, v84, 0, 8
	v_mul_i32_i24_e32 v21, v107, v77
	v_mul_i32_i24_e32 v22, v121, v78
	v_add3_u32 v89, v20, v100, v104
	v_add_nc_u32_e32 v20, v94, v107
	v_mul_i32_i24_e32 v12, v12, v93
	v_mul_i32_i24_e32 v13, v13, v95
	v_mul_i32_i24_e32 v14, v14, v97
	v_mul_i32_i24_e32 v23, v70, v98
	v_add3_u32 v90, v20, v98, v103
	v_add_nc_u32_e32 v20, v93, v105
	v_mul_i32_i24_e32 v15, v15, v100
	v_mul_i32_i24_e32 v10, v10, v91
	;; [unrolled: 6-line block ×3, first 2 shown]
	v_mul_i32_i24_e32 v24, v71, v101
	v_mul_i32_i24_e32 v16, v16, v102
	v_add3_u32 v84, v20, v96, v101
	v_mul_i32_i24_e32 v20, v106, v76
	v_mul_i32_i24_e32 v8, v8, v119
	;; [unrolled: 1-line block ×5, first 2 shown]
	v_mad_i32_i24 v11, v105, v11, v20
	v_mul_i32_i24_e32 v20, v61, v92
	scratch_load_b32 v73, off, off offset:64 ; 4-byte Folded Reload
	v_mul_i32_i24_e32 v1, v121, v1
	scratch_load_b32 v75, off, off offset:68 ; 4-byte Folded Reload
	v_add3_u32 v11, v11, v21, v22
	v_mul_i32_i24_e32 v21, v65, v94
	v_mul_i32_i24_e32 v22, v69, v96
	s_delay_alu instid0(VALU_DEP_3)
	v_add3_u32 v11, v11, v20, v12
	scratch_load_b32 v20, off, off th:TH_LOAD_LU ; 4-byte Folded Reload
	v_mul_i32_i24_e32 v12, v59, v79
	v_add3_u32 v11, v11, v21, v13
	scratch_load_b32 v21, off, off offset:4 th:TH_LOAD_LU ; 4-byte Folded Reload
	v_mul_i32_i24_e32 v13, v60, v99
	v_mad_i32_i24 v3, v3, v44, v12
	v_mul_i32_i24_e32 v12, v53, v37
	v_add3_u32 v11, v11, v22, v14
	s_clause 0x1
	scratch_load_b32 v22, off, off offset:8 th:TH_LOAD_LU
	scratch_load_b32 v60, off, off offset:52
	v_add3_u32 v3, v3, v10, v13
	v_mul_i32_i24_e32 v10, v52, v18
	v_add3_u32 v11, v11, v23, v15
	scratch_load_b32 v23, off, off offset:12 th:TH_LOAD_LU ; 4-byte Folded Reload
	v_mul_i32_i24_e32 v13, v54, v114
	v_mul_i32_i24_e32 v14, v55, v116
	v_add3_u32 v3, v3, v10, v4
	v_mul_i32_i24_e32 v15, v57, v118
	v_add3_u32 v11, v11, v24, v16
	v_mul_i32_i24_e32 v16, v58, v120
	v_mul_i32_i24_e32 v10, v84, v80
	v_add3_u32 v3, v3, v12, v5
	v_mul_i32_i24_e32 v4, v85, v108
	v_add3_u32 v11, v11, v25, v26
	v_mul_i32_i24_e32 v5, v86, v111
	v_mad_i32_i24 v10, v83, v109, v10
	v_add3_u32 v3, v3, v13, v6
	v_mul_i32_i24_e32 v6, v87, v112
	v_mul_lo_u32 v11, v11, v49
	v_mul_i32_i24_e32 v13, v36, v104
	s_delay_alu instid0(VALU_DEP_4) | instskip(SKIP_2) | instid1(VALU_DEP_3)
	v_add3_u32 v3, v3, v14, v7
	v_mul_i32_i24_e32 v7, v88, v110
	v_mul_i32_i24_e32 v14, v241, v127
	v_add3_u32 v3, v3, v15, v8
	v_mul_i32_i24_e32 v8, v89, v81
	s_delay_alu instid0(VALU_DEP_2) | instskip(SKIP_1) | instid1(VALU_DEP_1)
	v_add3_u32 v3, v3, v16, v9
	v_mul_i32_i24_e32 v9, v90, v17
	v_add3_u32 v8, v10, v9, v8
	v_mul_i32_i24_e32 v9, v252, v100
	v_mul_i32_i24_e32 v10, v253, v101
	s_delay_alu instid0(VALU_DEP_3) | instskip(SKIP_2) | instid1(VALU_DEP_3)
	v_add3_u32 v6, v8, v6, v7
	v_mul_i32_i24_e32 v7, v250, v97
	v_mul_i32_i24_e32 v8, v251, v98
	v_add3_u32 v5, v6, v5, v4
	v_mad_co_u64_u32 v[3:4], null, v3, v72, v[11:12]
	v_mul_i32_i24_e32 v11, v254, v102
	v_mul_i32_i24_e32 v12, v50, v103
	s_delay_alu instid0(VALU_DEP_4) | instskip(SKIP_2) | instid1(VALU_DEP_3)
	v_cvt_f32_i32_e32 v4, v5
	v_mul_i32_i24_e32 v5, v248, v95
	v_cvt_f32_i32_e32 v3, v3
	v_mul_f32_e32 v4, v46, v4
	v_mul_i32_i24_e32 v6, v249, v96
	s_delay_alu instid0(VALU_DEP_2) | instskip(SKIP_3) | instid1(VALU_DEP_3)
	v_fma_mix_f32 v2, v2, v3, -v4 op_sel_hi:[1,0,0]
	v_mul_i32_i24_e32 v3, v107, v47
	v_mul_i32_i24_e32 v4, v246, v94
	s_wait_loadcnt 0x0
	v_fmac_f32_e32 v23, v82, v2
	v_mul_i32_i24_e32 v2, v106, v255
	s_delay_alu instid0(VALU_DEP_1) | instskip(NEXT) | instid1(VALU_DEP_1)
	v_mad_i32_i24 v2, v105, v247, v2
	v_add3_u32 v1, v2, v3, v1
	v_mul_i32_i24_e32 v2, v244, v92
	v_mul_i32_i24_e32 v3, v245, v93
	s_delay_alu instid0(VALU_DEP_1) | instskip(SKIP_2) | instid1(VALU_DEP_3)
	v_add3_u32 v1, v1, v2, v3
	v_mul_i32_i24_e32 v2, v235, v79
	v_mul_i32_i24_e32 v3, v238, v91
	v_add3_u32 v1, v1, v4, v5
	v_mul_i32_i24_e32 v4, v240, v99
	s_delay_alu instid0(VALU_DEP_4) | instskip(SKIP_1) | instid1(VALU_DEP_4)
	v_mad_i32_i24 v2, v227, v44, v2
	v_mul_i32_i24_e32 v5, v229, v37
	v_add3_u32 v1, v1, v6, v7
	v_mul_i32_i24_e32 v6, v230, v113
	s_delay_alu instid0(VALU_DEP_4)
	v_add3_u32 v2, v2, v3, v4
	v_mul_i32_i24_e32 v3, v226, v18
	v_mul_i32_i24_e32 v4, v228, v19
	v_add3_u32 v1, v1, v8, v9
	v_mul_i32_i24_e32 v7, v231, v114
	v_mul_i32_i24_e32 v8, v232, v115
	v_mul_i32_i24_e32 v9, v233, v116
	v_add3_u32 v2, v2, v3, v4
	v_add3_u32 v1, v1, v10, v11
	v_mul_i32_i24_e32 v10, v234, v117
	v_mul_i32_i24_e32 v11, v236, v118
	v_mul_i32_i24_e32 v3, v85, v225
	v_add3_u32 v2, v2, v5, v6
	;; [unrolled: 5-line block ×3, first 2 shown]
	v_mul_i32_i24_e32 v7, v89, v204
	v_mul_i32_i24_e32 v8, v90, v203
	;; [unrolled: 1-line block ×3, first 2 shown]
	v_mul_lo_u32 v1, v1, v48
	v_add3_u32 v2, v2, v9, v10
	v_mul_i32_i24_e32 v9, v84, v201
	v_mul_i32_i24_e32 v4, v86, v224
	;; [unrolled: 1-line block ×3, first 2 shown]
	s_delay_alu instid0(VALU_DEP_4) | instskip(NEXT) | instid1(VALU_DEP_4)
	v_add3_u32 v2, v2, v11, v12
	v_mad_i32_i24 v9, v83, v202, v9
	v_mul_i32_i24_e32 v11, v215, v102
	v_mul_i32_i24_e32 v12, v217, v103
	s_delay_alu instid0(VALU_DEP_4) | instskip(NEXT) | instid1(VALU_DEP_4)
	v_add3_u32 v2, v2, v13, v14
	v_add3_u32 v7, v9, v8, v7
	v_mul_i32_i24_e32 v8, v212, v98
	v_mul_i32_i24_e32 v9, v213, v100
	;; [unrolled: 1-line block ×3, first 2 shown]
	v_mad_co_u64_u32 v[1:2], null, v2, v242, v[1:2]
	v_add3_u32 v5, v7, v5, v6
	v_mul_i32_i24_e32 v6, v210, v96
	v_mul_i32_i24_e32 v7, v211, v97
	;; [unrolled: 1-line block ×3, first 2 shown]
	s_delay_alu instid0(VALU_DEP_4) | instskip(SKIP_3) | instid1(VALU_DEP_4)
	v_add3_u32 v3, v5, v4, v3
	v_cvt_f32_i32_e32 v1, v1
	v_mul_i32_i24_e32 v4, v207, v94
	v_mul_i32_i24_e32 v5, v209, v95
	v_cvt_f32_i32_e32 v2, v3
	v_mul_i32_i24_e32 v3, v121, v220
	s_delay_alu instid0(VALU_DEP_2) | instskip(NEXT) | instid1(VALU_DEP_1)
	v_mul_f32_e32 v2, v243, v2
	v_fma_mix_f32 v1, v200, v1, -v2 op_sel_hi:[1,0,0]
	v_mul_i32_i24_e32 v2, v107, v219
	s_delay_alu instid0(VALU_DEP_2) | instskip(SKIP_1) | instid1(VALU_DEP_1)
	v_fmac_f32_e32 v22, v82, v1
	v_mul_i32_i24_e32 v1, v106, v216
	v_mad_i32_i24 v1, v105, v208, v1
	s_delay_alu instid0(VALU_DEP_1) | instskip(SKIP_2) | instid1(VALU_DEP_1)
	v_add3_u32 v1, v1, v2, v3
	v_mul_i32_i24_e32 v2, v205, v92
	v_mul_i32_i24_e32 v3, v206, v93
	v_add3_u32 v1, v1, v2, v3
	v_mul_i32_i24_e32 v2, v191, v79
	v_mul_i32_i24_e32 v3, v194, v91
	s_delay_alu instid0(VALU_DEP_3) | instskip(SKIP_1) | instid1(VALU_DEP_4)
	v_add3_u32 v1, v1, v4, v5
	v_mul_i32_i24_e32 v4, v196, v99
	v_mad_i32_i24 v2, v183, v44, v2
	v_mul_i32_i24_e32 v5, v185, v37
	s_delay_alu instid0(VALU_DEP_4) | instskip(SKIP_1) | instid1(VALU_DEP_4)
	v_add3_u32 v1, v1, v6, v7
	v_mul_i32_i24_e32 v6, v186, v113
	v_add3_u32 v2, v2, v3, v4
	v_mul_i32_i24_e32 v3, v182, v18
	v_mul_i32_i24_e32 v4, v184, v19
	v_add3_u32 v1, v1, v8, v9
	v_mul_i32_i24_e32 v7, v187, v114
	v_mul_i32_i24_e32 v8, v188, v115
	v_mul_i32_i24_e32 v9, v189, v116
	v_add3_u32 v2, v2, v3, v4
	v_add3_u32 v1, v1, v10, v11
	v_mul_i32_i24_e32 v10, v190, v117
	v_mul_i32_i24_e32 v11, v192, v118
	v_mul_i32_i24_e32 v3, v85, v181
	v_add3_u32 v2, v2, v5, v6
	;; [unrolled: 5-line block ×3, first 2 shown]
	v_mul_i32_i24_e32 v7, v89, v157
	v_mul_i32_i24_e32 v8, v90, v156
	;; [unrolled: 1-line block ×3, first 2 shown]
	v_mul_lo_u32 v1, v1, v221
	v_add3_u32 v2, v2, v9, v10
	v_mul_i32_i24_e32 v9, v84, v154
	v_mul_i32_i24_e32 v4, v86, v180
	;; [unrolled: 1-line block ×3, first 2 shown]
	s_delay_alu instid0(VALU_DEP_4) | instskip(NEXT) | instid1(VALU_DEP_4)
	v_add3_u32 v2, v2, v11, v12
	v_mad_i32_i24 v9, v83, v155, v9
	v_mul_i32_i24_e32 v11, v173, v103
	v_mul_i32_i24_e32 v12, v174, v104
	s_delay_alu instid0(VALU_DEP_4) | instskip(NEXT) | instid1(VALU_DEP_4)
	v_add3_u32 v2, v2, v13, v14
	v_add3_u32 v7, v9, v8, v7
	v_mul_i32_i24_e32 v8, v169, v100
	v_mul_i32_i24_e32 v9, v170, v101
	v_mul_i32_i24_e32 v13, v152, v127
	v_mad_co_u64_u32 v[1:2], null, v2, v198, v[1:2]
	v_add3_u32 v5, v7, v5, v6
	v_mul_i32_i24_e32 v6, v165, v97
	v_mul_i32_i24_e32 v7, v167, v98
	scratch_load_b32 v152, off, off offset:92 ; 4-byte Folded Reload
	v_add3_u32 v3, v5, v4, v3
	v_cvt_f32_i32_e32 v1, v1
	v_mul_i32_i24_e32 v4, v162, v95
	v_mul_i32_i24_e32 v5, v164, v96
	s_delay_alu instid0(VALU_DEP_4) | instskip(SKIP_1) | instid1(VALU_DEP_2)
	v_cvt_f32_i32_e32 v2, v3
	v_mul_i32_i24_e32 v3, v160, v94
	v_mul_f32_e32 v2, v199, v2
	s_delay_alu instid0(VALU_DEP_1) | instskip(SKIP_2) | instid1(VALU_DEP_3)
	v_fma_mix_f32 v0, v0, v1, -v2 op_sel_hi:[1,0,0]
	v_mul_i32_i24_e32 v1, v107, v175
	v_mul_i32_i24_e32 v2, v121, v176
	v_fmac_f32_e32 v21, v82, v0
	v_mul_i32_i24_e32 v0, v106, v172
	s_delay_alu instid0(VALU_DEP_1) | instskip(NEXT) | instid1(VALU_DEP_1)
	v_mad_i32_i24 v0, v105, v161, v0
	v_add3_u32 v0, v0, v1, v2
	v_mul_i32_i24_e32 v1, v158, v92
	v_mul_i32_i24_e32 v2, v159, v93
	s_clause 0x1
	scratch_load_b32 v158, off, off offset:112
	scratch_load_b32 v159, off, off offset:116
	v_add3_u32 v0, v0, v1, v2
	v_mul_i32_i24_e32 v1, v163, v79
	v_mul_i32_i24_e32 v2, v166, v91
	s_delay_alu instid0(VALU_DEP_3) | instskip(NEXT) | instid1(VALU_DEP_3)
	v_add3_u32 v0, v0, v3, v4
	v_mad_i32_i24 v1, v153, v44, v1
	scratch_load_b32 v153, off, off offset:108 ; 4-byte Folded Reload
	v_mul_i32_i24_e32 v3, v168, v99
	v_mul_i32_i24_e32 v4, v143, v37
	v_add3_u32 v0, v0, v5, v6
	v_mul_i32_i24_e32 v5, v144, v113
	v_mul_i32_i24_e32 v6, v145, v114
	v_add3_u32 v1, v1, v2, v3
	v_mul_i32_i24_e32 v2, v141, v18
	v_add3_u32 v0, v0, v7, v8
	v_mul_i32_i24_e32 v8, v147, v116
	scratch_load_b32 v147, off, off offset:24 ; 4-byte Folded Reload
	v_mul_i32_i24_e32 v3, v142, v19
	v_mul_i32_i24_e32 v7, v146, v115
	v_add3_u32 v0, v0, v9, v10
	v_mul_i32_i24_e32 v9, v148, v117
	scratch_load_b32 v148, off, off offset:80 ; 4-byte Folded Reload
	v_mul_i32_i24_e32 v10, v149, v118
	scratch_load_b32 v149, off, off offset:84 ; 4-byte Folded Reload
	v_add3_u32 v0, v0, v11, v12
	v_mul_i32_i24_e32 v11, v150, v119
	scratch_load_b32 v150, off, off offset:104 ; 4-byte Folded Reload
	v_mul_i32_i24_e32 v12, v151, v120
	s_clause 0x1
	scratch_load_b32 v151, off, off offset:88
	scratch_load_b32 v26, off, off offset:60
	v_add3_u32 v1, v1, v2, v3
	v_mul_lo_u32 v0, v0, v177
	v_mul_i32_i24_e32 v2, v85, v140
	v_mul_i32_i24_e32 v3, v86, v139
	s_delay_alu instid0(VALU_DEP_4) | instskip(SKIP_2) | instid1(VALU_DEP_3)
	v_add3_u32 v1, v1, v4, v5
	v_mul_i32_i24_e32 v4, v87, v137
	v_mul_i32_i24_e32 v5, v88, v138
	v_add3_u32 v1, v1, v6, v7
	v_mul_i32_i24_e32 v6, v89, v136
	v_mul_i32_i24_e32 v7, v90, v135
	s_delay_alu instid0(VALU_DEP_3) | instskip(SKIP_1) | instid1(VALU_DEP_2)
	v_add3_u32 v1, v1, v8, v9
	v_mul_i32_i24_e32 v8, v84, v133
	v_add3_u32 v1, v1, v10, v11
	s_delay_alu instid0(VALU_DEP_2) | instskip(NEXT) | instid1(VALU_DEP_2)
	v_mad_i32_i24 v8, v83, v134, v8
	v_add3_u32 v1, v1, v12, v13
	s_delay_alu instid0(VALU_DEP_2) | instskip(NEXT) | instid1(VALU_DEP_2)
	v_add3_u32 v6, v8, v7, v6
	v_mad_co_u64_u32 v[0:1], null, v1, v132, v[0:1]
	s_delay_alu instid0(VALU_DEP_2) | instskip(NEXT) | instid1(VALU_DEP_1)
	v_add3_u32 v4, v6, v4, v5
	v_add3_u32 v2, v4, v3, v2
	s_delay_alu instid0(VALU_DEP_3) | instskip(NEXT) | instid1(VALU_DEP_2)
	v_cvt_f32_i32_e32 v0, v0
	v_cvt_f32_i32_e32 v1, v2
	s_delay_alu instid0(VALU_DEP_1) | instskip(NEXT) | instid1(VALU_DEP_1)
	v_mul_f32_e32 v1, v131, v1
	v_fma_mix_f32 v0, v130, v0, -v1 op_sel_hi:[1,0,0]
	s_delay_alu instid0(VALU_DEP_1)
	v_fmac_f32_e32 v20, v82, v0
	s_cbranch_scc1 .LBB168_12
; %bb.13:                               ;   in Loop: Header=BB168_8 Depth=2
	s_wait_loadcnt 0x0
	s_wait_storecnt 0x0
	s_barrier_signal -1
	s_barrier_wait -1
	global_inv scope:SCOPE_SE
	s_clause 0x7
	scratch_load_b32 v59, off, off offset:132
	scratch_load_b32 v61, off, off offset:48
	scratch_load_b32 v65, off, off offset:40
	scratch_load_b32 v69, off, off offset:44
	scratch_load_b32 v70, off, off offset:32
	scratch_load_b32 v71, off, off offset:36
	scratch_load_b32 v72, off, off offset:28
	scratch_load_b32 v76, off, off offset:144
	s_cmp_eq_u32 s10, 4
	s_cselect_b32 s11, -1, 0
	s_wait_alu 0xfffe
	s_and_b32 vcc_lo, exec_lo, s11
	s_wait_alu 0xfffe
	s_cbranch_vccz .LBB168_8
	s_branch .LBB168_5
.LBB168_14:
	s_clause 0x1
	scratch_load_b32 v1, off, off offset:480 th:TH_LOAD_LU
	scratch_load_b32 v3, off, off offset:484
	s_wait_loadcnt 0x2
	v_mov_b32_e32 v2, v76
.LBB168_15:
	s_mov_b32 s0, exec_lo
	s_wait_loadcnt 0x0
	v_cmpx_gt_u32_e64 s6, v3
	s_cbranch_execz .LBB168_66
; %bb.16:
	v_add_nc_u32_e32 v0, s14, v2
	v_mul_lo_u32 v5, v3, s12
	s_delay_alu instid0(VALU_DEP_2)
	v_cmp_gt_u32_e32 vcc_lo, s12, v0
	s_and_saveexec_b32 s1, vcc_lo
	s_cbranch_execz .LBB168_18
; %bb.17:
	v_bfe_u32 v3, v124, 16, 1
	s_delay_alu instid0(VALU_DEP_3) | instskip(SKIP_1) | instid1(VALU_DEP_3)
	v_add_nc_u32_e32 v2, v0, v5
	v_cmp_o_f32_e64 s0, v124, v124
	v_add3_u32 v4, v124, v3, 0x7fff
	v_mov_b32_e32 v3, 0
	s_delay_alu instid0(VALU_DEP_2) | instskip(NEXT) | instid1(VALU_DEP_2)
	v_lshrrev_b32_e32 v4, 16, v4
	v_lshlrev_b64_e32 v[2:3], 1, v[2:3]
	s_delay_alu instid0(VALU_DEP_2) | instskip(SKIP_1) | instid1(VALU_DEP_2)
	v_cndmask_b32_e64 v4, 0x7fc0, v4, s0
	s_wait_kmcnt 0x0
	v_add_co_u32 v2, s0, s8, v2
	s_wait_alu 0xf1ff
	s_delay_alu instid0(VALU_DEP_3)
	v_add_co_ci_u32_e64 v3, null, s9, v3, s0
	global_store_b16 v[2:3], v4, off
.LBB168_18:
	s_or_b32 exec_lo, exec_lo, s1
	v_add_nc_u32_e32 v2, 32, v0
	s_delay_alu instid0(VALU_DEP_1)
	v_cmp_gt_u32_e64 s0, s12, v2
	s_and_saveexec_b32 s2, s0
	s_cbranch_execz .LBB168_20
; %bb.19:
	v_bfe_u32 v4, v147, 16, 1
	v_add_nc_u32_e32 v3, v2, v5
	v_cmp_o_f32_e64 s1, v147, v147
	s_delay_alu instid0(VALU_DEP_3) | instskip(SKIP_1) | instid1(VALU_DEP_2)
	v_add3_u32 v6, v147, v4, 0x7fff
	v_mov_b32_e32 v4, 0
	v_lshrrev_b32_e32 v6, 16, v6
	s_delay_alu instid0(VALU_DEP_2) | instskip(SKIP_1) | instid1(VALU_DEP_2)
	v_lshlrev_b64_e32 v[3:4], 1, v[3:4]
	s_wait_alu 0xf1ff
	v_cndmask_b32_e64 v6, 0x7fc0, v6, s1
	s_wait_kmcnt 0x0
	s_delay_alu instid0(VALU_DEP_2)
	v_add_co_u32 v3, s1, s8, v3
	s_wait_alu 0xf1ff
	v_add_co_ci_u32_e64 v4, null, s9, v4, s1
	global_store_b16 v[3:4], v6, off
.LBB168_20:
	s_wait_alu 0xfffe
	s_or_b32 exec_lo, exec_lo, s2
	v_add_nc_u32_e32 v3, 64, v0
	s_delay_alu instid0(VALU_DEP_1)
	v_cmp_gt_u32_e64 s1, s12, v3
	s_and_saveexec_b32 s3, s1
	s_cbranch_execz .LBB168_22
; %bb.21:
	v_bfe_u32 v4, v51, 16, 1
	v_dual_mov_b32 v7, 0 :: v_dual_add_nc_u32 v6, v3, v5
	v_cmp_o_f32_e64 s2, v51, v51
	s_delay_alu instid0(VALU_DEP_3) | instskip(NEXT) | instid1(VALU_DEP_3)
	v_add3_u32 v4, v51, v4, 0x7fff
	v_lshlrev_b64_e32 v[6:7], 1, v[6:7]
	s_delay_alu instid0(VALU_DEP_2) | instskip(SKIP_1) | instid1(VALU_DEP_1)
	v_lshrrev_b32_e32 v4, 16, v4
	s_wait_alu 0xf1ff
	v_cndmask_b32_e64 v4, 0x7fc0, v4, s2
	s_wait_kmcnt 0x0
	s_delay_alu instid0(VALU_DEP_3)
	v_add_co_u32 v6, s2, s8, v6
	s_wait_alu 0xf1ff
	v_add_co_ci_u32_e64 v7, null, s9, v7, s2
	global_store_b16 v[6:7], v4, off
.LBB168_22:
	s_wait_alu 0xfffe
	s_or_b32 exec_lo, exec_lo, s3
	v_add_nc_u32_e32 v4, 0x60, v0
	s_delay_alu instid0(VALU_DEP_1)
	v_cmp_gt_u32_e64 s2, s12, v4
	s_and_saveexec_b32 s4, s2
	s_cbranch_execz .LBB168_24
; %bb.23:
	v_bfe_u32 v6, v74, 16, 1
	v_add_nc_u32_e32 v5, v4, v5
	v_cmp_o_f32_e64 s3, v74, v74
	s_delay_alu instid0(VALU_DEP_3) | instskip(SKIP_1) | instid1(VALU_DEP_2)
	v_add3_u32 v7, v74, v6, 0x7fff
	v_mov_b32_e32 v6, 0
	v_lshrrev_b32_e32 v7, 16, v7
	s_delay_alu instid0(VALU_DEP_2) | instskip(SKIP_1) | instid1(VALU_DEP_2)
	v_lshlrev_b64_e32 v[5:6], 1, v[5:6]
	s_wait_alu 0xf1ff
	v_cndmask_b32_e64 v7, 0x7fc0, v7, s3
	s_wait_kmcnt 0x0
	s_delay_alu instid0(VALU_DEP_2)
	v_add_co_u32 v5, s3, s8, v5
	s_wait_alu 0xf1ff
	v_add_co_ci_u32_e64 v6, null, s9, v6, s3
	global_store_b16 v[5:6], v7, off
.LBB168_24:
	s_wait_alu 0xfffe
	s_or_b32 exec_lo, exec_lo, s4
	v_add3_u32 v5, v1, s13, 8
	s_delay_alu instid0(VALU_DEP_1)
	v_cmp_gt_u32_e64 s3, s6, v5
	s_and_b32 exec_lo, exec_lo, s3
	s_cbranch_execz .LBB168_66
; %bb.25:
	v_mul_lo_u32 v5, v5, s12
	s_and_saveexec_b32 s4, vcc_lo
	s_cbranch_execnz .LBB168_67
; %bb.26:
	s_wait_alu 0xfffe
	s_or_b32 exec_lo, exec_lo, s4
	s_and_saveexec_b32 s4, s0
	s_cbranch_execnz .LBB168_68
.LBB168_27:
	s_wait_alu 0xfffe
	s_or_b32 exec_lo, exec_lo, s4
	s_and_saveexec_b32 s4, s1
	s_cbranch_execnz .LBB168_69
.LBB168_28:
	s_wait_alu 0xfffe
	s_or_b32 exec_lo, exec_lo, s4
	s_and_saveexec_b32 s4, s2
	s_cbranch_execz .LBB168_30
.LBB168_29:
	v_bfe_u32 v6, v64, 16, 1
	v_add_nc_u32_e32 v5, v5, v4
	v_cmp_o_f32_e64 s3, v64, v64
	s_delay_alu instid0(VALU_DEP_3) | instskip(SKIP_1) | instid1(VALU_DEP_2)
	v_add3_u32 v7, v64, v6, 0x7fff
	v_mov_b32_e32 v6, 0
	v_lshrrev_b32_e32 v7, 16, v7
	s_delay_alu instid0(VALU_DEP_2) | instskip(SKIP_1) | instid1(VALU_DEP_2)
	v_lshlrev_b64_e32 v[5:6], 1, v[5:6]
	s_wait_alu 0xf1ff
	v_cndmask_b32_e64 v7, 0x7fc0, v7, s3
	s_wait_kmcnt 0x0
	s_delay_alu instid0(VALU_DEP_2)
	v_add_co_u32 v5, s3, s8, v5
	s_wait_alu 0xf1ff
	v_add_co_ci_u32_e64 v6, null, s9, v6, s3
	global_store_b16 v[5:6], v7, off
.LBB168_30:
	s_wait_alu 0xfffe
	s_or_b32 exec_lo, exec_lo, s4
	v_add3_u32 v5, v1, s13, 16
	s_delay_alu instid0(VALU_DEP_1)
	v_cmp_gt_u32_e64 s3, s6, v5
	s_and_b32 exec_lo, exec_lo, s3
	s_cbranch_execz .LBB168_66
; %bb.31:
	v_mul_lo_u32 v5, v5, s12
	s_and_saveexec_b32 s4, vcc_lo
	s_cbranch_execnz .LBB168_70
; %bb.32:
	s_wait_alu 0xfffe
	s_or_b32 exec_lo, exec_lo, s4
	s_and_saveexec_b32 s4, s0
	s_cbranch_execnz .LBB168_71
.LBB168_33:
	s_wait_alu 0xfffe
	s_or_b32 exec_lo, exec_lo, s4
	s_and_saveexec_b32 s4, s1
	s_cbranch_execnz .LBB168_72
.LBB168_34:
	s_wait_alu 0xfffe
	s_or_b32 exec_lo, exec_lo, s4
	s_and_saveexec_b32 s4, s2
	s_cbranch_execz .LBB168_36
.LBB168_35:
	v_bfe_u32 v6, v45, 16, 1
	v_add_nc_u32_e32 v5, v5, v4
	v_cmp_o_f32_e64 s3, v45, v45
	s_delay_alu instid0(VALU_DEP_3) | instskip(SKIP_1) | instid1(VALU_DEP_2)
	v_add3_u32 v7, v45, v6, 0x7fff
	v_mov_b32_e32 v6, 0
	v_lshrrev_b32_e32 v7, 16, v7
	s_delay_alu instid0(VALU_DEP_2) | instskip(SKIP_1) | instid1(VALU_DEP_2)
	v_lshlrev_b64_e32 v[5:6], 1, v[5:6]
	s_wait_alu 0xf1ff
	v_cndmask_b32_e64 v7, 0x7fc0, v7, s3
	s_wait_kmcnt 0x0
	s_delay_alu instid0(VALU_DEP_2)
	v_add_co_u32 v5, s3, s8, v5
	s_wait_alu 0xf1ff
	v_add_co_ci_u32_e64 v6, null, s9, v6, s3
	global_store_b16 v[5:6], v7, off
.LBB168_36:
	s_wait_alu 0xfffe
	s_or_b32 exec_lo, exec_lo, s4
	v_add3_u32 v5, v1, s13, 24
	s_delay_alu instid0(VALU_DEP_1)
	v_cmp_gt_u32_e64 s3, s6, v5
	s_and_b32 exec_lo, exec_lo, s3
	s_cbranch_execz .LBB168_66
; %bb.37:
	v_mul_lo_u32 v5, v5, s12
	s_and_saveexec_b32 s4, vcc_lo
	s_cbranch_execnz .LBB168_73
; %bb.38:
	s_wait_alu 0xfffe
	s_or_b32 exec_lo, exec_lo, s4
	s_and_saveexec_b32 s4, s0
	s_cbranch_execnz .LBB168_74
.LBB168_39:
	s_wait_alu 0xfffe
	s_or_b32 exec_lo, exec_lo, s4
	s_and_saveexec_b32 s4, s1
	s_cbranch_execnz .LBB168_75
.LBB168_40:
	s_wait_alu 0xfffe
	s_or_b32 exec_lo, exec_lo, s4
	s_and_saveexec_b32 s4, s2
	s_cbranch_execz .LBB168_42
.LBB168_41:
	v_bfe_u32 v6, v40, 16, 1
	v_add_nc_u32_e32 v5, v5, v4
	v_cmp_o_f32_e64 s3, v40, v40
	s_delay_alu instid0(VALU_DEP_3) | instskip(SKIP_1) | instid1(VALU_DEP_2)
	v_add3_u32 v7, v40, v6, 0x7fff
	v_mov_b32_e32 v6, 0
	v_lshrrev_b32_e32 v7, 16, v7
	s_delay_alu instid0(VALU_DEP_2) | instskip(SKIP_1) | instid1(VALU_DEP_2)
	v_lshlrev_b64_e32 v[5:6], 1, v[5:6]
	s_wait_alu 0xf1ff
	v_cndmask_b32_e64 v7, 0x7fc0, v7, s3
	s_wait_kmcnt 0x0
	s_delay_alu instid0(VALU_DEP_2)
	v_add_co_u32 v5, s3, s8, v5
	s_wait_alu 0xf1ff
	v_add_co_ci_u32_e64 v6, null, s9, v6, s3
	global_store_b16 v[5:6], v7, off
.LBB168_42:
	s_wait_alu 0xfffe
	s_or_b32 exec_lo, exec_lo, s4
	v_add3_u32 v5, v1, s13, 32
	s_delay_alu instid0(VALU_DEP_1)
	v_cmp_gt_u32_e64 s3, s6, v5
	s_and_b32 exec_lo, exec_lo, s3
	s_cbranch_execz .LBB168_66
; %bb.43:
	v_mul_lo_u32 v5, v5, s12
	s_and_saveexec_b32 s4, vcc_lo
	s_cbranch_execnz .LBB168_76
; %bb.44:
	s_wait_alu 0xfffe
	s_or_b32 exec_lo, exec_lo, s4
	s_and_saveexec_b32 s4, s0
	s_cbranch_execnz .LBB168_77
.LBB168_45:
	s_wait_alu 0xfffe
	s_or_b32 exec_lo, exec_lo, s4
	s_and_saveexec_b32 s4, s1
	s_cbranch_execnz .LBB168_78
.LBB168_46:
	s_wait_alu 0xfffe
	s_or_b32 exec_lo, exec_lo, s4
	s_and_saveexec_b32 s4, s2
	s_cbranch_execz .LBB168_48
.LBB168_47:
	v_bfe_u32 v6, v33, 16, 1
	v_add_nc_u32_e32 v5, v5, v4
	v_cmp_o_f32_e64 s3, v33, v33
	s_delay_alu instid0(VALU_DEP_3) | instskip(SKIP_1) | instid1(VALU_DEP_2)
	v_add3_u32 v7, v33, v6, 0x7fff
	v_mov_b32_e32 v6, 0
	v_lshrrev_b32_e32 v7, 16, v7
	s_delay_alu instid0(VALU_DEP_2) | instskip(SKIP_1) | instid1(VALU_DEP_2)
	v_lshlrev_b64_e32 v[5:6], 1, v[5:6]
	s_wait_alu 0xf1ff
	v_cndmask_b32_e64 v7, 0x7fc0, v7, s3
	s_wait_kmcnt 0x0
	s_delay_alu instid0(VALU_DEP_2)
	v_add_co_u32 v5, s3, s8, v5
	s_wait_alu 0xf1ff
	v_add_co_ci_u32_e64 v6, null, s9, v6, s3
	global_store_b16 v[5:6], v7, off
.LBB168_48:
	s_wait_alu 0xfffe
	s_or_b32 exec_lo, exec_lo, s4
	v_add3_u32 v5, v1, s13, 40
	s_delay_alu instid0(VALU_DEP_1)
	v_cmp_gt_u32_e64 s3, s6, v5
	s_and_b32 exec_lo, exec_lo, s3
	s_cbranch_execz .LBB168_66
; %bb.49:
	v_mul_lo_u32 v5, v5, s12
	s_and_saveexec_b32 s4, vcc_lo
	s_cbranch_execnz .LBB168_79
; %bb.50:
	s_wait_alu 0xfffe
	s_or_b32 exec_lo, exec_lo, s4
	s_and_saveexec_b32 s4, s0
	s_cbranch_execnz .LBB168_80
.LBB168_51:
	s_wait_alu 0xfffe
	s_or_b32 exec_lo, exec_lo, s4
	s_and_saveexec_b32 s4, s1
	s_cbranch_execnz .LBB168_81
.LBB168_52:
	s_wait_alu 0xfffe
	s_or_b32 exec_lo, exec_lo, s4
	s_and_saveexec_b32 s4, s2
	s_cbranch_execz .LBB168_54
.LBB168_53:
	v_bfe_u32 v6, v29, 16, 1
	v_add_nc_u32_e32 v5, v5, v4
	v_cmp_o_f32_e64 s3, v29, v29
	s_delay_alu instid0(VALU_DEP_3) | instskip(SKIP_1) | instid1(VALU_DEP_2)
	v_add3_u32 v7, v29, v6, 0x7fff
	v_mov_b32_e32 v6, 0
	v_lshrrev_b32_e32 v7, 16, v7
	s_delay_alu instid0(VALU_DEP_2) | instskip(SKIP_1) | instid1(VALU_DEP_2)
	v_lshlrev_b64_e32 v[5:6], 1, v[5:6]
	s_wait_alu 0xf1ff
	v_cndmask_b32_e64 v7, 0x7fc0, v7, s3
	s_wait_kmcnt 0x0
	s_delay_alu instid0(VALU_DEP_2)
	v_add_co_u32 v5, s3, s8, v5
	s_wait_alu 0xf1ff
	v_add_co_ci_u32_e64 v6, null, s9, v6, s3
	global_store_b16 v[5:6], v7, off
.LBB168_54:
	s_wait_alu 0xfffe
	s_or_b32 exec_lo, exec_lo, s4
	v_add3_u32 v5, v1, s13, 48
	s_delay_alu instid0(VALU_DEP_1)
	v_cmp_gt_u32_e64 s3, s6, v5
	s_and_b32 exec_lo, exec_lo, s3
	s_cbranch_execz .LBB168_66
; %bb.55:
	v_mul_lo_u32 v5, v5, s12
	s_and_saveexec_b32 s4, vcc_lo
	s_cbranch_execnz .LBB168_82
; %bb.56:
	s_wait_alu 0xfffe
	s_or_b32 exec_lo, exec_lo, s4
	s_and_saveexec_b32 s4, s0
	s_cbranch_execnz .LBB168_83
.LBB168_57:
	s_wait_alu 0xfffe
	s_or_b32 exec_lo, exec_lo, s4
	s_and_saveexec_b32 s4, s1
	s_cbranch_execnz .LBB168_84
.LBB168_58:
	s_wait_alu 0xfffe
	s_or_b32 exec_lo, exec_lo, s4
	s_and_saveexec_b32 s4, s2
	s_cbranch_execz .LBB168_60
.LBB168_59:
	v_bfe_u32 v6, v122, 16, 1
	v_add_nc_u32_e32 v5, v5, v4
	v_cmp_o_f32_e64 s3, v122, v122
	s_delay_alu instid0(VALU_DEP_3) | instskip(SKIP_1) | instid1(VALU_DEP_2)
	v_add3_u32 v7, v122, v6, 0x7fff
	v_mov_b32_e32 v6, 0
	v_lshrrev_b32_e32 v7, 16, v7
	s_delay_alu instid0(VALU_DEP_2) | instskip(SKIP_1) | instid1(VALU_DEP_2)
	v_lshlrev_b64_e32 v[5:6], 1, v[5:6]
	s_wait_alu 0xf1ff
	v_cndmask_b32_e64 v7, 0x7fc0, v7, s3
	s_wait_kmcnt 0x0
	s_delay_alu instid0(VALU_DEP_2)
	v_add_co_u32 v5, s3, s8, v5
	s_wait_alu 0xf1ff
	v_add_co_ci_u32_e64 v6, null, s9, v6, s3
	global_store_b16 v[5:6], v7, off
.LBB168_60:
	s_wait_alu 0xfffe
	s_or_b32 exec_lo, exec_lo, s4
	v_add3_u32 v1, v1, s13, 56
	s_delay_alu instid0(VALU_DEP_1)
	v_cmp_gt_u32_e64 s3, s6, v1
	s_and_b32 exec_lo, exec_lo, s3
	s_cbranch_execz .LBB168_66
; %bb.61:
	v_mul_lo_u32 v1, v1, s12
	s_and_saveexec_b32 s3, vcc_lo
	s_cbranch_execnz .LBB168_85
; %bb.62:
	s_wait_alu 0xfffe
	s_or_b32 exec_lo, exec_lo, s3
	s_and_saveexec_b32 s3, s0
	s_cbranch_execnz .LBB168_86
.LBB168_63:
	s_wait_alu 0xfffe
	s_or_b32 exec_lo, exec_lo, s3
	s_and_saveexec_b32 s0, s1
	s_cbranch_execnz .LBB168_87
.LBB168_64:
	s_wait_alu 0xfffe
	s_or_b32 exec_lo, exec_lo, s0
	s_delay_alu instid0(SALU_CYCLE_1)
	s_and_b32 exec_lo, exec_lo, s2
	s_cbranch_execz .LBB168_66
.LBB168_65:
	v_bfe_u32 v2, v20, 16, 1
	v_dual_mov_b32 v1, 0 :: v_dual_add_nc_u32 v0, v1, v4
	v_cmp_o_f32_e32 vcc_lo, v20, v20
	s_delay_alu instid0(VALU_DEP_3) | instskip(NEXT) | instid1(VALU_DEP_3)
	v_add3_u32 v2, v20, v2, 0x7fff
	v_lshlrev_b64_e32 v[0:1], 1, v[0:1]
	s_delay_alu instid0(VALU_DEP_2) | instskip(SKIP_1) | instid1(VALU_DEP_1)
	v_lshrrev_b32_e32 v2, 16, v2
	s_wait_alu 0xfffd
	v_cndmask_b32_e32 v2, 0x7fc0, v2, vcc_lo
	s_wait_kmcnt 0x0
	s_delay_alu instid0(VALU_DEP_3)
	v_add_co_u32 v0, vcc_lo, s8, v0
	s_wait_alu 0xfffd
	v_add_co_ci_u32_e64 v1, null, s9, v1, vcc_lo
	global_store_b16 v[0:1], v2, off
.LBB168_66:
	s_nop 0
	s_sendmsg sendmsg(MSG_DEALLOC_VGPRS)
	s_endpgm
.LBB168_67:
	v_bfe_u32 v7, v68, 16, 1
	s_delay_alu instid0(VALU_DEP_2) | instskip(SKIP_1) | instid1(VALU_DEP_3)
	v_add_nc_u32_e32 v6, v5, v0
	v_cmp_o_f32_e64 s3, v68, v68
	v_add3_u32 v8, v68, v7, 0x7fff
	v_mov_b32_e32 v7, 0
	s_delay_alu instid0(VALU_DEP_2) | instskip(NEXT) | instid1(VALU_DEP_2)
	v_lshrrev_b32_e32 v8, 16, v8
	v_lshlrev_b64_e32 v[6:7], 1, v[6:7]
	s_wait_alu 0xf1ff
	s_delay_alu instid0(VALU_DEP_2) | instskip(SKIP_1) | instid1(VALU_DEP_2)
	v_cndmask_b32_e64 v8, 0x7fc0, v8, s3
	s_wait_kmcnt 0x0
	v_add_co_u32 v6, s3, s8, v6
	s_wait_alu 0xf1ff
	v_add_co_ci_u32_e64 v7, null, s9, v7, s3
	global_store_b16 v[6:7], v8, off
	s_wait_alu 0xfffe
	s_or_b32 exec_lo, exec_lo, s4
	s_and_saveexec_b32 s4, s0
	s_cbranch_execz .LBB168_27
.LBB168_68:
	v_bfe_u32 v7, v67, 16, 1
	v_add_nc_u32_e32 v6, v5, v2
	v_cmp_o_f32_e64 s3, v67, v67
	s_delay_alu instid0(VALU_DEP_3) | instskip(SKIP_1) | instid1(VALU_DEP_2)
	v_add3_u32 v8, v67, v7, 0x7fff
	v_mov_b32_e32 v7, 0
	v_lshrrev_b32_e32 v8, 16, v8
	s_delay_alu instid0(VALU_DEP_2) | instskip(SKIP_1) | instid1(VALU_DEP_2)
	v_lshlrev_b64_e32 v[6:7], 1, v[6:7]
	s_wait_alu 0xf1ff
	v_cndmask_b32_e64 v8, 0x7fc0, v8, s3
	s_wait_kmcnt 0x0
	s_delay_alu instid0(VALU_DEP_2)
	v_add_co_u32 v6, s3, s8, v6
	s_wait_alu 0xf1ff
	v_add_co_ci_u32_e64 v7, null, s9, v7, s3
	global_store_b16 v[6:7], v8, off
	s_wait_alu 0xfffe
	s_or_b32 exec_lo, exec_lo, s4
	s_and_saveexec_b32 s4, s1
	s_cbranch_execz .LBB168_28
.LBB168_69:
	v_bfe_u32 v7, v66, 16, 1
	v_add_nc_u32_e32 v6, v5, v3
	v_cmp_o_f32_e64 s3, v66, v66
	s_delay_alu instid0(VALU_DEP_3) | instskip(SKIP_1) | instid1(VALU_DEP_2)
	v_add3_u32 v8, v66, v7, 0x7fff
	v_mov_b32_e32 v7, 0
	v_lshrrev_b32_e32 v8, 16, v8
	s_delay_alu instid0(VALU_DEP_2) | instskip(SKIP_1) | instid1(VALU_DEP_2)
	v_lshlrev_b64_e32 v[6:7], 1, v[6:7]
	s_wait_alu 0xf1ff
	v_cndmask_b32_e64 v8, 0x7fc0, v8, s3
	s_wait_kmcnt 0x0
	s_delay_alu instid0(VALU_DEP_2)
	v_add_co_u32 v6, s3, s8, v6
	s_wait_alu 0xf1ff
	v_add_co_ci_u32_e64 v7, null, s9, v7, s3
	global_store_b16 v[6:7], v8, off
	s_wait_alu 0xfffe
	s_or_b32 exec_lo, exec_lo, s4
	s_and_saveexec_b32 s4, s2
	s_cbranch_execnz .LBB168_29
	s_branch .LBB168_30
.LBB168_70:
	v_bfe_u32 v7, v63, 16, 1
	s_delay_alu instid0(VALU_DEP_2) | instskip(SKIP_1) | instid1(VALU_DEP_3)
	v_add_nc_u32_e32 v6, v5, v0
	v_cmp_o_f32_e64 s3, v63, v63
	v_add3_u32 v8, v63, v7, 0x7fff
	v_mov_b32_e32 v7, 0
	s_delay_alu instid0(VALU_DEP_2) | instskip(NEXT) | instid1(VALU_DEP_2)
	v_lshrrev_b32_e32 v8, 16, v8
	v_lshlrev_b64_e32 v[6:7], 1, v[6:7]
	s_wait_alu 0xf1ff
	s_delay_alu instid0(VALU_DEP_2) | instskip(SKIP_1) | instid1(VALU_DEP_2)
	v_cndmask_b32_e64 v8, 0x7fc0, v8, s3
	s_wait_kmcnt 0x0
	v_add_co_u32 v6, s3, s8, v6
	s_wait_alu 0xf1ff
	v_add_co_ci_u32_e64 v7, null, s9, v7, s3
	global_store_b16 v[6:7], v8, off
	s_wait_alu 0xfffe
	s_or_b32 exec_lo, exec_lo, s4
	s_and_saveexec_b32 s4, s0
	s_cbranch_execz .LBB168_33
.LBB168_71:
	v_bfe_u32 v7, v62, 16, 1
	v_add_nc_u32_e32 v6, v5, v2
	v_cmp_o_f32_e64 s3, v62, v62
	s_delay_alu instid0(VALU_DEP_3) | instskip(SKIP_1) | instid1(VALU_DEP_2)
	v_add3_u32 v8, v62, v7, 0x7fff
	v_mov_b32_e32 v7, 0
	v_lshrrev_b32_e32 v8, 16, v8
	s_delay_alu instid0(VALU_DEP_2) | instskip(SKIP_1) | instid1(VALU_DEP_2)
	v_lshlrev_b64_e32 v[6:7], 1, v[6:7]
	s_wait_alu 0xf1ff
	v_cndmask_b32_e64 v8, 0x7fc0, v8, s3
	s_wait_kmcnt 0x0
	s_delay_alu instid0(VALU_DEP_2)
	v_add_co_u32 v6, s3, s8, v6
	s_wait_alu 0xf1ff
	v_add_co_ci_u32_e64 v7, null, s9, v7, s3
	global_store_b16 v[6:7], v8, off
	s_wait_alu 0xfffe
	s_or_b32 exec_lo, exec_lo, s4
	s_and_saveexec_b32 s4, s1
	s_cbranch_execz .LBB168_34
.LBB168_72:
	v_bfe_u32 v7, v56, 16, 1
	v_add_nc_u32_e32 v6, v5, v3
	v_cmp_o_f32_e64 s3, v56, v56
	s_delay_alu instid0(VALU_DEP_3) | instskip(SKIP_1) | instid1(VALU_DEP_2)
	v_add3_u32 v8, v56, v7, 0x7fff
	v_mov_b32_e32 v7, 0
	v_lshrrev_b32_e32 v8, 16, v8
	s_delay_alu instid0(VALU_DEP_2) | instskip(SKIP_1) | instid1(VALU_DEP_2)
	v_lshlrev_b64_e32 v[6:7], 1, v[6:7]
	s_wait_alu 0xf1ff
	v_cndmask_b32_e64 v8, 0x7fc0, v8, s3
	s_wait_kmcnt 0x0
	s_delay_alu instid0(VALU_DEP_2)
	v_add_co_u32 v6, s3, s8, v6
	s_wait_alu 0xf1ff
	v_add_co_ci_u32_e64 v7, null, s9, v7, s3
	global_store_b16 v[6:7], v8, off
	s_wait_alu 0xfffe
	s_or_b32 exec_lo, exec_lo, s4
	s_and_saveexec_b32 s4, s2
	s_cbranch_execnz .LBB168_35
	s_branch .LBB168_36
.LBB168_73:
	v_bfe_u32 v7, v43, 16, 1
	s_delay_alu instid0(VALU_DEP_2) | instskip(SKIP_1) | instid1(VALU_DEP_3)
	v_add_nc_u32_e32 v6, v5, v0
	v_cmp_o_f32_e64 s3, v43, v43
	v_add3_u32 v8, v43, v7, 0x7fff
	v_mov_b32_e32 v7, 0
	s_delay_alu instid0(VALU_DEP_2) | instskip(NEXT) | instid1(VALU_DEP_2)
	v_lshrrev_b32_e32 v8, 16, v8
	v_lshlrev_b64_e32 v[6:7], 1, v[6:7]
	s_wait_alu 0xf1ff
	s_delay_alu instid0(VALU_DEP_2) | instskip(SKIP_1) | instid1(VALU_DEP_2)
	v_cndmask_b32_e64 v8, 0x7fc0, v8, s3
	s_wait_kmcnt 0x0
	v_add_co_u32 v6, s3, s8, v6
	s_wait_alu 0xf1ff
	v_add_co_ci_u32_e64 v7, null, s9, v7, s3
	global_store_b16 v[6:7], v8, off
	s_wait_alu 0xfffe
	s_or_b32 exec_lo, exec_lo, s4
	s_and_saveexec_b32 s4, s0
	s_cbranch_execz .LBB168_39
.LBB168_74:
	v_bfe_u32 v7, v42, 16, 1
	v_add_nc_u32_e32 v6, v5, v2
	v_cmp_o_f32_e64 s3, v42, v42
	s_delay_alu instid0(VALU_DEP_3) | instskip(SKIP_1) | instid1(VALU_DEP_2)
	v_add3_u32 v8, v42, v7, 0x7fff
	v_mov_b32_e32 v7, 0
	v_lshrrev_b32_e32 v8, 16, v8
	s_delay_alu instid0(VALU_DEP_2) | instskip(SKIP_1) | instid1(VALU_DEP_2)
	v_lshlrev_b64_e32 v[6:7], 1, v[6:7]
	s_wait_alu 0xf1ff
	v_cndmask_b32_e64 v8, 0x7fc0, v8, s3
	s_wait_kmcnt 0x0
	s_delay_alu instid0(VALU_DEP_2)
	v_add_co_u32 v6, s3, s8, v6
	s_wait_alu 0xf1ff
	v_add_co_ci_u32_e64 v7, null, s9, v7, s3
	global_store_b16 v[6:7], v8, off
	s_wait_alu 0xfffe
	s_or_b32 exec_lo, exec_lo, s4
	s_and_saveexec_b32 s4, s1
	s_cbranch_execz .LBB168_40
.LBB168_75:
	v_bfe_u32 v7, v41, 16, 1
	v_add_nc_u32_e32 v6, v5, v3
	v_cmp_o_f32_e64 s3, v41, v41
	s_delay_alu instid0(VALU_DEP_3) | instskip(SKIP_1) | instid1(VALU_DEP_2)
	v_add3_u32 v8, v41, v7, 0x7fff
	v_mov_b32_e32 v7, 0
	v_lshrrev_b32_e32 v8, 16, v8
	s_delay_alu instid0(VALU_DEP_2) | instskip(SKIP_1) | instid1(VALU_DEP_2)
	v_lshlrev_b64_e32 v[6:7], 1, v[6:7]
	s_wait_alu 0xf1ff
	v_cndmask_b32_e64 v8, 0x7fc0, v8, s3
	s_wait_kmcnt 0x0
	s_delay_alu instid0(VALU_DEP_2)
	v_add_co_u32 v6, s3, s8, v6
	s_wait_alu 0xf1ff
	v_add_co_ci_u32_e64 v7, null, s9, v7, s3
	global_store_b16 v[6:7], v8, off
	s_wait_alu 0xfffe
	s_or_b32 exec_lo, exec_lo, s4
	s_and_saveexec_b32 s4, s2
	s_cbranch_execnz .LBB168_41
	s_branch .LBB168_42
.LBB168_76:
	v_bfe_u32 v7, v38, 16, 1
	s_delay_alu instid0(VALU_DEP_2) | instskip(SKIP_1) | instid1(VALU_DEP_3)
	v_add_nc_u32_e32 v6, v5, v0
	v_cmp_o_f32_e64 s3, v38, v38
	v_add3_u32 v8, v38, v7, 0x7fff
	v_mov_b32_e32 v7, 0
	s_delay_alu instid0(VALU_DEP_2) | instskip(NEXT) | instid1(VALU_DEP_2)
	v_lshrrev_b32_e32 v8, 16, v8
	v_lshlrev_b64_e32 v[6:7], 1, v[6:7]
	s_wait_alu 0xf1ff
	s_delay_alu instid0(VALU_DEP_2) | instskip(SKIP_1) | instid1(VALU_DEP_2)
	v_cndmask_b32_e64 v8, 0x7fc0, v8, s3
	s_wait_kmcnt 0x0
	v_add_co_u32 v6, s3, s8, v6
	s_wait_alu 0xf1ff
	v_add_co_ci_u32_e64 v7, null, s9, v7, s3
	global_store_b16 v[6:7], v8, off
	s_wait_alu 0xfffe
	s_or_b32 exec_lo, exec_lo, s4
	s_and_saveexec_b32 s4, s0
	s_cbranch_execz .LBB168_45
.LBB168_77:
	v_bfe_u32 v7, v35, 16, 1
	v_add_nc_u32_e32 v6, v5, v2
	v_cmp_o_f32_e64 s3, v35, v35
	s_delay_alu instid0(VALU_DEP_3) | instskip(SKIP_1) | instid1(VALU_DEP_2)
	v_add3_u32 v8, v35, v7, 0x7fff
	v_mov_b32_e32 v7, 0
	v_lshrrev_b32_e32 v8, 16, v8
	s_delay_alu instid0(VALU_DEP_2) | instskip(SKIP_1) | instid1(VALU_DEP_2)
	v_lshlrev_b64_e32 v[6:7], 1, v[6:7]
	s_wait_alu 0xf1ff
	v_cndmask_b32_e64 v8, 0x7fc0, v8, s3
	s_wait_kmcnt 0x0
	s_delay_alu instid0(VALU_DEP_2)
	v_add_co_u32 v6, s3, s8, v6
	s_wait_alu 0xf1ff
	v_add_co_ci_u32_e64 v7, null, s9, v7, s3
	global_store_b16 v[6:7], v8, off
	s_wait_alu 0xfffe
	s_or_b32 exec_lo, exec_lo, s4
	s_and_saveexec_b32 s4, s1
	s_cbranch_execz .LBB168_46
.LBB168_78:
	v_bfe_u32 v7, v34, 16, 1
	v_add_nc_u32_e32 v6, v5, v3
	v_cmp_o_f32_e64 s3, v34, v34
	s_delay_alu instid0(VALU_DEP_3) | instskip(SKIP_1) | instid1(VALU_DEP_2)
	v_add3_u32 v8, v34, v7, 0x7fff
	v_mov_b32_e32 v7, 0
	v_lshrrev_b32_e32 v8, 16, v8
	s_delay_alu instid0(VALU_DEP_2) | instskip(SKIP_1) | instid1(VALU_DEP_2)
	v_lshlrev_b64_e32 v[6:7], 1, v[6:7]
	s_wait_alu 0xf1ff
	v_cndmask_b32_e64 v8, 0x7fc0, v8, s3
	s_wait_kmcnt 0x0
	s_delay_alu instid0(VALU_DEP_2)
	v_add_co_u32 v6, s3, s8, v6
	s_wait_alu 0xf1ff
	v_add_co_ci_u32_e64 v7, null, s9, v7, s3
	global_store_b16 v[6:7], v8, off
	s_wait_alu 0xfffe
	s_or_b32 exec_lo, exec_lo, s4
	s_and_saveexec_b32 s4, s2
	s_cbranch_execnz .LBB168_47
	s_branch .LBB168_48
.LBB168_79:
	v_bfe_u32 v7, v32, 16, 1
	s_delay_alu instid0(VALU_DEP_2) | instskip(SKIP_1) | instid1(VALU_DEP_3)
	v_add_nc_u32_e32 v6, v5, v0
	v_cmp_o_f32_e64 s3, v32, v32
	v_add3_u32 v8, v32, v7, 0x7fff
	v_mov_b32_e32 v7, 0
	s_delay_alu instid0(VALU_DEP_2) | instskip(NEXT) | instid1(VALU_DEP_2)
	v_lshrrev_b32_e32 v8, 16, v8
	v_lshlrev_b64_e32 v[6:7], 1, v[6:7]
	s_wait_alu 0xf1ff
	s_delay_alu instid0(VALU_DEP_2) | instskip(SKIP_1) | instid1(VALU_DEP_2)
	v_cndmask_b32_e64 v8, 0x7fc0, v8, s3
	s_wait_kmcnt 0x0
	v_add_co_u32 v6, s3, s8, v6
	s_wait_alu 0xf1ff
	v_add_co_ci_u32_e64 v7, null, s9, v7, s3
	global_store_b16 v[6:7], v8, off
	s_wait_alu 0xfffe
	s_or_b32 exec_lo, exec_lo, s4
	s_and_saveexec_b32 s4, s0
	s_cbranch_execz .LBB168_51
.LBB168_80:
	v_bfe_u32 v7, v31, 16, 1
	v_add_nc_u32_e32 v6, v5, v2
	v_cmp_o_f32_e64 s3, v31, v31
	s_delay_alu instid0(VALU_DEP_3) | instskip(SKIP_1) | instid1(VALU_DEP_2)
	v_add3_u32 v8, v31, v7, 0x7fff
	v_mov_b32_e32 v7, 0
	v_lshrrev_b32_e32 v8, 16, v8
	s_delay_alu instid0(VALU_DEP_2) | instskip(SKIP_1) | instid1(VALU_DEP_2)
	v_lshlrev_b64_e32 v[6:7], 1, v[6:7]
	s_wait_alu 0xf1ff
	v_cndmask_b32_e64 v8, 0x7fc0, v8, s3
	s_wait_kmcnt 0x0
	s_delay_alu instid0(VALU_DEP_2)
	v_add_co_u32 v6, s3, s8, v6
	s_wait_alu 0xf1ff
	v_add_co_ci_u32_e64 v7, null, s9, v7, s3
	global_store_b16 v[6:7], v8, off
	s_wait_alu 0xfffe
	s_or_b32 exec_lo, exec_lo, s4
	s_and_saveexec_b32 s4, s1
	s_cbranch_execz .LBB168_52
.LBB168_81:
	v_bfe_u32 v7, v30, 16, 1
	v_add_nc_u32_e32 v6, v5, v3
	v_cmp_o_f32_e64 s3, v30, v30
	s_delay_alu instid0(VALU_DEP_3) | instskip(SKIP_1) | instid1(VALU_DEP_2)
	v_add3_u32 v8, v30, v7, 0x7fff
	v_mov_b32_e32 v7, 0
	v_lshrrev_b32_e32 v8, 16, v8
	s_delay_alu instid0(VALU_DEP_2) | instskip(SKIP_1) | instid1(VALU_DEP_2)
	v_lshlrev_b64_e32 v[6:7], 1, v[6:7]
	s_wait_alu 0xf1ff
	v_cndmask_b32_e64 v8, 0x7fc0, v8, s3
	s_wait_kmcnt 0x0
	s_delay_alu instid0(VALU_DEP_2)
	v_add_co_u32 v6, s3, s8, v6
	s_wait_alu 0xf1ff
	v_add_co_ci_u32_e64 v7, null, s9, v7, s3
	global_store_b16 v[6:7], v8, off
	s_wait_alu 0xfffe
	s_or_b32 exec_lo, exec_lo, s4
	s_and_saveexec_b32 s4, s2
	s_cbranch_execnz .LBB168_53
	s_branch .LBB168_54
.LBB168_82:
	v_bfe_u32 v7, v28, 16, 1
	s_delay_alu instid0(VALU_DEP_2) | instskip(SKIP_1) | instid1(VALU_DEP_3)
	v_add_nc_u32_e32 v6, v5, v0
	v_cmp_o_f32_e64 s3, v28, v28
	v_add3_u32 v8, v28, v7, 0x7fff
	v_mov_b32_e32 v7, 0
	s_delay_alu instid0(VALU_DEP_2) | instskip(NEXT) | instid1(VALU_DEP_2)
	v_lshrrev_b32_e32 v8, 16, v8
	v_lshlrev_b64_e32 v[6:7], 1, v[6:7]
	s_wait_alu 0xf1ff
	s_delay_alu instid0(VALU_DEP_2) | instskip(SKIP_1) | instid1(VALU_DEP_2)
	v_cndmask_b32_e64 v8, 0x7fc0, v8, s3
	s_wait_kmcnt 0x0
	v_add_co_u32 v6, s3, s8, v6
	s_wait_alu 0xf1ff
	v_add_co_ci_u32_e64 v7, null, s9, v7, s3
	global_store_b16 v[6:7], v8, off
	s_wait_alu 0xfffe
	s_or_b32 exec_lo, exec_lo, s4
	s_and_saveexec_b32 s4, s0
	s_cbranch_execz .LBB168_57
.LBB168_83:
	v_bfe_u32 v7, v27, 16, 1
	v_add_nc_u32_e32 v6, v5, v2
	v_cmp_o_f32_e64 s3, v27, v27
	s_delay_alu instid0(VALU_DEP_3) | instskip(SKIP_1) | instid1(VALU_DEP_2)
	v_add3_u32 v8, v27, v7, 0x7fff
	v_mov_b32_e32 v7, 0
	v_lshrrev_b32_e32 v8, 16, v8
	s_delay_alu instid0(VALU_DEP_2) | instskip(SKIP_1) | instid1(VALU_DEP_2)
	v_lshlrev_b64_e32 v[6:7], 1, v[6:7]
	s_wait_alu 0xf1ff
	v_cndmask_b32_e64 v8, 0x7fc0, v8, s3
	s_wait_kmcnt 0x0
	s_delay_alu instid0(VALU_DEP_2)
	v_add_co_u32 v6, s3, s8, v6
	s_wait_alu 0xf1ff
	v_add_co_ci_u32_e64 v7, null, s9, v7, s3
	global_store_b16 v[6:7], v8, off
	s_wait_alu 0xfffe
	s_or_b32 exec_lo, exec_lo, s4
	s_and_saveexec_b32 s4, s1
	s_cbranch_execz .LBB168_58
.LBB168_84:
	v_bfe_u32 v7, v39, 16, 1
	v_add_nc_u32_e32 v6, v5, v3
	v_cmp_o_f32_e64 s3, v39, v39
	s_delay_alu instid0(VALU_DEP_3) | instskip(SKIP_1) | instid1(VALU_DEP_2)
	v_add3_u32 v8, v39, v7, 0x7fff
	v_mov_b32_e32 v7, 0
	v_lshrrev_b32_e32 v8, 16, v8
	s_delay_alu instid0(VALU_DEP_2) | instskip(SKIP_1) | instid1(VALU_DEP_2)
	v_lshlrev_b64_e32 v[6:7], 1, v[6:7]
	s_wait_alu 0xf1ff
	v_cndmask_b32_e64 v8, 0x7fc0, v8, s3
	s_wait_kmcnt 0x0
	s_delay_alu instid0(VALU_DEP_2)
	v_add_co_u32 v6, s3, s8, v6
	s_wait_alu 0xf1ff
	v_add_co_ci_u32_e64 v7, null, s9, v7, s3
	global_store_b16 v[6:7], v8, off
	s_wait_alu 0xfffe
	s_or_b32 exec_lo, exec_lo, s4
	s_and_saveexec_b32 s4, s2
	s_cbranch_execnz .LBB168_59
	s_branch .LBB168_60
.LBB168_85:
	v_bfe_u32 v6, v23, 16, 1
	s_delay_alu instid0(VALU_DEP_2) | instskip(SKIP_1) | instid1(VALU_DEP_3)
	v_add_nc_u32_e32 v5, v1, v0
	v_cmp_o_f32_e32 vcc_lo, v23, v23
	v_add3_u32 v0, v23, v6, 0x7fff
	v_mov_b32_e32 v6, 0
	s_delay_alu instid0(VALU_DEP_2) | instskip(NEXT) | instid1(VALU_DEP_2)
	v_lshrrev_b32_e32 v0, 16, v0
	v_lshlrev_b64_e32 v[5:6], 1, v[5:6]
	s_wait_alu 0xfffd
	s_delay_alu instid0(VALU_DEP_2) | instskip(SKIP_1) | instid1(VALU_DEP_2)
	v_cndmask_b32_e32 v0, 0x7fc0, v0, vcc_lo
	s_wait_kmcnt 0x0
	v_add_co_u32 v5, vcc_lo, s8, v5
	s_wait_alu 0xfffd
	v_add_co_ci_u32_e64 v6, null, s9, v6, vcc_lo
	global_store_b16 v[5:6], v0, off
	s_wait_alu 0xfffe
	s_or_b32 exec_lo, exec_lo, s3
	s_and_saveexec_b32 s3, s0
	s_cbranch_execz .LBB168_63
.LBB168_86:
	v_bfe_u32 v0, v22, 16, 1
	v_dual_mov_b32 v6, 0 :: v_dual_add_nc_u32 v5, v1, v2
	v_cmp_o_f32_e32 vcc_lo, v22, v22
	s_delay_alu instid0(VALU_DEP_3) | instskip(NEXT) | instid1(VALU_DEP_3)
	v_add3_u32 v0, v22, v0, 0x7fff
	v_lshlrev_b64_e32 v[5:6], 1, v[5:6]
	s_delay_alu instid0(VALU_DEP_2) | instskip(SKIP_1) | instid1(VALU_DEP_1)
	v_lshrrev_b32_e32 v0, 16, v0
	s_wait_alu 0xfffd
	v_cndmask_b32_e32 v0, 0x7fc0, v0, vcc_lo
	s_wait_kmcnt 0x0
	s_delay_alu instid0(VALU_DEP_3)
	v_add_co_u32 v5, vcc_lo, s8, v5
	s_wait_alu 0xfffd
	v_add_co_ci_u32_e64 v6, null, s9, v6, vcc_lo
	global_store_b16 v[5:6], v0, off
	s_wait_alu 0xfffe
	s_or_b32 exec_lo, exec_lo, s3
	s_and_saveexec_b32 s0, s1
	s_cbranch_execz .LBB168_64
.LBB168_87:
	v_bfe_u32 v0, v21, 16, 1
	v_dual_mov_b32 v3, 0 :: v_dual_add_nc_u32 v2, v1, v3
	v_cmp_o_f32_e32 vcc_lo, v21, v21
	s_delay_alu instid0(VALU_DEP_3) | instskip(NEXT) | instid1(VALU_DEP_3)
	v_add3_u32 v0, v21, v0, 0x7fff
	v_lshlrev_b64_e32 v[2:3], 1, v[2:3]
	s_delay_alu instid0(VALU_DEP_2) | instskip(SKIP_1) | instid1(VALU_DEP_1)
	v_lshrrev_b32_e32 v0, 16, v0
	s_wait_alu 0xfffd
	v_cndmask_b32_e32 v0, 0x7fc0, v0, vcc_lo
	s_wait_kmcnt 0x0
	s_delay_alu instid0(VALU_DEP_3)
	v_add_co_u32 v2, vcc_lo, s8, v2
	s_wait_alu 0xfffd
	v_add_co_ci_u32_e64 v3, null, s9, v3, vcc_lo
	global_store_b16 v[2:3], v0, off
	s_wait_alu 0xfffe
	s_or_b32 exec_lo, exec_lo, s0
	s_delay_alu instid0(SALU_CYCLE_1)
	s_and_b32 exec_lo, exec_lo, s2
	s_cbranch_execnz .LBB168_65
	s_branch .LBB168_66
	.section	.rodata,"a",@progbits
	.p2align	6, 0x0
	.amdhsa_kernel _ZL12mul_mat_q2_KIN3c108BFloat16ELb1EEvPKvS3_PT_iiiii
		.amdhsa_group_segment_fixed_size 31392
		.amdhsa_private_segment_fixed_size 492
		.amdhsa_kernarg_size 44
		.amdhsa_user_sgpr_count 2
		.amdhsa_user_sgpr_dispatch_ptr 0
		.amdhsa_user_sgpr_queue_ptr 0
		.amdhsa_user_sgpr_kernarg_segment_ptr 1
		.amdhsa_user_sgpr_dispatch_id 0
		.amdhsa_user_sgpr_private_segment_size 0
		.amdhsa_wavefront_size32 1
		.amdhsa_uses_dynamic_stack 0
		.amdhsa_enable_private_segment 1
		.amdhsa_system_sgpr_workgroup_id_x 1
		.amdhsa_system_sgpr_workgroup_id_y 1
		.amdhsa_system_sgpr_workgroup_id_z 0
		.amdhsa_system_sgpr_workgroup_info 0
		.amdhsa_system_vgpr_workitem_id 1
		.amdhsa_next_free_vgpr 256
		.amdhsa_next_free_sgpr 22
		.amdhsa_reserve_vcc 1
		.amdhsa_float_round_mode_32 0
		.amdhsa_float_round_mode_16_64 0
		.amdhsa_float_denorm_mode_32 3
		.amdhsa_float_denorm_mode_16_64 3
		.amdhsa_fp16_overflow 0
		.amdhsa_workgroup_processor_mode 1
		.amdhsa_memory_ordered 1
		.amdhsa_forward_progress 1
		.amdhsa_inst_pref_size 255
		.amdhsa_round_robin_scheduling 0
		.amdhsa_exception_fp_ieee_invalid_op 0
		.amdhsa_exception_fp_denorm_src 0
		.amdhsa_exception_fp_ieee_div_zero 0
		.amdhsa_exception_fp_ieee_overflow 0
		.amdhsa_exception_fp_ieee_underflow 0
		.amdhsa_exception_fp_ieee_inexact 0
		.amdhsa_exception_int_div_zero 0
	.end_amdhsa_kernel
	.section	.text._ZL12mul_mat_q2_KIN3c108BFloat16ELb1EEvPKvS3_PT_iiiii,"axG",@progbits,_ZL12mul_mat_q2_KIN3c108BFloat16ELb1EEvPKvS3_PT_iiiii,comdat
.Lfunc_end168:
	.size	_ZL12mul_mat_q2_KIN3c108BFloat16ELb1EEvPKvS3_PT_iiiii, .Lfunc_end168-_ZL12mul_mat_q2_KIN3c108BFloat16ELb1EEvPKvS3_PT_iiiii
                                        ; -- End function
	.set _ZL12mul_mat_q2_KIN3c108BFloat16ELb1EEvPKvS3_PT_iiiii.num_vgpr, 256
	.set _ZL12mul_mat_q2_KIN3c108BFloat16ELb1EEvPKvS3_PT_iiiii.num_agpr, 0
	.set _ZL12mul_mat_q2_KIN3c108BFloat16ELb1EEvPKvS3_PT_iiiii.numbered_sgpr, 22
	.set _ZL12mul_mat_q2_KIN3c108BFloat16ELb1EEvPKvS3_PT_iiiii.num_named_barrier, 0
	.set _ZL12mul_mat_q2_KIN3c108BFloat16ELb1EEvPKvS3_PT_iiiii.private_seg_size, 492
	.set _ZL12mul_mat_q2_KIN3c108BFloat16ELb1EEvPKvS3_PT_iiiii.uses_vcc, 1
	.set _ZL12mul_mat_q2_KIN3c108BFloat16ELb1EEvPKvS3_PT_iiiii.uses_flat_scratch, 1
	.set _ZL12mul_mat_q2_KIN3c108BFloat16ELb1EEvPKvS3_PT_iiiii.has_dyn_sized_stack, 0
	.set _ZL12mul_mat_q2_KIN3c108BFloat16ELb1EEvPKvS3_PT_iiiii.has_recursion, 0
	.set _ZL12mul_mat_q2_KIN3c108BFloat16ELb1EEvPKvS3_PT_iiiii.has_indirect_call, 0
	.section	.AMDGPU.csdata,"",@progbits
; Kernel info:
; codeLenInByte = 47072
; TotalNumSgprs: 24
; NumVgprs: 256
; ScratchSize: 492
; MemoryBound: 0
; FloatMode: 240
; IeeeMode: 1
; LDSByteSize: 31392 bytes/workgroup (compile time only)
; SGPRBlocks: 0
; VGPRBlocks: 31
; NumSGPRsForWavesPerEU: 24
; NumVGPRsForWavesPerEU: 256
; Occupancy: 5
; WaveLimiterHint : 0
; COMPUTE_PGM_RSRC2:SCRATCH_EN: 1
; COMPUTE_PGM_RSRC2:USER_SGPR: 2
; COMPUTE_PGM_RSRC2:TRAP_HANDLER: 0
; COMPUTE_PGM_RSRC2:TGID_X_EN: 1
; COMPUTE_PGM_RSRC2:TGID_Y_EN: 1
; COMPUTE_PGM_RSRC2:TGID_Z_EN: 0
; COMPUTE_PGM_RSRC2:TIDIG_COMP_CNT: 1
	.section	.text._ZL12mul_mat_q3_KIN3c108BFloat16ELb0EEvPKvS3_PT_iiiii,"axG",@progbits,_ZL12mul_mat_q3_KIN3c108BFloat16ELb0EEvPKvS3_PT_iiiii,comdat
	.globl	_ZL12mul_mat_q3_KIN3c108BFloat16ELb0EEvPKvS3_PT_iiiii ; -- Begin function _ZL12mul_mat_q3_KIN3c108BFloat16ELb0EEvPKvS3_PT_iiiii
	.p2align	8
	.type	_ZL12mul_mat_q3_KIN3c108BFloat16ELb0EEvPKvS3_PT_iiiii,@function
_ZL12mul_mat_q3_KIN3c108BFloat16ELb0EEvPKvS3_PT_iiiii: ; @_ZL12mul_mat_q3_KIN3c108BFloat16ELb0EEvPKvS3_PT_iiiii
; %bb.0:
	s_clause 0x1
	s_load_b32 s10, s[0:1], 0x18
	s_load_b96 s[4:6], s[0:1], 0x20
	v_bfe_u32 v1, v0, 10, 10
	v_and_b32_e32 v25, 0x3ff, v0
	s_lshl_b32 s7, ttmp7, 6
	scratch_store_b32 off, v1, off offset:40 ; 4-byte Folded Spill
	s_wait_kmcnt 0x0
	s_cmp_gt_i32 s10, 0xff
	s_cbranch_scc1 .LBB169_2
; %bb.1:
	v_bfe_u32 v1, v0, 10, 10
	v_and_b32_e32 v2, 0x3ff, v0
	s_mov_b32 s2, 0
	s_delay_alu instid0(VALU_DEP_2)
	v_add_nc_u32_e32 v3, s7, v1
	s_branch .LBB169_3
.LBB169_2:
	s_mov_b32 s2, -1
                                        ; implicit-def: $vgpr1
                                        ; implicit-def: $vgpr2
                                        ; implicit-def: $vgpr3
.LBB169_3:
	s_load_b64 s[8:9], s[0:1], 0x10
	v_dual_mov_b32 v12, 0 :: v_dual_mov_b32 v43, 0
	v_dual_mov_b32 v16, 0 :: v_dual_mov_b32 v47, 0
	;; [unrolled: 1-line block ×16, first 2 shown]
	s_and_not1_b32 vcc_lo, exec_lo, s2
	s_lshl_b32 s14, ttmp9, 7
	s_cbranch_vccnz .LBB169_15
; %bb.4:
	s_ashr_i32 s11, s10, 31
	v_bfe_u32 v24, v0, 10, 10
	s_lshr_b32 s12, s11, 24
	v_and_b32_e32 v6, 1, v0
	s_add_co_i32 s10, s10, s12
	v_and_b32_e32 v3, 15, v0
	s_ashr_i32 s15, s10, 8
	v_dual_mov_b32 v27, 0 :: v_dual_lshlrev_b32 v20, 2, v25
	s_lshl_b32 s10, s15, 3
	s_delay_alu instid0(VALU_DEP_2)
	v_cmp_lt_u32_e32 vcc_lo, 7, v3
	v_mad_i32_i24 v1, s15, v24, s10
	v_lshlrev_b32_e32 v50, 2, v3
	v_bfe_u32 v31, v0, 4, 6
	v_bfe_u32 v39, v0, 1, 9
	v_cndmask_b32_e64 v3, 0, 1, vcc_lo
	s_clause 0x1
	scratch_store_b32 off, v1, off offset:44
	scratch_store_b32 off, v6, off offset:56
	v_dual_mov_b32 v80, 0 :: v_dual_add_nc_u32 v1, s10, v1
	v_lshlrev_b32_e32 v4, 1, v24
	v_dual_mov_b32 v75, 0 :: v_dual_add_nc_u32 v18, s7, v24
	scratch_store_b32 off, v1, off offset:48 ; 4-byte Folded Spill
	v_add_nc_u32_e32 v1, s10, v1
	v_add_nc_u32_e32 v19, v31, v4
	v_lshlrev_b32_e32 v11, 2, v6
	v_add_nc_u16 v6, v31, v4
	s_add_co_i32 s16, s4, -1
	v_add_nc_u32_e32 v5, s10, v1
	scratch_store_b32 off, v1, off offset:52 ; 4-byte Folded Spill
	v_cvt_f64_i32_e32 v[1:2], s16
	v_add_nc_u32_e32 v33, 16, v19
	s_ashr_i32 s11, s5, 31
	scratch_store_b32 off, v5, off offset:60 ; 4-byte Folded Spill
	v_add_nc_u32_e32 v7, s10, v5
	v_mad_u32_u24 v5, 0x84, v24, v20
	s_wait_alu 0xfffe
	s_lshr_b32 s11, s11, 27
	v_dual_mov_b32 v60, 0 :: v_dual_add_nc_u32 v21, 8, v24
	s_clause 0x1
	scratch_store_b32 off, v7, off offset:64
	scratch_store_b32 off, v5, off offset:72
	v_add_nc_u32_e32 v7, s10, v7
	s_clause 0x1
	scratch_store_b32 off, v3, off offset:80
	scratch_store_b32 off, v7, off offset:76
	v_add_nc_u32_e32 v3, s10, v7
	v_lshl_add_u32 v5, v24, 4, v39
	v_add_nc_u32_e32 v7, 8, v18
	v_mov_b32_e32 v69, 0
	v_lshrrev_b16 v15, 1, v6
	v_add_nc_u32_e32 v10, s10, v3
	scratch_store_b32 off, v3, off offset:84 ; 4-byte Folded Spill
	v_and_b32_e32 v14, 0x7f, v5
	v_lshrrev_b32_e32 v16, 2, v5
	v_mul_i32_i24_e32 v5, s15, v19
	scratch_store_b32 off, v10, off offset:92 ; 4-byte Folded Spill
	v_add_nc_u32_e32 v10, s10, v10
	v_and_b32_e32 v15, 0xffff, v15
	v_lshl_or_b32 v11, v14, 3, v11
	v_and_b32_e32 v16, 28, v16
	v_mul_i32_i24_e32 v14, s15, v14
	scratch_store_b32 off, v10, off offset:96 ; 4-byte Folded Spill
	v_add_nc_u32_e32 v10, s10, v10
	s_clause 0x1
	scratch_store_b32 off, v5, off offset:104
	scratch_store_b32 off, v10, off offset:100
	v_cvt_f64_u32_e32 v[5:6], v7
	v_add_nc_u32_e32 v10, s10, v10
	v_lshlrev_b32_e32 v15, 2, v15
	v_add3_u32 v11, v11, v16, 0x9380
	s_wait_alu 0xfffe
	s_add_co_i32 s5, s5, s11
	s_lshl_b32 s11, s15, 4
	v_add_nc_u32_e32 v17, s10, v10
	s_clause 0x1
	scratch_store_b32 off, v10, off offset:108
	scratch_store_b32 off, v50, off offset:68
	v_add_nc_u32_e32 v8, 16, v18
	v_add_nc_u32_e32 v9, 24, v18
	;; [unrolled: 1-line block ×3, first 2 shown]
	scratch_store_b32 off, v17, off offset:112 ; 4-byte Folded Spill
	v_lshlrev_b32_e32 v17, 1, v33
	v_add_nc_u32_e32 v12, 32, v18
	v_add_nc_u32_e32 v13, 40, v18
	;; [unrolled: 1-line block ×3, first 2 shown]
	s_clause 0x1
	scratch_store_b32 off, v36, off offset:116
	scratch_store_b32 off, v14, off offset:124
	v_and_b32_e32 v36, 0xffc, v17
	v_add3_u32 v37, v15, v50, 0x4200
	v_add_nc_u32_e32 v15, 48, v18
	v_add_nc_u32_e32 v17, 56, v18
	s_wait_alu 0xfffe
	v_mad_i32_i24 v43, s15, v19, s11
	s_clause 0x1
	scratch_store_b32 off, v11, off offset:128
	scratch_store_b32 off, v38, off offset:120
	v_add_nc_u32_e32 v11, s10, v38
	s_ashr_i32 s5, s5, 5
	v_cvt_f64_u32_e32 v[3:4], v18
	v_cvt_f64_u32_e32 v[9:10], v9
	scratch_store_b32 off, v18, off offset:248 ; 4-byte Folded Spill
	v_cvt_f64_u32_e32 v[13:14], v13
	v_cvt_f64_u32_e32 v[15:16], v15
	;; [unrolled: 1-line block ×3, first 2 shown]
	v_add_nc_u32_e32 v45, s11, v43
	scratch_store_b32 off, v11, off offset:132 ; 4-byte Folded Spill
	v_cvt_f64_u32_e32 v[11:12], v12
	v_lshlrev_b32_e32 v102, 5, v21
	v_min_num_f64_e32 v[5:6], v[5:6], v[1:2]
	v_add_nc_u32_e32 v46, s11, v45
	v_lshlrev_b32_e32 v34, 6, v19
	v_add_nc_u32_e32 v35, 32, v19
	v_add_nc_u32_e32 v40, 48, v19
	;; [unrolled: 1-line block ×4, first 2 shown]
	scratch_store_b32 off, v45, off offset:140 ; 4-byte Folded Spill
	v_add_nc_u32_e32 v47, s11, v46
	scratch_store_b32 off, v46, off offset:144 ; 4-byte Folded Spill
	v_add_nc_u32_e32 v46, 0x60, v19
	v_add_nc_u32_e32 v48, 0x70, v19
	v_and_b32_e32 v19, 3, v0
	v_and_b32_e32 v32, 7, v0
	v_add_nc_u32_e32 v52, s11, v47
	scratch_store_b32 off, v47, off offset:148 ; 4-byte Folded Spill
	v_lshlrev_b32_e32 v47, 1, v46
	v_cmp_gt_u32_e32 vcc_lo, 2, v19
	v_lshlrev_b32_e32 v51, 2, v32
	v_lshlrev_b32_e32 v49, 1, v48
	;; [unrolled: 1-line block ×3, first 2 shown]
	v_and_b32_e32 v47, 0xffc, v47
	v_lshlrev_b32_e32 v42, 1, v40
	scratch_store_b32 off, v43, off offset:136 ; 4-byte Folded Spill
	v_lshlrev_b32_e32 v43, 1, v41
	v_lshlrev_b32_e32 v45, 1, v44
	v_and_b32_e32 v38, 0xffc, v38
	v_and_b32_e32 v42, 0xffc, v42
	v_min_num_f64_e32 v[3:4], v[3:4], v[1:2]
	v_min_num_f64_e32 v[9:10], v[9:10], v[1:2]
	v_and_b32_e32 v43, 0xffc, v43
	v_min_num_f64_e32 v[13:14], v[13:14], v[1:2]
	v_min_num_f64_e32 v[15:16], v[15:16], v[1:2]
	v_and_b32_e32 v45, 0xffc, v45
	s_lshl_b32 s10, s15, 5
	v_add3_u32 v36, v36, v50, 0x4200
	v_min_num_f64_e32 v[11:12], v[11:12], v[1:2]
	v_add3_u32 v38, v38, v50, 0x4200
	v_cvt_i32_f64_e32 v5, v[5:6]
	v_add3_u32 v42, v42, v50, 0x4200
	v_add3_u32 v43, v43, v50, 0x4200
	;; [unrolled: 1-line block ×3, first 2 shown]
	v_and_b32_e32 v20, 28, v20
	v_lshlrev_b32_e32 v33, 6, v33
	v_lshlrev_b32_e32 v35, 6, v35
	;; [unrolled: 1-line block ×6, first 2 shown]
	v_add_nc_u32_e32 v22, 16, v24
	v_add_nc_u32_e32 v23, 24, v24
	;; [unrolled: 1-line block ×3, first 2 shown]
	s_load_b128 s[0:3], s[0:1], 0x0
	v_add_nc_u32_e32 v28, 40, v24
	v_add_nc_u32_e32 v29, 48, v24
	;; [unrolled: 1-line block ×4, first 2 shown]
	s_mul_i32 s12, s15, s14
	v_lshlrev_b32_e32 v78, 1, v25
	s_ashr_i32 s13, s12, 31
	v_lshlrev_b32_e32 v97, 5, v24
	v_lshrrev_b32_e32 v58, 1, v53
	v_mul_u32_u24_e32 v109, 0x84, v25
	v_lshlrev_b32_e32 v110, 6, v25
	v_lshlrev_b32_e32 v113, 6, v53
	;; [unrolled: 1-line block ×3, first 2 shown]
	v_cvt_i32_f64_e32 v3, v[3:4]
	v_lshlrev_b32_e32 v139, 2, v58
	s_mul_u64 s[12:13], s[12:13], 0x6e
	s_wait_kmcnt 0x0
	s_add_nc_u64 s[0:1], s[0:1], s[12:13]
	v_mul_lo_u32 v92, s5, v5
	v_lshlrev_b32_e32 v5, 7, v21
	v_mov_b32_e32 v21, 0
	v_cvt_f64_u32_e32 v[7:8], v8
	v_mul_lo_u32 v91, s5, v3
	v_lshlrev_b32_e32 v3, 7, v24
	s_delay_alu instid0(VALU_DEP_3) | instskip(SKIP_4) | instid1(VALU_DEP_2)
	v_min_num_f64_e32 v[7:8], v[7:8], v[1:2]
	v_min_num_f64_e32 v[1:2], v[17:18], v[1:2]
	v_lshlrev_b32_e32 v18, 6, v46
	v_add_nc_u16 v46, v19, -2
	v_add3_u32 v17, v47, v50, 0x4200
	v_dual_cndmask_b32 v46, v46, v19 :: v_dual_and_b32 v47, 0xffc, v49
	v_cmp_lt_u32_e32 vcc_lo, 3, v32
	s_delay_alu instid0(VALU_DEP_2) | instskip(NEXT) | instid1(VALU_DEP_3)
	v_add3_u32 v47, v47, v50, 0x4200
	v_and_b32_e32 v46, 0xff, v46
	s_wait_alu 0xfffd
	v_cndmask_b32_e64 v32, 0, 1, vcc_lo
	scratch_store_b32 off, v52, off offset:152 ; 4-byte Folded Spill
	v_add_nc_u32_e32 v52, s11, v52
	v_lshlrev_b32_e32 v46, 2, v46
	s_delay_alu instid0(VALU_DEP_2)
	v_add_nc_u32_e32 v49, s11, v52
	scratch_store_b32 off, v52, off offset:156 ; 4-byte Folded Spill
	v_and_b32_e32 v52, 31, v0
	s_mov_b32 s11, 0
	scratch_store_b32 off, v49, off offset:160 ; 4-byte Folded Spill
	v_bfe_u32 v49, v0, 3, 7
	s_delay_alu instid0(VALU_DEP_1) | instskip(NEXT) | instid1(VALU_DEP_1)
	v_lshl_add_u32 v49, v24, 2, v49
	v_mad_i32_i24 v50, s15, v49, s10
	v_cvt_i32_f64_e32 v6, v[7:8]
	v_cvt_i32_f64_e32 v7, v[9:10]
	;; [unrolled: 1-line block ×4, first 2 shown]
	scratch_store_b32 off, v46, off offset:168 ; 4-byte Folded Spill
	v_lshlrev_b32_e32 v46, 1, v19
	scratch_store_b32 off, v32, off offset:164 ; 4-byte Folded Spill
	v_bfe_u32 v12, v0, 2, 8
	v_and_b32_e32 v32, 0x7fc, v49
	v_add_nc_u32_e32 v4, 32, v49
	scratch_store_b32 off, v46, off offset:172 ; 4-byte Folded Spill
	v_mul_i32_i24_e32 v46, s15, v49
	v_add_nc_u32_e32 v10, 64, v49
	v_add_nc_u32_e32 v2, 0x60, v49
	v_lshl_add_u32 v12, v24, 3, v12
	v_cvt_i32_f64_e32 v11, v[13:14]
	scratch_store_b32 off, v46, off offset:176 ; 4-byte Folded Spill
	v_lshlrev_b32_e32 v46, 5, v49
	v_add_nc_u32_e32 v49, s10, v50
	v_cvt_i32_f64_e32 v13, v[15:16]
	v_and_b32_e32 v14, 0xffc, v10
	v_and_b32_e32 v12, 63, v12
	v_lshlrev_b32_e32 v16, 5, v10
	v_add_nc_u32_e32 v10, s10, v49
	s_clause 0x3
	scratch_store_b32 off, v50, off offset:180
	scratch_store_b32 off, v49, off offset:184
	;; [unrolled: 1-line block ×4, first 2 shown]
	v_or_b32_e32 v10, s7, v12
	v_and_b32_e32 v8, 0xffc, v4
	v_and_b32_e32 v15, 0xffc, v2
	v_lshlrev_b32_e32 v49, 2, v19
	v_and_b32_e32 v0, 0xfc, v0
	v_min_i32_e32 v10, s16, v10
	v_add3_u32 v32, v32, v51, 0x8300
	v_add3_u32 v8, v8, v51, 0x8300
	;; [unrolled: 1-line block ×4, first 2 shown]
	v_lshl_or_b32 v12, v12, 4, v49
	v_mul_lo_u32 v95, s5, v9
	v_mul_lo_u32 v130, s5, v1
	v_add_nc_u32_e32 v1, 32, v25
	v_lshlrev_b32_e32 v9, 5, v25
	v_lshl_or_b32 v49, v52, 2, 0x6300
	v_mad_co_u64_u32 v[50:51], null, v10, s5, v[19:20]
	s_delay_alu instid0(VALU_DEP_4)
	v_lshlrev_b32_e32 v10, 5, v1
	v_and_b32_e32 v52, 0x1fc, v1
	v_add3_u32 v98, v9, v0, 0x8300
	v_lshrrev_b32_e32 v0, 1, v1
	v_lshrrev_b32_e32 v54, 4, v1
	v_lshlrev_b32_e32 v111, 6, v1
	v_lshlrev_b32_e32 v112, 3, v1
	v_add_nc_u32_e32 v1, v37, v34
	v_lshlrev_b32_e32 v4, 5, v4
	v_lshlrev_b32_e32 v2, 5, v2
	v_mul_lo_u32 v93, s5, v6
	v_mul_lo_u32 v94, s5, v7
	scratch_store_b32 off, v1, off offset:200 ; 4-byte Folded Spill
	v_add_nc_u32_e32 v1, v36, v33
	v_add_nc_u32_e32 v90, 0x97a0, v12
	v_lshlrev_b32_e32 v12, 7, v26
	v_add_nc_u32_e32 v9, 0x60, v25
	v_mul_lo_u32 v96, s5, v11
	scratch_store_b32 off, v1, off offset:204 ; 4-byte Folded Spill
	v_add_nc_u32_e32 v1, v38, v35
	v_mul_lo_u32 v129, s5, v13
	v_lshlrev_b32_e32 v56, 5, v9
	v_and_b32_e32 v57, 0x1fc, v9
	v_add3_u32 v99, v10, v52, 0x8300
	scratch_store_b32 off, v1, off offset:208 ; 4-byte Folded Spill
	v_add_nc_u32_e32 v1, v42, v40
	v_lshlrev_b32_e32 v10, 5, v53
	v_and_b32_e32 v52, 0x1fc, v53
	v_add3_u32 v101, v56, v57, 0x8300
	v_mov_b32_e32 v57, 0
	scratch_store_b32 off, v1, off offset:212 ; 4-byte Folded Spill
	v_add_nc_u32_e32 v1, v43, v41
	v_lshlrev_b32_e32 v19, 7, v30
	v_lshlrev_b32_e32 v108, 5, v30
	v_dual_mov_b32 v30, 0 :: v_dual_lshlrev_b32 v13, 7, v29
	scratch_store_b32 off, v1, off offset:216 ; 4-byte Folded Spill
	v_add_nc_u32_e32 v1, v45, v44
	v_add3_u32 v100, v10, v52, 0x8300
	v_lshrrev_b32_e32 v52, 4, v53
	v_lshrrev_b32_e32 v59, 1, v9
	;; [unrolled: 1-line block ×3, first 2 shown]
	scratch_store_b32 off, v1, off offset:220 ; 4-byte Folded Spill
	v_add_nc_u32_e32 v1, v17, v18
	v_lshlrev_b32_e32 v115, 6, v9
	v_lshlrev_b32_e32 v116, 3, v9
	v_add_co_u32 v9, s5, s2, v20
	scratch_store_b32 off, v1, off offset:224 ; 4-byte Folded Spill
	v_add_nc_u32_e32 v1, v47, v48
	v_lshlrev_b32_e32 v107, 5, v29
	s_wait_alu 0xf1ff
	v_add_co_ci_u32_e64 v10, null, s3, 0, s5
	v_lshlrev_b32_e32 v137, 2, v0
	scratch_store_b32 off, v1, off offset:228 ; 4-byte Folded Spill
	v_dual_mov_b32 v46, 0 :: v_dual_add_nc_u32 v1, v32, v46
	v_lshlrev_b32_e32 v7, 7, v23
	v_dual_mov_b32 v23, 0 :: v_dual_lshlrev_b32 v104, 5, v23
	scratch_store_b32 off, v1, off offset:232 ; 4-byte Folded Spill
	v_add_nc_u32_e32 v1, v8, v4
	v_lshlrev_b32_e32 v6, 7, v22
	v_lshlrev_b32_e32 v103, 5, v22
	;; [unrolled: 1-line block ×4, first 2 shown]
	scratch_store_b32 off, v1, off offset:236 ; 4-byte Folded Spill
	v_add_nc_u32_e32 v1, v14, v16
	v_lshlrev_b32_e32 v141, 2, v59
	v_lshlrev_b32_e32 v142, 2, v56
	v_dual_mov_b32 v40, 0 :: v_dual_mov_b32 v45, 0
	scratch_store_b32 off, v1, off offset:240 ; 4-byte Folded Spill
	v_add_nc_u32_e32 v1, v15, v2
	v_mov_b32_e32 v15, 0
	v_lshlrev_b32_e32 v11, 7, v28
	v_dual_mov_b32 v37, 0 :: v_dual_lshlrev_b32 v106, 5, v28
	scratch_store_b32 off, v1, off offset:244 ; 4-byte Folded Spill
	v_add_nc_u32_e32 v1, v49, v3
	v_dual_mov_b32 v29, 0 :: v_dual_mov_b32 v22, 0
	v_mov_b32_e32 v18, 0
	v_mov_b32_e32 v14, 0
	s_clause 0x1
	scratch_store_b32 off, v1, off
	scratch_store_b32 off, v25, off offset:36
	v_add_nc_u32_e32 v1, v49, v5
	scratch_store_b64 off, v[50:51], off offset:192 ; 8-byte Folded Spill
	v_mov_b32_e32 v48, 0
	v_dual_mov_b32 v44, 0 :: v_dual_mov_b32 v35, 0
	scratch_store_b32 off, v1, off offset:4 ; 4-byte Folded Spill
	v_dual_mov_b32 v28, 0 :: v_dual_add_nc_u32 v1, v49, v6
	v_mov_b32_e32 v17, 0
	v_mov_b32_e32 v47, 0
	;; [unrolled: 1-line block ×3, first 2 shown]
	scratch_store_b32 off, v1, off offset:8 ; 4-byte Folded Spill
	v_dual_mov_b32 v32, 0 :: v_dual_add_nc_u32 v1, v49, v7
	v_mov_b32_e32 v20, 0
	v_mov_b32_e32 v16, 0
	s_wait_alu 0xfffe
	s_mov_b32 s10, s11
	scratch_store_b32 off, v1, off offset:12 ; 4-byte Folded Spill
	v_dual_mov_b32 v12, 0 :: v_dual_add_nc_u32 v1, v49, v12
	scratch_store_b32 off, v1, off offset:16 ; 4-byte Folded Spill
	v_add_nc_u32_e32 v1, v49, v11
	scratch_store_b32 off, v1, off offset:20 ; 4-byte Folded Spill
	v_add_nc_u32_e32 v1, v49, v13
	v_mov_b32_e32 v13, 0
	scratch_store_b32 off, v1, off offset:24 ; 4-byte Folded Spill
	v_add_nc_u32_e32 v1, v49, v19
	v_mov_b32_e32 v19, 0
	v_dual_mov_b32 v26, 0 :: v_dual_lshlrev_b32 v105, 5, v26
	scratch_store_b32 off, v1, off offset:28 ; 4-byte Folded Spill
	s_branch .LBB169_6
.LBB169_5:                              ;   in Loop: Header=BB169_6 Depth=1
	s_add_co_i32 s10, s10, 2
	s_wait_alu 0xfffe
	s_cmp_ge_i32 s10, s15
	s_cbranch_scc1 .LBB169_14
.LBB169_6:                              ; =>This Loop Header: Depth=1
                                        ;     Child Loop BB169_8 Depth 2
                                        ;       Child Loop BB169_10 Depth 3
                                        ;       Child Loop BB169_12 Depth 3
	s_clause 0x4
	scratch_load_b32 v2, off, off offset:40
	scratch_load_b32 v4, off, off offset:44
	;; [unrolled: 1-line block ×5, first 2 shown]
	s_wait_alu 0xfffe
	s_mul_u64 s[12:13], s[10:11], 0x6e
	s_lshl_b32 s5, s10, 3
	s_wait_alu 0xfffe
	s_add_nc_u64 s[12:13], s[0:1], s[12:13]
	s_wait_alu 0xfffe
	v_mad_co_u64_u32 v[0:1], null, 0x6e, v31, s[12:13]
	s_wait_loadcnt 0x4
	v_mul_i32_i24_e32 v2, s15, v2
	s_wait_loadcnt 0x3
	s_delay_alu instid0(VALU_DEP_2)
	v_mad_co_u64_u32 v[4:5], null, 0x6e, v4, v[0:1]
	s_wait_loadcnt 0x1
	v_mad_co_u64_u32 v[33:34], null, 0x6e, v8, v[0:1]
	scratch_load_b32 v8, off, off offset:60 ; 4-byte Folded Reload
	v_mad_co_u64_u32 v[2:3], null, 0x6e, v2, v[0:1]
	v_mad_co_u64_u32 v[6:7], null, 0x6e, v6, v[0:1]
	s_wait_loadcnt 0x1
	s_delay_alu instid0(VALU_DEP_2) | instskip(SKIP_1) | instid1(VALU_DEP_3)
	v_add_co_u32 v2, vcc_lo, v2, v24
	s_wait_alu 0xfffd
	v_add_co_ci_u32_e64 v3, null, 0, v3, vcc_lo
	v_add_co_u32 v4, vcc_lo, v4, v24
	s_wait_alu 0xfffd
	v_add_co_ci_u32_e64 v5, null, 0, v5, vcc_lo
	;; [unrolled: 3-line block ×4, first 2 shown]
	s_wait_loadcnt 0x0
	v_mad_co_u64_u32 v[41:42], null, 0x6e, v8, v[0:1]
	scratch_load_b32 v8, off, off offset:64 ; 4-byte Folded Reload
	v_add_co_u32 v41, vcc_lo, v41, v24
	s_wait_alu 0xfffd
	v_add_co_ci_u32_e64 v42, null, 0, v42, vcc_lo
	s_wait_loadcnt 0x0
	v_mad_co_u64_u32 v[52:53], null, 0x6e, v8, v[0:1]
	scratch_load_b32 v8, off, off offset:76 ; 4-byte Folded Reload
	v_add_co_u32 v52, vcc_lo, v52, v24
	s_wait_alu 0xfffd
	v_add_co_ci_u32_e64 v53, null, 0, v53, vcc_lo
	;; [unrolled: 6-line block ×4, first 2 shown]
	s_wait_loadcnt 0x0
	v_mad_co_u64_u32 v[63:64], null, 0x6e, v8, v[0:1]
	s_clause 0x7
	global_load_b32 v8, v[2:3], off offset:32
	global_load_b32 v11, v[4:5], off offset:32
	;; [unrolled: 1-line block ×8, first 2 shown]
	s_clause 0x4
	scratch_load_b32 v2, off, off offset:96
	scratch_load_b32 v6, off, off offset:100
	;; [unrolled: 1-line block ×5, first 2 shown]
	v_add_co_u32 v4, vcc_lo, v63, v24
	s_wait_alu 0xfffd
	v_add_co_ci_u32_e64 v5, null, 0, v64, vcc_lo
	s_wait_loadcnt 0x4
	v_mad_co_u64_u32 v[2:3], null, 0x6e, v2, v[0:1]
	s_wait_loadcnt 0x3
	v_mad_co_u64_u32 v[6:7], null, 0x6e, v6, v[0:1]
	;; [unrolled: 2-line block ×3, first 2 shown]
	scratch_load_b32 v50, off, off offset:120 ; 4-byte Folded Reload
	v_mad_co_u64_u32 v[33:34], null, 0x6e, v33, v[0:1]
	v_mad_co_u64_u32 v[41:42], null, 0x6e, v41, v[0:1]
	v_add_co_u32 v2, vcc_lo, v2, v24
	s_wait_alu 0xfffd
	v_add_co_ci_u32_e64 v3, null, 0, v3, vcc_lo
	v_add_co_u32 v6, vcc_lo, v6, v24
	s_wait_alu 0xfffd
	v_add_co_ci_u32_e64 v7, null, 0, v7, vcc_lo
	;; [unrolled: 3-line block ×5, first 2 shown]
	s_wait_loadcnt 0x0
	v_mad_co_u64_u32 v[58:59], null, 0x6e, v50, v[0:1]
	scratch_load_b32 v50, off, off offset:132 ; 4-byte Folded Reload
	v_add_co_u32 v58, vcc_lo, v58, v24
	s_wait_alu 0xfffd
	v_add_co_ci_u32_e64 v59, null, 0, v59, vcc_lo
	s_wait_loadcnt 0x0
	v_mad_co_u64_u32 v[0:1], null, 0x6e, v50, v[0:1]
	scratch_load_b32 v50, off, off offset:80 ; 4-byte Folded Reload
	v_add_co_u32 v0, vcc_lo, v0, v24
	scratch_load_b32 v24, off, off offset:124 ; 4-byte Folded Reload
	s_wait_alu 0xfffd
	v_add_co_ci_u32_e64 v1, null, 0, v1, vcc_lo
	s_wait_loadcnt 0x0
	v_mad_co_u64_u32 v[63:64], null, 0x6e, v24, s[12:13]
	scratch_load_b32 v24, off, off offset:88 ; 4-byte Folded Reload
	v_mad_co_u64_u32 v[61:62], null, 0x6e, v50, s[12:13]
	s_clause 0x7
	global_load_b32 v77, v[4:5], off offset:32
	global_load_b32 v79, v[2:3], off offset:32
	global_load_b32 v84, v[6:7], off offset:32
	global_load_b32 v87, v[33:34], off offset:32
	global_load_b32 v121, v[41:42], off offset:32
	global_load_b32 v122, v[52:53], off offset:32
	global_load_b32 v123, v[58:59], off offset:32
	global_load_b32 v124, v[0:1], off offset:32
	s_clause 0x3
	scratch_load_b32 v0, off, off offset:56
	scratch_load_b32 v2, off, off offset:104
	;; [unrolled: 1-line block ×4, first 2 shown]
	s_wait_loadcnt 0xc
	v_add_co_u32 v61, vcc_lo, v61, v24
	scratch_load_b32 v24, off, off offset:144 ; 4-byte Folded Reload
	s_wait_alu 0xfffd
	v_add_co_ci_u32_e64 v62, null, 0, v62, vcc_lo
	s_wait_loadcnt 0x4
	v_mad_co_u64_u32 v[0:1], null, 0x6e, v0, v[63:64]
	s_wait_loadcnt 0x3
	s_delay_alu instid0(VALU_DEP_2)
	v_mad_co_u64_u32 v[2:3], null, 0x6e, v2, v[61:62]
	s_wait_loadcnt 0x2
	v_mad_co_u64_u32 v[4:5], null, 0x6e, v4, v[61:62]
	s_wait_loadcnt 0x1
	;; [unrolled: 2-line block ×3, first 2 shown]
	v_mad_co_u64_u32 v[33:34], null, 0x6e, v24, v[61:62]
	scratch_load_b32 v24, off, off offset:164 ; 4-byte Folded Reload
	s_wait_loadcnt 0x0
	v_mad_co_u64_u32 v[41:42], null, 0x6e, v24, s[12:13]
	scratch_load_b32 v24, off, off offset:148 ; 4-byte Folded Reload
	s_mov_b32 s12, 0
	s_wait_loadcnt 0x0
	v_mad_co_u64_u32 v[52:53], null, 0x6e, v24, v[61:62]
	scratch_load_b32 v24, off, off offset:152 ; 4-byte Folded Reload
	s_wait_loadcnt 0x0
	v_mad_co_u64_u32 v[58:59], null, 0x6e, v24, v[61:62]
	scratch_load_b32 v24, off, off offset:156 ; 4-byte Folded Reload
	;; [unrolled: 3-line block ×5, first 2 shown]
	s_wait_loadcnt 0x0
	v_mad_co_u64_u32 v[119:120], null, 0x6e, v24, v[41:42]
	s_clause 0x9
	global_load_u16 v125, v[0:1], off offset:108
	global_load_b32 v126, v[2:3], off
	global_load_b32 v127, v[4:5], off
	;; [unrolled: 1-line block ×7, first 2 shown]
	global_load_b32 v59, v[117:118], off offset:104
	global_load_b32 v63, v[119:120], off offset:104
	s_clause 0x2
	scratch_load_b32 v0, off, off offset:180
	scratch_load_b32 v2, off, off offset:160
	;; [unrolled: 1-line block ×3, first 2 shown]
	s_wait_loadcnt 0xc
	v_cvt_f32_f16_e32 v125, v125
	s_wait_loadcnt 0x2
	v_mad_co_u64_u32 v[0:1], null, 0x6e, v0, v[41:42]
	s_wait_loadcnt 0x1
	v_mad_co_u64_u32 v[2:3], null, 0x6e, v2, v[61:62]
	s_wait_loadcnt 0x0
	v_add_co_u32 v4, vcc_lo, v66, v24
	s_wait_alu 0xfffd
	v_add_co_ci_u32_e64 v5, null, 0, v67, vcc_lo
	s_delay_alu instid0(VALU_DEP_4)
	v_add_co_u32 v6, vcc_lo, v0, v24
	s_wait_alu 0xfffd
	v_add_co_ci_u32_e64 v7, null, 0, v1, vcc_lo
	v_add_co_u32 v33, vcc_lo, v117, v24
	s_wait_alu 0xfffd
	v_add_co_ci_u32_e64 v34, null, 0, v118, vcc_lo
	v_add_co_u32 v41, vcc_lo, v119, v24
	s_wait_alu 0xfffd
	v_add_co_ci_u32_e64 v42, null, 0, v120, vcc_lo
	s_clause 0x6
	global_load_b32 v2, v[2:3], off
	global_load_b32 v3, v[4:5], off offset:96
	global_load_b32 v0, v[0:1], off offset:104
	;; [unrolled: 1-line block ×6, first 2 shown]
	s_clause 0x1
	scratch_load_b64 v[50:51], off, off offset:192
	scratch_load_b32 v24, off, off offset:72
	s_wait_loadcnt 0x8
	v_not_b32_e32 v2, v2
	s_wait_loadcnt 0x1
	v_add_nc_u32_e32 v131, s5, v50
	scratch_load_b32 v50, off, off offset:172 ; 4-byte Folded Reload
	s_wait_loadcnt 0x1
	v_add_nc_u32_e32 v7, 0x420, v24
	v_add_nc_u32_e32 v33, 0x840, v24
	;; [unrolled: 1-line block ×15, first 2 shown]
	ds_store_b32 v24, v8
	ds_store_b32 v7, v11
	;; [unrolled: 1-line block ×16, first 2 shown]
	v_and_b32_e32 v24, 4, v78
	v_not_b32_e32 v7, v126
	v_not_b32_e32 v8, v127
	;; [unrolled: 1-line block ×4, first 2 shown]
	v_ashrrev_i32_e32 v3, v24, v3
	v_ashrrev_i32_e32 v4, v24, v4
	;; [unrolled: 1-line block ×4, first 2 shown]
	scratch_load_b32 v24, off, off offset:128 ; 4-byte Folded Reload
	v_and_b32_e32 v3, 0xf0f0f0f, v3
	v_not_b32_e32 v34, v52
	v_not_b32_e32 v36, v53
	v_and_b32_e32 v4, 0xf0f0f0f, v4
	v_and_b32_e32 v1, 0xf0f0f0f, v1
	v_and_b32_e32 v6, 0xf0f0f0f, v6
	v_not_b32_e32 v38, v58
	scratch_store_b32 off, v131, off offset:32 ; 4-byte Folded Spill
	s_wait_loadcnt 0x1
	v_ashrrev_i32_e32 v5, v50, v5
	v_ashrrev_i32_e32 v59, v50, v59
	;; [unrolled: 1-line block ×4, first 2 shown]
	s_delay_alu instid0(VALU_DEP_4) | instskip(NEXT) | instid1(VALU_DEP_4)
	v_lshlrev_b32_e32 v5, 4, v5
	v_lshlrev_b32_e32 v41, 4, v59
	s_delay_alu instid0(VALU_DEP_4) | instskip(NEXT) | instid1(VALU_DEP_4)
	v_lshlrev_b32_e32 v42, 4, v63
	v_lshlrev_b32_e32 v0, 4, v0
	s_delay_alu instid0(VALU_DEP_4)
	v_and_or_b32 v3, 0x30303030, v5, v3
	scratch_load_b32 v5, off, off offset:220 ; 4-byte Folded Reload
	v_and_or_b32 v1, 0x30303030, v41, v1
	v_and_or_b32 v0, 0x30303030, v0, v4
	;; [unrolled: 1-line block ×3, first 2 shown]
	v_and_b32_e32 v6, 0x3f00, v3
	s_wait_loadcnt 0x1
	ds_store_b32 v24, v125
	scratch_load_b32 v24, off, off offset:200 ; 4-byte Folded Reload
	s_wait_loadcnt 0x0
	ds_store_b32 v24, v7
	scratch_load_b32 v7, off, off offset:204 ; 4-byte Folded Reload
	;; [unrolled: 3-line block ×3, first 2 shown]
	v_and_b32_e32 v8, 0x3f00, v0
	s_wait_loadcnt 0x0
	ds_store_b32 v7, v11
	scratch_load_b32 v7, off, off offset:212 ; 4-byte Folded Reload
	v_lshrrev_b32_e32 v11, 16, v1
	s_delay_alu instid0(VALU_DEP_1) | instskip(SKIP_1) | instid1(VALU_DEP_1)
	v_and_b32_e32 v49, 0x3f00, v11
	v_lshlrev_b16 v11, 8, v11
	v_add_nc_u16 v11, 0xe000, v11
	s_wait_loadcnt 0x0
	ds_store_b32 v7, v33
	scratch_load_b32 v7, off, off offset:216 ; 4-byte Folded Reload
	v_and_b32_e32 v33, 0x3f00, v1
	v_lshlrev_b16 v1, 8, v1
	s_delay_alu instid0(VALU_DEP_1) | instskip(NEXT) | instid1(VALU_DEP_1)
	v_add_nc_u16 v1, 0xe000, v1
	v_lshrrev_b16 v1, 8, v1
	s_delay_alu instid0(VALU_DEP_1) | instskip(NEXT) | instid1(VALU_DEP_1)
	v_or_b32_e32 v1, v33, v1
	v_add_nc_u16 v1, 0xe000, v1
	s_delay_alu instid0(VALU_DEP_1)
	v_and_b32_e32 v1, 0xffff, v1
	s_wait_loadcnt 0x0
	ds_store_b32 v7, v34
	ds_store_b32 v5, v36
	v_lshrrev_b32_e32 v5, 16, v3
	v_lshlrev_b16 v3, 8, v3
	v_lshrrev_b32_e32 v7, 16, v0
	v_lshlrev_b16 v0, 8, v0
	v_lshrrev_b32_e32 v34, 16, v4
	v_and_b32_e32 v41, 0x3f00, v5
	v_lshlrev_b16 v5, 8, v5
	v_add_nc_u16 v3, 0xe000, v3
	v_and_b32_e32 v42, 0x3f00, v7
	v_lshlrev_b16 v7, 8, v7
	v_add_nc_u16 v0, 0xe000, v0
	v_add_nc_u16 v5, 0xe000, v5
	v_lshrrev_b16 v3, 8, v3
	v_and_b32_e32 v36, 0x3f00, v4
	v_add_nc_u16 v7, 0xe000, v7
	v_lshrrev_b16 v0, 8, v0
	v_lshrrev_b16 v5, 8, v5
	v_or_b32_e32 v3, v6, v3
	v_lshlrev_b16 v4, 8, v4
	v_lshrrev_b16 v6, 8, v7
	v_lshrrev_b16 v7, 8, v11
	v_or_b32_e32 v5, v41, v5
	v_add_nc_u16 v3, 0xe000, v3
	scratch_load_b32 v11, off, off offset:224 ; 4-byte Folded Reload
	v_or_b32_e32 v0, v8, v0
	v_or_b32_e32 v6, v42, v6
	v_add_nc_u16 v5, 0xe000, v5
	v_and_b32_e32 v3, 0xffff, v3
	v_or_b32_e32 v7, v49, v7
	v_add_nc_u16 v0, 0xe000, v0
	v_add_nc_u16 v6, 0xe000, v6
	v_lshlrev_b32_e32 v5, 16, v5
	v_and_b32_e32 v52, 0x3f00, v34
	v_add_nc_u16 v7, 0xe000, v7
	v_and_b32_e32 v0, 0xffff, v0
	v_lshlrev_b32_e32 v6, 16, v6
	v_or_b32_e32 v3, v3, v5
	scratch_load_b32 v5, off, off offset:228 ; 4-byte Folded Reload
	v_lshlrev_b32_e32 v7, 16, v7
	v_lshlrev_b16 v34, 8, v34
	v_or_b32_e32 v0, v0, v6
	v_add_nc_u16 v4, 0xe000, v4
	s_delay_alu instid0(VALU_DEP_4) | instskip(NEXT) | instid1(VALU_DEP_4)
	v_or_b32_e32 v1, v1, v7
	v_add_nc_u16 v34, 0xe000, v34
	s_delay_alu instid0(VALU_DEP_3) | instskip(NEXT) | instid1(VALU_DEP_2)
	v_lshrrev_b16 v4, 8, v4
	v_lshrrev_b16 v8, 8, v34
	s_delay_alu instid0(VALU_DEP_2) | instskip(NEXT) | instid1(VALU_DEP_2)
	v_or_b32_e32 v4, v36, v4
	v_or_b32_e32 v8, v52, v8
	s_delay_alu instid0(VALU_DEP_2) | instskip(NEXT) | instid1(VALU_DEP_2)
	v_add_nc_u16 v4, 0xe000, v4
	v_add_nc_u16 v8, 0xe000, v8
	s_delay_alu instid0(VALU_DEP_2) | instskip(NEXT) | instid1(VALU_DEP_2)
	v_and_b32_e32 v4, 0xffff, v4
	v_lshlrev_b32_e32 v8, 16, v8
	s_delay_alu instid0(VALU_DEP_1)
	v_or_b32_e32 v4, v4, v8
	s_wait_loadcnt 0x1
	ds_store_b32 v11, v38
	s_wait_loadcnt 0x0
	ds_store_b32 v5, v2
	scratch_load_b32 v2, off, off offset:232 ; 4-byte Folded Reload
	s_wait_loadcnt 0x0
	ds_store_b32 v2, v3
	scratch_load_b32 v2, off, off offset:236 ; 4-byte Folded Reload
	;; [unrolled: 3-line block ×4, first 2 shown]
	s_wait_loadcnt 0x0
	ds_store_b32 v0, v4
	s_branch .LBB169_8
.LBB169_7:                              ;   in Loop: Header=BB169_8 Depth=2
                                        ; implicit-def: $sgpr12
	s_wait_alu 0xfffe
	s_and_b32 vcc_lo, exec_lo, s13
	s_wait_alu 0xfffe
	s_cbranch_vccnz .LBB169_5
.LBB169_8:                              ;   Parent Loop BB169_6 Depth=1
                                        ; =>  This Loop Header: Depth=2
                                        ;       Child Loop BB169_10 Depth 3
                                        ;       Child Loop BB169_12 Depth 3
	s_wait_alu 0xfffe
	s_lshr_b32 s13, s12, 1
	s_wait_alu 0xfffe
	s_or_b32 s13, s13, s10
	s_wait_alu 0xfffe
	s_cmp_lt_i32 s13, s15
	s_mov_b32 s13, -1
	s_cbranch_scc0 .LBB169_7
; %bb.9:                                ;   in Loop: Header=BB169_8 Depth=2
	s_wait_loadcnt 0x1
	v_lshl_add_u32 v0, s12, 5, v25
	s_wait_loadcnt 0x0
	v_lshl_add_u32 v8, s12, 2, v131
	s_or_b32 s16, s12, 1
	s_lshl_b32 s17, s12, 3
	s_wait_alu 0xfffe
	s_lshl_b32 s13, s16, 3
	v_lshrrev_b32_e32 v0, 3, v0
	v_mad_co_u64_u32 v[33:34], null, v8, 36, s[2:3]
	s_delay_alu instid0(VALU_DEP_2) | instskip(NEXT) | instid1(VALU_DEP_1)
	v_add_nc_u32_e32 v0, s5, v0
	v_add_nc_u32_e32 v41, v0, v130
	;; [unrolled: 1-line block ×7, first 2 shown]
	v_mad_co_i64_i32 v[41:42], null, v41, 36, v[9:10]
	v_add_nc_u32_e32 v36, v0, v96
	v_add_nc_u32_e32 v38, v0, v129
	v_mad_co_i64_i32 v[0:1], null, v1, 36, v[9:10]
	v_mad_co_i64_i32 v[2:3], null, v2, 36, v[9:10]
	;; [unrolled: 1-line block ×7, first 2 shown]
	s_clause 0x8
	global_load_b32 v8, v[33:34], off
	global_load_b32 v11, v[41:42], off offset:4
	global_load_b32 v0, v[0:1], off offset:4
	;; [unrolled: 1-line block ×8, first 2 shown]
	s_wait_loadcnt 0x8
	v_cvt_f32_f16_e32 v7, v8
	scratch_load_b32 v8, off, off offset:28 ; 4-byte Folded Reload
	s_wait_loadcnt 0x0
	ds_store_b32 v8, v11
	scratch_load_b32 v8, off, off           ; 4-byte Folded Reload
	s_wait_loadcnt 0x0
	ds_store_b32 v8, v0
	scratch_load_b32 v0, off, off offset:4  ; 4-byte Folded Reload
	s_wait_loadcnt 0x0
	ds_store_b32 v0, v1
	scratch_load_b32 v0, off, off offset:8  ; 4-byte Folded Reload
	s_wait_loadcnt 0x0
	ds_store_b32 v0, v2
	scratch_load_b32 v0, off, off offset:12 ; 4-byte Folded Reload
	s_wait_loadcnt 0x0
	ds_store_b32 v0, v3
	scratch_load_b32 v0, off, off offset:16 ; 4-byte Folded Reload
	;; [unrolled: 3-line block ×4, first 2 shown]
	s_wait_loadcnt 0x0
	ds_store_b32 v0, v6
	ds_store_b32 v90, v7
	s_wait_storecnt_dscnt 0x0
	s_barrier_signal -1
	s_barrier_wait -1
	global_inv scope:SCOPE_SE
.LBB169_10:                             ;   Parent Loop BB169_6 Depth=1
                                        ;     Parent Loop BB169_8 Depth=2
                                        ; =>    This Inner Loop Header: Depth=3
	s_lshl_b32 s18, s17, 2
	s_lshr_b32 s21, s17, 4
	s_wait_alu 0xfffe
	s_and_b32 s18, s18, 24
	v_lshlrev_b32_e32 v144, 2, v39
	s_wait_alu 0xfffe
	v_or_b32_e32 v1, s18, v97
	s_lshl_b32 s23, s21, 5
	s_and_b32 s22, s17, 0x3ffffff8
	s_wait_alu 0xfffe
	s_addk_co_i32 s23, 0x4200
	v_lshl_add_u32 v147, s22, 2, v109
	v_lshlrev_b32_e32 v0, 2, v1
	v_lshrrev_b32_e32 v1, 1, v1
	s_wait_alu 0xfffe
	v_add3_u32 v11, s23, v144, v110
	s_bfe_u32 s19, s17, 0x30001
	s_and_b32 s20, s17, 6
	v_lshlrev_b32_e32 v145, 2, v31
	ds_load_b32 v62, v1 offset:38816
	ds_load_2addr_b32 v[3:4], v11 offset1:1
	ds_load_2addr_b32 v[1:2], v147 offset1:1
	v_lshlrev_b32_e32 v146, 2, v78
	s_lshl_b32 s24, s21, 2
	s_and_b32 s21, s17, -2
	s_add_co_i32 s22, s24, 0x9380
	v_add3_u32 v153, s23, v139, v113
	s_wait_alu 0xfffe
	v_add_nc_u32_e32 v221, s21, v100
	s_add_co_i32 s17, s17, 2
	s_wait_alu 0xfffe
	s_cmp_lt_u32 s17, s13
	s_wait_dscnt 0x1
	v_ashrrev_i32_e32 v3, s19, v3
	s_wait_dscnt 0x0
	v_ashrrev_i32_e32 v1, s20, v1
	v_ashrrev_i32_e32 v4, s19, v4
	s_delay_alu instid0(VALU_DEP_3) | instskip(NEXT) | instid1(VALU_DEP_3)
	v_lshlrev_b32_e32 v3, 2, v3
	v_and_b32_e32 v5, 0x3030303, v1
	v_bfe_u32 v1, v1, 24, 2
	s_delay_alu instid0(VALU_DEP_4) | instskip(NEXT) | instid1(VALU_DEP_4)
	v_lshlrev_b32_e32 v4, 2, v4
	v_and_b32_e32 v3, 0x4040404, v3
	s_delay_alu instid0(VALU_DEP_4) | instskip(SKIP_1) | instid1(VALU_DEP_4)
	v_lshrrev_b32_e32 v6, 16, v5
	v_lshrrev_b16 v7, 8, v5
	v_and_b32_e32 v4, 0x4040404, v4
	s_delay_alu instid0(VALU_DEP_4) | instskip(SKIP_3) | instid1(VALU_DEP_4)
	v_lshrrev_b32_e32 v33, 24, v3
	v_lshrrev_b32_e32 v8, 16, v3
	v_lshrrev_b16 v34, 8, v3
	v_sub_nc_u16 v126, v5, v3
	v_sub_nc_u16 v124, v1, v33
	v_ashrrev_i32_e32 v1, s20, v2
	s_delay_alu instid0(VALU_DEP_4)
	v_sub_nc_u16 v123, v7, v34
	v_sub_nc_u16 v125, v6, v8
	v_lshrrev_b32_e32 v6, 24, v4
	v_lshrrev_b32_e32 v7, 16, v4
	v_bfe_u32 v2, v1, 24, 2
	v_and_b32_e32 v1, 0x3030303, v1
	v_lshrrev_b16 v8, 8, v4
	v_bfe_i32 v170, v126, 0, 8
	v_bfe_i32 v172, v124, 0, 16
	v_sub_nc_u16 v122, v2, v6
	v_lshrrev_b32_e32 v3, 16, v1
	v_lshrrev_b16 v5, 8, v1
	v_sub_nc_u16 v119, v1, v4
	ds_load_2addr_b32 v[1:2], v147 offset0:2 offset1:3
	v_bfe_i32 v174, v122, 0, 16
	v_sub_nc_u16 v121, v3, v7
	ds_load_2addr_b32 v[3:4], v11 offset0:2 offset1:3
	v_sub_nc_u16 v120, v5, v8
	v_bfe_i32 v173, v123, 0, 16
	v_bfe_i32 v177, v119, 0, 8
	;; [unrolled: 1-line block ×5, first 2 shown]
	s_wait_dscnt 0x1
	v_ashrrev_i32_e32 v1, s20, v1
	s_wait_dscnt 0x0
	v_ashrrev_i32_e32 v3, s19, v3
	v_ashrrev_i32_e32 v4, s19, v4
	s_delay_alu instid0(VALU_DEP_3) | instskip(SKIP_1) | instid1(VALU_DEP_4)
	v_bfe_u32 v5, v1, 24, 2
	v_and_b32_e32 v1, 0x3030303, v1
	v_lshlrev_b32_e32 v3, 2, v3
	s_delay_alu instid0(VALU_DEP_4) | instskip(NEXT) | instid1(VALU_DEP_3)
	v_lshlrev_b32_e32 v4, 2, v4
	v_lshrrev_b32_e32 v6, 16, v1
	v_lshrrev_b16 v7, 8, v1
	s_delay_alu instid0(VALU_DEP_4) | instskip(NEXT) | instid1(VALU_DEP_4)
	v_and_b32_e32 v3, 0x4040404, v3
	v_and_b32_e32 v4, 0x4040404, v4
	s_delay_alu instid0(VALU_DEP_2)
	v_sub_nc_u16 v42, v1, v3
	v_ashrrev_i32_e32 v1, s20, v2
	v_lshrrev_b32_e32 v33, 16, v3
	v_lshrrev_b16 v34, 8, v3
	v_lshrrev_b32_e32 v8, 24, v3
	v_bfe_i32 v181, v42, 0, 8
	v_bfe_u32 v2, v1, 24, 2
	v_and_b32_e32 v1, 0x3030303, v1
	v_sub_nc_u16 v53, v7, v34
	v_sub_nc_u16 v61, v6, v33
	v_lshrrev_b32_e32 v6, 24, v4
	v_lshrrev_b32_e32 v7, 16, v4
	;; [unrolled: 1-line block ×3, first 2 shown]
	v_sub_nc_u16 v118, v5, v8
	v_lshrrev_b16 v5, 8, v1
	v_lshrrev_b16 v8, 8, v4
	v_sub_nc_u16 v52, v1, v4
	v_sub_nc_u16 v63, v3, v7
	;; [unrolled: 1-line block ×3, first 2 shown]
	ds_load_2addr_b32 v[1:2], v147 offset0:4 offset1:5
	ds_load_2addr_b32 v[3:4], v11 offset0:4 offset1:5
	v_sub_nc_u16 v56, v5, v8
	v_bfe_i32 v178, v118, 0, 16
	v_bfe_i32 v180, v53, 0, 16
	;; [unrolled: 1-line block ×7, first 2 shown]
	s_wait_dscnt 0x1
	v_ashrrev_i32_e32 v1, s20, v1
	s_wait_dscnt 0x0
	v_ashrrev_i32_e32 v3, s19, v3
	v_ashrrev_i32_e32 v4, s19, v4
	s_delay_alu instid0(VALU_DEP_3) | instskip(NEXT) | instid1(VALU_DEP_3)
	v_and_b32_e32 v5, 0x3030303, v1
	v_lshlrev_b32_e32 v3, 2, v3
	v_bfe_u32 v1, v1, 24, 2
	s_delay_alu instid0(VALU_DEP_4) | instskip(NEXT) | instid1(VALU_DEP_4)
	v_lshlrev_b32_e32 v4, 2, v4
	v_lshrrev_b32_e32 v6, 16, v5
	s_delay_alu instid0(VALU_DEP_4) | instskip(SKIP_1) | instid1(VALU_DEP_4)
	v_and_b32_e32 v3, 0x4040404, v3
	v_lshrrev_b16 v7, 8, v5
	v_and_b32_e32 v4, 0x4040404, v4
	s_delay_alu instid0(VALU_DEP_3) | instskip(SKIP_3) | instid1(VALU_DEP_4)
	v_lshrrev_b32_e32 v33, 24, v3
	v_lshrrev_b32_e32 v34, 16, v3
	v_lshrrev_b16 v8, 8, v3
	v_sub_nc_u16 v41, v5, v3
	v_sub_nc_u16 v33, v1, v33
	v_ashrrev_i32_e32 v1, s20, v2
	s_delay_alu instid0(VALU_DEP_4)
	v_sub_nc_u16 v8, v7, v8
	v_sub_nc_u16 v36, v6, v34
	v_lshrrev_b32_e32 v6, 24, v4
	v_lshrrev_b32_e32 v7, 16, v4
	v_bfe_u32 v2, v1, 24, 2
	v_and_b32_e32 v1, 0x3030303, v1
	v_lshrrev_b16 v34, 8, v4
	v_bfe_i32 v186, v41, 0, 8
	v_bfe_i32 v187, v36, 0, 8
	v_sub_nc_u16 v64, v2, v6
	v_lshrrev_b32_e32 v3, 16, v1
	v_lshrrev_b16 v5, 8, v1
	v_sub_nc_u16 v49, v1, v4
	ds_load_2addr_b32 v[1:2], v147 offset0:6 offset1:7
	v_bfe_i32 v190, v64, 0, 16
	v_sub_nc_u16 v58, v3, v7
	ds_load_2addr_b32 v[3:4], v11 offset0:6 offset1:7
	v_sub_nc_u16 v54, v5, v34
	v_bfe_i32 v188, v33, 0, 16
	v_bfe_i32 v189, v8, 0, 16
	;; [unrolled: 1-line block ×5, first 2 shown]
	s_wait_dscnt 0x1
	v_ashrrev_i32_e32 v1, s20, v1
	s_wait_dscnt 0x0
	v_ashrrev_i32_e32 v3, s19, v3
	v_ashrrev_i32_e32 v4, s19, v4
	s_delay_alu instid0(VALU_DEP_3) | instskip(SKIP_1) | instid1(VALU_DEP_4)
	v_bfe_u32 v5, v1, 24, 2
	v_and_b32_e32 v1, 0x3030303, v1
	v_lshlrev_b32_e32 v3, 2, v3
	s_delay_alu instid0(VALU_DEP_4) | instskip(NEXT) | instid1(VALU_DEP_3)
	v_lshlrev_b32_e32 v4, 2, v4
	v_lshrrev_b32_e32 v6, 16, v1
	v_lshrrev_b16 v7, 8, v1
	s_delay_alu instid0(VALU_DEP_4) | instskip(NEXT) | instid1(VALU_DEP_4)
	v_and_b32_e32 v3, 0x4040404, v3
	v_and_b32_e32 v4, 0x4040404, v4
	s_delay_alu instid0(VALU_DEP_2)
	v_sub_nc_u16 v59, v1, v3
	v_ashrrev_i32_e32 v1, s20, v2
	v_lshrrev_b32_e32 v11, 24, v3
	v_lshrrev_b32_e32 v34, 16, v3
	v_lshrrev_b16 v38, 8, v3
	v_bfe_i32 v197, v59, 0, 8
	v_bfe_u32 v2, v1, 24, 2
	v_and_b32_e32 v1, 0x3030303, v1
	v_sub_nc_u16 v68, v6, v34
	v_sub_nc_u16 v66, v7, v38
	;; [unrolled: 1-line block ×3, first 2 shown]
	v_lshrrev_b32_e32 v6, 24, v4
	v_lshrrev_b32_e32 v3, 16, v1
	v_lshrrev_b16 v5, 8, v1
	v_lshrrev_b32_e32 v7, 16, v4
	v_lshrrev_b16 v11, 8, v4
	v_sub_nc_u16 v77, v1, v4
	v_add3_u32 v1, s22, v145, v146
	v_sub_nc_u16 v117, v2, v6
	v_sub_nc_u16 v87, v3, v7
	;; [unrolled: 1-line block ×3, first 2 shown]
	ds_load_b32 v11, v1
	ds_load_b128 v[4:7], v0 offset:25344
	ds_load_b128 v[0:3], v0 offset:25360
	v_bfe_i32 v194, v84, 0, 16
	v_bfe_i32 v195, v68, 0, 8
	;; [unrolled: 1-line block ×7, first 2 shown]
	v_add_nc_u32_e32 v38, s21, v98
	v_add_nc_u32_e32 v238, s21, v99
	s_wait_dscnt 0x1
	v_lshrrev_b16 v127, 8, v4
	v_lshrrev_b16 v128, 8, v5
	;; [unrolled: 1-line block ×3, first 2 shown]
	v_ashrrev_i32_e32 v247, 24, v5
	v_lshrrev_b16 v149, 8, v7
	v_ashrrev_i32_e32 v244, 24, v4
	v_bfe_i32 v245, v127, 0, 8
	v_bfe_i32 v248, v5, 16, 8
	;; [unrolled: 1-line block ×4, first 2 shown]
	v_mul_i32_i24_e32 v122, v174, v247
	v_ashrrev_i32_e32 v251, 24, v6
	v_bfe_i32 v253, v148, 0, 8
	v_ashrrev_i32_e32 v42, 24, v7
	v_bfe_i32 v34, v4, 0, 8
	v_bfe_i32 v243, v4, 16, 8
	v_mul_i32_i24_e32 v123, v173, v245
	v_mul_i32_i24_e32 v119, v177, v249
	;; [unrolled: 1-line block ×4, first 2 shown]
	v_bfe_i32 v252, v6, 16, 8
	v_bfe_i32 v254, v6, 0, 8
	v_mul_i32_i24_e32 v124, v180, v253
	v_mul_i32_i24_e32 v127, v178, v251
	v_bfe_i32 v53, v7, 16, 8
	v_bfe_i32 v61, v149, 0, 8
	;; [unrolled: 1-line block ×3, first 2 shown]
	v_mul_i32_i24_e32 v67, v182, v42
	v_mad_i32_i24 v122, v172, v244, v122
	v_mul_i32_i24_e32 v118, v181, v254
	v_mul_i32_i24_e32 v125, v179, v252
	;; [unrolled: 1-line block ×5, first 2 shown]
	v_mad_i32_i24 v121, v171, v243, v121
	v_mad_i32_i24 v119, v170, v34, v119
	v_add3_u32 v120, v123, v120, v124
	v_add3_u32 v67, v122, v127, v67
	s_wait_dscnt 0x0
	v_ashrrev_i32_e32 v229, 24, v1
	v_add3_u32 v63, v121, v125, v63
	v_add3_u32 v52, v119, v118, v52
	v_bfe_i32 v230, v1, 16, 8
	v_add3_u32 v56, v120, v56, v67
	v_lshrrev_b16 v67, 8, v2
	v_lshrrev_b16 v118, 8, v3
	v_bfe_i32 v227, v0, 16, 8
	v_ashrrev_i32_e32 v228, 24, v0
	v_add3_u32 v52, v52, v63, v56
	v_lshrrev_b16 v56, 8, v0
	v_lshrrev_b16 v63, 8, v1
	v_bfe_i32 v232, v1, 0, 8
	v_mul_i32_i24_e32 v41, v191, v230
	v_mul_i32_i24_e32 v49, v190, v229
	v_bfe_i32 v236, v56, 0, 8
	v_bfe_i32 v231, v63, 0, 8
	v_ashrrev_i32_e32 v225, 24, v2
	v_bfe_i32 v233, v2, 16, 8
	v_bfe_i32 v234, v67, 0, 8
	v_ashrrev_i32_e32 v66, 24, v3
	v_bfe_i32 v67, v3, 16, 8
	v_bfe_i32 v226, v0, 0, 8
	v_mul_i32_i24_e32 v8, v189, v236
	v_mul_i32_i24_e32 v33, v193, v232
	;; [unrolled: 1-line block ×3, first 2 shown]
	v_bfe_i32 v235, v2, 0, 8
	v_mul_i32_i24_e32 v56, v196, v234
	v_mul_i32_i24_e32 v58, v195, v233
	;; [unrolled: 1-line block ×3, first 2 shown]
	v_bfe_i32 v68, v118, 0, 8
	v_bfe_i32 v224, v3, 0, 8
	v_mul_i32_i24_e32 v77, v199, v67
	v_mul_i32_i24_e32 v79, v198, v66
	v_mad_i32_i24 v49, v188, v228, v49
	v_mad_i32_i24 v41, v187, v227, v41
	v_mul_i32_i24_e32 v54, v197, v235
	v_mul_i32_i24_e32 v63, v201, v224
	;; [unrolled: 1-line block ×3, first 2 shown]
	v_mad_i32_i24 v33, v186, v226, v33
	v_add3_u32 v8, v8, v36, v56
	v_add3_u32 v36, v41, v58, v77
	;; [unrolled: 1-line block ×5, first 2 shown]
	v_perm_b32 v65, v0, v0, 0xc0c0302
	v_perm_b32 v5, v5, v5, 0xc030201
	v_add3_u32 v8, v8, v64, v41
	ds_load_2addr_b32 v[63:64], v77 offset1:1
	v_perm_b32 v6, v6, v6, 0xc030201
	v_perm_b32 v7, v7, v7, 0xc030201
	;; [unrolled: 1-line block ×3, first 2 shown]
	v_add3_u32 v33, v33, v36, v8
	ds_load_u16 v8, v38
	ds_load_2addr_b32 v[117:118], v77 offset0:2 offset1:3
	ds_load_2addr_b32 v[148:149], v77 offset0:6 offset1:7
	s_wait_dscnt 0x3
	v_ashrrev_i32_e32 v41, s19, v63
	s_wait_dscnt 0x2
	v_bfe_i32 v209, v8, 0, 8
	v_lshrrev_b16 v36, 8, v8
	s_delay_alu instid0(VALU_DEP_3) | instskip(NEXT) | instid1(VALU_DEP_3)
	v_lshlrev_b32_e32 v41, 2, v41
	v_mul_lo_u32 v8, v52, v209
	s_delay_alu instid0(VALU_DEP_3) | instskip(NEXT) | instid1(VALU_DEP_3)
	v_bfe_i32 v202, v36, 0, 8
	v_and_b32_e32 v41, 0x4040404, v41
	s_delay_alu instid0(VALU_DEP_1) | instskip(NEXT) | instid1(VALU_DEP_3)
	v_lshrrev_b16 v49, 8, v41
	v_mad_co_u64_u32 v[58:59], null, v33, v202, v[8:9]
	v_mul_f32_e32 v8, v62, v11
	v_lshrrev_b32_e32 v52, 24, v41
	v_lshrrev_b32_e32 v54, 16, v41
	s_delay_alu instid0(VALU_DEP_4) | instskip(NEXT) | instid1(VALU_DEP_1)
	v_cvt_f32_i32_e32 v33, v58
	v_dual_fmac_f32 v27, v8, v33 :: v_dual_add_nc_u32 v8, 0x1080, v147
	ds_load_2addr_b32 v[58:59], v8 offset1:1
	s_wait_dscnt 0x0
	v_ashrrev_i32_e32 v8, s20, v58
	s_delay_alu instid0(VALU_DEP_1) | instskip(SKIP_1) | instid1(VALU_DEP_2)
	v_and_b32_e32 v33, 0x3030303, v8
	v_bfe_u32 v8, v8, 24, 2
	v_sub_nc_u16 v242, v33, v41
	v_ashrrev_i32_e32 v41, s19, v64
	s_delay_alu instid0(VALU_DEP_3)
	v_sub_nc_u16 v240, v8, v52
	v_ashrrev_i32_e32 v8, s20, v59
	v_lshrrev_b16 v36, 8, v33
	v_lshrrev_b32_e32 v38, 16, v33
	v_lshlrev_b32_e32 v41, 2, v41
	v_bfe_i32 v242, v242, 0, 8
	v_bfe_u32 v33, v8, 24, 2
	v_and_b32_e32 v8, 0x3030303, v8
	v_sub_nc_u16 v241, v38, v54
	v_and_b32_e32 v41, 0x4040404, v41
	v_sub_nc_u16 v239, v36, v49
	v_bfe_i32 v240, v240, 0, 16
	v_lshrrev_b32_e32 v36, 16, v8
	v_lshrrev_b16 v38, 8, v8
	v_sub_nc_u16 v246, v8, v41
	v_add_nc_u32_e32 v8, 0x1088, v147
	v_lshrrev_b32_e32 v49, 24, v41
	v_lshrrev_b32_e32 v52, 16, v41
	v_lshrrev_b16 v54, 8, v41
	v_ashrrev_i32_e32 v41, s19, v117
	ds_load_2addr_b32 v[63:64], v8 offset1:1
	v_sub_nc_u16 v59, v33, v49
	v_sub_nc_u16 v58, v36, v52
	;; [unrolled: 1-line block ×3, first 2 shown]
	v_lshlrev_b32_e32 v41, 2, v41
	v_bfe_i32 v239, v239, 0, 16
	v_bfe_i32 v241, v241, 0, 8
	v_bfe_i32 v246, v246, 0, 8
	s_delay_alu instid0(VALU_DEP_4) | instskip(NEXT) | instid1(VALU_DEP_1)
	v_and_b32_e32 v41, 0x4040404, v41
	v_lshrrev_b32_e32 v54, 24, v41
	v_lshrrev_b32_e32 v52, 16, v41
	v_lshrrev_b16 v49, 8, v41
	s_wait_dscnt 0x0
	v_ashrrev_i32_e32 v8, s20, v63
	s_delay_alu instid0(VALU_DEP_1) | instskip(SKIP_1) | instid1(VALU_DEP_2)
	v_bfe_u32 v33, v8, 24, 2
	v_and_b32_e32 v8, 0x3030303, v8
	v_sub_nc_u16 v54, v33, v54
	s_delay_alu instid0(VALU_DEP_2)
	v_sub_nc_u16 v250, v8, v41
	v_ashrrev_i32_e32 v41, s19, v118
	v_lshrrev_b32_e32 v36, 16, v8
	v_lshrrev_b16 v38, 8, v8
	v_ashrrev_i32_e32 v8, s20, v64
	ds_load_2addr_b32 v[117:118], v77 offset0:4 offset1:5
	v_lshlrev_b32_e32 v41, 2, v41
	v_sub_nc_u16 v52, v36, v52
	v_sub_nc_u16 v49, v38, v49
	v_bfe_u32 v33, v8, 24, 2
	v_and_b32_e32 v8, 0x3030303, v8
	v_and_b32_e32 v41, 0x4040404, v41
	v_bfe_i32 v250, v250, 0, 8
	v_ashrrev_i32_e32 v77, s19, v148
	s_delay_alu instid0(VALU_DEP_4)
	v_lshrrev_b32_e32 v38, 16, v8
	v_lshrrev_b16 v36, 8, v8
	v_lshrrev_b32_e32 v63, 24, v41
	v_lshrrev_b32_e32 v64, 16, v41
	v_sub_nc_u16 v255, v8, v41
	v_add_nc_u32_e32 v8, 0x1090, v147
	v_lshrrev_b16 v79, 8, v41
	v_sub_nc_u16 v41, v33, v63
	v_sub_nc_u16 v38, v38, v64
	v_lshlrev_b32_e32 v77, 2, v77
	ds_load_2addr_b32 v[63:64], v8 offset1:1
	s_wait_dscnt 0x1
	v_ashrrev_i32_e32 v84, s19, v117
	v_sub_nc_u16 v36, v36, v79
	v_and_b32_e32 v77, 0x4040404, v77
	s_delay_alu instid0(VALU_DEP_3) | instskip(NEXT) | instid1(VALU_DEP_1)
	v_lshlrev_b32_e32 v84, 2, v84
	v_and_b32_e32 v84, 0x4040404, v84
	s_delay_alu instid0(VALU_DEP_1) | instskip(SKIP_4) | instid1(VALU_DEP_1)
	v_lshrrev_b16 v87, 8, v84
	v_lshrrev_b32_e32 v117, 24, v84
	v_lshrrev_b32_e32 v119, 16, v84
	s_wait_dscnt 0x0
	v_ashrrev_i32_e32 v8, s20, v63
	v_and_b32_e32 v33, 0x3030303, v8
	v_bfe_u32 v8, v8, 24, 2
	s_delay_alu instid0(VALU_DEP_2) | instskip(SKIP_2) | instid1(VALU_DEP_4)
	v_sub_nc_u16 v125, v33, v84
	v_ashrrev_i32_e32 v84, s19, v118
	v_lshrrev_b16 v63, 8, v33
	v_sub_nc_u16 v128, v8, v117
	v_ashrrev_i32_e32 v8, s20, v64
	v_lshrrev_b32_e32 v79, 16, v33
	v_lshlrev_b32_e32 v84, 2, v84
	v_sub_nc_u16 v33, v63, v87
	s_delay_alu instid0(VALU_DEP_4) | instskip(SKIP_1) | instid1(VALU_DEP_4)
	v_bfe_u32 v63, v8, 24, 2
	v_and_b32_e32 v8, 0x3030303, v8
	v_and_b32_e32 v84, 0x4040404, v84
	v_sub_nc_u16 v127, v79, v119
	v_lshrrev_b32_e32 v119, 16, v77
	s_delay_alu instid0(VALU_DEP_4)
	v_lshrrev_b32_e32 v64, 16, v8
	v_lshrrev_b16 v79, 8, v8
	v_lshrrev_b32_e32 v87, 24, v84
	v_lshrrev_b32_e32 v117, 16, v84
	v_sub_nc_u16 v120, v8, v84
	v_add_nc_u32_e32 v8, 0x1098, v147
	v_lshrrev_b16 v118, 8, v84
	v_sub_nc_u16 v124, v63, v87
	v_sub_nc_u16 v123, v64, v117
	v_lshrrev_b32_e32 v87, 24, v77
	ds_load_2addr_b32 v[63:64], v8 offset1:1
	v_sub_nc_u16 v122, v79, v118
	v_lshrrev_b16 v118, 8, v77
	s_wait_dscnt 0x0
	v_ashrrev_i32_e32 v8, s20, v63
	s_delay_alu instid0(VALU_DEP_1) | instskip(SKIP_1) | instid1(VALU_DEP_2)
	v_bfe_u32 v63, v8, 24, 2
	v_and_b32_e32 v8, 0x3030303, v8
	v_sub_nc_u16 v121, v63, v87
	s_delay_alu instid0(VALU_DEP_2) | instskip(SKIP_3) | instid1(VALU_DEP_4)
	v_lshrrev_b32_e32 v79, 16, v8
	v_lshrrev_b16 v84, 8, v8
	v_sub_nc_u16 v117, v8, v77
	v_ashrrev_i32_e32 v8, s20, v64
	v_sub_nc_u16 v119, v79, v119
	v_ashrrev_i32_e32 v79, s19, v149
	v_sub_nc_u16 v118, v84, v118
	s_delay_alu instid0(VALU_DEP_4) | instskip(SKIP_1) | instid1(VALU_DEP_4)
	v_bfe_u32 v63, v8, 24, 2
	v_and_b32_e32 v8, 0x3030303, v8
	v_lshlrev_b32_e32 v79, 2, v79
	s_delay_alu instid0(VALU_DEP_2) | instskip(SKIP_1) | instid1(VALU_DEP_3)
	v_lshrrev_b32_e32 v64, 16, v8
	v_lshrrev_b16 v77, 8, v8
	v_and_b32_e32 v79, 0x4040404, v79
	s_delay_alu instid0(VALU_DEP_1) | instskip(SKIP_3) | instid1(VALU_DEP_4)
	v_lshrrev_b32_e32 v148, 24, v79
	v_lshrrev_b32_e32 v87, 16, v79
	v_lshrrev_b16 v84, 8, v79
	v_sub_nc_u16 v79, v8, v79
	v_sub_nc_u16 v8, v63, v148
	v_add3_u32 v63, s22, v138, v112
	ds_load_2addr_b32 v[148:149], v153 offset1:1
	v_sub_nc_u16 v87, v64, v87
	v_sub_nc_u16 v84, v77, v84
	ds_load_b32 v159, v63
	v_add_nc_u32_e32 v63, 0x2100, v147
	ds_load_2addr_b32 v[63:64], v63 offset1:1
	s_wait_dscnt 0x2
	v_ashrrev_i32_e32 v148, s19, v148
	v_ashrrev_i32_e32 v149, s19, v149
	s_wait_dscnt 0x1
	s_delay_alu instid0(VALU_DEP_2) | instskip(NEXT) | instid1(VALU_DEP_2)
	v_dual_mul_f32 v77, v62, v159 :: v_dual_lshlrev_b32 v148, 2, v148
	v_lshlrev_b32_e32 v149, 2, v149
	s_wait_dscnt 0x0
	v_ashrrev_i32_e32 v63, s20, v63
	s_delay_alu instid0(VALU_DEP_3) | instskip(NEXT) | instid1(VALU_DEP_3)
	v_and_b32_e32 v148, 0x4040404, v148
	v_and_b32_e32 v149, 0x4040404, v149
	s_delay_alu instid0(VALU_DEP_3) | instskip(SKIP_1) | instid1(VALU_DEP_4)
	v_and_b32_e32 v150, 0x3030303, v63
	v_bfe_u32 v63, v63, 24, 2
	v_lshrrev_b32_e32 v155, 16, v148
	v_lshrrev_b32_e32 v156, 24, v148
	v_lshrrev_b16 v154, 8, v148
	v_lshrrev_b32_e32 v152, 16, v150
	v_lshrrev_b16 v151, 8, v150
	v_sub_nc_u16 v160, v150, v148
	v_sub_nc_u16 v63, v63, v156
	s_delay_alu instid0(VALU_DEP_4) | instskip(NEXT) | instid1(VALU_DEP_3)
	v_sub_nc_u16 v208, v152, v155
	v_bfe_i32 v160, v160, 0, 8
	s_delay_alu instid0(VALU_DEP_3) | instskip(NEXT) | instid1(VALU_DEP_3)
	v_lshlrev_b16 v63, 8, v63
	v_and_b32_e32 v152, 0xff, v208
	s_delay_alu instid0(VALU_DEP_1)
	v_or_b32_e32 v210, v152, v63
	v_sub_nc_u16 v63, v151, v154
	v_lshrrev_b32_e32 v152, 16, v149
	v_lshrrev_b32_e32 v154, 24, v149
	v_lshrrev_b16 v151, 8, v149
	v_perm_b32 v216, v210, v208, 0xc0c0500
	v_lshlrev_b16 v161, 8, v63
	v_ashrrev_i32_e32 v63, s20, v64
	s_delay_alu instid0(VALU_DEP_2) | instskip(NEXT) | instid1(VALU_DEP_2)
	v_bfe_i32 v161, v161, 8, 8
	v_and_b32_e32 v64, 0x3030303, v63
	v_bfe_u32 v63, v63, 24, 2
	s_delay_alu instid0(VALU_DEP_2) | instskip(NEXT) | instid1(VALU_DEP_2)
	v_lshrrev_b32_e32 v150, 16, v64
	v_sub_nc_u16 v63, v63, v154
	v_lshrrev_b16 v148, 8, v64
	v_sub_nc_u16 v213, v64, v149
	s_delay_alu instid0(VALU_DEP_4) | instskip(NEXT) | instid1(VALU_DEP_4)
	v_sub_nc_u16 v165, v150, v152
	v_lshlrev_b16 v63, 8, v63
	s_delay_alu instid0(VALU_DEP_3) | instskip(NEXT) | instid1(VALU_DEP_3)
	v_bfe_i32 v217, v213, 0, 8
	v_and_b32_e32 v150, 0xff, v165
	s_delay_alu instid0(VALU_DEP_1)
	v_or_b32_e32 v203, v150, v63
	v_sub_nc_u16 v63, v148, v151
	ds_load_2addr_b32 v[148:149], v153 offset0:2 offset1:3
	v_lshlrev_b16 v205, 8, v63
	v_add_nc_u32_e32 v63, 0x2108, v147
	ds_load_2addr_b32 v[63:64], v63 offset1:1
	s_wait_dscnt 0x1
	v_ashrrev_i32_e32 v148, s19, v148
	v_ashrrev_i32_e32 v149, s19, v149
	s_delay_alu instid0(VALU_DEP_2) | instskip(NEXT) | instid1(VALU_DEP_2)
	v_lshlrev_b32_e32 v148, 2, v148
	v_lshlrev_b32_e32 v149, 2, v149
	s_wait_dscnt 0x0
	v_ashrrev_i32_e32 v63, s20, v63
	s_delay_alu instid0(VALU_DEP_3) | instskip(NEXT) | instid1(VALU_DEP_3)
	v_and_b32_e32 v148, 0x4040404, v148
	v_and_b32_e32 v149, 0x4040404, v149
	s_delay_alu instid0(VALU_DEP_3) | instskip(SKIP_1) | instid1(VALU_DEP_4)
	v_and_b32_e32 v150, 0x3030303, v63
	v_bfe_u32 v63, v63, 24, 2
	v_lshrrev_b32_e32 v155, 16, v148
	v_lshrrev_b32_e32 v156, 24, v148
	v_lshrrev_b16 v154, 8, v148
	v_lshrrev_b32_e32 v152, 16, v150
	v_lshrrev_b16 v151, 8, v150
	v_sub_nc_u16 v214, v150, v148
	v_sub_nc_u16 v63, v63, v156
	s_delay_alu instid0(VALU_DEP_4) | instskip(NEXT) | instid1(VALU_DEP_2)
	v_sub_nc_u16 v168, v152, v155
	v_lshlrev_b16 v63, 8, v63
	s_delay_alu instid0(VALU_DEP_2) | instskip(NEXT) | instid1(VALU_DEP_1)
	v_and_b32_e32 v152, 0xff, v168
	v_or_b32_e32 v206, v152, v63
	v_sub_nc_u16 v63, v151, v154
	v_lshrrev_b32_e32 v152, 16, v149
	v_lshrrev_b32_e32 v154, 24, v149
	v_lshrrev_b16 v151, 8, v149
	s_delay_alu instid0(VALU_DEP_4) | instskip(SKIP_1) | instid1(VALU_DEP_1)
	v_lshlrev_b16 v207, 8, v63
	v_ashrrev_i32_e32 v63, s20, v64
	v_and_b32_e32 v64, 0x3030303, v63
	v_bfe_u32 v63, v63, 24, 2
	s_delay_alu instid0(VALU_DEP_2) | instskip(NEXT) | instid1(VALU_DEP_2)
	v_lshrrev_b32_e32 v150, 16, v64
	v_sub_nc_u16 v63, v63, v154
	v_lshrrev_b16 v148, 8, v64
	v_sub_nc_u16 v218, v64, v149
	s_delay_alu instid0(VALU_DEP_4) | instskip(NEXT) | instid1(VALU_DEP_4)
	v_sub_nc_u16 v164, v150, v152
	v_lshlrev_b16 v63, 8, v63
	s_delay_alu instid0(VALU_DEP_3) | instskip(NEXT) | instid1(VALU_DEP_3)
	v_bfe_i32 v213, v218, 0, 8
	v_and_b32_e32 v150, 0xff, v164
	s_delay_alu instid0(VALU_DEP_1)
	v_or_b32_e32 v169, v150, v63
	v_sub_nc_u16 v63, v148, v151
	ds_load_2addr_b32 v[148:149], v153 offset0:4 offset1:5
	v_lshlrev_b16 v204, 8, v63
	v_add_nc_u32_e32 v63, 0x2110, v147
	ds_load_2addr_b32 v[63:64], v63 offset1:1
	s_wait_dscnt 0x1
	v_ashrrev_i32_e32 v148, s19, v148
	v_ashrrev_i32_e32 v149, s19, v149
	s_delay_alu instid0(VALU_DEP_2) | instskip(NEXT) | instid1(VALU_DEP_2)
	v_lshlrev_b32_e32 v148, 2, v148
	v_lshlrev_b32_e32 v149, 2, v149
	s_wait_dscnt 0x0
	v_ashrrev_i32_e32 v63, s20, v63
	s_delay_alu instid0(VALU_DEP_3) | instskip(NEXT) | instid1(VALU_DEP_2)
	v_and_b32_e32 v148, 0x4040404, v148
	v_and_b32_e32 v150, 0x3030303, v63
	v_bfe_u32 v63, v63, 24, 2
	s_delay_alu instid0(VALU_DEP_3)
	v_lshrrev_b32_e32 v155, 16, v148
	v_lshrrev_b32_e32 v156, 24, v148
	v_lshrrev_b16 v154, 8, v148
	v_lshrrev_b32_e32 v152, 16, v150
	v_lshrrev_b16 v151, 8, v150
	v_sub_nc_u16 v212, v150, v148
	v_sub_nc_u16 v63, v63, v156
	s_delay_alu instid0(VALU_DEP_4) | instskip(NEXT) | instid1(VALU_DEP_3)
	v_sub_nc_u16 v158, v152, v155
	v_bfe_i32 v222, v212, 0, 8
	s_delay_alu instid0(VALU_DEP_3) | instskip(NEXT) | instid1(VALU_DEP_3)
	v_lshlrev_b16 v63, 8, v63
	v_and_b32_e32 v152, 0xff, v158
	s_delay_alu instid0(VALU_DEP_1) | instskip(SKIP_2) | instid1(VALU_DEP_2)
	v_or_b32_e32 v162, v152, v63
	v_sub_nc_u16 v63, v151, v154
	v_and_b32_e32 v151, 0x4040404, v149
	v_lshlrev_b16 v211, 8, v63
	v_ashrrev_i32_e32 v63, s20, v64
	s_delay_alu instid0(VALU_DEP_3)
	v_lshrrev_b32_e32 v149, 16, v151
	v_lshrrev_b32_e32 v152, 24, v151
	v_lshrrev_b16 v154, 8, v151
	v_bfe_i32 v223, v211, 8, 8
	v_and_b32_e32 v64, 0x3030303, v63
	v_bfe_u32 v63, v63, 24, 2
	s_delay_alu instid0(VALU_DEP_2) | instskip(NEXT) | instid1(VALU_DEP_2)
	v_lshrrev_b32_e32 v150, 16, v64
	v_sub_nc_u16 v63, v63, v152
	v_lshrrev_b16 v148, 8, v64
	v_sub_nc_u16 v163, v64, v151
	s_delay_alu instid0(VALU_DEP_4) | instskip(NEXT) | instid1(VALU_DEP_4)
	v_sub_nc_u16 v149, v150, v149
	v_lshlrev_b16 v63, 8, v63
	s_delay_alu instid0(VALU_DEP_2) | instskip(NEXT) | instid1(VALU_DEP_1)
	v_and_b32_e32 v150, 0xff, v149
	v_or_b32_e32 v152, v150, v63
	v_sub_nc_u16 v63, v148, v154
	ds_load_2addr_b32 v[150:151], v153 offset0:6 offset1:7
	v_lshlrev_b16 v154, 8, v63
	v_add_nc_u32_e32 v63, 0x2118, v147
	ds_load_2addr_b32 v[63:64], v63 offset1:1
	s_wait_dscnt 0x1
	v_ashrrev_i32_e32 v150, s19, v150
	v_ashrrev_i32_e32 v151, s19, v151
	s_delay_alu instid0(VALU_DEP_2) | instskip(NEXT) | instid1(VALU_DEP_2)
	v_lshlrev_b32_e32 v150, 2, v150
	v_lshlrev_b32_e32 v151, 2, v151
	s_wait_dscnt 0x0
	v_ashrrev_i32_e32 v63, s20, v63
	s_delay_alu instid0(VALU_DEP_3) | instskip(NEXT) | instid1(VALU_DEP_2)
	v_and_b32_e32 v153, 0x4040404, v150
	v_and_b32_e32 v148, 0x3030303, v63
	v_bfe_u32 v63, v63, 24, 2
	s_delay_alu instid0(VALU_DEP_3) | instskip(SKIP_4) | instid1(VALU_DEP_4)
	v_lshrrev_b32_e32 v150, 16, v153
	v_lshrrev_b32_e32 v166, 24, v153
	v_lshrrev_b16 v157, 8, v153
	v_lshrrev_b32_e32 v155, 16, v148
	v_lshrrev_b16 v156, 8, v148
	v_sub_nc_u16 v63, v63, v166
	v_sub_nc_u16 v166, v148, v153
	s_delay_alu instid0(VALU_DEP_4) | instskip(NEXT) | instid1(VALU_DEP_3)
	v_sub_nc_u16 v150, v155, v150
	v_lshlrev_b16 v63, 8, v63
	s_delay_alu instid0(VALU_DEP_2) | instskip(NEXT) | instid1(VALU_DEP_1)
	v_and_b32_e32 v155, 0xff, v150
	v_or_b32_e32 v155, v155, v63
	v_sub_nc_u16 v63, v156, v157
	v_and_b32_e32 v156, 0x4040404, v151
	s_delay_alu instid0(VALU_DEP_2) | instskip(SKIP_1) | instid1(VALU_DEP_3)
	v_lshlrev_b16 v157, 8, v63
	v_ashrrev_i32_e32 v63, s20, v64
	v_lshrrev_b32_e32 v151, 16, v156
	v_lshrrev_b32_e32 v215, 24, v156
	v_lshrrev_b16 v167, 8, v156
	s_delay_alu instid0(VALU_DEP_4) | instskip(SKIP_1) | instid1(VALU_DEP_2)
	v_and_b32_e32 v64, 0x3030303, v63
	v_bfe_u32 v63, v63, 24, 2
	v_lshrrev_b32_e32 v148, 16, v64
	s_delay_alu instid0(VALU_DEP_2) | instskip(SKIP_1) | instid1(VALU_DEP_3)
	v_sub_nc_u16 v63, v63, v215
	v_lshrrev_b16 v153, 8, v64
	v_sub_nc_u16 v148, v148, v151
	s_delay_alu instid0(VALU_DEP_3) | instskip(NEXT) | instid1(VALU_DEP_2)
	v_lshlrev_b16 v63, 8, v63
	v_and_b32_e32 v151, 0xff, v148
	s_delay_alu instid0(VALU_DEP_1) | instskip(SKIP_4) | instid1(VALU_DEP_4)
	v_or_b32_e32 v151, v151, v63
	v_sub_nc_u16 v63, v153, v167
	v_sub_nc_u16 v167, v64, v156
	v_perm_b32 v64, v203, v165, 0xc05000c
	v_perm_b32 v165, v205, v205, 0xc0c0c01
	v_lshlrev_b16 v153, 8, v63
	v_add3_u32 v63, s22, v140, v114
	s_delay_alu instid0(VALU_DEP_3)
	v_or_b32_e32 v218, v64, v165
	v_perm_b32 v64, v206, v168, 0xc05000c
	v_perm_b32 v165, v207, v207, 0xc0c0c01
	ds_load_b32 v156, v63
	v_or_b32_e32 v219, v64, v165
	v_perm_b32 v64, v169, v164, 0xc05000c
	v_perm_b32 v164, v204, v204, 0xc0c0c01
	v_bfe_i32 v165, v163, 0, 8
	v_bfe_i32 v163, v166, 0, 8
	s_delay_alu instid0(VALU_DEP_3) | instskip(SKIP_4) | instid1(VALU_DEP_3)
	v_or_b32_e32 v220, v64, v164
	ds_load_u16 v64, v221
	v_mul_i32_i24_e32 v63, v34, v160
	v_perm_b32 v164, v162, v158, 0xc0c0500
	v_bfe_i32 v162, v167, 0, 8
	v_mad_i32_i24 v215, v245, v161, v63
	v_perm_b32 v63, v4, v4, 0xc0c0302
	s_delay_alu instid0(VALU_DEP_1) | instskip(SKIP_1) | instid1(VALU_DEP_2)
	v_dot4_i32_iu8 v4, v63, v216, v215 neg_lo:[1,1,0]
	v_bfe_i32 v215, v214, 0, 8
	v_mad_i32_i24 v4, v249, v217, v4
	s_wait_dscnt 0x0
	v_lshrrev_b16 v169, 8, v64
	v_bfe_i32 v221, v64, 0, 8
	v_mul_i32_i24_e32 v64, v226, v222
	v_dot4_i32_iu8 v4, v5, v218, v4 neg_lo:[1,1,0]
	s_delay_alu instid0(VALU_DEP_4) | instskip(NEXT) | instid1(VALU_DEP_3)
	v_bfe_i32 v169, v169, 0, 8
	v_mad_i32_i24 v64, v236, v223, v64
	s_delay_alu instid0(VALU_DEP_3) | instskip(NEXT) | instid1(VALU_DEP_2)
	v_mad_i32_i24 v4, v254, v215, v4
	v_dot4_i32_iu8 v0, v65, v164, v64 neg_lo:[1,1,0]
	v_perm_b32 v64, v1, v1, 0xc030201
	v_perm_b32 v1, v152, v149, 0xc05000c
	;; [unrolled: 1-line block ×3, first 2 shown]
	v_dot4_i32_iu8 v4, v6, v219, v4 neg_lo:[1,1,0]
	v_mad_i32_i24 v0, v232, v165, v0
	s_delay_alu instid0(VALU_DEP_3)
	v_or_b32_e32 v166, v1, v149
	v_perm_b32 v149, v2, v2, 0xc030201
	v_perm_b32 v1, v155, v150, 0xc05000c
	v_perm_b32 v2, v157, v157, 0xc0c0c01
	v_mad_i32_i24 v4, v237, v213, v4
	v_dot4_i32_iu8 v0, v64, v166, v0 neg_lo:[1,1,0]
	s_delay_alu instid0(VALU_DEP_3) | instskip(SKIP_1) | instid1(VALU_DEP_3)
	v_or_b32_e32 v167, v1, v2
	v_perm_b32 v1, v151, v148, 0xc05000c
	v_mad_i32_i24 v0, v235, v163, v0
	v_perm_b32 v2, v153, v153, 0xc0c0c01
	v_dot4_i32_iu8 v4, v7, v220, v4 neg_lo:[1,1,0]
	v_add3_u32 v151, s23, v141, v115
	s_delay_alu instid0(VALU_DEP_4) | instskip(NEXT) | instid1(VALU_DEP_4)
	v_dot4_i32_iu8 v0, v149, v167, v0 neg_lo:[1,1,0]
	v_or_b32_e32 v168, v1, v2
	s_delay_alu instid0(VALU_DEP_4) | instskip(SKIP_2) | instid1(VALU_DEP_1)
	v_mul_lo_u32 v4, v4, v221
	ds_load_2addr_b32 v[2:3], v151 offset1:1
	v_mad_i32_i24 v0, v224, v162, v0
	v_dot4_i32_iu8 v0, v70, v168, v0 neg_lo:[1,1,0]
	s_delay_alu instid0(VALU_DEP_1) | instskip(SKIP_1) | instid1(VALU_DEP_2)
	v_mad_co_u64_u32 v[0:1], null, v0, v169, v[4:5]
	v_mul_f32_e32 v1, v62, v156
	v_cvt_f32_i32_e32 v0, v0
	s_wait_dscnt 0x0
	v_ashrrev_i32_e32 v2, s19, v2
	v_ashrrev_i32_e32 v3, s19, v3
	s_delay_alu instid0(VALU_DEP_3) | instskip(NEXT) | instid1(VALU_DEP_3)
	v_dual_fmac_f32 v75, v1, v0 :: v_dual_add_nc_u32 v0, 0x3180, v147
	v_lshlrev_b32_e32 v2, 2, v2
	s_delay_alu instid0(VALU_DEP_3) | instskip(SKIP_3) | instid1(VALU_DEP_2)
	v_lshlrev_b32_e32 v3, 2, v3
	ds_load_2addr_b32 v[0:1], v0 offset1:1
	v_and_b32_e32 v2, 0x4040404, v2
	v_and_b32_e32 v3, 0x4040404, v3
	v_lshrrev_b32_e32 v153, 16, v2
	v_lshrrev_b32_e32 v154, 24, v2
	v_lshrrev_b16 v152, 8, v2
	s_delay_alu instid0(VALU_DEP_4) | instskip(SKIP_3) | instid1(VALU_DEP_1)
	v_lshrrev_b32_e32 v155, 16, v3
	v_lshrrev_b32_e32 v157, 24, v3
	s_wait_dscnt 0x0
	v_ashrrev_i32_e32 v0, s20, v0
	v_and_b32_e32 v4, 0x3030303, v0
	v_bfe_u32 v0, v0, 24, 2
	s_delay_alu instid0(VALU_DEP_2) | instskip(NEXT) | instid1(VALU_DEP_2)
	v_lshrrev_b32_e32 v150, 16, v4
	v_sub_nc_u16 v0, v0, v154
	v_lshrrev_b16 v148, 8, v4
	v_sub_nc_u16 v4, v4, v2
	v_lshrrev_b16 v154, 8, v3
	v_sub_nc_u16 v150, v150, v153
	v_lshlrev_b16 v0, 8, v0
	s_delay_alu instid0(VALU_DEP_2) | instskip(NEXT) | instid1(VALU_DEP_1)
	v_and_b32_e32 v153, 0xff, v150
	v_or_b32_e32 v153, v153, v0
	v_sub_nc_u16 v0, v148, v152
	s_delay_alu instid0(VALU_DEP_1) | instskip(SKIP_1) | instid1(VALU_DEP_1)
	v_lshlrev_b16 v148, 8, v0
	v_ashrrev_i32_e32 v0, s20, v1
	v_and_b32_e32 v1, 0x3030303, v0
	v_bfe_u32 v0, v0, 24, 2
	s_delay_alu instid0(VALU_DEP_2) | instskip(NEXT) | instid1(VALU_DEP_2)
	v_lshrrev_b32_e32 v152, 16, v1
	v_sub_nc_u16 v0, v0, v157
	v_lshrrev_b16 v2, 8, v1
	v_sub_nc_u16 v157, v1, v3
	s_delay_alu instid0(VALU_DEP_4) | instskip(NEXT) | instid1(VALU_DEP_4)
	v_sub_nc_u16 v152, v152, v155
	v_lshlrev_b16 v0, 8, v0
	s_delay_alu instid0(VALU_DEP_2) | instskip(NEXT) | instid1(VALU_DEP_1)
	v_and_b32_e32 v155, 0xff, v152
	v_or_b32_e32 v155, v155, v0
	v_sub_nc_u16 v0, v2, v154
	ds_load_2addr_b32 v[2:3], v151 offset0:2 offset1:3
	v_lshlrev_b16 v154, 8, v0
	v_add_nc_u32_e32 v0, 0x3188, v147
	ds_load_2addr_b32 v[0:1], v0 offset1:1
	s_wait_dscnt 0x1
	v_ashrrev_i32_e32 v2, s19, v2
	v_ashrrev_i32_e32 v3, s19, v3
	s_delay_alu instid0(VALU_DEP_2) | instskip(NEXT) | instid1(VALU_DEP_2)
	v_lshlrev_b32_e32 v2, 2, v2
	v_lshlrev_b32_e32 v3, 2, v3
	s_wait_dscnt 0x0
	v_ashrrev_i32_e32 v0, s20, v0
	s_delay_alu instid0(VALU_DEP_3) | instskip(NEXT) | instid1(VALU_DEP_3)
	v_and_b32_e32 v2, 0x4040404, v2
	v_and_b32_e32 v3, 0x4040404, v3
	s_delay_alu instid0(VALU_DEP_3) | instskip(SKIP_1) | instid1(VALU_DEP_4)
	v_and_b32_e32 v158, 0x3030303, v0
	v_bfe_u32 v0, v0, 24, 2
	v_lshrrev_b32_e32 v206, 16, v2
	v_lshrrev_b32_e32 v207, 24, v2
	v_lshrrev_b16 v205, 8, v2
	v_lshrrev_b32_e32 v204, 16, v158
	v_lshrrev_b16 v203, 8, v158
	v_sub_nc_u16 v158, v158, v2
	v_sub_nc_u16 v0, v0, v207
	s_delay_alu instid0(VALU_DEP_4) | instskip(SKIP_1) | instid1(VALU_DEP_3)
	v_sub_nc_u16 v211, v204, v206
	v_lshrrev_b32_e32 v206, 24, v3
	v_lshlrev_b16 v0, 8, v0
	s_delay_alu instid0(VALU_DEP_3) | instskip(NEXT) | instid1(VALU_DEP_1)
	v_and_b32_e32 v204, 0xff, v211
	v_or_b32_e32 v212, v204, v0
	v_sub_nc_u16 v0, v203, v205
	v_lshrrev_b32_e32 v205, 16, v3
	v_lshrrev_b16 v204, 8, v3
	s_delay_alu instid0(VALU_DEP_3) | instskip(SKIP_1) | instid1(VALU_DEP_1)
	v_lshlrev_b16 v214, 8, v0
	v_ashrrev_i32_e32 v0, s20, v1
	v_and_b32_e32 v1, 0x3030303, v0
	v_bfe_u32 v0, v0, 24, 2
	s_delay_alu instid0(VALU_DEP_2) | instskip(NEXT) | instid1(VALU_DEP_2)
	v_lshrrev_b32_e32 v203, 16, v1
	v_sub_nc_u16 v0, v0, v206
	v_lshrrev_b16 v2, 8, v1
	s_delay_alu instid0(VALU_DEP_3) | instskip(NEXT) | instid1(VALU_DEP_3)
	v_sub_nc_u16 v71, v203, v205
	v_lshlrev_b16 v0, 8, v0
	v_sub_nc_u16 v205, v1, v3
	s_delay_alu instid0(VALU_DEP_3) | instskip(NEXT) | instid1(VALU_DEP_2)
	v_and_b32_e32 v203, 0xff, v71
	v_bfe_i32 v205, v205, 0, 8
	s_delay_alu instid0(VALU_DEP_2)
	v_or_b32_e32 v72, v203, v0
	v_sub_nc_u16 v0, v2, v204
	ds_load_2addr_b32 v[2:3], v151 offset0:4 offset1:5
	v_lshlrev_b16 v73, 8, v0
	v_add_nc_u32_e32 v0, 0x3190, v147
	ds_load_2addr_b32 v[0:1], v0 offset1:1
	s_wait_dscnt 0x1
	v_ashrrev_i32_e32 v2, s19, v2
	v_ashrrev_i32_e32 v3, s19, v3
	s_delay_alu instid0(VALU_DEP_2) | instskip(NEXT) | instid1(VALU_DEP_2)
	v_lshlrev_b32_e32 v2, 2, v2
	v_lshlrev_b32_e32 v3, 2, v3
	s_wait_dscnt 0x0
	v_ashrrev_i32_e32 v0, s20, v0
	s_delay_alu instid0(VALU_DEP_3) | instskip(NEXT) | instid1(VALU_DEP_3)
	v_and_b32_e32 v2, 0x4040404, v2
	v_and_b32_e32 v3, 0x4040404, v3
	s_delay_alu instid0(VALU_DEP_3) | instskip(SKIP_1) | instid1(VALU_DEP_4)
	v_and_b32_e32 v203, 0x3030303, v0
	v_bfe_u32 v0, v0, 24, 2
	v_lshrrev_b32_e32 v208, 16, v2
	v_lshrrev_b32_e32 v210, 24, v2
	v_lshrrev_b16 v207, 8, v2
	v_lshrrev_b32_e32 v206, 16, v203
	v_lshrrev_b16 v204, 8, v203
	v_sub_nc_u16 v86, v203, v2
	v_sub_nc_u16 v0, v0, v210
	s_delay_alu instid0(VALU_DEP_4) | instskip(SKIP_1) | instid1(VALU_DEP_3)
	v_sub_nc_u16 v74, v206, v208
	v_bfe_i32 v208, v157, 0, 8
	v_lshlrev_b16 v0, 8, v0
	s_delay_alu instid0(VALU_DEP_3) | instskip(NEXT) | instid1(VALU_DEP_1)
	v_and_b32_e32 v206, 0xff, v74
	v_or_b32_e32 v76, v206, v0
	v_sub_nc_u16 v0, v204, v207
	v_lshrrev_b32_e32 v206, 16, v3
	v_lshrrev_b32_e32 v207, 24, v3
	v_lshrrev_b16 v204, 8, v3
	s_delay_alu instid0(VALU_DEP_4) | instskip(SKIP_1) | instid1(VALU_DEP_2)
	v_lshlrev_b16 v85, 8, v0
	v_ashrrev_i32_e32 v0, s20, v1
	v_bfe_i32 v157, v85, 8, 8
	s_delay_alu instid0(VALU_DEP_2) | instskip(SKIP_1) | instid1(VALU_DEP_2)
	v_and_b32_e32 v1, 0x3030303, v0
	v_bfe_u32 v0, v0, 24, 2
	v_lshrrev_b32_e32 v203, 16, v1
	s_delay_alu instid0(VALU_DEP_2) | instskip(SKIP_2) | instid1(VALU_DEP_4)
	v_sub_nc_u16 v0, v0, v207
	v_lshrrev_b16 v2, 8, v1
	v_sub_nc_u16 v82, v1, v3
	v_sub_nc_u16 v55, v203, v206
	s_delay_alu instid0(VALU_DEP_4) | instskip(NEXT) | instid1(VALU_DEP_2)
	v_lshlrev_b16 v0, 8, v0
	v_and_b32_e32 v203, 0xff, v55
	s_delay_alu instid0(VALU_DEP_1)
	v_or_b32_e32 v24, v203, v0
	v_sub_nc_u16 v0, v2, v204
	ds_load_2addr_b32 v[2:3], v151 offset0:6 offset1:7
	v_lshlrev_b16 v81, 8, v0
	v_add_nc_u32_e32 v0, 0x3198, v147
	ds_load_2addr_b32 v[0:1], v0 offset1:1
	s_wait_dscnt 0x1
	v_ashrrev_i32_e32 v2, s19, v2
	v_ashrrev_i32_e32 v3, s19, v3
	s_delay_alu instid0(VALU_DEP_2) | instskip(NEXT) | instid1(VALU_DEP_2)
	v_lshlrev_b32_e32 v2, 2, v2
	v_lshlrev_b32_e32 v3, 2, v3
	s_wait_dscnt 0x0
	v_ashrrev_i32_e32 v0, s20, v0
	s_delay_alu instid0(VALU_DEP_3) | instskip(NEXT) | instid1(VALU_DEP_3)
	v_and_b32_e32 v2, 0x4040404, v2
	v_and_b32_e32 v3, 0x4040404, v3
	s_delay_alu instid0(VALU_DEP_3) | instskip(SKIP_1) | instid1(VALU_DEP_4)
	v_and_b32_e32 v147, 0x3030303, v0
	v_bfe_u32 v0, v0, 24, 2
	v_lshrrev_b32_e32 v206, 16, v2
	v_lshrrev_b32_e32 v207, 24, v2
	v_lshrrev_b16 v151, 8, v2
	v_lshrrev_b32_e32 v204, 16, v147
	v_lshrrev_b16 v203, 8, v147
	v_sub_nc_u16 v2, v147, v2
	v_sub_nc_u16 v0, v0, v207
	v_lshrrev_b32_e32 v207, 24, v3
	v_sub_nc_u16 v83, v204, v206
	v_lshrrev_b32_e32 v206, 16, v3
	s_delay_alu instid0(VALU_DEP_4) | instskip(NEXT) | instid1(VALU_DEP_3)
	v_lshlrev_b16 v0, 8, v0
	v_and_b32_e32 v204, 0xff, v83
	s_delay_alu instid0(VALU_DEP_1) | instskip(SKIP_2) | instid1(VALU_DEP_2)
	v_or_b32_e32 v51, v204, v0
	v_sub_nc_u16 v0, v203, v151
	v_lshrrev_b16 v204, 8, v3
	v_lshlrev_b16 v151, 8, v0
	v_ashrrev_i32_e32 v0, s20, v1
	s_delay_alu instid0(VALU_DEP_1) | instskip(SKIP_1) | instid1(VALU_DEP_2)
	v_and_b32_e32 v1, 0x3030303, v0
	v_bfe_u32 v0, v0, 24, 2
	v_lshrrev_b32_e32 v203, 16, v1
	s_delay_alu instid0(VALU_DEP_2)
	v_sub_nc_u16 v0, v0, v207
	v_lshrrev_b16 v147, 8, v1
	v_sub_nc_u16 v1, v1, v3
	v_add3_u32 v3, s22, v142, v116
	v_sub_nc_u16 v50, v203, v206
	v_lshlrev_b16 v0, 8, v0
	v_perm_b32 v206, v153, v150, 0xc0c0500
	v_bfe_i32 v207, v158, 0, 8
	v_bfe_i32 v158, v86, 0, 8
	v_and_b32_e32 v203, 0xff, v50
	v_bfe_i32 v150, v1, 0, 8
	s_delay_alu instid0(VALU_DEP_2)
	v_or_b32_e32 v88, v203, v0
	v_sub_nc_u16 v0, v147, v204
	v_bfe_i32 v203, v4, 0, 8
	ds_load_b32 v147, v3
	v_bfe_i32 v204, v148, 8, 8
	v_perm_b32 v4, v155, v152, 0xc05000c
	v_lshlrev_b16 v89, 8, v0
	v_add_nc_u32_e32 v0, s21, v101
	v_perm_b32 v155, v76, v74, 0xc0c0500
	v_bfe_i32 v152, v2, 0, 8
	v_perm_b32 v2, v24, v55, 0xc05000c
	ds_load_u16 v0, v0
	v_mul_i32_i24_e32 v3, v34, v203
	s_delay_alu instid0(VALU_DEP_1) | instskip(NEXT) | instid1(VALU_DEP_1)
	v_mad_i32_i24 v3, v245, v204, v3
	v_dot4_i32_iu8 v3, v63, v206, v3 neg_lo:[1,1,0]
	v_perm_b32 v63, v154, v154, 0xc0c0c01
	v_bfe_i32 v154, v82, 0, 8
	s_delay_alu instid0(VALU_DEP_3) | instskip(NEXT) | instid1(VALU_DEP_3)
	v_mad_i32_i24 v3, v249, v208, v3
	v_or_b32_e32 v210, v4, v63
	v_perm_b32 v4, v212, v211, 0xc05000c
	s_delay_alu instid0(VALU_DEP_2) | instskip(SKIP_3) | instid1(VALU_DEP_3)
	v_dot4_i32_iu8 v3, v5, v210, v3 neg_lo:[1,1,0]
	v_perm_b32 v5, v214, v214, 0xc0c0c01
	s_wait_dscnt 0x0
	v_bfe_i32 v214, v0, 0, 8
	v_mad_i32_i24 v3, v254, v207, v3
	s_delay_alu instid0(VALU_DEP_3) | instskip(SKIP_2) | instid1(VALU_DEP_3)
	v_or_b32_e32 v211, v4, v5
	v_perm_b32 v4, v72, v71, 0xc05000c
	v_perm_b32 v5, v73, v73, 0xc0c0c01
	v_dot4_i32_iu8 v3, v6, v211, v3 neg_lo:[1,1,0]
	s_delay_alu instid0(VALU_DEP_2) | instskip(SKIP_1) | instid1(VALU_DEP_3)
	v_or_b32_e32 v212, v4, v5
	v_lshrrev_b16 v4, 8, v0
	v_mad_i32_i24 v3, v237, v205, v3
	s_delay_alu instid0(VALU_DEP_2) | instskip(NEXT) | instid1(VALU_DEP_2)
	v_bfe_i32 v148, v4, 0, 8
	v_dot4_i32_iu8 v3, v7, v212, v3 neg_lo:[1,1,0]
	s_delay_alu instid0(VALU_DEP_1) | instskip(SKIP_1) | instid1(VALU_DEP_1)
	v_mul_lo_u32 v0, v3, v214
	v_mul_i32_i24_e32 v3, v226, v158
	v_mad_i32_i24 v3, v236, v157, v3
	s_delay_alu instid0(VALU_DEP_1) | instskip(NEXT) | instid1(VALU_DEP_1)
	v_dot4_i32_iu8 v3, v65, v155, v3 neg_lo:[1,1,0]
	v_mad_i32_i24 v1, v232, v154, v3
	v_perm_b32 v3, v81, v81, 0xc0c0c01
	s_delay_alu instid0(VALU_DEP_1) | instskip(SKIP_2) | instid1(VALU_DEP_3)
	v_or_b32_e32 v153, v2, v3
	v_perm_b32 v2, v51, v83, 0xc05000c
	v_perm_b32 v3, v151, v151, 0xc0c0c01
	v_dot4_i32_iu8 v1, v64, v153, v1 neg_lo:[1,1,0]
	s_delay_alu instid0(VALU_DEP_2) | instskip(SKIP_2) | instid1(VALU_DEP_4)
	v_or_b32_e32 v151, v2, v3
	v_perm_b32 v2, v88, v50, 0xc05000c
	v_perm_b32 v3, v89, v89, 0xc0c0c01
	v_mad_i32_i24 v1, v235, v152, v1
	s_delay_alu instid0(VALU_DEP_1) | instskip(NEXT) | instid1(VALU_DEP_3)
	v_dot4_i32_iu8 v1, v149, v151, v1 neg_lo:[1,1,0]
	v_or_b32_e32 v149, v2, v3
	v_mul_i32_i24_e32 v2, v241, v243
	v_mul_i32_i24_e32 v3, v240, v244
	v_bfe_i32 v243, v59, 0, 16
	v_mad_i32_i24 v1, v224, v150, v1
	v_bfe_i32 v244, v58, 0, 8
	v_mul_i32_i24_e32 v58, v246, v249
	v_bfe_i32 v249, v49, 0, 16
	v_mul_i32_i24_e32 v74, v243, v247
	v_dot4_i32_iu8 v1, v70, v149, v1 neg_lo:[1,1,0]
	v_bfe_i32 v247, v54, 0, 16
	s_delay_alu instid0(VALU_DEP_4) | instskip(SKIP_1) | instid1(VALU_DEP_4)
	v_mul_i32_i24_e32 v54, v249, v253
	v_bfe_i32 v253, v36, 0, 16
	v_mad_co_u64_u32 v[0:1], null, v1, v148, v[0:1]
	v_mul_f32_e32 v1, v62, v147
	s_delay_alu instid0(VALU_DEP_2) | instskip(NEXT) | instid1(VALU_DEP_1)
	v_cvt_f32_i32_e32 v0, v0
	v_fmac_f32_e32 v69, v1, v0
	v_or_b32_e32 v0, s18, v102
	s_delay_alu instid0(VALU_DEP_1) | instskip(SKIP_3) | instid1(VALU_DEP_1)
	v_lshlrev_b32_e32 v1, 2, v0
	v_lshrrev_b32_e32 v0, 1, v0
	ds_load_b32 v62, v0 offset:38816
	v_mul_i32_i24_e32 v0, v242, v34
	v_mad_i32_i24 v0, v239, v245, v0
	v_bfe_i32 v245, v56, 0, 16
	s_delay_alu instid0(VALU_DEP_2) | instskip(SKIP_3) | instid1(VALU_DEP_1)
	v_add3_u32 v50, v0, v2, v3
	ds_load_b128 v[4:7], v1 offset:25344
	ds_load_b128 v[0:3], v1 offset:25360
	v_mul_i32_i24_e32 v59, v245, v126
	v_add3_u32 v50, v50, v58, v59
	s_wait_dscnt 0x2
	v_mul_f32_e32 v24, v11, v62
	s_wait_dscnt 0x1
	v_lshrrev_b16 v34, 8, v4
	v_bfe_i32 v63, v4, 0, 8
	v_lshrrev_b16 v51, 8, v5
	v_ashrrev_i32_e32 v65, 24, v4
	v_bfe_i32 v70, v4, 16, 8
	v_bfe_i32 v34, v34, 0, 8
	v_mul_i32_i24_e32 v71, v63, v170
	v_bfe_i32 v51, v51, 0, 8
	v_mul_i32_i24_e32 v73, v65, v172
	v_mul_i32_i24_e32 v72, v70, v171
	v_bfe_i32 v56, v5, 0, 8
	v_mad_i32_i24 v71, v34, v173, v71
	v_lshrrev_b16 v55, 8, v6
	v_ashrrev_i32_e32 v76, 24, v5
	v_bfe_i32 v81, v5, 16, 8
	v_mul_i32_i24_e32 v82, v56, v177
	v_add3_u32 v71, v71, v72, v73
	v_mul_i32_i24_e32 v73, v244, v248
	v_mul_i32_i24_e32 v83, v51, v176
	;; [unrolled: 1-line block ×4, first 2 shown]
	v_bfe_i32 v248, v52, 0, 8
	v_add3_u32 v50, v50, v73, v74
	v_add3_u32 v58, v71, v82, v83
	v_mul_i32_i24_e32 v52, v250, v254
	v_bfe_i32 v55, v55, 0, 8
	v_bfe_i32 v49, v6, 0, 8
	v_lshrrev_b16 v64, 8, v7
	v_add3_u32 v58, v58, v85, v86
	v_mul_i32_i24_e32 v71, v81, v244
	v_mul_i32_i24_e32 v73, v76, v243
	v_mul_i32_i24_e32 v74, v248, v252
	v_mul_i32_i24_e32 v76, v247, v251
	v_ashrrev_i32_e32 v81, 24, v6
	v_bfe_i32 v82, v6, 16, 8
	v_mul_i32_i24_e32 v83, v49, v181
	v_mul_i32_i24_e32 v85, v55, v180
	v_add3_u32 v50, v50, v52, v54
	v_bfe_i32 v254, v255, 0, 8
	v_mul_i32_i24_e32 v86, v82, v179
	v_mul_i32_i24_e32 v88, v81, v178
	v_add3_u32 v52, v58, v83, v85
	v_add3_u32 v50, v50, v74, v76
	v_bfe_i32 v251, v41, 0, 16
	v_bfe_i32 v252, v38, 0, 8
	v_mul_i32_i24_e32 v38, v254, v237
	v_mul_i32_i24_e32 v41, v253, v61
	v_bfe_i32 v64, v64, 0, 8
	v_bfe_i32 v36, v7, 0, 8
	v_add3_u32 v52, v52, v86, v88
	v_mul_i32_i24_e32 v74, v82, v248
	v_mul_i32_i24_e32 v76, v81, v247
	;; [unrolled: 1-line block ×4, first 2 shown]
	v_ashrrev_i32_e32 v61, 24, v7
	v_bfe_i32 v81, v7, 16, 8
	v_mul_i32_i24_e32 v54, v36, v185
	v_mul_i32_i24_e32 v82, v64, v184
	v_add3_u32 v38, v50, v38, v41
	v_mul_i32_i24_e32 v85, v61, v182
	v_mul_i32_i24_e32 v83, v81, v183
	;; [unrolled: 1-line block ×4, first 2 shown]
	v_add3_u32 v50, v38, v53, v42
	v_add3_u32 v38, v52, v54, v82
	v_mul_i32_i24_e32 v51, v51, v245
	v_mul_i32_i24_e32 v55, v55, v249
	;; [unrolled: 1-line block ×3, first 2 shown]
	v_mad_i32_i24 v53, v65, v240, v73
	v_add3_u32 v38, v38, v83, v85
	v_mul_i32_i24_e32 v58, v49, v250
	v_mul_i32_i24_e32 v41, v64, v253
	;; [unrolled: 1-line block ×3, first 2 shown]
	v_mad_i32_i24 v61, v70, v241, v71
	v_mul_lo_u32 v54, v38, v209
	v_mul_i32_i24_e32 v38, v36, v254
	v_mad_i32_i24 v59, v63, v242, v59
	v_add3_u32 v51, v72, v51, v55
	v_add3_u32 v52, v53, v76, v52
	;; [unrolled: 1-line block ×3, first 2 shown]
	v_bfe_i32 v61, v125, 0, 8
	v_add3_u32 v38, v59, v58, v38
	v_bfe_i32 v255, v33, 0, 16
	v_add3_u32 v41, v51, v41, v52
	v_bfe_i32 v53, v127, 0, 8
	v_mul_i32_i24_e32 v33, v61, v226
	s_wait_dscnt 0x0
	v_ashrrev_i32_e32 v64, 24, v0
	v_bfe_i32 v65, v0, 16, 8
	v_add3_u32 v51, v38, v42, v41
	v_bfe_i32 v42, v128, 0, 16
	v_mul_i32_i24_e32 v38, v53, v227
	v_mad_i32_i24 v33, v255, v236, v33
	v_mul_i32_i24_e32 v70, v65, v187
	v_mul_i32_i24_e32 v71, v64, v188
	;; [unrolled: 1-line block ×3, first 2 shown]
	v_bfe_i32 v228, v122, 0, 16
	v_bfe_i32 v237, v120, 0, 8
	v_bfe_i32 v226, v124, 0, 16
	v_bfe_i32 v227, v123, 0, 8
	v_add3_u32 v52, v33, v38, v41
	v_lshrrev_b16 v33, 8, v0
	v_bfe_i32 v38, v0, 0, 8
	v_lshrrev_b16 v41, 8, v1
	v_mul_i32_i24_e32 v72, v228, v231
	v_mul_i32_i24_e32 v73, v227, v230
	v_bfe_i32 v33, v33, 0, 8
	v_mul_i32_i24_e32 v59, v38, v186
	v_bfe_i32 v82, v41, 0, 8
	v_bfe_i32 v41, v1, 0, 8
	v_mul_i32_i24_e32 v74, v226, v229
	v_ashrrev_i32_e32 v76, 24, v1
	v_mad_i32_i24 v59, v33, v189, v59
	v_bfe_i32 v81, v1, 16, 8
	v_mul_i32_i24_e32 v83, v41, v193
	v_mul_i32_i24_e32 v85, v82, v192
	v_lshrrev_b16 v55, 8, v2
	v_add3_u32 v59, v59, v70, v71
	v_mul_i32_i24_e32 v71, v237, v232
	v_mul_i32_i24_e32 v86, v81, v191
	;; [unrolled: 1-line block ×3, first 2 shown]
	v_bfe_i32 v231, v118, 0, 16
	v_bfe_i32 v232, v117, 0, 8
	v_add3_u32 v52, v52, v71, v72
	v_bfe_i32 v229, v121, 0, 16
	v_bfe_i32 v230, v119, 0, 8
	;; [unrolled: 1-line block ×3, first 2 shown]
	v_lshrrev_b16 v58, 8, v3
	v_add3_u32 v71, v52, v73, v74
	v_add3_u32 v52, v59, v83, v85
	v_mul_i32_i24_e32 v73, v82, v228
	v_mul_i32_i24_e32 v74, v81, v227
	;; [unrolled: 1-line block ×4, first 2 shown]
	v_add3_u32 v59, v52, v86, v88
	v_bfe_i32 v52, v2, 0, 8
	v_mul_i32_i24_e32 v83, v230, v233
	v_mul_i32_i24_e32 v85, v229, v225
	v_ashrrev_i32_e32 v86, 24, v2
	v_bfe_i32 v88, v2, 16, 8
	v_mul_i32_i24_e32 v89, v52, v197
	v_mul_i32_i24_e32 v117, v55, v196
	v_add3_u32 v71, v71, v81, v82
	v_mul_i32_i24_e32 v119, v86, v194
	v_mul_i32_i24_e32 v118, v88, v195
	v_bfe_i32 v233, v8, 0, 16
	v_add3_u32 v59, v59, v89, v117
	v_add3_u32 v71, v71, v83, v85
	v_mul_i32_i24_e32 v83, v86, v229
	v_bfe_i32 v86, v58, 0, 8
	v_bfe_i32 v8, v3, 0, 8
	v_add3_u32 v59, v59, v118, v119
	v_bfe_i32 v234, v87, 0, 8
	v_bfe_i32 v235, v84, 0, 16
	v_ashrrev_i32_e32 v84, 24, v3
	v_bfe_i32 v85, v3, 16, 8
	v_mul_i32_i24_e32 v58, v8, v201
	v_mul_i32_i24_e32 v87, v86, v200
	;; [unrolled: 1-line block ×6, first 2 shown]
	v_add3_u32 v58, v59, v58, v87
	v_bfe_i32 v236, v79, 0, 8
	v_mul_i32_i24_e32 v76, v76, v226
	v_mul_i32_i24_e32 v68, v235, v68
	;; [unrolled: 1-line block ×3, first 2 shown]
	v_add3_u32 v58, v58, v88, v89
	v_mul_i32_i24_e32 v79, v236, v224
	v_mul_i32_i24_e32 v72, v41, v237
	;; [unrolled: 1-line block ×4, first 2 shown]
	v_mad_co_u64_u32 v[58:59], null, v58, v202, v[54:55]
	v_add3_u32 v68, v71, v79, v68
	v_mul_i32_i24_e32 v59, v84, v233
	v_mad_i32_i24 v64, v64, v42, v76
	v_mul_i32_i24_e32 v81, v52, v232
	v_mad_i32_i24 v65, v65, v53, v74
	v_add3_u32 v67, v68, v67, v66
	v_cvt_f32_i32_e32 v54, v58
	v_mul_i32_i24_e32 v58, v85, v234
	v_mad_i32_i24 v66, v38, v61, v72
	v_add3_u32 v55, v70, v73, v55
	v_add3_u32 v59, v64, v83, v59
	v_fmac_f32_e32 v60, v24, v54
	v_mul_i32_i24_e32 v24, v8, v236
	v_mul_i32_i24_e32 v54, v86, v235
	v_add3_u32 v58, v65, v82, v58
	v_perm_b32 v5, v5, v5, 0xc030201
	v_perm_b32 v6, v6, v6, 0xc030201
	v_add3_u32 v24, v66, v81, v24
	v_add3_u32 v54, v55, v54, v59
	v_perm_b32 v2, v2, v2, 0xc030201
	v_perm_b32 v7, v7, v7, 0xc030201
	v_perm_b32 v3, v3, v3, 0xc030201
	s_delay_alu instid0(VALU_DEP_4) | instskip(SKIP_4) | instid1(VALU_DEP_2)
	v_add3_u32 v24, v24, v58, v54
	ds_load_u16 v54, v238
	s_wait_dscnt 0x0
	v_bfe_i32 v66, v54, 0, 8
	v_lshrrev_b16 v55, 8, v54
	v_mul_lo_u32 v54, v50, v66
	s_delay_alu instid0(VALU_DEP_2) | instskip(NEXT) | instid1(VALU_DEP_1)
	v_bfe_i32 v238, v55, 0, 8
	v_mad_co_u64_u32 v[58:59], null, v67, v238, v[54:55]
	v_mul_lo_u32 v54, v51, v66
	v_perm_b32 v51, v0, v0, 0xc0c0302
	s_delay_alu instid0(VALU_DEP_3) | instskip(NEXT) | instid1(VALU_DEP_3)
	v_cvt_f32_i32_e32 v50, v58
	v_mad_co_u64_u32 v[58:59], null, v24, v238, v[54:55]
	v_mul_f32_e32 v24, v159, v62
	s_delay_alu instid0(VALU_DEP_3) | instskip(NEXT) | instid1(VALU_DEP_3)
	v_fmac_f32_e32 v80, v77, v50
	v_cvt_f32_i32_e32 v50, v58
	s_delay_alu instid0(VALU_DEP_1) | instskip(SKIP_2) | instid1(VALU_DEP_2)
	v_fmac_f32_e32 v57, v24, v50
	v_mul_i32_i24_e32 v24, v63, v160
	v_perm_b32 v50, v4, v4, 0xc0c0302
	v_mad_i32_i24 v24, v34, v161, v24
	s_delay_alu instid0(VALU_DEP_1) | instskip(SKIP_1) | instid1(VALU_DEP_2)
	v_dot4_i32_iu8 v4, v50, v216, v24 neg_lo:[1,1,0]
	v_mul_i32_i24_e32 v24, v38, v222
	v_mad_i32_i24 v4, v56, v217, v4
	s_delay_alu instid0(VALU_DEP_2) | instskip(NEXT) | instid1(VALU_DEP_2)
	v_mad_i32_i24 v24, v33, v223, v24
	v_dot4_i32_iu8 v4, v5, v218, v4 neg_lo:[1,1,0]
	s_delay_alu instid0(VALU_DEP_2) | instskip(SKIP_1) | instid1(VALU_DEP_3)
	v_dot4_i32_iu8 v0, v51, v164, v24 neg_lo:[1,1,0]
	v_perm_b32 v24, v1, v1, 0xc030201
	v_mad_i32_i24 v4, v49, v215, v4
	s_delay_alu instid0(VALU_DEP_3) | instskip(NEXT) | instid1(VALU_DEP_2)
	v_mad_i32_i24 v0, v41, v165, v0
	v_dot4_i32_iu8 v4, v6, v219, v4 neg_lo:[1,1,0]
	s_delay_alu instid0(VALU_DEP_2) | instskip(NEXT) | instid1(VALU_DEP_2)
	v_dot4_i32_iu8 v0, v24, v166, v0 neg_lo:[1,1,0]
	v_mad_i32_i24 v4, v36, v213, v4
	s_delay_alu instid0(VALU_DEP_2) | instskip(NEXT) | instid1(VALU_DEP_2)
	v_mad_i32_i24 v0, v52, v163, v0
	v_dot4_i32_iu8 v4, v7, v220, v4 neg_lo:[1,1,0]
	s_delay_alu instid0(VALU_DEP_2) | instskip(NEXT) | instid1(VALU_DEP_2)
	v_dot4_i32_iu8 v0, v2, v167, v0 neg_lo:[1,1,0]
	v_mul_lo_u32 v4, v4, v221
	s_delay_alu instid0(VALU_DEP_2) | instskip(NEXT) | instid1(VALU_DEP_1)
	v_mad_i32_i24 v0, v8, v162, v0
	v_dot4_i32_iu8 v0, v3, v168, v0 neg_lo:[1,1,0]
	s_delay_alu instid0(VALU_DEP_1) | instskip(SKIP_1) | instid1(VALU_DEP_2)
	v_mad_co_u64_u32 v[0:1], null, v0, v169, v[4:5]
	v_mul_f32_e32 v1, v156, v62
	v_cvt_f32_i32_e32 v0, v0
	s_delay_alu instid0(VALU_DEP_1) | instskip(SKIP_2) | instid1(VALU_DEP_2)
	v_fmac_f32_e32 v48, v1, v0
	v_mul_i32_i24_e32 v0, v63, v203
	v_mul_i32_i24_e32 v1, v38, v158
	v_mad_i32_i24 v0, v34, v204, v0
	s_delay_alu instid0(VALU_DEP_2) | instskip(NEXT) | instid1(VALU_DEP_2)
	v_mad_i32_i24 v1, v33, v157, v1
	v_dot4_i32_iu8 v0, v50, v206, v0 neg_lo:[1,1,0]
	s_delay_alu instid0(VALU_DEP_2) | instskip(NEXT) | instid1(VALU_DEP_2)
	v_dot4_i32_iu8 v1, v51, v155, v1 neg_lo:[1,1,0]
	v_mad_i32_i24 v0, v56, v208, v0
	s_delay_alu instid0(VALU_DEP_2) | instskip(NEXT) | instid1(VALU_DEP_2)
	v_mad_i32_i24 v1, v41, v154, v1
	v_dot4_i32_iu8 v0, v5, v210, v0 neg_lo:[1,1,0]
	s_delay_alu instid0(VALU_DEP_2) | instskip(NEXT) | instid1(VALU_DEP_2)
	v_dot4_i32_iu8 v1, v24, v153, v1 neg_lo:[1,1,0]
	v_mad_i32_i24 v0, v49, v207, v0
	s_delay_alu instid0(VALU_DEP_2) | instskip(NEXT) | instid1(VALU_DEP_2)
	v_mad_i32_i24 v1, v52, v152, v1
	v_dot4_i32_iu8 v0, v6, v211, v0 neg_lo:[1,1,0]
	s_delay_alu instid0(VALU_DEP_2) | instskip(NEXT) | instid1(VALU_DEP_2)
	v_dot4_i32_iu8 v1, v2, v151, v1 neg_lo:[1,1,0]
	v_mad_i32_i24 v0, v36, v205, v0
	s_delay_alu instid0(VALU_DEP_2) | instskip(NEXT) | instid1(VALU_DEP_2)
	v_mad_i32_i24 v1, v8, v150, v1
	v_dot4_i32_iu8 v0, v7, v212, v0 neg_lo:[1,1,0]
	s_delay_alu instid0(VALU_DEP_2) | instskip(NEXT) | instid1(VALU_DEP_2)
	v_dot4_i32_iu8 v1, v3, v149, v1 neg_lo:[1,1,0]
	v_mul_lo_u32 v0, v0, v214
	s_delay_alu instid0(VALU_DEP_1) | instskip(SKIP_1) | instid1(VALU_DEP_2)
	v_mad_co_u64_u32 v[0:1], null, v1, v148, v[0:1]
	v_mul_f32_e32 v1, v147, v62
	v_cvt_f32_i32_e32 v0, v0
	s_delay_alu instid0(VALU_DEP_1) | instskip(SKIP_1) | instid1(VALU_DEP_1)
	v_fmac_f32_e32 v47, v1, v0
	v_or_b32_e32 v0, s18, v103
	v_lshlrev_b32_e32 v1, 2, v0
	v_lshrrev_b32_e32 v0, 1, v0
	ds_load_b32 v8, v0 offset:38816
	ds_load_b128 v[4:7], v1 offset:25344
	ds_load_b128 v[0:3], v1 offset:25360
	s_wait_dscnt 0x1
	v_bfe_i32 v33, v4, 0, 8
	v_bfe_i32 v34, v4, 8, 8
	;; [unrolled: 1-line block ×3, first 2 shown]
	v_ashrrev_i32_e32 v50, 24, v4
	v_bfe_i32 v36, v5, 0, 8
	v_mul_i32_i24_e32 v59, v170, v33
	v_bfe_i32 v51, v5, 8, 8
	v_mul_i32_i24_e32 v62, v171, v24
	v_mul_i32_i24_e32 v63, v172, v50
	v_bfe_i32 v55, v5, 16, 8
	v_mad_i32_i24 v59, v173, v34, v59
	v_ashrrev_i32_e32 v64, 24, v5
	s_wait_dscnt 0x0
	v_bfe_i32 v49, v0, 0, 8
	v_bfe_i32 v52, v0, 8, 8
	;; [unrolled: 1-line block ×3, first 2 shown]
	v_add3_u32 v59, v59, v62, v63
	v_mul_i32_i24_e32 v62, v177, v36
	v_mul_i32_i24_e32 v63, v176, v51
	v_ashrrev_i32_e32 v74, 24, v0
	v_mul_i32_i24_e32 v87, v175, v55
	v_mul_i32_i24_e32 v88, v174, v64
	v_bfe_i32 v38, v6, 0, 8
	v_add3_u32 v59, v59, v62, v63
	v_mul_i32_i24_e32 v62, v186, v49
	v_bfe_i32 v65, v6, 8, 8
	v_bfe_i32 v54, v1, 0, 8
	;; [unrolled: 1-line block ×3, first 2 shown]
	v_add3_u32 v59, v59, v87, v88
	v_mul_i32_i24_e32 v63, v187, v73
	v_mul_i32_i24_e32 v87, v188, v74
	v_mad_i32_i24 v62, v189, v52, v62
	v_bfe_i32 v67, v6, 16, 8
	v_ashrrev_i32_e32 v68, 24, v6
	v_bfe_i32 v77, v1, 16, 8
	v_ashrrev_i32_e32 v79, 24, v1
	v_mul_i32_i24_e32 v89, v181, v38
	v_mul_i32_i24_e32 v117, v180, v65
	v_add3_u32 v62, v62, v63, v87
	v_mul_i32_i24_e32 v63, v193, v54
	v_mul_i32_i24_e32 v87, v192, v76
	v_bfe_i32 v41, v7, 0, 8
	v_bfe_i32 v70, v7, 8, 8
	;; [unrolled: 1-line block ×4, first 2 shown]
	v_mul_i32_i24_e32 v118, v179, v67
	v_mul_i32_i24_e32 v119, v178, v68
	v_add3_u32 v59, v59, v89, v117
	v_mul_i32_i24_e32 v88, v191, v77
	v_mul_i32_i24_e32 v89, v190, v79
	v_add3_u32 v62, v62, v63, v87
	v_bfe_i32 v71, v7, 16, 8
	v_ashrrev_i32_e32 v72, 24, v7
	v_bfe_i32 v82, v2, 16, 8
	v_ashrrev_i32_e32 v83, 24, v2
	v_mul_i32_i24_e32 v120, v185, v41
	v_mul_i32_i24_e32 v121, v184, v70
	v_add3_u32 v59, v59, v118, v119
	v_mul_i32_i24_e32 v117, v197, v56
	v_mul_i32_i24_e32 v118, v196, v81
	v_add3_u32 v62, v62, v88, v89
	v_bfe_i32 v58, v3, 0, 8
	v_bfe_i32 v84, v3, 8, 8
	v_mul_i32_i24_e32 v122, v183, v71
	v_mul_i32_i24_e32 v123, v182, v72
	v_add3_u32 v59, v59, v120, v121
	v_mul_i32_i24_e32 v119, v195, v82
	v_mul_i32_i24_e32 v120, v194, v83
	v_add3_u32 v62, v62, v117, v118
	v_bfe_i32 v85, v3, 16, 8
	v_ashrrev_i32_e32 v86, 24, v3
	v_add3_u32 v59, v59, v122, v123
	v_mul_i32_i24_e32 v121, v201, v58
	v_mul_i32_i24_e32 v122, v200, v84
	v_add3_u32 v62, v62, v119, v120
	v_mul_i32_i24_e32 v123, v199, v85
	v_mul_i32_i24_e32 v124, v198, v86
	v_mul_lo_u32 v59, v59, v209
	v_mul_i32_i24_e32 v24, v241, v24
	v_add3_u32 v62, v62, v121, v122
	v_mul_i32_i24_e32 v50, v240, v50
	v_mul_i32_i24_e32 v51, v245, v51
	;; [unrolled: 1-line block ×3, first 2 shown]
	v_perm_b32 v5, v5, v5, 0xc030201
	v_add3_u32 v62, v62, v123, v124
	v_perm_b32 v6, v6, v6, 0xc030201
	v_perm_b32 v2, v2, v2, 0xc030201
	;; [unrolled: 1-line block ×4, first 2 shown]
	v_mad_co_u64_u32 v[62:63], null, v62, v202, v[59:60]
	v_mul_f32_e32 v59, v11, v8
	v_mul_i32_i24_e32 v63, v249, v65
	v_mul_i32_i24_e32 v65, v247, v68
	;; [unrolled: 1-line block ×5, first 2 shown]
	v_cvt_f32_i32_e32 v62, v62
	v_mul_i32_i24_e32 v72, v233, v86
	s_delay_alu instid0(VALU_DEP_2) | instskip(SKIP_2) | instid1(VALU_DEP_2)
	v_fmac_f32_e32 v46, v59, v62
	v_mul_i32_i24_e32 v59, v242, v33
	v_mul_i32_i24_e32 v62, v250, v38
	v_mad_i32_i24 v59, v239, v34, v59
	s_delay_alu instid0(VALU_DEP_1) | instskip(SKIP_4) | instid1(VALU_DEP_4)
	v_add3_u32 v24, v59, v24, v50
	v_mul_i32_i24_e32 v50, v246, v36
	v_mul_i32_i24_e32 v59, v243, v64
	;; [unrolled: 1-line block ×4, first 2 shown]
	v_add3_u32 v24, v24, v50, v51
	v_mul_i32_i24_e32 v50, v53, v73
	v_mul_i32_i24_e32 v51, v42, v74
	s_delay_alu instid0(VALU_DEP_3) | instskip(SKIP_1) | instid1(VALU_DEP_2)
	v_add3_u32 v24, v24, v55, v59
	v_mul_i32_i24_e32 v55, v227, v77
	v_add3_u32 v24, v24, v62, v63
	v_mul_i32_i24_e32 v62, v226, v79
	v_mul_i32_i24_e32 v63, v232, v56
	s_delay_alu instid0(VALU_DEP_3) | instskip(SKIP_2) | instid1(VALU_DEP_3)
	v_add3_u32 v24, v24, v64, v65
	v_mul_i32_i24_e32 v64, v231, v81
	v_mul_i32_i24_e32 v65, v230, v82
	v_add3_u32 v24, v24, v67, v68
	v_mul_i32_i24_e32 v67, v229, v83
	v_mul_i32_i24_e32 v68, v236, v58
	s_delay_alu instid0(VALU_DEP_3) | instskip(SKIP_2) | instid1(VALU_DEP_3)
	v_add3_u32 v24, v24, v70, v71
	v_mul_i32_i24_e32 v70, v235, v84
	v_mul_i32_i24_e32 v71, v234, v85
	v_mul_lo_u32 v59, v24, v66
	v_mul_i32_i24_e32 v24, v61, v49
	s_delay_alu instid0(VALU_DEP_1) | instskip(NEXT) | instid1(VALU_DEP_1)
	v_mad_i32_i24 v24, v255, v52, v24
	v_add3_u32 v24, v24, v50, v51
	v_mul_i32_i24_e32 v50, v237, v54
	v_mul_i32_i24_e32 v51, v228, v76
	s_delay_alu instid0(VALU_DEP_1) | instskip(SKIP_1) | instid1(VALU_DEP_2)
	v_add3_u32 v24, v24, v50, v51
	v_perm_b32 v51, v0, v0, 0xc0c0302
	v_add3_u32 v24, v24, v55, v62
	s_delay_alu instid0(VALU_DEP_1) | instskip(NEXT) | instid1(VALU_DEP_1)
	v_add3_u32 v24, v24, v63, v64
	v_add3_u32 v24, v24, v65, v67
	s_delay_alu instid0(VALU_DEP_1) | instskip(NEXT) | instid1(VALU_DEP_1)
	v_add3_u32 v24, v24, v68, v70
	v_add3_u32 v24, v24, v71, v72
	s_delay_alu instid0(VALU_DEP_1) | instskip(SKIP_1) | instid1(VALU_DEP_2)
	v_mad_co_u64_u32 v[62:63], null, v24, v238, v[59:60]
	v_mul_f32_e32 v24, v159, v8
	v_cvt_f32_i32_e32 v50, v62
	s_delay_alu instid0(VALU_DEP_1) | instskip(SKIP_2) | instid1(VALU_DEP_2)
	v_fmac_f32_e32 v45, v24, v50
	v_mul_i32_i24_e32 v24, v33, v160
	v_perm_b32 v50, v4, v4, 0xc0c0302
	v_mad_i32_i24 v24, v34, v161, v24
	s_delay_alu instid0(VALU_DEP_1) | instskip(SKIP_1) | instid1(VALU_DEP_2)
	v_dot4_i32_iu8 v4, v50, v216, v24 neg_lo:[1,1,0]
	v_mul_i32_i24_e32 v24, v49, v222
	v_mad_i32_i24 v4, v36, v217, v4
	s_delay_alu instid0(VALU_DEP_2) | instskip(NEXT) | instid1(VALU_DEP_2)
	v_mad_i32_i24 v24, v52, v223, v24
	v_dot4_i32_iu8 v4, v5, v218, v4 neg_lo:[1,1,0]
	s_delay_alu instid0(VALU_DEP_2) | instskip(SKIP_1) | instid1(VALU_DEP_3)
	v_dot4_i32_iu8 v0, v51, v164, v24 neg_lo:[1,1,0]
	v_perm_b32 v24, v1, v1, 0xc030201
	v_mad_i32_i24 v4, v38, v215, v4
	s_delay_alu instid0(VALU_DEP_3) | instskip(NEXT) | instid1(VALU_DEP_2)
	v_mad_i32_i24 v0, v54, v165, v0
	v_dot4_i32_iu8 v4, v6, v219, v4 neg_lo:[1,1,0]
	s_delay_alu instid0(VALU_DEP_2) | instskip(NEXT) | instid1(VALU_DEP_2)
	v_dot4_i32_iu8 v0, v24, v166, v0 neg_lo:[1,1,0]
	v_mad_i32_i24 v4, v41, v213, v4
	s_delay_alu instid0(VALU_DEP_2) | instskip(NEXT) | instid1(VALU_DEP_2)
	v_mad_i32_i24 v0, v56, v163, v0
	v_dot4_i32_iu8 v4, v7, v220, v4 neg_lo:[1,1,0]
	s_delay_alu instid0(VALU_DEP_2) | instskip(NEXT) | instid1(VALU_DEP_2)
	v_dot4_i32_iu8 v0, v2, v167, v0 neg_lo:[1,1,0]
	v_mul_lo_u32 v4, v4, v221
	s_delay_alu instid0(VALU_DEP_2) | instskip(NEXT) | instid1(VALU_DEP_1)
	v_mad_i32_i24 v0, v58, v162, v0
	v_dot4_i32_iu8 v0, v3, v168, v0 neg_lo:[1,1,0]
	s_delay_alu instid0(VALU_DEP_1) | instskip(SKIP_1) | instid1(VALU_DEP_2)
	v_mad_co_u64_u32 v[0:1], null, v0, v169, v[4:5]
	v_mul_f32_e32 v1, v156, v8
	v_cvt_f32_i32_e32 v0, v0
	s_delay_alu instid0(VALU_DEP_1) | instskip(SKIP_2) | instid1(VALU_DEP_2)
	v_fmac_f32_e32 v44, v1, v0
	v_mul_i32_i24_e32 v0, v33, v203
	v_mul_i32_i24_e32 v1, v49, v158
	v_mad_i32_i24 v0, v34, v204, v0
	s_delay_alu instid0(VALU_DEP_2) | instskip(NEXT) | instid1(VALU_DEP_2)
	v_mad_i32_i24 v1, v52, v157, v1
	v_dot4_i32_iu8 v0, v50, v206, v0 neg_lo:[1,1,0]
	s_delay_alu instid0(VALU_DEP_2) | instskip(NEXT) | instid1(VALU_DEP_2)
	v_dot4_i32_iu8 v1, v51, v155, v1 neg_lo:[1,1,0]
	v_mad_i32_i24 v0, v36, v208, v0
	s_delay_alu instid0(VALU_DEP_2) | instskip(NEXT) | instid1(VALU_DEP_2)
	v_mad_i32_i24 v1, v54, v154, v1
	v_dot4_i32_iu8 v0, v5, v210, v0 neg_lo:[1,1,0]
	s_delay_alu instid0(VALU_DEP_2) | instskip(NEXT) | instid1(VALU_DEP_2)
	v_dot4_i32_iu8 v1, v24, v153, v1 neg_lo:[1,1,0]
	;; [unrolled: 6-line block ×4, first 2 shown]
	v_mul_lo_u32 v0, v0, v214
	s_delay_alu instid0(VALU_DEP_1) | instskip(SKIP_1) | instid1(VALU_DEP_2)
	v_mad_co_u64_u32 v[0:1], null, v1, v148, v[0:1]
	v_mul_f32_e32 v1, v147, v8
	v_cvt_f32_i32_e32 v0, v0
	s_delay_alu instid0(VALU_DEP_1) | instskip(SKIP_1) | instid1(VALU_DEP_1)
	v_fmac_f32_e32 v43, v1, v0
	v_or_b32_e32 v0, s18, v104
	v_lshlrev_b32_e32 v1, 2, v0
	v_lshrrev_b32_e32 v0, 1, v0
	ds_load_b32 v8, v0 offset:38816
	ds_load_b128 v[4:7], v1 offset:25344
	ds_load_b128 v[0:3], v1 offset:25360
	s_wait_dscnt 0x1
	v_bfe_i32 v33, v4, 0, 8
	v_bfe_i32 v34, v4, 8, 8
	;; [unrolled: 1-line block ×3, first 2 shown]
	v_ashrrev_i32_e32 v50, 24, v4
	v_bfe_i32 v36, v5, 0, 8
	v_mul_i32_i24_e32 v59, v170, v33
	v_bfe_i32 v51, v5, 8, 8
	v_mul_i32_i24_e32 v62, v171, v24
	v_mul_i32_i24_e32 v63, v172, v50
	v_bfe_i32 v55, v5, 16, 8
	v_mad_i32_i24 v59, v173, v34, v59
	v_ashrrev_i32_e32 v64, 24, v5
	s_wait_dscnt 0x0
	v_bfe_i32 v49, v0, 0, 8
	v_bfe_i32 v52, v0, 8, 8
	;; [unrolled: 1-line block ×3, first 2 shown]
	v_add3_u32 v59, v59, v62, v63
	v_mul_i32_i24_e32 v62, v177, v36
	v_mul_i32_i24_e32 v63, v176, v51
	v_ashrrev_i32_e32 v74, 24, v0
	v_mul_i32_i24_e32 v87, v175, v55
	v_mul_i32_i24_e32 v88, v174, v64
	v_bfe_i32 v38, v6, 0, 8
	v_add3_u32 v59, v59, v62, v63
	v_mul_i32_i24_e32 v62, v186, v49
	v_bfe_i32 v65, v6, 8, 8
	v_bfe_i32 v54, v1, 0, 8
	;; [unrolled: 1-line block ×3, first 2 shown]
	v_add3_u32 v59, v59, v87, v88
	v_mul_i32_i24_e32 v63, v187, v73
	v_mul_i32_i24_e32 v87, v188, v74
	v_mad_i32_i24 v62, v189, v52, v62
	v_bfe_i32 v67, v6, 16, 8
	v_ashrrev_i32_e32 v68, 24, v6
	v_bfe_i32 v77, v1, 16, 8
	v_ashrrev_i32_e32 v79, 24, v1
	v_mul_i32_i24_e32 v89, v181, v38
	v_mul_i32_i24_e32 v117, v180, v65
	v_add3_u32 v62, v62, v63, v87
	v_mul_i32_i24_e32 v63, v193, v54
	v_mul_i32_i24_e32 v87, v192, v76
	v_bfe_i32 v41, v7, 0, 8
	v_bfe_i32 v70, v7, 8, 8
	;; [unrolled: 1-line block ×4, first 2 shown]
	v_mul_i32_i24_e32 v118, v179, v67
	v_mul_i32_i24_e32 v119, v178, v68
	v_add3_u32 v59, v59, v89, v117
	v_mul_i32_i24_e32 v88, v191, v77
	v_mul_i32_i24_e32 v89, v190, v79
	v_add3_u32 v62, v62, v63, v87
	v_bfe_i32 v71, v7, 16, 8
	v_ashrrev_i32_e32 v72, 24, v7
	v_bfe_i32 v82, v2, 16, 8
	v_ashrrev_i32_e32 v83, 24, v2
	v_mul_i32_i24_e32 v120, v185, v41
	v_mul_i32_i24_e32 v121, v184, v70
	v_add3_u32 v59, v59, v118, v119
	v_mul_i32_i24_e32 v117, v197, v56
	v_mul_i32_i24_e32 v118, v196, v81
	v_add3_u32 v62, v62, v88, v89
	v_bfe_i32 v58, v3, 0, 8
	v_bfe_i32 v84, v3, 8, 8
	v_mul_i32_i24_e32 v122, v183, v71
	v_mul_i32_i24_e32 v123, v182, v72
	v_add3_u32 v59, v59, v120, v121
	v_mul_i32_i24_e32 v119, v195, v82
	v_mul_i32_i24_e32 v120, v194, v83
	v_add3_u32 v62, v62, v117, v118
	v_bfe_i32 v85, v3, 16, 8
	v_ashrrev_i32_e32 v86, 24, v3
	v_add3_u32 v59, v59, v122, v123
	v_mul_i32_i24_e32 v121, v201, v58
	v_mul_i32_i24_e32 v122, v200, v84
	v_add3_u32 v62, v62, v119, v120
	v_mul_i32_i24_e32 v123, v199, v85
	v_mul_i32_i24_e32 v124, v198, v86
	v_mul_lo_u32 v59, v59, v209
	v_mul_i32_i24_e32 v24, v241, v24
	v_add3_u32 v62, v62, v121, v122
	v_mul_i32_i24_e32 v50, v240, v50
	v_mul_i32_i24_e32 v51, v245, v51
	;; [unrolled: 1-line block ×3, first 2 shown]
	v_perm_b32 v5, v5, v5, 0xc030201
	v_add3_u32 v62, v62, v123, v124
	v_perm_b32 v6, v6, v6, 0xc030201
	v_perm_b32 v2, v2, v2, 0xc030201
	;; [unrolled: 1-line block ×4, first 2 shown]
	v_mad_co_u64_u32 v[62:63], null, v62, v202, v[59:60]
	v_mul_f32_e32 v59, v11, v8
	v_mul_i32_i24_e32 v63, v249, v65
	v_mul_i32_i24_e32 v65, v247, v68
	;; [unrolled: 1-line block ×5, first 2 shown]
	v_cvt_f32_i32_e32 v62, v62
	v_mul_i32_i24_e32 v72, v233, v86
	s_delay_alu instid0(VALU_DEP_2) | instskip(SKIP_2) | instid1(VALU_DEP_2)
	v_fmac_f32_e32 v40, v59, v62
	v_mul_i32_i24_e32 v59, v242, v33
	v_mul_i32_i24_e32 v62, v250, v38
	v_mad_i32_i24 v59, v239, v34, v59
	s_delay_alu instid0(VALU_DEP_1) | instskip(SKIP_4) | instid1(VALU_DEP_4)
	v_add3_u32 v24, v59, v24, v50
	v_mul_i32_i24_e32 v50, v246, v36
	v_mul_i32_i24_e32 v59, v243, v64
	;; [unrolled: 1-line block ×4, first 2 shown]
	v_add3_u32 v24, v24, v50, v51
	v_mul_i32_i24_e32 v50, v53, v73
	v_mul_i32_i24_e32 v51, v42, v74
	s_delay_alu instid0(VALU_DEP_3) | instskip(SKIP_1) | instid1(VALU_DEP_2)
	v_add3_u32 v24, v24, v55, v59
	v_mul_i32_i24_e32 v55, v227, v77
	v_add3_u32 v24, v24, v62, v63
	v_mul_i32_i24_e32 v62, v226, v79
	v_mul_i32_i24_e32 v63, v232, v56
	s_delay_alu instid0(VALU_DEP_3) | instskip(SKIP_2) | instid1(VALU_DEP_3)
	v_add3_u32 v24, v24, v64, v65
	v_mul_i32_i24_e32 v64, v231, v81
	v_mul_i32_i24_e32 v65, v230, v82
	v_add3_u32 v24, v24, v67, v68
	v_mul_i32_i24_e32 v67, v229, v83
	v_mul_i32_i24_e32 v68, v236, v58
	s_delay_alu instid0(VALU_DEP_3) | instskip(SKIP_2) | instid1(VALU_DEP_3)
	v_add3_u32 v24, v24, v70, v71
	v_mul_i32_i24_e32 v70, v235, v84
	v_mul_i32_i24_e32 v71, v234, v85
	v_mul_lo_u32 v59, v24, v66
	v_mul_i32_i24_e32 v24, v61, v49
	s_delay_alu instid0(VALU_DEP_1) | instskip(NEXT) | instid1(VALU_DEP_1)
	v_mad_i32_i24 v24, v255, v52, v24
	v_add3_u32 v24, v24, v50, v51
	v_mul_i32_i24_e32 v50, v237, v54
	v_mul_i32_i24_e32 v51, v228, v76
	s_delay_alu instid0(VALU_DEP_1) | instskip(SKIP_1) | instid1(VALU_DEP_2)
	v_add3_u32 v24, v24, v50, v51
	v_perm_b32 v51, v0, v0, 0xc0c0302
	v_add3_u32 v24, v24, v55, v62
	s_delay_alu instid0(VALU_DEP_1) | instskip(NEXT) | instid1(VALU_DEP_1)
	v_add3_u32 v24, v24, v63, v64
	v_add3_u32 v24, v24, v65, v67
	s_delay_alu instid0(VALU_DEP_1) | instskip(NEXT) | instid1(VALU_DEP_1)
	v_add3_u32 v24, v24, v68, v70
	v_add3_u32 v24, v24, v71, v72
	s_delay_alu instid0(VALU_DEP_1) | instskip(SKIP_1) | instid1(VALU_DEP_2)
	v_mad_co_u64_u32 v[62:63], null, v24, v238, v[59:60]
	v_mul_f32_e32 v24, v159, v8
	v_cvt_f32_i32_e32 v50, v62
	s_delay_alu instid0(VALU_DEP_1) | instskip(SKIP_2) | instid1(VALU_DEP_2)
	v_fmac_f32_e32 v37, v24, v50
	v_mul_i32_i24_e32 v24, v33, v160
	v_perm_b32 v50, v4, v4, 0xc0c0302
	v_mad_i32_i24 v24, v34, v161, v24
	s_delay_alu instid0(VALU_DEP_1) | instskip(SKIP_1) | instid1(VALU_DEP_2)
	v_dot4_i32_iu8 v4, v50, v216, v24 neg_lo:[1,1,0]
	v_mul_i32_i24_e32 v24, v49, v222
	v_mad_i32_i24 v4, v36, v217, v4
	s_delay_alu instid0(VALU_DEP_2) | instskip(NEXT) | instid1(VALU_DEP_2)
	v_mad_i32_i24 v24, v52, v223, v24
	v_dot4_i32_iu8 v4, v5, v218, v4 neg_lo:[1,1,0]
	s_delay_alu instid0(VALU_DEP_2) | instskip(SKIP_1) | instid1(VALU_DEP_3)
	v_dot4_i32_iu8 v0, v51, v164, v24 neg_lo:[1,1,0]
	v_perm_b32 v24, v1, v1, 0xc030201
	v_mad_i32_i24 v4, v38, v215, v4
	s_delay_alu instid0(VALU_DEP_3) | instskip(NEXT) | instid1(VALU_DEP_2)
	v_mad_i32_i24 v0, v54, v165, v0
	v_dot4_i32_iu8 v4, v6, v219, v4 neg_lo:[1,1,0]
	s_delay_alu instid0(VALU_DEP_2) | instskip(NEXT) | instid1(VALU_DEP_2)
	v_dot4_i32_iu8 v0, v24, v166, v0 neg_lo:[1,1,0]
	v_mad_i32_i24 v4, v41, v213, v4
	s_delay_alu instid0(VALU_DEP_2) | instskip(NEXT) | instid1(VALU_DEP_2)
	v_mad_i32_i24 v0, v56, v163, v0
	v_dot4_i32_iu8 v4, v7, v220, v4 neg_lo:[1,1,0]
	s_delay_alu instid0(VALU_DEP_2) | instskip(NEXT) | instid1(VALU_DEP_2)
	v_dot4_i32_iu8 v0, v2, v167, v0 neg_lo:[1,1,0]
	v_mul_lo_u32 v4, v4, v221
	s_delay_alu instid0(VALU_DEP_2) | instskip(NEXT) | instid1(VALU_DEP_1)
	v_mad_i32_i24 v0, v58, v162, v0
	v_dot4_i32_iu8 v0, v3, v168, v0 neg_lo:[1,1,0]
	s_delay_alu instid0(VALU_DEP_1) | instskip(SKIP_1) | instid1(VALU_DEP_2)
	v_mad_co_u64_u32 v[0:1], null, v0, v169, v[4:5]
	v_mul_f32_e32 v1, v156, v8
	v_cvt_f32_i32_e32 v0, v0
	s_delay_alu instid0(VALU_DEP_1) | instskip(SKIP_2) | instid1(VALU_DEP_2)
	v_fmac_f32_e32 v35, v1, v0
	v_mul_i32_i24_e32 v0, v33, v203
	v_mul_i32_i24_e32 v1, v49, v158
	v_mad_i32_i24 v0, v34, v204, v0
	s_delay_alu instid0(VALU_DEP_2) | instskip(NEXT) | instid1(VALU_DEP_2)
	v_mad_i32_i24 v1, v52, v157, v1
	v_dot4_i32_iu8 v0, v50, v206, v0 neg_lo:[1,1,0]
	s_delay_alu instid0(VALU_DEP_2) | instskip(NEXT) | instid1(VALU_DEP_2)
	v_dot4_i32_iu8 v1, v51, v155, v1 neg_lo:[1,1,0]
	v_mad_i32_i24 v0, v36, v208, v0
	s_delay_alu instid0(VALU_DEP_2) | instskip(NEXT) | instid1(VALU_DEP_2)
	v_mad_i32_i24 v1, v54, v154, v1
	v_dot4_i32_iu8 v0, v5, v210, v0 neg_lo:[1,1,0]
	s_delay_alu instid0(VALU_DEP_2) | instskip(NEXT) | instid1(VALU_DEP_2)
	v_dot4_i32_iu8 v1, v24, v153, v1 neg_lo:[1,1,0]
	;; [unrolled: 6-line block ×4, first 2 shown]
	v_mul_lo_u32 v0, v0, v214
	s_delay_alu instid0(VALU_DEP_1) | instskip(SKIP_1) | instid1(VALU_DEP_2)
	v_mad_co_u64_u32 v[0:1], null, v1, v148, v[0:1]
	v_mul_f32_e32 v1, v147, v8
	v_cvt_f32_i32_e32 v0, v0
	s_delay_alu instid0(VALU_DEP_1) | instskip(SKIP_1) | instid1(VALU_DEP_1)
	v_fmac_f32_e32 v32, v1, v0
	v_or_b32_e32 v0, s18, v105
	v_lshlrev_b32_e32 v1, 2, v0
	v_lshrrev_b32_e32 v0, 1, v0
	ds_load_b32 v8, v0 offset:38816
	ds_load_b128 v[4:7], v1 offset:25344
	ds_load_b128 v[0:3], v1 offset:25360
	s_wait_dscnt 0x1
	v_bfe_i32 v33, v4, 0, 8
	v_bfe_i32 v34, v4, 8, 8
	;; [unrolled: 1-line block ×3, first 2 shown]
	v_ashrrev_i32_e32 v50, 24, v4
	v_bfe_i32 v36, v5, 0, 8
	v_mul_i32_i24_e32 v59, v170, v33
	v_bfe_i32 v51, v5, 8, 8
	v_mul_i32_i24_e32 v62, v171, v24
	v_mul_i32_i24_e32 v63, v172, v50
	v_bfe_i32 v55, v5, 16, 8
	v_mad_i32_i24 v59, v173, v34, v59
	v_ashrrev_i32_e32 v64, 24, v5
	s_wait_dscnt 0x0
	v_bfe_i32 v49, v0, 0, 8
	v_bfe_i32 v52, v0, 8, 8
	;; [unrolled: 1-line block ×3, first 2 shown]
	v_add3_u32 v59, v59, v62, v63
	v_mul_i32_i24_e32 v62, v177, v36
	v_mul_i32_i24_e32 v63, v176, v51
	v_ashrrev_i32_e32 v74, 24, v0
	v_mul_i32_i24_e32 v87, v175, v55
	v_mul_i32_i24_e32 v88, v174, v64
	v_bfe_i32 v38, v6, 0, 8
	v_add3_u32 v59, v59, v62, v63
	v_mul_i32_i24_e32 v62, v186, v49
	v_bfe_i32 v65, v6, 8, 8
	v_bfe_i32 v54, v1, 0, 8
	;; [unrolled: 1-line block ×3, first 2 shown]
	v_add3_u32 v59, v59, v87, v88
	v_mul_i32_i24_e32 v63, v187, v73
	v_mul_i32_i24_e32 v87, v188, v74
	v_mad_i32_i24 v62, v189, v52, v62
	v_bfe_i32 v67, v6, 16, 8
	v_ashrrev_i32_e32 v68, 24, v6
	v_bfe_i32 v77, v1, 16, 8
	v_ashrrev_i32_e32 v79, 24, v1
	v_mul_i32_i24_e32 v89, v181, v38
	v_mul_i32_i24_e32 v117, v180, v65
	v_add3_u32 v62, v62, v63, v87
	v_mul_i32_i24_e32 v63, v193, v54
	v_mul_i32_i24_e32 v87, v192, v76
	v_bfe_i32 v41, v7, 0, 8
	v_bfe_i32 v70, v7, 8, 8
	;; [unrolled: 1-line block ×4, first 2 shown]
	v_mul_i32_i24_e32 v118, v179, v67
	v_mul_i32_i24_e32 v119, v178, v68
	v_add3_u32 v59, v59, v89, v117
	v_mul_i32_i24_e32 v88, v191, v77
	v_mul_i32_i24_e32 v89, v190, v79
	v_add3_u32 v62, v62, v63, v87
	v_bfe_i32 v71, v7, 16, 8
	v_ashrrev_i32_e32 v72, 24, v7
	v_bfe_i32 v82, v2, 16, 8
	v_ashrrev_i32_e32 v83, 24, v2
	v_mul_i32_i24_e32 v120, v185, v41
	v_mul_i32_i24_e32 v121, v184, v70
	v_add3_u32 v59, v59, v118, v119
	v_mul_i32_i24_e32 v117, v197, v56
	v_mul_i32_i24_e32 v118, v196, v81
	v_add3_u32 v62, v62, v88, v89
	v_bfe_i32 v58, v3, 0, 8
	v_bfe_i32 v84, v3, 8, 8
	v_mul_i32_i24_e32 v122, v183, v71
	v_mul_i32_i24_e32 v123, v182, v72
	v_add3_u32 v59, v59, v120, v121
	v_mul_i32_i24_e32 v119, v195, v82
	v_mul_i32_i24_e32 v120, v194, v83
	v_add3_u32 v62, v62, v117, v118
	v_bfe_i32 v85, v3, 16, 8
	v_ashrrev_i32_e32 v86, 24, v3
	v_add3_u32 v59, v59, v122, v123
	v_mul_i32_i24_e32 v121, v201, v58
	v_mul_i32_i24_e32 v122, v200, v84
	v_add3_u32 v62, v62, v119, v120
	v_mul_i32_i24_e32 v123, v199, v85
	v_mul_i32_i24_e32 v124, v198, v86
	v_mul_lo_u32 v59, v59, v209
	v_mul_i32_i24_e32 v24, v241, v24
	v_add3_u32 v62, v62, v121, v122
	v_mul_i32_i24_e32 v50, v240, v50
	v_mul_i32_i24_e32 v51, v245, v51
	;; [unrolled: 1-line block ×3, first 2 shown]
	v_perm_b32 v5, v5, v5, 0xc030201
	v_add3_u32 v62, v62, v123, v124
	v_perm_b32 v6, v6, v6, 0xc030201
	v_perm_b32 v2, v2, v2, 0xc030201
	;; [unrolled: 1-line block ×4, first 2 shown]
	v_mad_co_u64_u32 v[62:63], null, v62, v202, v[59:60]
	v_mul_f32_e32 v59, v11, v8
	v_mul_i32_i24_e32 v63, v249, v65
	v_mul_i32_i24_e32 v65, v247, v68
	;; [unrolled: 1-line block ×5, first 2 shown]
	v_cvt_f32_i32_e32 v62, v62
	v_mul_i32_i24_e32 v72, v233, v86
	s_delay_alu instid0(VALU_DEP_2) | instskip(SKIP_2) | instid1(VALU_DEP_2)
	v_fmac_f32_e32 v30, v59, v62
	v_mul_i32_i24_e32 v59, v242, v33
	v_mul_i32_i24_e32 v62, v250, v38
	v_mad_i32_i24 v59, v239, v34, v59
	s_delay_alu instid0(VALU_DEP_1) | instskip(SKIP_4) | instid1(VALU_DEP_4)
	v_add3_u32 v24, v59, v24, v50
	v_mul_i32_i24_e32 v50, v246, v36
	v_mul_i32_i24_e32 v59, v243, v64
	;; [unrolled: 1-line block ×4, first 2 shown]
	v_add3_u32 v24, v24, v50, v51
	v_mul_i32_i24_e32 v50, v53, v73
	v_mul_i32_i24_e32 v51, v42, v74
	s_delay_alu instid0(VALU_DEP_3) | instskip(SKIP_1) | instid1(VALU_DEP_2)
	v_add3_u32 v24, v24, v55, v59
	v_mul_i32_i24_e32 v55, v227, v77
	v_add3_u32 v24, v24, v62, v63
	v_mul_i32_i24_e32 v62, v226, v79
	v_mul_i32_i24_e32 v63, v232, v56
	s_delay_alu instid0(VALU_DEP_3) | instskip(SKIP_2) | instid1(VALU_DEP_3)
	v_add3_u32 v24, v24, v64, v65
	v_mul_i32_i24_e32 v64, v231, v81
	v_mul_i32_i24_e32 v65, v230, v82
	v_add3_u32 v24, v24, v67, v68
	v_mul_i32_i24_e32 v67, v229, v83
	v_mul_i32_i24_e32 v68, v236, v58
	s_delay_alu instid0(VALU_DEP_3) | instskip(SKIP_2) | instid1(VALU_DEP_3)
	v_add3_u32 v24, v24, v70, v71
	v_mul_i32_i24_e32 v70, v235, v84
	v_mul_i32_i24_e32 v71, v234, v85
	v_mul_lo_u32 v59, v24, v66
	v_mul_i32_i24_e32 v24, v61, v49
	s_delay_alu instid0(VALU_DEP_1) | instskip(NEXT) | instid1(VALU_DEP_1)
	v_mad_i32_i24 v24, v255, v52, v24
	v_add3_u32 v24, v24, v50, v51
	v_mul_i32_i24_e32 v50, v237, v54
	v_mul_i32_i24_e32 v51, v228, v76
	s_delay_alu instid0(VALU_DEP_1) | instskip(SKIP_1) | instid1(VALU_DEP_2)
	v_add3_u32 v24, v24, v50, v51
	v_perm_b32 v51, v0, v0, 0xc0c0302
	v_add3_u32 v24, v24, v55, v62
	s_delay_alu instid0(VALU_DEP_1) | instskip(NEXT) | instid1(VALU_DEP_1)
	v_add3_u32 v24, v24, v63, v64
	v_add3_u32 v24, v24, v65, v67
	s_delay_alu instid0(VALU_DEP_1) | instskip(NEXT) | instid1(VALU_DEP_1)
	v_add3_u32 v24, v24, v68, v70
	v_add3_u32 v24, v24, v71, v72
	s_delay_alu instid0(VALU_DEP_1) | instskip(SKIP_1) | instid1(VALU_DEP_2)
	v_mad_co_u64_u32 v[62:63], null, v24, v238, v[59:60]
	v_mul_f32_e32 v24, v159, v8
	v_cvt_f32_i32_e32 v50, v62
	s_delay_alu instid0(VALU_DEP_1) | instskip(SKIP_2) | instid1(VALU_DEP_2)
	v_fmac_f32_e32 v29, v24, v50
	v_mul_i32_i24_e32 v24, v33, v160
	v_perm_b32 v50, v4, v4, 0xc0c0302
	v_mad_i32_i24 v24, v34, v161, v24
	s_delay_alu instid0(VALU_DEP_1) | instskip(SKIP_1) | instid1(VALU_DEP_2)
	v_dot4_i32_iu8 v4, v50, v216, v24 neg_lo:[1,1,0]
	v_mul_i32_i24_e32 v24, v49, v222
	v_mad_i32_i24 v4, v36, v217, v4
	s_delay_alu instid0(VALU_DEP_2) | instskip(NEXT) | instid1(VALU_DEP_2)
	v_mad_i32_i24 v24, v52, v223, v24
	v_dot4_i32_iu8 v4, v5, v218, v4 neg_lo:[1,1,0]
	s_delay_alu instid0(VALU_DEP_2) | instskip(SKIP_1) | instid1(VALU_DEP_3)
	v_dot4_i32_iu8 v0, v51, v164, v24 neg_lo:[1,1,0]
	v_perm_b32 v24, v1, v1, 0xc030201
	v_mad_i32_i24 v4, v38, v215, v4
	s_delay_alu instid0(VALU_DEP_3) | instskip(NEXT) | instid1(VALU_DEP_2)
	v_mad_i32_i24 v0, v54, v165, v0
	v_dot4_i32_iu8 v4, v6, v219, v4 neg_lo:[1,1,0]
	s_delay_alu instid0(VALU_DEP_2) | instskip(NEXT) | instid1(VALU_DEP_2)
	v_dot4_i32_iu8 v0, v24, v166, v0 neg_lo:[1,1,0]
	v_mad_i32_i24 v4, v41, v213, v4
	s_delay_alu instid0(VALU_DEP_2) | instskip(NEXT) | instid1(VALU_DEP_2)
	v_mad_i32_i24 v0, v56, v163, v0
	v_dot4_i32_iu8 v4, v7, v220, v4 neg_lo:[1,1,0]
	s_delay_alu instid0(VALU_DEP_2) | instskip(NEXT) | instid1(VALU_DEP_2)
	v_dot4_i32_iu8 v0, v2, v167, v0 neg_lo:[1,1,0]
	v_mul_lo_u32 v4, v4, v221
	s_delay_alu instid0(VALU_DEP_2) | instskip(NEXT) | instid1(VALU_DEP_1)
	v_mad_i32_i24 v0, v58, v162, v0
	v_dot4_i32_iu8 v0, v3, v168, v0 neg_lo:[1,1,0]
	s_delay_alu instid0(VALU_DEP_1) | instskip(SKIP_1) | instid1(VALU_DEP_2)
	v_mad_co_u64_u32 v[0:1], null, v0, v169, v[4:5]
	v_mul_f32_e32 v1, v156, v8
	v_cvt_f32_i32_e32 v0, v0
	s_delay_alu instid0(VALU_DEP_1) | instskip(SKIP_2) | instid1(VALU_DEP_2)
	v_fmac_f32_e32 v28, v1, v0
	v_mul_i32_i24_e32 v0, v33, v203
	v_mul_i32_i24_e32 v1, v49, v158
	v_mad_i32_i24 v0, v34, v204, v0
	s_delay_alu instid0(VALU_DEP_2) | instskip(NEXT) | instid1(VALU_DEP_2)
	v_mad_i32_i24 v1, v52, v157, v1
	v_dot4_i32_iu8 v0, v50, v206, v0 neg_lo:[1,1,0]
	s_delay_alu instid0(VALU_DEP_2) | instskip(NEXT) | instid1(VALU_DEP_2)
	v_dot4_i32_iu8 v1, v51, v155, v1 neg_lo:[1,1,0]
	v_mad_i32_i24 v0, v36, v208, v0
	s_delay_alu instid0(VALU_DEP_2) | instskip(NEXT) | instid1(VALU_DEP_2)
	v_mad_i32_i24 v1, v54, v154, v1
	v_dot4_i32_iu8 v0, v5, v210, v0 neg_lo:[1,1,0]
	s_delay_alu instid0(VALU_DEP_2) | instskip(NEXT) | instid1(VALU_DEP_2)
	v_dot4_i32_iu8 v1, v24, v153, v1 neg_lo:[1,1,0]
	;; [unrolled: 6-line block ×4, first 2 shown]
	v_mul_lo_u32 v0, v0, v214
	s_delay_alu instid0(VALU_DEP_1) | instskip(SKIP_1) | instid1(VALU_DEP_2)
	v_mad_co_u64_u32 v[0:1], null, v1, v148, v[0:1]
	v_mul_f32_e32 v1, v147, v8
	v_cvt_f32_i32_e32 v0, v0
	s_delay_alu instid0(VALU_DEP_1) | instskip(SKIP_1) | instid1(VALU_DEP_1)
	v_fmac_f32_e32 v26, v1, v0
	v_or_b32_e32 v0, s18, v106
	v_lshlrev_b32_e32 v1, 2, v0
	v_lshrrev_b32_e32 v0, 1, v0
	ds_load_b32 v8, v0 offset:38816
	ds_load_b128 v[4:7], v1 offset:25344
	ds_load_b128 v[0:3], v1 offset:25360
	s_wait_dscnt 0x1
	v_bfe_i32 v33, v4, 0, 8
	v_bfe_i32 v34, v4, 8, 8
	;; [unrolled: 1-line block ×3, first 2 shown]
	v_ashrrev_i32_e32 v50, 24, v4
	v_bfe_i32 v36, v5, 0, 8
	v_mul_i32_i24_e32 v59, v170, v33
	v_bfe_i32 v51, v5, 8, 8
	v_mul_i32_i24_e32 v62, v171, v24
	v_mul_i32_i24_e32 v63, v172, v50
	v_bfe_i32 v55, v5, 16, 8
	v_mad_i32_i24 v59, v173, v34, v59
	v_ashrrev_i32_e32 v64, 24, v5
	s_wait_dscnt 0x0
	v_bfe_i32 v49, v0, 0, 8
	v_bfe_i32 v52, v0, 8, 8
	;; [unrolled: 1-line block ×3, first 2 shown]
	v_add3_u32 v59, v59, v62, v63
	v_mul_i32_i24_e32 v62, v177, v36
	v_mul_i32_i24_e32 v63, v176, v51
	v_ashrrev_i32_e32 v74, 24, v0
	v_mul_i32_i24_e32 v87, v175, v55
	v_mul_i32_i24_e32 v88, v174, v64
	v_bfe_i32 v38, v6, 0, 8
	v_add3_u32 v59, v59, v62, v63
	v_mul_i32_i24_e32 v62, v186, v49
	v_bfe_i32 v65, v6, 8, 8
	v_bfe_i32 v54, v1, 0, 8
	;; [unrolled: 1-line block ×3, first 2 shown]
	v_add3_u32 v59, v59, v87, v88
	v_mul_i32_i24_e32 v63, v187, v73
	v_mul_i32_i24_e32 v87, v188, v74
	v_mad_i32_i24 v62, v189, v52, v62
	v_bfe_i32 v67, v6, 16, 8
	v_ashrrev_i32_e32 v68, 24, v6
	v_bfe_i32 v77, v1, 16, 8
	v_ashrrev_i32_e32 v79, 24, v1
	v_mul_i32_i24_e32 v89, v181, v38
	v_mul_i32_i24_e32 v117, v180, v65
	v_add3_u32 v62, v62, v63, v87
	v_mul_i32_i24_e32 v63, v193, v54
	v_mul_i32_i24_e32 v87, v192, v76
	v_bfe_i32 v41, v7, 0, 8
	v_bfe_i32 v70, v7, 8, 8
	;; [unrolled: 1-line block ×4, first 2 shown]
	v_mul_i32_i24_e32 v118, v179, v67
	v_mul_i32_i24_e32 v119, v178, v68
	v_add3_u32 v59, v59, v89, v117
	v_mul_i32_i24_e32 v88, v191, v77
	v_mul_i32_i24_e32 v89, v190, v79
	v_add3_u32 v62, v62, v63, v87
	v_bfe_i32 v71, v7, 16, 8
	v_ashrrev_i32_e32 v72, 24, v7
	v_bfe_i32 v82, v2, 16, 8
	v_ashrrev_i32_e32 v83, 24, v2
	v_mul_i32_i24_e32 v120, v185, v41
	v_mul_i32_i24_e32 v121, v184, v70
	v_add3_u32 v59, v59, v118, v119
	v_mul_i32_i24_e32 v117, v197, v56
	v_mul_i32_i24_e32 v118, v196, v81
	v_add3_u32 v62, v62, v88, v89
	v_bfe_i32 v58, v3, 0, 8
	v_bfe_i32 v84, v3, 8, 8
	v_mul_i32_i24_e32 v122, v183, v71
	v_mul_i32_i24_e32 v123, v182, v72
	v_add3_u32 v59, v59, v120, v121
	v_mul_i32_i24_e32 v119, v195, v82
	v_mul_i32_i24_e32 v120, v194, v83
	v_add3_u32 v62, v62, v117, v118
	v_bfe_i32 v85, v3, 16, 8
	v_ashrrev_i32_e32 v86, 24, v3
	v_add3_u32 v59, v59, v122, v123
	v_mul_i32_i24_e32 v121, v201, v58
	v_mul_i32_i24_e32 v122, v200, v84
	v_add3_u32 v62, v62, v119, v120
	v_mul_i32_i24_e32 v123, v199, v85
	v_mul_i32_i24_e32 v124, v198, v86
	v_mul_lo_u32 v59, v59, v209
	v_mul_i32_i24_e32 v24, v241, v24
	v_add3_u32 v62, v62, v121, v122
	v_mul_i32_i24_e32 v50, v240, v50
	v_mul_i32_i24_e32 v51, v245, v51
	;; [unrolled: 1-line block ×3, first 2 shown]
	v_perm_b32 v5, v5, v5, 0xc030201
	v_add3_u32 v62, v62, v123, v124
	v_perm_b32 v6, v6, v6, 0xc030201
	v_perm_b32 v2, v2, v2, 0xc030201
	;; [unrolled: 1-line block ×4, first 2 shown]
	v_mad_co_u64_u32 v[62:63], null, v62, v202, v[59:60]
	v_mul_f32_e32 v59, v11, v8
	v_mul_i32_i24_e32 v63, v249, v65
	v_mul_i32_i24_e32 v65, v247, v68
	;; [unrolled: 1-line block ×5, first 2 shown]
	v_cvt_f32_i32_e32 v62, v62
	v_mul_i32_i24_e32 v72, v233, v86
	s_delay_alu instid0(VALU_DEP_2) | instskip(SKIP_2) | instid1(VALU_DEP_2)
	v_fmac_f32_e32 v23, v59, v62
	v_mul_i32_i24_e32 v59, v242, v33
	v_mul_i32_i24_e32 v62, v250, v38
	v_mad_i32_i24 v59, v239, v34, v59
	s_delay_alu instid0(VALU_DEP_1) | instskip(SKIP_4) | instid1(VALU_DEP_4)
	v_add3_u32 v24, v59, v24, v50
	v_mul_i32_i24_e32 v50, v246, v36
	v_mul_i32_i24_e32 v59, v243, v64
	;; [unrolled: 1-line block ×4, first 2 shown]
	v_add3_u32 v24, v24, v50, v51
	v_mul_i32_i24_e32 v50, v53, v73
	v_mul_i32_i24_e32 v51, v42, v74
	s_delay_alu instid0(VALU_DEP_3) | instskip(SKIP_1) | instid1(VALU_DEP_2)
	v_add3_u32 v24, v24, v55, v59
	v_mul_i32_i24_e32 v55, v227, v77
	v_add3_u32 v24, v24, v62, v63
	v_mul_i32_i24_e32 v62, v226, v79
	v_mul_i32_i24_e32 v63, v232, v56
	s_delay_alu instid0(VALU_DEP_3) | instskip(SKIP_2) | instid1(VALU_DEP_3)
	v_add3_u32 v24, v24, v64, v65
	v_mul_i32_i24_e32 v64, v231, v81
	v_mul_i32_i24_e32 v65, v230, v82
	v_add3_u32 v24, v24, v67, v68
	v_mul_i32_i24_e32 v67, v229, v83
	v_mul_i32_i24_e32 v68, v236, v58
	s_delay_alu instid0(VALU_DEP_3) | instskip(SKIP_2) | instid1(VALU_DEP_3)
	v_add3_u32 v24, v24, v70, v71
	v_mul_i32_i24_e32 v70, v235, v84
	v_mul_i32_i24_e32 v71, v234, v85
	v_mul_lo_u32 v59, v24, v66
	v_mul_i32_i24_e32 v24, v61, v49
	s_delay_alu instid0(VALU_DEP_1) | instskip(NEXT) | instid1(VALU_DEP_1)
	v_mad_i32_i24 v24, v255, v52, v24
	v_add3_u32 v24, v24, v50, v51
	v_mul_i32_i24_e32 v50, v237, v54
	v_mul_i32_i24_e32 v51, v228, v76
	s_delay_alu instid0(VALU_DEP_1) | instskip(SKIP_1) | instid1(VALU_DEP_2)
	v_add3_u32 v24, v24, v50, v51
	v_perm_b32 v51, v0, v0, 0xc0c0302
	v_add3_u32 v24, v24, v55, v62
	s_delay_alu instid0(VALU_DEP_1) | instskip(NEXT) | instid1(VALU_DEP_1)
	v_add3_u32 v24, v24, v63, v64
	v_add3_u32 v24, v24, v65, v67
	s_delay_alu instid0(VALU_DEP_1) | instskip(NEXT) | instid1(VALU_DEP_1)
	v_add3_u32 v24, v24, v68, v70
	v_add3_u32 v24, v24, v71, v72
	s_delay_alu instid0(VALU_DEP_1) | instskip(SKIP_1) | instid1(VALU_DEP_2)
	v_mad_co_u64_u32 v[62:63], null, v24, v238, v[59:60]
	v_mul_f32_e32 v24, v159, v8
	v_cvt_f32_i32_e32 v50, v62
	s_delay_alu instid0(VALU_DEP_1) | instskip(SKIP_2) | instid1(VALU_DEP_2)
	v_fmac_f32_e32 v22, v24, v50
	v_mul_i32_i24_e32 v24, v33, v160
	v_perm_b32 v50, v4, v4, 0xc0c0302
	v_mad_i32_i24 v24, v34, v161, v24
	s_delay_alu instid0(VALU_DEP_1) | instskip(SKIP_1) | instid1(VALU_DEP_2)
	v_dot4_i32_iu8 v4, v50, v216, v24 neg_lo:[1,1,0]
	v_mul_i32_i24_e32 v24, v49, v222
	v_mad_i32_i24 v4, v36, v217, v4
	s_delay_alu instid0(VALU_DEP_2) | instskip(NEXT) | instid1(VALU_DEP_2)
	v_mad_i32_i24 v24, v52, v223, v24
	v_dot4_i32_iu8 v4, v5, v218, v4 neg_lo:[1,1,0]
	s_delay_alu instid0(VALU_DEP_2) | instskip(SKIP_1) | instid1(VALU_DEP_3)
	v_dot4_i32_iu8 v0, v51, v164, v24 neg_lo:[1,1,0]
	v_perm_b32 v24, v1, v1, 0xc030201
	v_mad_i32_i24 v4, v38, v215, v4
	s_delay_alu instid0(VALU_DEP_3) | instskip(NEXT) | instid1(VALU_DEP_2)
	v_mad_i32_i24 v0, v54, v165, v0
	v_dot4_i32_iu8 v4, v6, v219, v4 neg_lo:[1,1,0]
	s_delay_alu instid0(VALU_DEP_2) | instskip(NEXT) | instid1(VALU_DEP_2)
	v_dot4_i32_iu8 v0, v24, v166, v0 neg_lo:[1,1,0]
	v_mad_i32_i24 v4, v41, v213, v4
	s_delay_alu instid0(VALU_DEP_2) | instskip(NEXT) | instid1(VALU_DEP_2)
	v_mad_i32_i24 v0, v56, v163, v0
	v_dot4_i32_iu8 v4, v7, v220, v4 neg_lo:[1,1,0]
	s_delay_alu instid0(VALU_DEP_2) | instskip(NEXT) | instid1(VALU_DEP_2)
	v_dot4_i32_iu8 v0, v2, v167, v0 neg_lo:[1,1,0]
	v_mul_lo_u32 v4, v4, v221
	s_delay_alu instid0(VALU_DEP_2) | instskip(NEXT) | instid1(VALU_DEP_1)
	v_mad_i32_i24 v0, v58, v162, v0
	v_dot4_i32_iu8 v0, v3, v168, v0 neg_lo:[1,1,0]
	s_delay_alu instid0(VALU_DEP_1) | instskip(SKIP_1) | instid1(VALU_DEP_2)
	v_mad_co_u64_u32 v[0:1], null, v0, v169, v[4:5]
	v_mul_f32_e32 v1, v156, v8
	v_cvt_f32_i32_e32 v0, v0
	s_delay_alu instid0(VALU_DEP_1) | instskip(SKIP_2) | instid1(VALU_DEP_2)
	v_fmac_f32_e32 v21, v1, v0
	v_mul_i32_i24_e32 v0, v33, v203
	v_mul_i32_i24_e32 v1, v49, v158
	v_mad_i32_i24 v0, v34, v204, v0
	s_delay_alu instid0(VALU_DEP_2) | instskip(NEXT) | instid1(VALU_DEP_2)
	v_mad_i32_i24 v1, v52, v157, v1
	v_dot4_i32_iu8 v0, v50, v206, v0 neg_lo:[1,1,0]
	s_delay_alu instid0(VALU_DEP_2) | instskip(NEXT) | instid1(VALU_DEP_2)
	v_dot4_i32_iu8 v1, v51, v155, v1 neg_lo:[1,1,0]
	v_mad_i32_i24 v0, v36, v208, v0
	s_delay_alu instid0(VALU_DEP_2) | instskip(NEXT) | instid1(VALU_DEP_2)
	v_mad_i32_i24 v1, v54, v154, v1
	v_dot4_i32_iu8 v0, v5, v210, v0 neg_lo:[1,1,0]
	s_delay_alu instid0(VALU_DEP_2) | instskip(NEXT) | instid1(VALU_DEP_2)
	v_dot4_i32_iu8 v1, v24, v153, v1 neg_lo:[1,1,0]
	v_mad_i32_i24 v0, v38, v207, v0
	s_delay_alu instid0(VALU_DEP_2) | instskip(NEXT) | instid1(VALU_DEP_2)
	v_mad_i32_i24 v1, v56, v152, v1
	v_dot4_i32_iu8 v0, v6, v211, v0 neg_lo:[1,1,0]
	s_delay_alu instid0(VALU_DEP_2) | instskip(NEXT) | instid1(VALU_DEP_2)
	v_dot4_i32_iu8 v1, v2, v151, v1 neg_lo:[1,1,0]
	v_mad_i32_i24 v0, v41, v205, v0
	s_delay_alu instid0(VALU_DEP_2) | instskip(NEXT) | instid1(VALU_DEP_2)
	v_mad_i32_i24 v1, v58, v150, v1
	v_dot4_i32_iu8 v0, v7, v212, v0 neg_lo:[1,1,0]
	s_delay_alu instid0(VALU_DEP_2) | instskip(NEXT) | instid1(VALU_DEP_2)
	v_dot4_i32_iu8 v1, v3, v149, v1 neg_lo:[1,1,0]
	v_mul_lo_u32 v0, v0, v214
	s_delay_alu instid0(VALU_DEP_1) | instskip(SKIP_1) | instid1(VALU_DEP_2)
	v_mad_co_u64_u32 v[0:1], null, v1, v148, v[0:1]
	v_mul_f32_e32 v1, v147, v8
	v_cvt_f32_i32_e32 v0, v0
	s_delay_alu instid0(VALU_DEP_1) | instskip(SKIP_1) | instid1(VALU_DEP_1)
	v_fmac_f32_e32 v20, v1, v0
	v_or_b32_e32 v0, s18, v107
	v_lshlrev_b32_e32 v1, 2, v0
	v_lshrrev_b32_e32 v0, 1, v0
	ds_load_b32 v4, v0 offset:38816
	ds_load_b128 v[117:120], v1 offset:25344
	ds_load_b128 v[0:3], v1 offset:25360
	s_wait_dscnt 0x1
	v_bfe_i32 v5, v117, 0, 8
	v_bfe_i32 v6, v117, 8, 8
	;; [unrolled: 1-line block ×3, first 2 shown]
	v_ashrrev_i32_e32 v50, 24, v117
	v_bfe_i32 v7, v118, 0, 8
	v_mul_i32_i24_e32 v52, v170, v5
	v_bfe_i32 v51, v118, 8, 8
	v_mul_i32_i24_e32 v58, v171, v24
	v_mul_i32_i24_e32 v59, v172, v50
	v_bfe_i32 v54, v118, 16, 8
	v_mad_i32_i24 v52, v173, v6, v52
	v_ashrrev_i32_e32 v55, 24, v118
	s_wait_dscnt 0x0
	v_bfe_i32 v34, v0, 0, 8
	v_bfe_i32 v36, v0, 8, 8
	;; [unrolled: 1-line block ×3, first 2 shown]
	v_add3_u32 v52, v52, v58, v59
	v_mul_i32_i24_e32 v58, v177, v7
	v_mul_i32_i24_e32 v59, v176, v51
	v_ashrrev_i32_e32 v70, 24, v0
	v_mul_i32_i24_e32 v83, v175, v54
	v_mul_i32_i24_e32 v84, v174, v55
	v_bfe_i32 v8, v119, 0, 8
	v_add3_u32 v52, v52, v58, v59
	v_mul_i32_i24_e32 v58, v186, v34
	v_bfe_i32 v56, v119, 8, 8
	v_bfe_i32 v38, v1, 0, 8
	v_bfe_i32 v71, v1, 8, 8
	v_add3_u32 v52, v52, v83, v84
	v_mul_i32_i24_e32 v59, v187, v68
	v_mul_i32_i24_e32 v83, v188, v70
	v_mad_i32_i24 v58, v189, v36, v58
	v_bfe_i32 v62, v119, 16, 8
	v_ashrrev_i32_e32 v63, 24, v119
	v_bfe_i32 v72, v1, 16, 8
	v_ashrrev_i32_e32 v73, 24, v1
	v_mul_i32_i24_e32 v85, v181, v8
	v_mul_i32_i24_e32 v86, v180, v56
	v_add3_u32 v58, v58, v59, v83
	v_mul_i32_i24_e32 v59, v193, v38
	v_mul_i32_i24_e32 v83, v192, v71
	v_bfe_i32 v33, v120, 0, 8
	v_bfe_i32 v64, v120, 8, 8
	;; [unrolled: 1-line block ×4, first 2 shown]
	v_mul_i32_i24_e32 v87, v179, v62
	v_mul_i32_i24_e32 v88, v178, v63
	v_add3_u32 v52, v52, v85, v86
	v_mul_i32_i24_e32 v84, v191, v72
	v_mul_i32_i24_e32 v85, v190, v73
	v_add3_u32 v58, v58, v59, v83
	v_bfe_i32 v65, v120, 16, 8
	v_ashrrev_i32_e32 v67, 24, v120
	v_bfe_i32 v76, v2, 16, 8
	v_ashrrev_i32_e32 v77, 24, v2
	v_mul_i32_i24_e32 v89, v185, v33
	v_mul_i32_i24_e32 v121, v184, v64
	v_add3_u32 v52, v52, v87, v88
	v_mul_i32_i24_e32 v86, v197, v41
	v_mul_i32_i24_e32 v87, v196, v74
	v_add3_u32 v58, v58, v84, v85
	v_bfe_i32 v49, v3, 0, 8
	v_bfe_i32 v79, v3, 8, 8
	v_mul_i32_i24_e32 v122, v183, v65
	v_mul_i32_i24_e32 v123, v182, v67
	v_add3_u32 v52, v52, v89, v121
	v_mul_i32_i24_e32 v88, v195, v76
	v_mul_i32_i24_e32 v89, v194, v77
	v_add3_u32 v58, v58, v86, v87
	v_bfe_i32 v81, v3, 16, 8
	v_ashrrev_i32_e32 v82, 24, v3
	v_add3_u32 v52, v52, v122, v123
	v_mul_i32_i24_e32 v121, v201, v49
	v_mul_i32_i24_e32 v122, v200, v79
	v_add3_u32 v58, v58, v88, v89
	v_mul_i32_i24_e32 v123, v199, v81
	v_mul_i32_i24_e32 v124, v198, v82
	v_mul_lo_u32 v52, v52, v209
	v_mul_i32_i24_e32 v24, v241, v24
	v_add3_u32 v58, v58, v121, v122
	v_mul_i32_i24_e32 v50, v240, v50
	v_mul_i32_i24_e32 v51, v245, v51
	;; [unrolled: 1-line block ×3, first 2 shown]
	v_perm_b32 v2, v2, v2, 0xc030201
	v_add3_u32 v58, v58, v123, v124
	v_perm_b32 v3, v3, v3, 0xc030201
	s_delay_alu instid0(VALU_DEP_2)
	v_mad_co_u64_u32 v[58:59], null, v58, v202, v[52:53]
	v_mul_f32_e32 v52, v11, v4
	v_mul_i32_i24_e32 v59, v247, v63
	v_mul_i32_i24_e32 v63, v253, v64
	;; [unrolled: 1-line block ×5, first 2 shown]
	v_cvt_f32_i32_e32 v58, v58
	s_delay_alu instid0(VALU_DEP_1) | instskip(SKIP_3) | instid1(VALU_DEP_3)
	v_fmac_f32_e32 v19, v52, v58
	v_mul_i32_i24_e32 v52, v242, v5
	v_mul_i32_i24_e32 v58, v248, v62
	;; [unrolled: 1-line block ×3, first 2 shown]
	v_mad_i32_i24 v52, v239, v6, v52
	s_delay_alu instid0(VALU_DEP_1) | instskip(SKIP_4) | instid1(VALU_DEP_4)
	v_add3_u32 v24, v52, v24, v50
	v_mul_i32_i24_e32 v50, v246, v7
	v_mul_i32_i24_e32 v52, v244, v54
	;; [unrolled: 1-line block ×4, first 2 shown]
	v_add3_u32 v24, v24, v50, v51
	v_mul_i32_i24_e32 v50, v53, v68
	v_mul_i32_i24_e32 v51, v42, v70
	s_delay_alu instid0(VALU_DEP_3) | instskip(SKIP_1) | instid1(VALU_DEP_2)
	v_add3_u32 v24, v24, v52, v54
	v_mul_i32_i24_e32 v54, v227, v72
	v_add3_u32 v24, v24, v55, v56
	v_mul_i32_i24_e32 v55, v226, v73
	v_mul_i32_i24_e32 v56, v232, v41
	s_delay_alu instid0(VALU_DEP_3) | instskip(SKIP_2) | instid1(VALU_DEP_3)
	v_add3_u32 v24, v24, v58, v59
	v_mul_i32_i24_e32 v58, v231, v74
	v_mul_i32_i24_e32 v59, v230, v76
	v_add3_u32 v24, v24, v62, v63
	v_mul_i32_i24_e32 v62, v229, v77
	v_mul_i32_i24_e32 v63, v236, v49
	s_delay_alu instid0(VALU_DEP_3) | instskip(SKIP_2) | instid1(VALU_DEP_3)
	v_add3_u32 v24, v24, v64, v65
	v_mul_i32_i24_e32 v64, v235, v79
	v_mul_i32_i24_e32 v65, v234, v81
	v_mul_lo_u32 v52, v24, v66
	v_mul_i32_i24_e32 v24, v61, v34
	s_delay_alu instid0(VALU_DEP_1) | instskip(NEXT) | instid1(VALU_DEP_1)
	v_mad_i32_i24 v24, v255, v36, v24
	v_add3_u32 v24, v24, v50, v51
	v_mul_i32_i24_e32 v50, v237, v38
	v_mul_i32_i24_e32 v51, v228, v71
	s_delay_alu instid0(VALU_DEP_1) | instskip(SKIP_1) | instid1(VALU_DEP_2)
	v_add3_u32 v24, v24, v50, v51
	v_perm_b32 v51, v118, v118, 0xc030201
	v_add3_u32 v24, v24, v54, v55
	v_perm_b32 v54, v119, v119, 0xc030201
	v_perm_b32 v55, v120, v120, 0xc030201
	s_delay_alu instid0(VALU_DEP_3) | instskip(SKIP_1) | instid1(VALU_DEP_2)
	v_add3_u32 v24, v24, v56, v58
	v_perm_b32 v56, v0, v0, 0xc0c0302
	v_add3_u32 v24, v24, v59, v62
	s_delay_alu instid0(VALU_DEP_1) | instskip(NEXT) | instid1(VALU_DEP_1)
	v_add3_u32 v24, v24, v63, v64
	v_add3_u32 v24, v24, v65, v67
	s_delay_alu instid0(VALU_DEP_1) | instskip(SKIP_1) | instid1(VALU_DEP_2)
	v_mad_co_u64_u32 v[58:59], null, v24, v238, v[52:53]
	v_mul_f32_e32 v24, v159, v4
	v_cvt_f32_i32_e32 v50, v58
	s_delay_alu instid0(VALU_DEP_1) | instskip(SKIP_2) | instid1(VALU_DEP_2)
	v_fmac_f32_e32 v18, v24, v50
	v_mul_i32_i24_e32 v24, v5, v160
	v_perm_b32 v50, v117, v117, 0xc0c0302
	v_mad_i32_i24 v24, v6, v161, v24
	s_delay_alu instid0(VALU_DEP_1) | instskip(NEXT) | instid1(VALU_DEP_1)
	v_dot4_i32_iu8 v24, v50, v216, v24 neg_lo:[1,1,0]
	v_mad_i32_i24 v24, v7, v217, v24
	s_delay_alu instid0(VALU_DEP_1) | instskip(NEXT) | instid1(VALU_DEP_1)
	v_dot4_i32_iu8 v24, v51, v218, v24 neg_lo:[1,1,0]
	v_mad_i32_i24 v24, v8, v215, v24
	s_delay_alu instid0(VALU_DEP_1) | instskip(NEXT) | instid1(VALU_DEP_1)
	v_dot4_i32_iu8 v24, v54, v219, v24 neg_lo:[1,1,0]
	v_mad_i32_i24 v24, v33, v213, v24
	s_delay_alu instid0(VALU_DEP_1) | instskip(NEXT) | instid1(VALU_DEP_1)
	v_dot4_i32_iu8 v24, v55, v220, v24 neg_lo:[1,1,0]
	v_mul_lo_u32 v52, v24, v221
	v_mul_i32_i24_e32 v24, v34, v222
	s_delay_alu instid0(VALU_DEP_1) | instskip(NEXT) | instid1(VALU_DEP_1)
	v_mad_i32_i24 v24, v36, v223, v24
	v_dot4_i32_iu8 v0, v56, v164, v24 neg_lo:[1,1,0]
	v_perm_b32 v24, v1, v1, 0xc030201
	s_delay_alu instid0(VALU_DEP_2) | instskip(NEXT) | instid1(VALU_DEP_1)
	v_mad_i32_i24 v0, v38, v165, v0
	v_dot4_i32_iu8 v0, v24, v166, v0 neg_lo:[1,1,0]
	s_delay_alu instid0(VALU_DEP_1) | instskip(NEXT) | instid1(VALU_DEP_1)
	v_mad_i32_i24 v0, v41, v163, v0
	v_dot4_i32_iu8 v0, v2, v167, v0 neg_lo:[1,1,0]
	s_delay_alu instid0(VALU_DEP_1) | instskip(NEXT) | instid1(VALU_DEP_1)
	v_mad_i32_i24 v0, v49, v162, v0
	v_dot4_i32_iu8 v0, v3, v168, v0 neg_lo:[1,1,0]
	s_delay_alu instid0(VALU_DEP_1) | instskip(SKIP_1) | instid1(VALU_DEP_2)
	v_mad_co_u64_u32 v[0:1], null, v0, v169, v[52:53]
	v_mul_f32_e32 v1, v156, v4
	v_cvt_f32_i32_e32 v0, v0
	s_delay_alu instid0(VALU_DEP_1) | instskip(SKIP_2) | instid1(VALU_DEP_2)
	v_fmac_f32_e32 v17, v1, v0
	v_mul_i32_i24_e32 v0, v5, v203
	v_mul_i32_i24_e32 v1, v34, v158
	v_mad_i32_i24 v0, v6, v204, v0
	s_delay_alu instid0(VALU_DEP_2) | instskip(NEXT) | instid1(VALU_DEP_2)
	v_mad_i32_i24 v1, v36, v157, v1
	v_dot4_i32_iu8 v0, v50, v206, v0 neg_lo:[1,1,0]
	s_delay_alu instid0(VALU_DEP_2) | instskip(NEXT) | instid1(VALU_DEP_2)
	v_dot4_i32_iu8 v1, v56, v155, v1 neg_lo:[1,1,0]
	v_mad_i32_i24 v0, v7, v208, v0
	s_delay_alu instid0(VALU_DEP_2) | instskip(NEXT) | instid1(VALU_DEP_2)
	v_mad_i32_i24 v1, v38, v154, v1
	v_dot4_i32_iu8 v0, v51, v210, v0 neg_lo:[1,1,0]
	s_delay_alu instid0(VALU_DEP_2) | instskip(NEXT) | instid1(VALU_DEP_2)
	v_dot4_i32_iu8 v1, v24, v153, v1 neg_lo:[1,1,0]
	;; [unrolled: 6-line block ×4, first 2 shown]
	v_mul_lo_u32 v0, v0, v214
	s_delay_alu instid0(VALU_DEP_1) | instskip(SKIP_1) | instid1(VALU_DEP_2)
	v_mad_co_u64_u32 v[0:1], null, v1, v148, v[0:1]
	v_mul_f32_e32 v1, v147, v4
	v_cvt_f32_i32_e32 v0, v0
	s_delay_alu instid0(VALU_DEP_1) | instskip(SKIP_1) | instid1(VALU_DEP_1)
	v_fmac_f32_e32 v16, v1, v0
	v_or_b32_e32 v0, s18, v108
	v_lshlrev_b32_e32 v1, 2, v0
	v_lshrrev_b32_e32 v0, 1, v0
	ds_load_b32 v224, v0 offset:38816
	ds_load_b128 v[4:7], v1 offset:25344
	ds_load_b128 v[0:3], v1 offset:25360
	s_wait_dscnt 0x2
	v_mul_f32_e32 v11, v11, v224
	s_wait_dscnt 0x1
	v_bfe_i32 v34, v4, 0, 8
	v_bfe_i32 v36, v4, 8, 8
	;; [unrolled: 1-line block ×3, first 2 shown]
	v_ashrrev_i32_e32 v50, 24, v4
	v_bfe_i32 v38, v5, 0, 8
	v_mul_i32_i24_e32 v79, v170, v34
	v_bfe_i32 v51, v5, 8, 8
	v_mul_i32_i24_e32 v83, v171, v24
	v_mul_i32_i24_e32 v84, v172, v50
	v_bfe_i32 v55, v5, 16, 8
	v_mad_i32_i24 v79, v173, v36, v79
	v_ashrrev_i32_e32 v65, 24, v5
	s_wait_dscnt 0x0
	v_bfe_i32 v33, v0, 0, 8
	v_bfe_i32 v8, v0, 8, 8
	;; [unrolled: 1-line block ×3, first 2 shown]
	v_add3_u32 v79, v79, v83, v84
	v_mul_i32_i24_e32 v83, v177, v38
	v_mul_i32_i24_e32 v84, v176, v51
	v_ashrrev_i32_e32 v82, 24, v0
	v_mul_i32_i24_e32 v85, v175, v55
	v_mul_i32_i24_e32 v86, v174, v65
	v_bfe_i32 v41, v6, 0, 8
	v_add3_u32 v79, v79, v83, v84
	v_mul_i32_i24_e32 v83, v186, v33
	v_bfe_i32 v70, v6, 8, 8
	v_bfe_i32 v68, v1, 0, 8
	;; [unrolled: 1-line block ×3, first 2 shown]
	v_add3_u32 v79, v79, v85, v86
	v_mul_i32_i24_e32 v84, v187, v81
	v_mul_i32_i24_e32 v85, v188, v82
	v_mad_i32_i24 v83, v189, v8, v83
	v_bfe_i32 v71, v6, 16, 8
	v_ashrrev_i32_e32 v72, 24, v6
	v_bfe_i32 v54, v1, 16, 8
	v_ashrrev_i32_e32 v56, 24, v1
	v_mul_i32_i24_e32 v87, v181, v41
	v_mul_i32_i24_e32 v88, v180, v70
	v_add3_u32 v83, v83, v84, v85
	v_mul_i32_i24_e32 v84, v193, v68
	v_mul_i32_i24_e32 v85, v192, v52
	v_bfe_i32 v49, v7, 0, 8
	v_bfe_i32 v73, v7, 8, 8
	;; [unrolled: 1-line block ×4, first 2 shown]
	v_mul_i32_i24_e32 v89, v179, v71
	v_mul_i32_i24_e32 v117, v178, v72
	v_add3_u32 v79, v79, v87, v88
	v_mul_i32_i24_e32 v86, v191, v54
	v_mul_i32_i24_e32 v87, v190, v56
	v_add3_u32 v83, v83, v84, v85
	v_bfe_i32 v74, v7, 16, 8
	v_ashrrev_i32_e32 v76, 24, v7
	v_bfe_i32 v59, v2, 16, 8
	v_ashrrev_i32_e32 v62, 24, v2
	v_mul_i32_i24_e32 v118, v185, v49
	v_mul_i32_i24_e32 v119, v184, v73
	v_add3_u32 v79, v79, v89, v117
	v_mul_i32_i24_e32 v88, v197, v67
	v_mul_i32_i24_e32 v89, v196, v58
	v_add3_u32 v83, v83, v86, v87
	v_bfe_i32 v225, v3, 0, 8
	v_bfe_i32 v63, v3, 8, 8
	v_mul_i32_i24_e32 v120, v183, v74
	v_mul_i32_i24_e32 v121, v182, v76
	v_add3_u32 v79, v79, v118, v119
	v_mul_i32_i24_e32 v117, v195, v59
	v_mul_i32_i24_e32 v118, v194, v62
	v_add3_u32 v83, v83, v88, v89
	v_bfe_i32 v64, v3, 16, 8
	v_ashrrev_i32_e32 v77, 24, v3
	v_add3_u32 v79, v79, v120, v121
	v_mul_i32_i24_e32 v119, v201, v225
	v_mul_i32_i24_e32 v120, v200, v63
	v_add3_u32 v83, v83, v117, v118
	v_mul_i32_i24_e32 v121, v199, v64
	v_mul_i32_i24_e32 v122, v198, v77
	v_mul_lo_u32 v79, v79, v209
	v_mul_i32_i24_e32 v24, v241, v24
	v_add3_u32 v83, v83, v119, v120
	v_mul_i32_i24_e32 v50, v240, v50
	v_mul_i32_i24_e32 v42, v42, v82
	;; [unrolled: 1-line block ×4, first 2 shown]
	v_add3_u32 v83, v83, v121, v122
	v_mul_i32_i24_e32 v72, v247, v72
	v_mul_i32_i24_e32 v73, v253, v73
	;; [unrolled: 1-line block ×4, first 2 shown]
	v_mad_co_u64_u32 v[117:118], null, v83, v202, v[79:80]
	v_perm_b32 v2, v2, v2, 0xc030201
	s_delay_alu instid0(VALU_DEP_2) | instskip(NEXT) | instid1(VALU_DEP_1)
	v_cvt_f32_i32_e32 v79, v117
	v_fmac_f32_e32 v15, v11, v79
	v_mul_i32_i24_e32 v11, v242, v34
	v_mul_i32_i24_e32 v79, v254, v49
	s_delay_alu instid0(VALU_DEP_2) | instskip(NEXT) | instid1(VALU_DEP_1)
	v_mad_i32_i24 v11, v239, v36, v11
	v_add3_u32 v11, v11, v24, v50
	v_mul_i32_i24_e32 v24, v246, v38
	v_mul_i32_i24_e32 v50, v245, v51
	;; [unrolled: 1-line block ×5, first 2 shown]
	s_delay_alu instid0(VALU_DEP_4)
	v_add3_u32 v11, v11, v24, v50
	v_mul_i32_i24_e32 v24, v61, v33
	v_mul_i32_i24_e32 v50, v53, v81
	;; [unrolled: 1-line block ×4, first 2 shown]
	v_add3_u32 v11, v11, v51, v55
	v_mad_i32_i24 v24, v255, v8, v24
	v_mul_i32_i24_e32 v51, v227, v54
	v_mul_i32_i24_e32 v54, v231, v58
	;; [unrolled: 1-line block ×3, first 2 shown]
	v_add3_u32 v11, v11, v65, v70
	v_add3_u32 v42, v24, v50, v42
	v_mul_i32_i24_e32 v24, v237, v68
	v_mul_i32_i24_e32 v50, v228, v52
	;; [unrolled: 1-line block ×3, first 2 shown]
	v_add3_u32 v11, v11, v71, v72
	v_mul_i32_i24_e32 v56, v229, v62
	v_mul_i32_i24_e32 v58, v236, v225
	v_add3_u32 v24, v42, v24, v50
	v_mul_i32_i24_e32 v59, v235, v63
	v_add3_u32 v11, v11, v79, v73
	v_mul_i32_i24_e32 v62, v233, v77
	v_perm_b32 v42, v6, v6, 0xc030201
	v_add3_u32 v24, v24, v51, v52
	v_perm_b32 v50, v7, v7, 0xc030201
	v_add3_u32 v11, v11, v74, v76
	s_delay_alu instid0(VALU_DEP_3) | instskip(NEXT) | instid1(VALU_DEP_2)
	v_add3_u32 v24, v24, v53, v54
	v_mul_lo_u32 v11, v11, v66
	s_delay_alu instid0(VALU_DEP_2) | instskip(NEXT) | instid1(VALU_DEP_1)
	v_add3_u32 v24, v24, v55, v56
	v_add3_u32 v24, v24, v58, v59
	s_delay_alu instid0(VALU_DEP_1) | instskip(NEXT) | instid1(VALU_DEP_1)
	v_add3_u32 v24, v24, v61, v62
	v_mad_co_u64_u32 v[52:53], null, v24, v238, v[11:12]
	v_mul_f32_e32 v11, v159, v224
	s_delay_alu instid0(VALU_DEP_2) | instskip(NEXT) | instid1(VALU_DEP_1)
	v_cvt_f32_i32_e32 v24, v52
	v_fmac_f32_e32 v14, v11, v24
	v_mul_i32_i24_e32 v11, v34, v160
	v_perm_b32 v24, v4, v4, 0xc0c0302
	s_delay_alu instid0(VALU_DEP_2) | instskip(NEXT) | instid1(VALU_DEP_1)
	v_mad_i32_i24 v11, v36, v161, v11
	v_dot4_i32_iu8 v4, v24, v216, v11 neg_lo:[1,1,0]
	v_perm_b32 v11, v5, v5, 0xc030201
	v_perm_b32 v5, v0, v0, 0xc0c0302
	s_delay_alu instid0(VALU_DEP_3) | instskip(NEXT) | instid1(VALU_DEP_1)
	v_mad_i32_i24 v4, v38, v217, v4
	v_dot4_i32_iu8 v4, v11, v218, v4 neg_lo:[1,1,0]
	s_delay_alu instid0(VALU_DEP_1) | instskip(NEXT) | instid1(VALU_DEP_1)
	v_mad_i32_i24 v4, v41, v215, v4
	v_dot4_i32_iu8 v4, v42, v219, v4 neg_lo:[1,1,0]
	s_delay_alu instid0(VALU_DEP_1) | instskip(NEXT) | instid1(VALU_DEP_1)
	v_mad_i32_i24 v4, v49, v213, v4
	v_dot4_i32_iu8 v4, v50, v220, v4 neg_lo:[1,1,0]
	s_delay_alu instid0(VALU_DEP_1) | instskip(SKIP_1) | instid1(VALU_DEP_1)
	v_mul_lo_u32 v6, v4, v221
	v_mul_i32_i24_e32 v4, v33, v222
	v_mad_i32_i24 v4, v8, v223, v4
	s_delay_alu instid0(VALU_DEP_1) | instskip(SKIP_2) | instid1(VALU_DEP_3)
	v_dot4_i32_iu8 v0, v5, v164, v4 neg_lo:[1,1,0]
	v_perm_b32 v4, v1, v1, 0xc030201
	v_perm_b32 v1, v3, v3, 0xc030201
	v_mad_i32_i24 v0, v68, v165, v0
	s_delay_alu instid0(VALU_DEP_1) | instskip(NEXT) | instid1(VALU_DEP_1)
	v_dot4_i32_iu8 v0, v4, v166, v0 neg_lo:[1,1,0]
	v_mad_i32_i24 v0, v67, v163, v0
	s_delay_alu instid0(VALU_DEP_1) | instskip(NEXT) | instid1(VALU_DEP_1)
	v_dot4_i32_iu8 v0, v2, v167, v0 neg_lo:[1,1,0]
	;; [unrolled: 3-line block ×3, first 2 shown]
	v_mad_co_u64_u32 v[6:7], null, v0, v169, v[6:7]
	v_mul_f32_e32 v0, v156, v224
	s_delay_alu instid0(VALU_DEP_2) | instskip(NEXT) | instid1(VALU_DEP_1)
	v_cvt_f32_i32_e32 v3, v6
	v_fmac_f32_e32 v13, v0, v3
	v_mul_i32_i24_e32 v0, v34, v203
	v_mul_i32_i24_e32 v3, v33, v158
	s_delay_alu instid0(VALU_DEP_2) | instskip(NEXT) | instid1(VALU_DEP_2)
	v_mad_i32_i24 v0, v36, v204, v0
	v_mad_i32_i24 v3, v8, v157, v3
	s_delay_alu instid0(VALU_DEP_2) | instskip(NEXT) | instid1(VALU_DEP_2)
	v_dot4_i32_iu8 v0, v24, v206, v0 neg_lo:[1,1,0]
	v_dot4_i32_iu8 v3, v5, v155, v3 neg_lo:[1,1,0]
	s_delay_alu instid0(VALU_DEP_2) | instskip(NEXT) | instid1(VALU_DEP_2)
	v_mad_i32_i24 v0, v38, v208, v0
	v_mad_i32_i24 v3, v68, v154, v3
	s_delay_alu instid0(VALU_DEP_2) | instskip(NEXT) | instid1(VALU_DEP_2)
	v_dot4_i32_iu8 v0, v11, v210, v0 neg_lo:[1,1,0]
	v_dot4_i32_iu8 v3, v4, v153, v3 neg_lo:[1,1,0]
	;; [unrolled: 6-line block ×4, first 2 shown]
	s_delay_alu instid0(VALU_DEP_2) | instskip(NEXT) | instid1(VALU_DEP_1)
	v_mul_lo_u32 v0, v0, v214
	v_mad_co_u64_u32 v[0:1], null, v1, v148, v[0:1]
	v_mul_f32_e32 v1, v147, v224
	s_delay_alu instid0(VALU_DEP_2) | instskip(NEXT) | instid1(VALU_DEP_1)
	v_cvt_f32_i32_e32 v0, v0
	v_fmac_f32_e32 v12, v1, v0
	s_cbranch_scc1 .LBB169_10
; %bb.11:                               ;   in Loop: Header=BB169_8 Depth=2
	v_lshl_add_u32 v0, s16, 5, v25
	v_lshl_add_u32 v11, s16, 2, v131
	s_wait_loadcnt 0x0
	s_barrier_signal -1
	s_barrier_wait -1
	v_lshrrev_b32_e32 v0, 3, v0
	v_mad_co_u64_u32 v[33:34], null, v11, 36, s[2:3]
	global_inv scope:SCOPE_SE
	v_dual_mov_b32 v132, v92 :: v_dual_mov_b32 v135, v95
	v_dual_mov_b32 v131, v91 :: v_dual_add_nc_u32 v8, s5, v0
	v_mov_b32_e32 v134, v94
	v_dual_mov_b32 v136, v96 :: v_dual_mov_b32 v133, v93
	s_delay_alu instid0(VALU_DEP_3)
	v_add_nc_u32_e32 v0, v8, v91
	v_add_nc_u32_e32 v38, v8, v130
	v_dual_mov_b32 v143, v130 :: v_dual_add_nc_u32 v2, v8, v92
	v_dual_mov_b32 v25, v129 :: v_dual_add_nc_u32 v4, v8, v93
	v_add_nc_u32_e32 v6, v8, v94
	v_add_nc_u32_e32 v24, v8, v95
	v_mad_co_i64_i32 v[41:42], null, v38, 36, v[9:10]
	v_mad_co_i64_i32 v[0:1], null, v0, 36, v[9:10]
	v_add_nc_u32_e32 v36, v8, v96
	v_mad_co_i64_i32 v[2:3], null, v2, 36, v[9:10]
	v_add_nc_u32_e32 v8, v8, v129
	v_mad_co_i64_i32 v[4:5], null, v4, 36, v[9:10]
	v_mad_co_i64_i32 v[6:7], null, v6, 36, v[9:10]
	;; [unrolled: 1-line block ×5, first 2 shown]
	s_clause 0x8
	global_load_b32 v8, v[33:34], off
	global_load_b32 v11, v[41:42], off offset:4
	global_load_b32 v0, v[0:1], off offset:4
	;; [unrolled: 1-line block ×8, first 2 shown]
	v_mov_b32_e32 v130, v90
	s_add_co_i32 s12, s12, 2
	s_wait_alu 0xfffe
	s_lshl_b32 s16, s12, 3
	s_wait_loadcnt 0x8
	v_cvt_f32_f16_e32 v7, v8
	scratch_load_b32 v8, off, off offset:28 ; 4-byte Folded Reload
	ds_store_b32 v90, v7
	s_wait_loadcnt 0x0
	ds_store_b32 v8, v11
	scratch_load_b32 v8, off, off           ; 4-byte Folded Reload
	s_wait_loadcnt 0x0
	ds_store_b32 v8, v0
	scratch_load_b32 v0, off, off offset:4  ; 4-byte Folded Reload
	s_wait_loadcnt 0x0
	ds_store_b32 v0, v1
	scratch_load_b32 v0, off, off offset:8  ; 4-byte Folded Reload
	s_wait_loadcnt 0x0
	ds_store_b32 v0, v2
	scratch_load_b32 v0, off, off offset:12 ; 4-byte Folded Reload
	s_wait_loadcnt 0x0
	ds_store_b32 v0, v3
	scratch_load_b32 v0, off, off offset:16 ; 4-byte Folded Reload
	;; [unrolled: 3-line block ×4, first 2 shown]
	s_wait_loadcnt 0x0
	ds_store_b32 v0, v6
	s_wait_dscnt 0x0
	s_barrier_signal -1
	s_barrier_wait -1
	global_inv scope:SCOPE_SE
.LBB169_12:                             ;   Parent Loop BB169_6 Depth=1
                                        ;     Parent Loop BB169_8 Depth=2
                                        ; =>    This Inner Loop Header: Depth=3
	s_lshl_b32 s17, s13, 2
	s_lshr_b32 s20, s13, 4
	s_wait_alu 0xfffe
	s_and_b32 s17, s17, 24
	s_lshl_b32 s22, s20, 5
	s_wait_alu 0xfffe
	v_or_b32_e32 v1, s17, v97
	s_addk_co_i32 s22, 0x4200
	s_and_b32 s21, s13, 0x3ffffff8
	s_wait_alu 0xfffe
	v_add3_u32 v11, s22, v144, v110
	v_lshl_add_u32 v147, s21, 2, v109
	v_lshlrev_b32_e32 v0, 2, v1
	v_lshrrev_b32_e32 v1, 1, v1
	s_bfe_u32 s18, s13, 0x30001
	s_and_b32 s19, s13, 6
	s_lshl_b32 s23, s20, 2
	ds_load_2addr_b32 v[3:4], v11 offset1:1
	ds_load_b32 v62, v1 offset:38816
	ds_load_2addr_b32 v[1:2], v147 offset1:1
	s_wait_alu 0xfffe
	s_add_co_i32 s21, s23, 0x9380
	s_and_b32 s20, s13, -2
	s_add_co_i32 s13, s13, 2
	s_wait_alu 0xfffe
	v_add_nc_u32_e32 v221, s20, v100
	s_cmp_lt_u32 s13, s16
	s_wait_dscnt 0x2
	v_ashrrev_i32_e32 v3, s18, v3
	v_ashrrev_i32_e32 v4, s18, v4
	s_wait_dscnt 0x0
	v_ashrrev_i32_e32 v1, s19, v1
	s_delay_alu instid0(VALU_DEP_3) | instskip(NEXT) | instid1(VALU_DEP_3)
	v_lshlrev_b32_e32 v3, 2, v3
	v_lshlrev_b32_e32 v4, 2, v4
	s_delay_alu instid0(VALU_DEP_3) | instskip(SKIP_1) | instid1(VALU_DEP_4)
	v_and_b32_e32 v5, 0x3030303, v1
	v_bfe_u32 v1, v1, 24, 2
	v_and_b32_e32 v3, 0x4040404, v3
	s_delay_alu instid0(VALU_DEP_4) | instskip(NEXT) | instid1(VALU_DEP_4)
	v_and_b32_e32 v4, 0x4040404, v4
	v_lshrrev_b32_e32 v6, 16, v5
	v_lshrrev_b16 v7, 8, v5
	s_delay_alu instid0(VALU_DEP_4) | instskip(SKIP_3) | instid1(VALU_DEP_4)
	v_lshrrev_b32_e32 v24, 24, v3
	v_lshrrev_b32_e32 v8, 16, v3
	v_lshrrev_b16 v33, 8, v3
	v_sub_nc_u16 v125, v5, v3
	v_sub_nc_u16 v123, v1, v24
	v_ashrrev_i32_e32 v1, s19, v2
	s_delay_alu instid0(VALU_DEP_4)
	v_sub_nc_u16 v122, v7, v33
	v_sub_nc_u16 v124, v6, v8
	v_lshrrev_b32_e32 v6, 24, v4
	v_lshrrev_b32_e32 v7, 16, v4
	v_bfe_u32 v2, v1, 24, 2
	v_and_b32_e32 v1, 0x3030303, v1
	v_lshrrev_b16 v8, 8, v4
	v_bfe_i32 v170, v125, 0, 8
	v_bfe_i32 v172, v123, 0, 16
	v_sub_nc_u16 v121, v2, v6
	v_lshrrev_b32_e32 v3, 16, v1
	v_lshrrev_b16 v5, 8, v1
	v_sub_nc_u16 v79, v1, v4
	ds_load_2addr_b32 v[1:2], v147 offset0:2 offset1:3
	v_bfe_i32 v174, v121, 0, 16
	v_sub_nc_u16 v120, v3, v7
	ds_load_2addr_b32 v[3:4], v11 offset0:2 offset1:3
	v_sub_nc_u16 v119, v5, v8
	v_bfe_i32 v177, v79, 0, 8
	v_bfe_i32 v173, v122, 0, 16
	;; [unrolled: 1-line block ×5, first 2 shown]
	s_wait_dscnt 0x1
	v_ashrrev_i32_e32 v1, s19, v1
	s_wait_dscnt 0x0
	v_ashrrev_i32_e32 v3, s18, v3
	v_ashrrev_i32_e32 v4, s18, v4
	s_delay_alu instid0(VALU_DEP_3) | instskip(SKIP_1) | instid1(VALU_DEP_4)
	v_bfe_u32 v5, v1, 24, 2
	v_and_b32_e32 v1, 0x3030303, v1
	v_lshlrev_b32_e32 v3, 2, v3
	s_delay_alu instid0(VALU_DEP_4) | instskip(NEXT) | instid1(VALU_DEP_3)
	v_lshlrev_b32_e32 v4, 2, v4
	v_lshrrev_b32_e32 v6, 16, v1
	v_lshrrev_b16 v7, 8, v1
	s_delay_alu instid0(VALU_DEP_4) | instskip(NEXT) | instid1(VALU_DEP_4)
	v_and_b32_e32 v3, 0x4040404, v3
	v_and_b32_e32 v4, 0x4040404, v4
	s_delay_alu instid0(VALU_DEP_2)
	v_sub_nc_u16 v42, v1, v3
	v_ashrrev_i32_e32 v1, s19, v2
	v_lshrrev_b32_e32 v24, 16, v3
	v_lshrrev_b16 v33, 8, v3
	v_lshrrev_b32_e32 v8, 24, v3
	v_bfe_i32 v181, v42, 0, 8
	v_bfe_u32 v2, v1, 24, 2
	v_and_b32_e32 v1, 0x3030303, v1
	v_sub_nc_u16 v53, v7, v33
	v_sub_nc_u16 v61, v6, v24
	v_lshrrev_b32_e32 v6, 24, v4
	v_lshrrev_b32_e32 v7, 16, v4
	v_lshrrev_b32_e32 v3, 16, v1
	v_sub_nc_u16 v118, v5, v8
	v_lshrrev_b16 v5, 8, v1
	v_lshrrev_b16 v8, 8, v4
	v_sub_nc_u16 v49, v1, v4
	v_sub_nc_u16 v59, v3, v7
	;; [unrolled: 1-line block ×3, first 2 shown]
	ds_load_2addr_b32 v[1:2], v147 offset0:4 offset1:5
	ds_load_2addr_b32 v[3:4], v11 offset0:4 offset1:5
	v_sub_nc_u16 v54, v5, v8
	v_bfe_i32 v178, v118, 0, 16
	v_bfe_i32 v180, v53, 0, 16
	;; [unrolled: 1-line block ×7, first 2 shown]
	s_wait_dscnt 0x1
	v_ashrrev_i32_e32 v1, s19, v1
	s_wait_dscnt 0x0
	v_ashrrev_i32_e32 v3, s18, v3
	v_ashrrev_i32_e32 v4, s18, v4
	s_delay_alu instid0(VALU_DEP_3) | instskip(NEXT) | instid1(VALU_DEP_3)
	v_and_b32_e32 v5, 0x3030303, v1
	v_lshlrev_b32_e32 v3, 2, v3
	v_bfe_u32 v1, v1, 24, 2
	s_delay_alu instid0(VALU_DEP_4) | instskip(NEXT) | instid1(VALU_DEP_4)
	v_lshlrev_b32_e32 v4, 2, v4
	v_lshrrev_b32_e32 v6, 16, v5
	s_delay_alu instid0(VALU_DEP_4) | instskip(SKIP_1) | instid1(VALU_DEP_4)
	v_and_b32_e32 v3, 0x4040404, v3
	v_lshrrev_b16 v7, 8, v5
	v_and_b32_e32 v4, 0x4040404, v4
	s_delay_alu instid0(VALU_DEP_3) | instskip(SKIP_3) | instid1(VALU_DEP_4)
	v_lshrrev_b32_e32 v33, 24, v3
	v_lshrrev_b32_e32 v24, 16, v3
	v_lshrrev_b16 v8, 8, v3
	v_sub_nc_u16 v38, v5, v3
	v_sub_nc_u16 v33, v1, v33
	v_ashrrev_i32_e32 v1, s19, v2
	s_delay_alu instid0(VALU_DEP_4)
	v_sub_nc_u16 v8, v7, v8
	v_sub_nc_u16 v34, v6, v24
	v_lshrrev_b32_e32 v6, 24, v4
	v_lshrrev_b32_e32 v7, 16, v4
	v_bfe_u32 v2, v1, 24, 2
	v_and_b32_e32 v1, 0x3030303, v1
	v_lshrrev_b16 v24, 8, v4
	v_bfe_i32 v186, v38, 0, 8
	v_bfe_i32 v187, v34, 0, 8
	v_sub_nc_u16 v63, v2, v6
	v_lshrrev_b32_e32 v3, 16, v1
	v_lshrrev_b16 v5, 8, v1
	v_sub_nc_u16 v41, v1, v4
	ds_load_2addr_b32 v[1:2], v147 offset0:6 offset1:7
	v_bfe_i32 v190, v63, 0, 16
	v_sub_nc_u16 v56, v3, v7
	ds_load_2addr_b32 v[3:4], v11 offset0:6 offset1:7
	v_sub_nc_u16 v52, v5, v24
	v_bfe_i32 v188, v33, 0, 16
	v_bfe_i32 v189, v8, 0, 16
	;; [unrolled: 1-line block ×5, first 2 shown]
	s_wait_dscnt 0x1
	v_ashrrev_i32_e32 v1, s19, v1
	s_wait_dscnt 0x0
	v_ashrrev_i32_e32 v3, s18, v3
	v_ashrrev_i32_e32 v4, s18, v4
	s_delay_alu instid0(VALU_DEP_3) | instskip(SKIP_1) | instid1(VALU_DEP_4)
	v_bfe_u32 v5, v1, 24, 2
	v_and_b32_e32 v1, 0x3030303, v1
	v_lshlrev_b32_e32 v3, 2, v3
	s_delay_alu instid0(VALU_DEP_4) | instskip(NEXT) | instid1(VALU_DEP_3)
	v_lshlrev_b32_e32 v4, 2, v4
	v_lshrrev_b32_e32 v6, 16, v1
	v_lshrrev_b16 v7, 8, v1
	s_delay_alu instid0(VALU_DEP_4) | instskip(NEXT) | instid1(VALU_DEP_4)
	v_and_b32_e32 v3, 0x4040404, v3
	v_and_b32_e32 v4, 0x4040404, v4
	s_delay_alu instid0(VALU_DEP_2)
	v_sub_nc_u16 v58, v1, v3
	v_ashrrev_i32_e32 v1, s19, v2
	v_lshrrev_b32_e32 v11, 24, v3
	v_lshrrev_b32_e32 v24, 16, v3
	v_lshrrev_b16 v36, 8, v3
	v_bfe_i32 v197, v58, 0, 8
	v_bfe_u32 v2, v1, 24, 2
	v_and_b32_e32 v1, 0x3030303, v1
	v_sub_nc_u16 v67, v6, v24
	v_sub_nc_u16 v64, v7, v36
	;; [unrolled: 1-line block ×3, first 2 shown]
	v_lshrrev_b32_e32 v6, 24, v4
	v_lshrrev_b32_e32 v3, 16, v1
	v_lshrrev_b16 v5, 8, v1
	v_lshrrev_b32_e32 v7, 16, v4
	v_lshrrev_b16 v11, 8, v4
	v_sub_nc_u16 v77, v1, v4
	v_add3_u32 v1, s21, v145, v146
	v_sub_nc_u16 v117, v2, v6
	v_sub_nc_u16 v87, v3, v7
	;; [unrolled: 1-line block ×3, first 2 shown]
	ds_load_b32 v11, v1
	ds_load_b128 v[4:7], v0 offset:25344
	ds_load_b128 v[0:3], v0 offset:25360
	v_bfe_i32 v194, v68, 0, 16
	v_bfe_i32 v195, v67, 0, 8
	v_bfe_i32 v196, v64, 0, 16
	v_bfe_i32 v198, v117, 0, 16
	v_bfe_i32 v199, v87, 0, 8
	v_bfe_i32 v200, v84, 0, 16
	v_bfe_i32 v201, v77, 0, 8
	v_add_nc_u32_e32 v36, s20, v98
	v_add_nc_u32_e32 v238, s20, v99
	s_wait_dscnt 0x1
	v_lshrrev_b16 v24, 8, v4
	v_lshrrev_b16 v50, 8, v5
	;; [unrolled: 1-line block ×3, first 2 shown]
	v_ashrrev_i32_e32 v125, 24, v5
	v_bfe_i32 v248, v5, 0, 8
	v_lshrrev_b16 v55, 8, v7
	v_bfe_i32 v243, v4, 0, 8
	v_ashrrev_i32_e32 v245, 24, v4
	v_bfe_i32 v246, v24, 0, 8
	v_bfe_i32 v127, v5, 16, 8
	v_bfe_i32 v247, v50, 0, 8
	v_mul_i32_i24_e32 v50, v177, v248
	v_mul_i32_i24_e32 v71, v174, v125
	v_ashrrev_i32_e32 v251, 24, v6
	v_bfe_i32 v253, v51, 0, 8
	v_bfe_i32 v79, v6, 0, 8
	v_ashrrev_i32_e32 v42, 24, v7
	v_bfe_i32 v237, v7, 0, 8
	v_bfe_i32 v244, v4, 16, 8
	v_mul_i32_i24_e32 v24, v173, v246
	v_mul_i32_i24_e32 v65, v176, v247
	v_mul_i32_i24_e32 v70, v175, v127
	v_bfe_i32 v252, v6, 16, 8
	v_mul_i32_i24_e32 v51, v181, v79
	v_mul_i32_i24_e32 v72, v180, v253
	;; [unrolled: 1-line block ×3, first 2 shown]
	v_bfe_i32 v53, v7, 16, 8
	v_bfe_i32 v61, v55, 0, 8
	v_mul_i32_i24_e32 v49, v185, v237
	v_mul_i32_i24_e32 v59, v182, v42
	v_mad_i32_i24 v66, v172, v245, v71
	v_mad_i32_i24 v50, v170, v243, v50
	v_mul_i32_i24_e32 v73, v179, v252
	v_mul_i32_i24_e32 v54, v184, v61
	;; [unrolled: 1-line block ×3, first 2 shown]
	v_mad_i32_i24 v70, v171, v244, v70
	v_add3_u32 v24, v24, v65, v72
	v_add3_u32 v49, v50, v51, v49
	;; [unrolled: 1-line block ×3, first 2 shown]
	s_wait_dscnt 0x0
	v_ashrrev_i32_e32 v229, 24, v1
	v_add3_u32 v50, v70, v73, v55
	v_bfe_i32 v230, v1, 16, 8
	v_bfe_i32 v227, v0, 16, 8
	v_add3_u32 v24, v24, v54, v51
	v_lshrrev_b16 v51, 8, v2
	v_lshrrev_b16 v54, 8, v3
	v_ashrrev_i32_e32 v228, 24, v0
	v_bfe_i32 v232, v1, 0, 8
	v_add3_u32 v24, v49, v50, v24
	v_lshrrev_b16 v49, 8, v0
	v_lshrrev_b16 v50, 8, v1
	v_mul_i32_i24_e32 v38, v191, v230
	v_mul_i32_i24_e32 v41, v190, v229
	v_ashrrev_i32_e32 v225, 24, v2
	v_bfe_i32 v236, v49, 0, 8
	v_bfe_i32 v231, v50, 0, 8
	;; [unrolled: 1-line block ×4, first 2 shown]
	v_ashrrev_i32_e32 v66, 24, v3
	v_bfe_i32 v67, v3, 16, 8
	v_bfe_i32 v226, v0, 0, 8
	v_mul_i32_i24_e32 v8, v189, v236
	v_mul_i32_i24_e32 v33, v193, v232
	;; [unrolled: 1-line block ×3, first 2 shown]
	v_bfe_i32 v235, v2, 0, 8
	v_mul_i32_i24_e32 v50, v196, v234
	v_mul_i32_i24_e32 v51, v195, v233
	;; [unrolled: 1-line block ×3, first 2 shown]
	v_bfe_i32 v68, v54, 0, 8
	v_bfe_i32 v224, v3, 0, 8
	v_mul_i32_i24_e32 v56, v199, v67
	v_mul_i32_i24_e32 v58, v198, v66
	v_mad_i32_i24 v41, v188, v228, v41
	v_mad_i32_i24 v38, v187, v227, v38
	v_mul_i32_i24_e32 v49, v197, v235
	v_mul_i32_i24_e32 v54, v201, v224
	;; [unrolled: 1-line block ×3, first 2 shown]
	v_mad_i32_i24 v33, v186, v226, v33
	v_add3_u32 v8, v8, v34, v50
	v_add3_u32 v34, v38, v51, v56
	;; [unrolled: 1-line block ×5, first 2 shown]
	v_perm_b32 v5, v5, v5, 0xc030201
	v_perm_b32 v6, v6, v6, 0xc030201
	v_add3_u32 v8, v8, v55, v38
	ds_load_2addr_b32 v[58:59], v50 offset1:1
	v_perm_b32 v7, v7, v7, 0xc030201
	ds_load_2addr_b32 v[63:64], v50 offset0:2 offset1:3
	ds_load_2addr_b32 v[117:118], v50 offset0:4 offset1:5
	v_add3_u32 v33, v33, v34, v8
	ds_load_u16 v8, v36
	ds_load_2addr_b32 v[148:149], v50 offset0:6 offset1:7
	s_wait_dscnt 0x4
	v_ashrrev_i32_e32 v38, s18, v58
	s_wait_dscnt 0x1
	v_bfe_i32 v206, v8, 0, 8
	v_lshrrev_b16 v34, 8, v8
	s_delay_alu instid0(VALU_DEP_3)
	v_lshlrev_b32_e32 v38, 2, v38
	s_wait_dscnt 0x0
	v_ashrrev_i32_e32 v50, s18, v148
	v_mul_lo_u32 v8, v24, v206
	v_bfe_i32 v202, v34, 0, 8
	v_and_b32_e32 v38, 0x4040404, v38
	s_delay_alu instid0(VALU_DEP_4) | instskip(NEXT) | instid1(VALU_DEP_2)
	v_lshlrev_b32_e32 v50, 2, v50
	v_lshrrev_b32_e32 v51, 16, v38
	s_delay_alu instid0(VALU_DEP_4)
	v_mad_co_u64_u32 v[33:34], null, v33, v202, v[8:9]
	v_mul_f32_e32 v8, v62, v11
	v_lshrrev_b32_e32 v49, 24, v38
	v_lshrrev_b16 v41, 8, v38
	v_and_b32_e32 v50, 0x4040404, v50
	v_cvt_f32_i32_e32 v24, v33
	s_delay_alu instid0(VALU_DEP_1) | instskip(SKIP_3) | instid1(VALU_DEP_1)
	v_dual_fmac_f32 v27, v8, v24 :: v_dual_add_nc_u32 v8, 0x1080, v147
	ds_load_2addr_b32 v[33:34], v8 offset1:1
	s_wait_dscnt 0x0
	v_ashrrev_i32_e32 v8, s19, v33
	v_and_b32_e32 v24, 0x3030303, v8
	v_bfe_u32 v8, v8, 24, 2
	s_delay_alu instid0(VALU_DEP_2) | instskip(NEXT) | instid1(VALU_DEP_2)
	v_lshrrev_b32_e32 v36, 16, v24
	v_sub_nc_u16 v240, v8, v49
	v_ashrrev_i32_e32 v8, s19, v34
	v_lshrrev_b16 v33, 8, v24
	v_sub_nc_u16 v242, v24, v38
	v_sub_nc_u16 v241, v36, v51
	v_ashrrev_i32_e32 v36, s18, v59
	v_bfe_u32 v24, v8, 24, 2
	v_and_b32_e32 v8, 0x3030303, v8
	v_sub_nc_u16 v239, v33, v41
	v_bfe_i32 v242, v242, 0, 8
	v_lshlrev_b32_e32 v36, 2, v36
	v_bfe_i32 v240, v240, 0, 16
	v_lshrrev_b32_e32 v33, 16, v8
	v_lshrrev_b16 v34, 8, v8
	v_bfe_i32 v239, v239, 0, 16
	v_and_b32_e32 v36, 0x4040404, v36
	v_bfe_i32 v241, v241, 0, 8
	s_delay_alu instid0(VALU_DEP_2)
	v_lshrrev_b32_e32 v41, 16, v36
	v_lshrrev_b16 v49, 8, v36
	v_sub_nc_u16 v56, v8, v36
	v_add_nc_u32_e32 v8, 0x1088, v147
	v_lshrrev_b32_e32 v38, 24, v36
	v_sub_nc_u16 v59, v33, v41
	v_sub_nc_u16 v58, v34, v49
	ds_load_2addr_b32 v[33:34], v8 offset1:1
	v_sub_nc_u16 v250, v24, v38
	v_ashrrev_i32_e32 v38, s18, v63
	s_delay_alu instid0(VALU_DEP_1) | instskip(NEXT) | instid1(VALU_DEP_1)
	v_lshlrev_b32_e32 v38, 2, v38
	v_and_b32_e32 v38, 0x4040404, v38
	s_delay_alu instid0(VALU_DEP_1) | instskip(SKIP_4) | instid1(VALU_DEP_1)
	v_lshrrev_b16 v52, 8, v38
	v_lshrrev_b32_e32 v41, 24, v38
	v_lshrrev_b32_e32 v51, 16, v38
	s_wait_dscnt 0x0
	v_ashrrev_i32_e32 v8, s19, v33
	v_bfe_u32 v24, v8, 24, 2
	v_and_b32_e32 v8, 0x3030303, v8
	s_delay_alu instid0(VALU_DEP_2) | instskip(NEXT) | instid1(VALU_DEP_2)
	v_sub_nc_u16 v249, v24, v41
	v_lshrrev_b16 v36, 8, v8
	v_lshrrev_b32_e32 v33, 16, v8
	v_sub_nc_u16 v49, v8, v38
	v_ashrrev_i32_e32 v8, s19, v34
	s_delay_alu instid0(VALU_DEP_4) | instskip(SKIP_2) | instid1(VALU_DEP_4)
	v_sub_nc_u16 v52, v36, v52
	v_ashrrev_i32_e32 v36, s18, v64
	v_sub_nc_u16 v54, v33, v51
	v_bfe_u32 v24, v8, 24, 2
	v_and_b32_e32 v8, 0x3030303, v8
	s_delay_alu instid0(VALU_DEP_4) | instskip(NEXT) | instid1(VALU_DEP_2)
	v_lshlrev_b32_e32 v36, 2, v36
	v_lshrrev_b32_e32 v33, 16, v8
	v_lshrrev_b16 v34, 8, v8
	s_delay_alu instid0(VALU_DEP_3) | instskip(NEXT) | instid1(VALU_DEP_1)
	v_and_b32_e32 v36, 0x4040404, v36
	v_lshrrev_b32_e32 v51, 24, v36
	v_lshrrev_b32_e32 v41, 16, v36
	v_lshrrev_b16 v38, 8, v36
	v_sub_nc_u16 v36, v8, v36
	v_add_nc_u32_e32 v8, 0x1090, v147
	v_sub_nc_u16 v254, v24, v51
	v_sub_nc_u16 v41, v33, v41
	;; [unrolled: 1-line block ×3, first 2 shown]
	v_ashrrev_i32_e32 v34, s18, v117
	ds_load_2addr_b32 v[63:64], v8 offset1:1
	v_lshlrev_b32_e32 v34, 2, v34
	s_delay_alu instid0(VALU_DEP_1) | instskip(NEXT) | instid1(VALU_DEP_1)
	v_and_b32_e32 v34, 0x4040404, v34
	v_lshrrev_b16 v55, 8, v34
	v_lshrrev_b32_e32 v65, 16, v34
	s_wait_dscnt 0x0
	v_ashrrev_i32_e32 v8, s19, v63
	v_lshrrev_b32_e32 v63, 24, v34
	s_delay_alu instid0(VALU_DEP_2) | instskip(SKIP_1) | instid1(VALU_DEP_2)
	v_and_b32_e32 v24, 0x3030303, v8
	v_bfe_u32 v8, v8, 24, 2
	v_sub_nc_u16 v128, v24, v34
	s_delay_alu instid0(VALU_DEP_2) | instskip(SKIP_4) | instid1(VALU_DEP_4)
	v_sub_nc_u16 v34, v8, v63
	v_ashrrev_i32_e32 v63, s18, v118
	v_ashrrev_i32_e32 v8, s19, v64
	v_lshrrev_b16 v51, 8, v24
	v_lshrrev_b32_e32 v33, 16, v24
	v_lshlrev_b32_e32 v63, 2, v63
	s_delay_alu instid0(VALU_DEP_4) | instskip(SKIP_4) | instid1(VALU_DEP_4)
	v_bfe_u32 v24, v8, 24, 2
	v_and_b32_e32 v8, 0x3030303, v8
	v_sub_nc_u16 v255, v51, v55
	v_sub_nc_u16 v33, v33, v65
	v_and_b32_e32 v63, 0x4040404, v63
	v_lshrrev_b32_e32 v51, 16, v8
	v_lshrrev_b16 v55, 8, v8
	v_bfe_i32 v255, v255, 0, 16
	s_delay_alu instid0(VALU_DEP_4)
	v_lshrrev_b32_e32 v64, 24, v63
	v_sub_nc_u16 v121, v8, v63
	v_add_nc_u32_e32 v8, 0x1098, v147
	v_lshrrev_b32_e32 v65, 16, v63
	v_lshrrev_b16 v70, 8, v63
	v_sub_nc_u16 v126, v24, v64
	ds_load_2addr_b32 v[63:64], v8 offset1:1
	v_sub_nc_u16 v124, v51, v65
	v_sub_nc_u16 v123, v55, v70
	v_lshrrev_b16 v70, 8, v50
	v_lshrrev_b32_e32 v65, 16, v50
	s_wait_dscnt 0x0
	v_ashrrev_i32_e32 v8, s19, v63
	v_lshrrev_b32_e32 v63, 24, v50
	s_delay_alu instid0(VALU_DEP_2) | instskip(SKIP_1) | instid1(VALU_DEP_2)
	v_bfe_u32 v24, v8, 24, 2
	v_and_b32_e32 v8, 0x3030303, v8
	v_sub_nc_u16 v122, v24, v63
	s_delay_alu instid0(VALU_DEP_2) | instskip(SKIP_3) | instid1(VALU_DEP_4)
	v_lshrrev_b16 v55, 8, v8
	v_lshrrev_b32_e32 v51, 16, v8
	v_sub_nc_u16 v118, v8, v50
	v_ashrrev_i32_e32 v8, s19, v64
	v_sub_nc_u16 v119, v55, v70
	v_ashrrev_i32_e32 v55, s18, v149
	v_sub_nc_u16 v120, v51, v65
	s_delay_alu instid0(VALU_DEP_4) | instskip(SKIP_1) | instid1(VALU_DEP_4)
	v_bfe_u32 v24, v8, 24, 2
	v_and_b32_e32 v8, 0x3030303, v8
	v_lshlrev_b32_e32 v55, 2, v55
	s_delay_alu instid0(VALU_DEP_2) | instskip(SKIP_1) | instid1(VALU_DEP_3)
	v_lshrrev_b16 v51, 8, v8
	v_lshrrev_b32_e32 v50, 16, v8
	v_and_b32_e32 v55, 0x4040404, v55
	s_delay_alu instid0(VALU_DEP_1) | instskip(SKIP_3) | instid1(VALU_DEP_4)
	v_lshrrev_b32_e32 v63, 24, v55
	v_lshrrev_b16 v65, 8, v55
	v_lshrrev_b32_e32 v64, 16, v55
	v_sub_nc_u16 v84, v8, v55
	v_sub_nc_u16 v117, v24, v63
	s_delay_alu instid0(VALU_DEP_4)
	v_sub_nc_u16 v87, v51, v65
	v_add3_u32 v24, s21, v138, v112
	v_add3_u32 v65, s22, v139, v113
	v_sub_nc_u16 v8, v50, v64
	ds_load_b32 v159, v24
	ds_load_2addr_b32 v[148:149], v65 offset1:1
	v_add_nc_u32_e32 v24, 0x2100, v147
	ds_load_2addr_b32 v[150:151], v65 offset0:6 offset1:7
	ds_load_2addr_b32 v[63:64], v24 offset1:1
	s_wait_dscnt 0x3
	v_mul_f32_e32 v77, v62, v159
	s_wait_dscnt 0x0
	v_ashrrev_i32_e32 v24, s19, v63
	v_ashrrev_i32_e32 v63, s18, v148
	s_delay_alu instid0(VALU_DEP_2) | instskip(NEXT) | instid1(VALU_DEP_2)
	v_and_b32_e32 v50, 0x3030303, v24
	v_lshlrev_b32_e32 v63, 2, v63
	v_bfe_u32 v24, v24, 24, 2
	s_delay_alu instid0(VALU_DEP_3) | instskip(NEXT) | instid1(VALU_DEP_3)
	v_lshrrev_b32_e32 v55, 16, v50
	v_and_b32_e32 v63, 0x4040404, v63
	v_lshrrev_b16 v51, 8, v50
	s_delay_alu instid0(VALU_DEP_2) | instskip(SKIP_3) | instid1(VALU_DEP_4)
	v_lshrrev_b32_e32 v71, 16, v63
	v_lshrrev_b32_e32 v72, 24, v63
	v_lshrrev_b16 v70, 8, v63
	v_sub_nc_u16 v50, v50, v63
	v_sub_nc_u16 v209, v55, v71
	s_delay_alu instid0(VALU_DEP_4) | instskip(NEXT) | instid1(VALU_DEP_3)
	v_sub_nc_u16 v24, v24, v72
	v_bfe_i32 v160, v50, 0, 8
	s_delay_alu instid0(VALU_DEP_3) | instskip(NEXT) | instid1(VALU_DEP_3)
	v_and_b32_e32 v55, 0xff, v209
	v_lshlrev_b16 v24, 8, v24
	s_delay_alu instid0(VALU_DEP_3) | instskip(NEXT) | instid1(VALU_DEP_2)
	v_mul_i32_i24_e32 v50, v243, v160
	v_or_b32_e32 v210, v55, v24
	v_sub_nc_u16 v24, v51, v70
	v_ashrrev_i32_e32 v70, s18, v149
	v_ashrrev_i32_e32 v51, s19, v64
	ds_load_2addr_b32 v[148:149], v65 offset0:2 offset1:3
	v_perm_b32 v216, v210, v209, 0xc0c0500
	v_lshlrev_b16 v24, 8, v24
	v_lshlrev_b32_e32 v70, 2, v70
	v_and_b32_e32 v55, 0x3030303, v51
	v_bfe_u32 v51, v51, 24, 2
	s_delay_alu instid0(VALU_DEP_4) | instskip(NEXT) | instid1(VALU_DEP_4)
	v_bfe_i32 v161, v24, 8, 8
	v_and_b32_e32 v70, 0x4040404, v70
	s_delay_alu instid0(VALU_DEP_4)
	v_lshrrev_b32_e32 v64, 16, v55
	v_lshrrev_b16 v63, 8, v55
	v_perm_b32 v24, v4, v4, 0xc0c0302
	v_mad_i32_i24 v215, v246, v161, v50
	v_lshrrev_b32_e32 v72, 16, v70
	v_lshrrev_b32_e32 v73, 24, v70
	v_lshrrev_b16 v71, 8, v70
	v_sub_nc_u16 v213, v55, v70
	v_dot4_i32_iu8 v4, v24, v216, v215 neg_lo:[1,1,0]
	v_sub_nc_u16 v165, v64, v72
	v_sub_nc_u16 v51, v51, v73
	s_delay_alu instid0(VALU_DEP_4) | instskip(NEXT) | instid1(VALU_DEP_3)
	v_bfe_i32 v217, v213, 0, 8
	v_and_b32_e32 v64, 0xff, v165
	s_delay_alu instid0(VALU_DEP_3) | instskip(NEXT) | instid1(VALU_DEP_3)
	v_lshlrev_b16 v51, 8, v51
	v_mad_i32_i24 v4, v248, v217, v4
	s_delay_alu instid0(VALU_DEP_2) | instskip(SKIP_3) | instid1(VALU_DEP_3)
	v_or_b32_e32 v203, v64, v51
	v_sub_nc_u16 v51, v63, v71
	s_wait_dscnt 0x0
	v_ashrrev_i32_e32 v71, s18, v148
	v_perm_b32 v50, v203, v165, 0xc05000c
	s_delay_alu instid0(VALU_DEP_3) | instskip(SKIP_1) | instid1(VALU_DEP_4)
	v_lshlrev_b16 v205, 8, v51
	v_add_nc_u32_e32 v51, 0x2108, v147
	v_lshlrev_b32_e32 v71, 2, v71
	ds_load_2addr_b32 v[63:64], v51 offset1:1
	v_and_b32_e32 v71, 0x4040404, v71
	s_delay_alu instid0(VALU_DEP_1) | instskip(SKIP_4) | instid1(VALU_DEP_1)
	v_lshrrev_b32_e32 v73, 16, v71
	v_lshrrev_b32_e32 v74, 24, v71
	v_lshrrev_b16 v72, 8, v71
	s_wait_dscnt 0x0
	v_ashrrev_i32_e32 v51, s19, v63
	v_and_b32_e32 v55, 0x3030303, v51
	v_bfe_u32 v51, v51, 24, 2
	s_delay_alu instid0(VALU_DEP_2) | instskip(NEXT) | instid1(VALU_DEP_2)
	v_lshrrev_b32_e32 v70, 16, v55
	v_sub_nc_u16 v51, v51, v74
	v_lshrrev_b16 v63, 8, v55
	v_sub_nc_u16 v214, v55, v71
	s_delay_alu instid0(VALU_DEP_4) | instskip(NEXT) | instid1(VALU_DEP_4)
	v_sub_nc_u16 v168, v70, v73
	v_lshlrev_b16 v51, 8, v51
	s_delay_alu instid0(VALU_DEP_3) | instskip(NEXT) | instid1(VALU_DEP_3)
	v_bfe_i32 v215, v214, 0, 8
	v_and_b32_e32 v70, 0xff, v168
	s_delay_alu instid0(VALU_DEP_1)
	v_or_b32_e32 v207, v70, v51
	v_sub_nc_u16 v51, v63, v72
	v_ashrrev_i32_e32 v70, s18, v149
	ds_load_2addr_b32 v[148:149], v65 offset0:4 offset1:5
	v_ashrrev_i32_e32 v65, s18, v150
	v_lshlrev_b16 v208, 8, v51
	v_ashrrev_i32_e32 v51, s19, v64
	v_lshlrev_b32_e32 v70, 2, v70
	s_delay_alu instid0(VALU_DEP_4) | instskip(NEXT) | instid1(VALU_DEP_3)
	v_lshlrev_b32_e32 v65, 2, v65
	v_and_b32_e32 v55, 0x3030303, v51
	s_delay_alu instid0(VALU_DEP_3) | instskip(SKIP_1) | instid1(VALU_DEP_4)
	v_and_b32_e32 v70, 0x4040404, v70
	v_bfe_u32 v51, v51, 24, 2
	v_and_b32_e32 v65, 0x4040404, v65
	s_delay_alu instid0(VALU_DEP_4) | instskip(NEXT) | instid1(VALU_DEP_4)
	v_lshrrev_b32_e32 v64, 16, v55
	v_lshrrev_b32_e32 v72, 16, v70
	v_lshrrev_b32_e32 v73, 24, v70
	v_lshrrev_b16 v63, 8, v55
	v_lshrrev_b16 v71, 8, v70
	v_sub_nc_u16 v218, v55, v70
	v_sub_nc_u16 v164, v64, v72
	v_sub_nc_u16 v51, v51, v73
	s_delay_alu instid0(VALU_DEP_3) | instskip(NEXT) | instid1(VALU_DEP_3)
	v_bfe_i32 v213, v218, 0, 8
	v_and_b32_e32 v64, 0xff, v164
	s_delay_alu instid0(VALU_DEP_3) | instskip(NEXT) | instid1(VALU_DEP_1)
	v_lshlrev_b16 v51, 8, v51
	v_or_b32_e32 v169, v64, v51
	v_sub_nc_u16 v51, v63, v71
	s_wait_dscnt 0x0
	v_ashrrev_i32_e32 v71, s18, v148
	s_delay_alu instid0(VALU_DEP_2) | instskip(SKIP_1) | instid1(VALU_DEP_3)
	v_lshlrev_b16 v204, 8, v51
	v_add_nc_u32_e32 v51, 0x2110, v147
	v_lshlrev_b32_e32 v71, 2, v71
	ds_load_2addr_b32 v[63:64], v51 offset1:1
	v_and_b32_e32 v71, 0x4040404, v71
	s_delay_alu instid0(VALU_DEP_1) | instskip(SKIP_4) | instid1(VALU_DEP_1)
	v_lshrrev_b32_e32 v73, 16, v71
	v_lshrrev_b32_e32 v74, 24, v71
	v_lshrrev_b16 v72, 8, v71
	s_wait_dscnt 0x0
	v_ashrrev_i32_e32 v51, s19, v63
	v_and_b32_e32 v55, 0x3030303, v51
	v_bfe_u32 v51, v51, 24, 2
	s_delay_alu instid0(VALU_DEP_2) | instskip(NEXT) | instid1(VALU_DEP_2)
	v_lshrrev_b32_e32 v70, 16, v55
	v_sub_nc_u16 v51, v51, v74
	v_lshrrev_b16 v63, 8, v55
	v_sub_nc_u16 v212, v55, v71
	s_delay_alu instid0(VALU_DEP_4) | instskip(NEXT) | instid1(VALU_DEP_4)
	v_sub_nc_u16 v158, v70, v73
	v_lshlrev_b16 v51, 8, v51
	s_delay_alu instid0(VALU_DEP_3) | instskip(NEXT) | instid1(VALU_DEP_3)
	v_bfe_i32 v222, v212, 0, 8
	v_and_b32_e32 v70, 0xff, v158
	s_delay_alu instid0(VALU_DEP_1) | instskip(SKIP_2) | instid1(VALU_DEP_2)
	v_or_b32_e32 v162, v70, v51
	v_sub_nc_u16 v51, v63, v72
	v_ashrrev_i32_e32 v70, s18, v149
	v_lshlrev_b16 v211, 8, v51
	v_ashrrev_i32_e32 v51, s19, v64
	s_delay_alu instid0(VALU_DEP_3) | instskip(NEXT) | instid1(VALU_DEP_3)
	v_lshlrev_b32_e32 v70, 2, v70
	v_bfe_i32 v223, v211, 8, 8
	s_delay_alu instid0(VALU_DEP_3) | instskip(NEXT) | instid1(VALU_DEP_3)
	v_and_b32_e32 v55, 0x3030303, v51
	v_and_b32_e32 v70, 0x4040404, v70
	v_bfe_u32 v51, v51, 24, 2
	s_delay_alu instid0(VALU_DEP_3) | instskip(NEXT) | instid1(VALU_DEP_3)
	v_lshrrev_b32_e32 v64, 16, v55
	v_lshrrev_b32_e32 v72, 16, v70
	;; [unrolled: 1-line block ×3, first 2 shown]
	v_lshrrev_b16 v63, 8, v55
	v_lshrrev_b16 v71, 8, v70
	v_sub_nc_u16 v163, v55, v70
	v_sub_nc_u16 v149, v64, v72
	;; [unrolled: 1-line block ×3, first 2 shown]
	v_lshrrev_b32_e32 v72, 16, v65
	v_lshrrev_b32_e32 v73, 24, v65
	v_bfe_i32 v165, v163, 0, 8
	v_and_b32_e32 v64, 0xff, v149
	v_lshlrev_b16 v51, 8, v51
	s_delay_alu instid0(VALU_DEP_1) | instskip(SKIP_2) | instid1(VALU_DEP_2)
	v_or_b32_e32 v152, v64, v51
	v_sub_nc_u16 v51, v63, v71
	v_lshrrev_b16 v71, 8, v65
	v_lshlrev_b16 v154, 8, v51
	v_add_nc_u32_e32 v51, 0x2118, v147
	ds_load_2addr_b32 v[63:64], v51 offset1:1
	s_wait_dscnt 0x0
	v_ashrrev_i32_e32 v51, s19, v63
	s_delay_alu instid0(VALU_DEP_1) | instskip(SKIP_1) | instid1(VALU_DEP_2)
	v_and_b32_e32 v55, 0x3030303, v51
	v_bfe_u32 v51, v51, 24, 2
	v_lshrrev_b32_e32 v70, 16, v55
	s_delay_alu instid0(VALU_DEP_2)
	v_sub_nc_u16 v51, v51, v73
	v_lshrrev_b16 v63, 8, v55
	v_sub_nc_u16 v166, v55, v65
	v_ashrrev_i32_e32 v65, s18, v151
	v_sub_nc_u16 v150, v70, v72
	v_lshlrev_b16 v51, 8, v51
	s_delay_alu instid0(VALU_DEP_4) | instskip(NEXT) | instid1(VALU_DEP_4)
	v_bfe_i32 v163, v166, 0, 8
	v_lshlrev_b32_e32 v65, 2, v65
	s_delay_alu instid0(VALU_DEP_4) | instskip(NEXT) | instid1(VALU_DEP_2)
	v_and_b32_e32 v70, 0xff, v150
	v_and_b32_e32 v65, 0x4040404, v65
	s_delay_alu instid0(VALU_DEP_2) | instskip(SKIP_1) | instid1(VALU_DEP_3)
	v_or_b32_e32 v155, v70, v51
	v_sub_nc_u16 v51, v63, v71
	v_lshrrev_b32_e32 v71, 16, v65
	v_lshrrev_b32_e32 v72, 24, v65
	s_delay_alu instid0(VALU_DEP_3) | instskip(SKIP_2) | instid1(VALU_DEP_2)
	v_lshlrev_b16 v157, 8, v51
	v_ashrrev_i32_e32 v51, s19, v64
	v_lshrrev_b16 v70, 8, v65
	v_and_b32_e32 v55, 0x3030303, v51
	v_bfe_u32 v51, v51, 24, 2
	s_delay_alu instid0(VALU_DEP_2) | instskip(NEXT) | instid1(VALU_DEP_2)
	v_lshrrev_b32_e32 v64, 16, v55
	v_sub_nc_u16 v51, v51, v72
	v_lshrrev_b16 v63, 8, v55
	v_sub_nc_u16 v167, v55, v65
	v_perm_b32 v55, v0, v0, 0xc0c0302
	v_sub_nc_u16 v148, v64, v71
	v_lshlrev_b16 v51, 8, v51
	s_delay_alu instid0(VALU_DEP_2) | instskip(NEXT) | instid1(VALU_DEP_1)
	v_and_b32_e32 v64, 0xff, v148
	v_or_b32_e32 v151, v64, v51
	v_sub_nc_u16 v51, v63, v70
	v_perm_b32 v63, v154, v154, 0xc0c0c01
	v_perm_b32 v64, v3, v3, 0xc030201
	v_add3_u32 v70, s22, v141, v115
	s_delay_alu instid0(VALU_DEP_4) | instskip(SKIP_3) | instid1(VALU_DEP_1)
	v_lshlrev_b16 v153, 8, v51
	v_add3_u32 v51, s21, v140, v114
	ds_load_b32 v156, v51
	v_perm_b32 v51, v205, v205, 0xc0c0c01
	v_or_b32_e32 v218, v50, v51
	v_perm_b32 v50, v207, v168, 0xc05000c
	v_perm_b32 v51, v208, v208, 0xc0c0c01
	s_delay_alu instid0(VALU_DEP_3) | instskip(NEXT) | instid1(VALU_DEP_2)
	v_dot4_i32_iu8 v4, v5, v218, v4 neg_lo:[1,1,0]
	v_or_b32_e32 v219, v50, v51
	v_perm_b32 v50, v169, v164, 0xc05000c
	v_perm_b32 v51, v204, v204, 0xc0c0c01
	;; [unrolled: 1-line block ×3, first 2 shown]
	v_mad_i32_i24 v4, v79, v215, v4
	v_bfe_i32 v162, v167, 0, 8
	s_delay_alu instid0(VALU_DEP_4) | instskip(SKIP_2) | instid1(VALU_DEP_1)
	v_or_b32_e32 v220, v50, v51
	ds_load_u16 v50, v221
	v_dot4_i32_iu8 v4, v6, v219, v4 neg_lo:[1,1,0]
	v_mad_i32_i24 v4, v237, v213, v4
	s_delay_alu instid0(VALU_DEP_1) | instskip(SKIP_4) | instid1(VALU_DEP_3)
	v_dot4_i32_iu8 v4, v7, v220, v4 neg_lo:[1,1,0]
	s_wait_dscnt 0x0
	v_lshrrev_b16 v51, 8, v50
	v_bfe_i32 v221, v50, 0, 8
	v_mul_i32_i24_e32 v50, v226, v222
	v_bfe_i32 v169, v51, 0, 8
	s_delay_alu instid0(VALU_DEP_3) | instskip(NEXT) | instid1(VALU_DEP_3)
	v_mul_lo_u32 v4, v4, v221
	v_mad_i32_i24 v50, v236, v223, v50
	s_delay_alu instid0(VALU_DEP_1) | instskip(SKIP_2) | instid1(VALU_DEP_3)
	v_dot4_i32_iu8 v0, v55, v164, v50 neg_lo:[1,1,0]
	v_perm_b32 v50, v1, v1, 0xc030201
	v_perm_b32 v1, v152, v149, 0xc05000c
	v_mad_i32_i24 v0, v232, v165, v0
	s_delay_alu instid0(VALU_DEP_2) | instskip(SKIP_3) | instid1(VALU_DEP_4)
	v_or_b32_e32 v166, v1, v63
	v_perm_b32 v63, v2, v2, 0xc030201
	v_perm_b32 v1, v155, v150, 0xc05000c
	;; [unrolled: 1-line block ×3, first 2 shown]
	v_dot4_i32_iu8 v0, v50, v166, v0 neg_lo:[1,1,0]
	s_delay_alu instid0(VALU_DEP_2) | instskip(SKIP_1) | instid1(VALU_DEP_3)
	v_or_b32_e32 v167, v1, v2
	v_perm_b32 v1, v151, v148, 0xc05000c
	v_mad_i32_i24 v0, v235, v163, v0
	v_perm_b32 v2, v153, v153, 0xc0c0c01
	s_delay_alu instid0(VALU_DEP_2) | instskip(NEXT) | instid1(VALU_DEP_2)
	v_dot4_i32_iu8 v0, v63, v167, v0 neg_lo:[1,1,0]
	v_or_b32_e32 v168, v1, v2
	ds_load_2addr_b32 v[2:3], v70 offset1:1
	v_mad_i32_i24 v0, v224, v162, v0
	s_delay_alu instid0(VALU_DEP_1) | instskip(NEXT) | instid1(VALU_DEP_1)
	v_dot4_i32_iu8 v0, v64, v168, v0 neg_lo:[1,1,0]
	v_mad_co_u64_u32 v[0:1], null, v0, v169, v[4:5]
	v_mul_f32_e32 v1, v62, v156
	s_wait_dscnt 0x0
	v_ashrrev_i32_e32 v2, s18, v2
	s_delay_alu instid0(VALU_DEP_3) | instskip(SKIP_1) | instid1(VALU_DEP_2)
	v_cvt_f32_i32_e32 v0, v0
	v_ashrrev_i32_e32 v3, s18, v3
	v_dual_fmac_f32 v75, v1, v0 :: v_dual_lshlrev_b32 v2, 2, v2
	v_add_nc_u32_e32 v0, 0x3180, v147
	s_delay_alu instid0(VALU_DEP_3) | instskip(NEXT) | instid1(VALU_DEP_3)
	v_lshlrev_b32_e32 v3, 2, v3
	v_and_b32_e32 v2, 0x4040404, v2
	ds_load_2addr_b32 v[0:1], v0 offset1:1
	v_and_b32_e32 v3, 0x4040404, v3
	v_lshrrev_b32_e32 v72, 16, v2
	v_lshrrev_b32_e32 v73, 24, v2
	v_lshrrev_b16 v71, 8, v2
	s_delay_alu instid0(VALU_DEP_4) | instskip(SKIP_3) | instid1(VALU_DEP_1)
	v_lshrrev_b32_e32 v74, 16, v3
	v_lshrrev_b32_e32 v76, 24, v3
	s_wait_dscnt 0x0
	v_ashrrev_i32_e32 v0, s19, v0
	v_and_b32_e32 v4, 0x3030303, v0
	v_bfe_u32 v0, v0, 24, 2
	s_delay_alu instid0(VALU_DEP_2) | instskip(NEXT) | instid1(VALU_DEP_2)
	v_lshrrev_b32_e32 v65, 16, v4
	v_sub_nc_u16 v0, v0, v73
	v_lshrrev_b16 v51, 8, v4
	v_sub_nc_u16 v4, v4, v2
	v_lshrrev_b16 v73, 8, v3
	v_sub_nc_u16 v65, v65, v72
	v_lshlrev_b16 v0, 8, v0
	s_delay_alu instid0(VALU_DEP_4) | instskip(NEXT) | instid1(VALU_DEP_3)
	v_bfe_i32 v203, v4, 0, 8
	v_and_b32_e32 v72, 0xff, v65
	s_delay_alu instid0(VALU_DEP_1) | instskip(SKIP_1) | instid1(VALU_DEP_2)
	v_or_b32_e32 v72, v72, v0
	v_sub_nc_u16 v0, v51, v71
	v_perm_b32 v207, v72, v65, 0xc0c0500
	s_delay_alu instid0(VALU_DEP_2) | instskip(SKIP_1) | instid1(VALU_DEP_2)
	v_lshlrev_b16 v51, 8, v0
	v_ashrrev_i32_e32 v0, s19, v1
	v_bfe_i32 v204, v51, 8, 8
	s_delay_alu instid0(VALU_DEP_2) | instskip(SKIP_1) | instid1(VALU_DEP_2)
	v_and_b32_e32 v1, 0x3030303, v0
	v_bfe_u32 v0, v0, 24, 2
	v_lshrrev_b32_e32 v71, 16, v1
	s_delay_alu instid0(VALU_DEP_2) | instskip(SKIP_2) | instid1(VALU_DEP_4)
	v_sub_nc_u16 v0, v0, v76
	v_lshrrev_b16 v2, 8, v1
	v_sub_nc_u16 v76, v1, v3
	v_sub_nc_u16 v71, v71, v74
	s_delay_alu instid0(VALU_DEP_4) | instskip(NEXT) | instid1(VALU_DEP_3)
	v_lshlrev_b16 v0, 8, v0
	v_bfe_i32 v209, v76, 0, 8
	s_delay_alu instid0(VALU_DEP_3) | instskip(NEXT) | instid1(VALU_DEP_1)
	v_and_b32_e32 v74, 0xff, v71
	v_or_b32_e32 v74, v74, v0
	v_sub_nc_u16 v0, v2, v73
	ds_load_2addr_b32 v[2:3], v70 offset0:2 offset1:3
	v_perm_b32 v4, v74, v71, 0xc05000c
	v_lshlrev_b16 v73, 8, v0
	v_add_nc_u32_e32 v0, 0x3188, v147
	ds_load_2addr_b32 v[0:1], v0 offset1:1
	s_wait_dscnt 0x1
	v_ashrrev_i32_e32 v2, s18, v2
	v_ashrrev_i32_e32 v3, s18, v3
	s_delay_alu instid0(VALU_DEP_2) | instskip(NEXT) | instid1(VALU_DEP_2)
	v_lshlrev_b32_e32 v2, 2, v2
	v_lshlrev_b32_e32 v3, 2, v3
	s_wait_dscnt 0x0
	v_ashrrev_i32_e32 v0, s19, v0
	s_delay_alu instid0(VALU_DEP_3) | instskip(NEXT) | instid1(VALU_DEP_3)
	v_and_b32_e32 v2, 0x4040404, v2
	v_and_b32_e32 v3, 0x4040404, v3
	s_delay_alu instid0(VALU_DEP_3) | instskip(SKIP_1) | instid1(VALU_DEP_4)
	v_and_b32_e32 v81, 0x3030303, v0
	v_bfe_u32 v0, v0, 24, 2
	v_lshrrev_b32_e32 v86, 16, v2
	v_lshrrev_b32_e32 v88, 24, v2
	v_lshrrev_b16 v85, 8, v2
	v_lshrrev_b32_e32 v83, 16, v81
	v_lshrrev_b16 v82, 8, v81
	v_lshrrev_b32_e32 v89, 16, v3
	v_sub_nc_u16 v0, v0, v88
	v_lshrrev_b32_e32 v148, 24, v3
	v_sub_nc_u16 v83, v83, v86
	v_sub_nc_u16 v81, v81, v2
	v_lshrrev_b16 v88, 8, v3
	v_lshlrev_b16 v0, 8, v0
	s_delay_alu instid0(VALU_DEP_4) | instskip(NEXT) | instid1(VALU_DEP_4)
	v_and_b32_e32 v86, 0xff, v83
	v_bfe_i32 v208, v81, 0, 8
	s_delay_alu instid0(VALU_DEP_2) | instskip(SKIP_1) | instid1(VALU_DEP_1)
	v_or_b32_e32 v86, v86, v0
	v_sub_nc_u16 v0, v82, v85
	v_lshlrev_b16 v82, 8, v0
	v_ashrrev_i32_e32 v0, s19, v1
	s_delay_alu instid0(VALU_DEP_1) | instskip(SKIP_1) | instid1(VALU_DEP_2)
	v_and_b32_e32 v1, 0x3030303, v0
	v_bfe_u32 v0, v0, 24, 2
	v_lshrrev_b32_e32 v85, 16, v1
	s_delay_alu instid0(VALU_DEP_2) | instskip(SKIP_2) | instid1(VALU_DEP_4)
	v_sub_nc_u16 v0, v0, v148
	v_lshrrev_b16 v2, 8, v1
	v_sub_nc_u16 v148, v1, v3
	v_sub_nc_u16 v85, v85, v89
	s_delay_alu instid0(VALU_DEP_4) | instskip(NEXT) | instid1(VALU_DEP_3)
	v_lshlrev_b16 v0, 8, v0
	v_bfe_i32 v205, v148, 0, 8
	s_delay_alu instid0(VALU_DEP_3) | instskip(NEXT) | instid1(VALU_DEP_1)
	v_and_b32_e32 v89, 0xff, v85
	v_or_b32_e32 v89, v89, v0
	v_sub_nc_u16 v0, v2, v88
	ds_load_2addr_b32 v[2:3], v70 offset0:4 offset1:5
	v_lshlrev_b16 v88, 8, v0
	v_add_nc_u32_e32 v0, 0x3190, v147
	ds_load_2addr_b32 v[0:1], v0 offset1:1
	s_wait_dscnt 0x1
	v_ashrrev_i32_e32 v2, s18, v2
	v_ashrrev_i32_e32 v3, s18, v3
	s_delay_alu instid0(VALU_DEP_2) | instskip(NEXT) | instid1(VALU_DEP_2)
	v_lshlrev_b32_e32 v2, 2, v2
	v_lshlrev_b32_e32 v3, 2, v3
	s_wait_dscnt 0x0
	v_ashrrev_i32_e32 v0, s19, v0
	s_delay_alu instid0(VALU_DEP_3) | instskip(NEXT) | instid1(VALU_DEP_3)
	v_and_b32_e32 v2, 0x4040404, v2
	v_and_b32_e32 v3, 0x4040404, v3
	s_delay_alu instid0(VALU_DEP_3) | instskip(SKIP_1) | instid1(VALU_DEP_4)
	v_and_b32_e32 v149, 0x3030303, v0
	v_bfe_u32 v0, v0, 24, 2
	v_lshrrev_b32_e32 v153, 16, v2
	v_lshrrev_b32_e32 v154, 24, v2
	v_lshrrev_b16 v152, 8, v2
	v_lshrrev_b32_e32 v151, 16, v149
	v_lshrrev_b16 v150, 8, v149
	v_lshrrev_b32_e32 v155, 16, v3
	v_sub_nc_u16 v0, v0, v154
	v_lshrrev_b32_e32 v157, 24, v3
	v_sub_nc_u16 v151, v151, v153
	v_sub_nc_u16 v149, v149, v2
	v_lshrrev_b16 v154, 8, v3
	v_lshlrev_b16 v0, 8, v0
	s_delay_alu instid0(VALU_DEP_4) | instskip(NEXT) | instid1(VALU_DEP_1)
	v_and_b32_e32 v153, 0xff, v151
	v_or_b32_e32 v153, v153, v0
	v_sub_nc_u16 v0, v150, v152
	s_delay_alu instid0(VALU_DEP_1) | instskip(SKIP_1) | instid1(VALU_DEP_1)
	v_lshlrev_b16 v150, 8, v0
	v_ashrrev_i32_e32 v0, s19, v1
	v_and_b32_e32 v1, 0x3030303, v0
	v_bfe_u32 v0, v0, 24, 2
	s_delay_alu instid0(VALU_DEP_2) | instskip(NEXT) | instid1(VALU_DEP_2)
	v_lshrrev_b32_e32 v152, 16, v1
	v_sub_nc_u16 v0, v0, v157
	v_lshrrev_b16 v2, 8, v1
	s_delay_alu instid0(VALU_DEP_3) | instskip(NEXT) | instid1(VALU_DEP_3)
	v_sub_nc_u16 v90, v152, v155
	v_lshlrev_b16 v0, 8, v0
	s_delay_alu instid0(VALU_DEP_2) | instskip(NEXT) | instid1(VALU_DEP_1)
	v_and_b32_e32 v152, 0xff, v90
	v_or_b32_e32 v91, v152, v0
	v_sub_nc_u16 v0, v2, v154
	v_sub_nc_u16 v152, v1, v3
	ds_load_2addr_b32 v[2:3], v70 offset0:6 offset1:7
	v_lshlrev_b16 v92, 8, v0
	v_add_nc_u32_e32 v0, 0x3198, v147
	ds_load_2addr_b32 v[0:1], v0 offset1:1
	s_wait_dscnt 0x1
	v_ashrrev_i32_e32 v2, s18, v2
	v_ashrrev_i32_e32 v3, s18, v3
	s_delay_alu instid0(VALU_DEP_2) | instskip(NEXT) | instid1(VALU_DEP_2)
	v_lshlrev_b32_e32 v2, 2, v2
	v_lshlrev_b32_e32 v3, 2, v3
	s_wait_dscnt 0x0
	v_ashrrev_i32_e32 v0, s19, v0
	s_delay_alu instid0(VALU_DEP_3) | instskip(NEXT) | instid1(VALU_DEP_3)
	v_and_b32_e32 v2, 0x4040404, v2
	v_and_b32_e32 v3, 0x4040404, v3
	s_delay_alu instid0(VALU_DEP_3) | instskip(SKIP_1) | instid1(VALU_DEP_4)
	v_and_b32_e32 v147, 0x3030303, v0
	v_bfe_u32 v0, v0, 24, 2
	v_lshrrev_b32_e32 v157, 16, v2
	v_lshrrev_b32_e32 v158, 24, v2
	v_lshrrev_b16 v70, 8, v2
	v_lshrrev_b32_e32 v155, 16, v147
	v_lshrrev_b16 v154, 8, v147
	v_sub_nc_u16 v2, v147, v2
	v_sub_nc_u16 v0, v0, v158
	v_lshrrev_b32_e32 v158, 24, v3
	v_sub_nc_u16 v93, v155, v157
	v_lshrrev_b32_e32 v157, 16, v3
	s_delay_alu instid0(VALU_DEP_4) | instskip(NEXT) | instid1(VALU_DEP_3)
	v_lshlrev_b16 v0, 8, v0
	v_and_b32_e32 v155, 0xff, v93
	s_delay_alu instid0(VALU_DEP_1) | instskip(SKIP_2) | instid1(VALU_DEP_2)
	v_or_b32_e32 v94, v155, v0
	v_sub_nc_u16 v0, v154, v70
	v_lshrrev_b16 v155, 8, v3
	v_lshlrev_b16 v70, 8, v0
	v_ashrrev_i32_e32 v0, s19, v1
	s_delay_alu instid0(VALU_DEP_1) | instskip(SKIP_1) | instid1(VALU_DEP_2)
	v_and_b32_e32 v1, 0x3030303, v0
	v_bfe_u32 v0, v0, 24, 2
	v_lshrrev_b32_e32 v154, 16, v1
	s_delay_alu instid0(VALU_DEP_2)
	v_sub_nc_u16 v0, v0, v158
	v_lshrrev_b16 v147, 8, v1
	v_sub_nc_u16 v1, v1, v3
	v_add3_u32 v3, s21, v142, v116
	v_sub_nc_u16 v95, v154, v157
	v_lshlrev_b16 v0, 8, v0
	v_bfe_i32 v158, v149, 0, 8
	v_bfe_i32 v157, v150, 8, 8
	;; [unrolled: 1-line block ×3, first 2 shown]
	v_and_b32_e32 v154, 0xff, v95
	s_delay_alu instid0(VALU_DEP_1)
	v_or_b32_e32 v96, v154, v0
	v_sub_nc_u16 v0, v147, v155
	ds_load_b32 v147, v3
	v_perm_b32 v155, v153, v151, 0xc0c0500
	v_bfe_i32 v154, v152, 0, 8
	v_bfe_i32 v152, v2, 0, 8
	v_lshlrev_b16 v129, 8, v0
	v_add_nc_u32_e32 v0, s20, v101
	v_perm_b32 v2, v91, v90, 0xc05000c
	ds_load_u16 v0, v0
	v_mul_i32_i24_e32 v3, v243, v203
	s_delay_alu instid0(VALU_DEP_1) | instskip(NEXT) | instid1(VALU_DEP_1)
	v_mad_i32_i24 v3, v246, v204, v3
	v_dot4_i32_iu8 v3, v24, v207, v3 neg_lo:[1,1,0]
	v_perm_b32 v24, v73, v73, 0xc0c0c01
	s_delay_alu instid0(VALU_DEP_2) | instskip(NEXT) | instid1(VALU_DEP_2)
	v_mad_i32_i24 v3, v248, v209, v3
	v_or_b32_e32 v210, v4, v24
	v_perm_b32 v4, v86, v83, 0xc05000c
	s_wait_dscnt 0x0
	v_bfe_i32 v214, v0, 0, 8
	s_delay_alu instid0(VALU_DEP_3) | instskip(SKIP_1) | instid1(VALU_DEP_2)
	v_dot4_i32_iu8 v3, v5, v210, v3 neg_lo:[1,1,0]
	v_perm_b32 v5, v82, v82, 0xc0c0c01
	v_mad_i32_i24 v3, v79, v208, v3
	s_delay_alu instid0(VALU_DEP_2) | instskip(SKIP_2) | instid1(VALU_DEP_3)
	v_or_b32_e32 v211, v4, v5
	v_perm_b32 v4, v89, v85, 0xc05000c
	v_perm_b32 v5, v88, v88, 0xc0c0c01
	v_dot4_i32_iu8 v3, v6, v211, v3 neg_lo:[1,1,0]
	s_delay_alu instid0(VALU_DEP_2) | instskip(SKIP_1) | instid1(VALU_DEP_3)
	v_or_b32_e32 v212, v4, v5
	v_lshrrev_b16 v4, 8, v0
	v_mad_i32_i24 v3, v237, v205, v3
	s_delay_alu instid0(VALU_DEP_2) | instskip(NEXT) | instid1(VALU_DEP_2)
	v_bfe_i32 v148, v4, 0, 8
	v_dot4_i32_iu8 v3, v7, v212, v3 neg_lo:[1,1,0]
	s_delay_alu instid0(VALU_DEP_1) | instskip(SKIP_1) | instid1(VALU_DEP_1)
	v_mul_lo_u32 v0, v3, v214
	v_mul_i32_i24_e32 v3, v226, v158
	v_mad_i32_i24 v3, v236, v157, v3
	s_delay_alu instid0(VALU_DEP_1) | instskip(NEXT) | instid1(VALU_DEP_1)
	v_dot4_i32_iu8 v3, v55, v155, v3 neg_lo:[1,1,0]
	v_mad_i32_i24 v1, v232, v154, v3
	v_perm_b32 v3, v92, v92, 0xc0c0c01
	s_delay_alu instid0(VALU_DEP_1) | instskip(SKIP_2) | instid1(VALU_DEP_3)
	v_or_b32_e32 v153, v2, v3
	v_perm_b32 v2, v94, v93, 0xc05000c
	v_perm_b32 v3, v70, v70, 0xc0c0c01
	v_dot4_i32_iu8 v1, v50, v153, v1 neg_lo:[1,1,0]
	s_delay_alu instid0(VALU_DEP_2) | instskip(SKIP_2) | instid1(VALU_DEP_4)
	v_or_b32_e32 v151, v2, v3
	v_perm_b32 v2, v96, v95, 0xc05000c
	v_perm_b32 v3, v129, v129, 0xc0c0c01
	v_mad_i32_i24 v1, v235, v152, v1
	s_delay_alu instid0(VALU_DEP_2) | instskip(NEXT) | instid1(VALU_DEP_2)
	v_or_b32_e32 v149, v2, v3
	v_dot4_i32_iu8 v1, v63, v151, v1 neg_lo:[1,1,0]
	v_mul_i32_i24_e32 v2, v241, v244
	v_mul_i32_i24_e32 v3, v240, v245
	v_bfe_i32 v245, v58, 0, 16
	v_bfe_i32 v244, v59, 0, 8
	v_mad_i32_i24 v1, v224, v150, v1
	s_delay_alu instid0(VALU_DEP_3) | instskip(SKIP_1) | instid1(VALU_DEP_3)
	v_mul_i32_i24_e32 v59, v245, v247
	v_bfe_i32 v247, v249, 0, 16
	v_dot4_i32_iu8 v1, v64, v149, v1 neg_lo:[1,1,0]
	v_bfe_i32 v249, v52, 0, 16
	s_delay_alu instid0(VALU_DEP_2) | instskip(SKIP_1) | instid1(VALU_DEP_2)
	v_mad_co_u64_u32 v[0:1], null, v1, v148, v[0:1]
	v_mul_f32_e32 v1, v62, v147
	v_cvt_f32_i32_e32 v0, v0
	s_delay_alu instid0(VALU_DEP_1) | instskip(SKIP_1) | instid1(VALU_DEP_1)
	v_fmac_f32_e32 v69, v1, v0
	v_or_b32_e32 v0, s17, v102
	v_lshlrev_b32_e32 v1, 2, v0
	v_lshrrev_b32_e32 v0, 1, v0
	ds_load_b32 v62, v0 offset:38816
	v_mul_i32_i24_e32 v0, v242, v243
	v_bfe_i32 v243, v250, 0, 16
	v_bfe_i32 v250, v49, 0, 8
	s_delay_alu instid0(VALU_DEP_3) | instskip(SKIP_1) | instid1(VALU_DEP_4)
	v_mad_i32_i24 v0, v239, v246, v0
	v_bfe_i32 v246, v56, 0, 8
	v_mul_i32_i24_e32 v76, v243, v125
	s_delay_alu instid0(VALU_DEP_4)
	v_mul_i32_i24_e32 v52, v250, v79
	v_mul_i32_i24_e32 v79, v247, v251
	v_add3_u32 v50, v0, v2, v3
	ds_load_b128 v[4:7], v1 offset:25344
	ds_load_b128 v[0:3], v1 offset:25360
	v_mul_i32_i24_e32 v58, v246, v248
	v_bfe_i32 v248, v54, 0, 8
	v_mul_i32_i24_e32 v54, v249, v253
	v_bfe_i32 v251, v254, 0, 16
	v_bfe_i32 v253, v38, 0, 16
	v_add3_u32 v50, v50, v58, v59
	v_bfe_i32 v254, v36, 0, 8
	s_wait_dscnt 0x2
	v_mul_f32_e32 v24, v11, v62
	v_mul_i32_i24_e32 v42, v251, v42
	s_delay_alu instid0(VALU_DEP_3)
	v_mul_i32_i24_e32 v38, v254, v237
	v_bfe_i32 v237, v121, 0, 8
	s_wait_dscnt 0x1
	v_lshrrev_b16 v51, 8, v4
	v_bfe_i32 v64, v4, 0, 8
	v_lshrrev_b16 v55, 8, v5
	v_bfe_i32 v71, v4, 16, 8
	v_bfe_i32 v56, v5, 0, 8
	;; [unrolled: 1-line block ×3, first 2 shown]
	v_ashrrev_i32_e32 v51, 24, v4
	v_mul_i32_i24_e32 v72, v64, v170
	v_mul_i32_i24_e32 v73, v71, v171
	v_bfe_i32 v55, v55, 0, 8
	v_lshrrev_b16 v65, 8, v6
	v_mul_i32_i24_e32 v74, v51, v172
	v_mad_i32_i24 v72, v63, v173, v72
	v_ashrrev_i32_e32 v81, 24, v5
	v_bfe_i32 v82, v5, 16, 8
	v_mul_i32_i24_e32 v83, v56, v177
	v_mul_i32_i24_e32 v85, v55, v176
	v_add3_u32 v72, v72, v73, v74
	v_mul_i32_i24_e32 v74, v244, v127
	v_mul_i32_i24_e32 v86, v82, v175
	;; [unrolled: 1-line block ×3, first 2 shown]
	v_bfe_i32 v65, v65, 0, 8
	v_add3_u32 v58, v72, v83, v85
	v_add3_u32 v50, v50, v74, v76
	v_bfe_i32 v49, v6, 0, 8
	v_lshrrev_b16 v70, 8, v7
	v_mul_i32_i24_e32 v72, v82, v244
	v_add3_u32 v58, v58, v86, v88
	v_mul_i32_i24_e32 v74, v81, v243
	v_mul_i32_i24_e32 v76, v248, v252
	v_ashrrev_i32_e32 v81, 24, v6
	v_bfe_i32 v82, v6, 16, 8
	v_mul_i32_i24_e32 v83, v49, v181
	v_mul_i32_i24_e32 v85, v65, v180
	v_add3_u32 v50, v50, v52, v54
	v_mul_i32_i24_e32 v88, v81, v178
	v_mul_i32_i24_e32 v86, v82, v179
	v_bfe_i32 v252, v41, 0, 8
	v_add3_u32 v52, v58, v83, v85
	v_add3_u32 v50, v50, v76, v79
	v_mul_i32_i24_e32 v41, v253, v61
	v_bfe_i32 v70, v70, 0, 8
	v_bfe_i32 v36, v7, 0, 8
	v_add3_u32 v52, v52, v86, v88
	v_mul_i32_i24_e32 v58, v65, v249
	v_mul_i32_i24_e32 v65, v82, v248
	;; [unrolled: 1-line block ×4, first 2 shown]
	v_ashrrev_i32_e32 v61, 24, v7
	v_bfe_i32 v79, v7, 16, 8
	v_mul_i32_i24_e32 v81, v36, v185
	v_mul_i32_i24_e32 v82, v70, v184
	v_add3_u32 v38, v50, v38, v41
	v_mul_i32_i24_e32 v85, v61, v182
	v_mul_i32_i24_e32 v83, v79, v183
	;; [unrolled: 1-line block ×4, first 2 shown]
	v_add3_u32 v50, v38, v53, v42
	v_add3_u32 v38, v52, v81, v82
	v_mul_i32_i24_e32 v55, v55, v245
	v_mul_i32_i24_e32 v53, v61, v251
	v_mad_i32_i24 v51, v51, v240, v74
	v_mul_i32_i24_e32 v54, v49, v250
	v_add3_u32 v38, v38, v83, v85
	v_mul_i32_i24_e32 v41, v70, v253
	v_mul_i32_i24_e32 v42, v79, v252
	v_mad_i32_i24 v61, v71, v241, v72
	v_mad_i32_i24 v59, v64, v242, v59
	v_mul_lo_u32 v52, v38, v206
	v_mul_i32_i24_e32 v38, v36, v254
	v_add3_u32 v55, v73, v55, v58
	v_add3_u32 v51, v51, v76, v53
	;; [unrolled: 1-line block ×3, first 2 shown]
	v_bfe_i32 v61, v128, 0, 8
	v_add3_u32 v38, v59, v54, v38
	v_bfe_i32 v53, v33, 0, 8
	v_add3_u32 v41, v55, v41, v51
	s_wait_dscnt 0x0
	v_ashrrev_i32_e32 v65, 24, v0
	v_mul_i32_i24_e32 v33, v61, v226
	v_bfe_i32 v70, v0, 16, 8
	v_bfe_i32 v226, v126, 0, 16
	v_add3_u32 v51, v38, v42, v41
	v_bfe_i32 v42, v34, 0, 16
	v_mul_i32_i24_e32 v34, v53, v227
	v_mad_i32_i24 v33, v255, v236, v33
	v_mul_i32_i24_e32 v59, v70, v187
	v_mul_i32_i24_e32 v71, v65, v188
	;; [unrolled: 1-line block ×3, first 2 shown]
	v_bfe_i32 v228, v123, 0, 16
	v_bfe_i32 v227, v124, 0, 8
	v_mul_i32_i24_e32 v74, v226, v229
	v_ashrrev_i32_e32 v76, 24, v1
	v_add3_u32 v41, v33, v34, v38
	v_lshrrev_b16 v33, 8, v0
	v_bfe_i32 v34, v0, 0, 8
	v_lshrrev_b16 v38, 8, v1
	v_mul_i32_i24_e32 v72, v228, v231
	v_mul_i32_i24_e32 v73, v227, v230
	v_bfe_i32 v33, v33, 0, 8
	v_mul_i32_i24_e32 v58, v34, v186
	v_bfe_i32 v81, v38, 0, 8
	v_bfe_i32 v38, v1, 0, 8
	;; [unrolled: 1-line block ×3, first 2 shown]
	v_lshrrev_b16 v54, 8, v2
	v_mad_i32_i24 v58, v33, v189, v58
	v_mul_i32_i24_e32 v83, v81, v192
	v_mul_i32_i24_e32 v82, v38, v193
	;; [unrolled: 1-line block ×4, first 2 shown]
	v_add3_u32 v58, v58, v59, v71
	v_mul_i32_i24_e32 v59, v237, v232
	v_bfe_i32 v231, v119, 0, 16
	v_bfe_i32 v232, v118, 0, 8
	;; [unrolled: 1-line block ×3, first 2 shown]
	v_lshrrev_b16 v55, 8, v3
	v_add3_u32 v41, v41, v59, v72
	v_bfe_i32 v229, v122, 0, 16
	v_bfe_i32 v230, v120, 0, 8
	v_mul_i32_i24_e32 v89, v54, v196
	v_bfe_i32 v55, v55, 0, 8
	v_add3_u32 v59, v41, v73, v74
	v_add3_u32 v41, v58, v82, v83
	v_mul_i32_i24_e32 v73, v81, v228
	v_mul_i32_i24_e32 v74, v79, v227
	;; [unrolled: 1-line block ×4, first 2 shown]
	v_add3_u32 v58, v41, v85, v86
	v_bfe_i32 v41, v2, 0, 8
	v_ashrrev_i32_e32 v85, 24, v2
	v_bfe_i32 v86, v2, 16, 8
	v_mul_i32_i24_e32 v82, v230, v233
	v_mul_i32_i24_e32 v83, v229, v225
	;; [unrolled: 1-line block ×5, first 2 shown]
	v_add3_u32 v59, v59, v79, v81
	v_bfe_i32 v234, v8, 0, 8
	v_add3_u32 v58, v58, v88, v89
	v_bfe_i32 v8, v3, 0, 8
	v_mul_i32_i24_e32 v81, v86, v230
	v_add3_u32 v59, v59, v82, v83
	v_mul_i32_i24_e32 v82, v85, v229
	v_add3_u32 v58, v58, v90, v91
	v_bfe_i32 v235, v87, 0, 16
	v_bfe_i32 v236, v84, 0, 8
	v_ashrrev_i32_e32 v84, 24, v3
	v_bfe_i32 v85, v3, 16, 8
	v_mul_i32_i24_e32 v86, v8, v201
	v_mul_i32_i24_e32 v87, v55, v200
	v_bfe_i32 v233, v117, 0, 16
	v_mul_i32_i24_e32 v83, v236, v224
	v_mul_i32_i24_e32 v68, v235, v68
	;; [unrolled: 1-line block ×4, first 2 shown]
	v_add3_u32 v58, v58, v86, v87
	v_mul_i32_i24_e32 v67, v234, v67
	v_mul_i32_i24_e32 v66, v233, v66
	v_add3_u32 v59, v59, v83, v68
	v_mul_i32_i24_e32 v76, v76, v226
	v_add3_u32 v58, v58, v88, v89
	v_mul_i32_i24_e32 v71, v33, v255
	v_mul_i32_i24_e32 v72, v38, v237
	v_add3_u32 v67, v59, v67, v66
	v_mul_i32_i24_e32 v54, v54, v231
	v_mad_co_u64_u32 v[58:59], null, v58, v202, v[52:53]
	v_mad_i32_i24 v59, v65, v42, v76
	v_mul_i32_i24_e32 v79, v41, v232
	v_mad_i32_i24 v65, v70, v53, v74
	v_mad_i32_i24 v66, v34, v61, v72
	v_add3_u32 v54, v71, v73, v54
	v_perm_b32 v5, v5, v5, 0xc030201
	v_cvt_f32_i32_e32 v52, v58
	v_mul_i32_i24_e32 v58, v84, v233
	v_perm_b32 v6, v6, v6, 0xc030201
	v_perm_b32 v2, v2, v2, 0xc030201
	;; [unrolled: 1-line block ×3, first 2 shown]
	v_fmac_f32_e32 v60, v24, v52
	v_mul_i32_i24_e32 v24, v8, v236
	v_mul_i32_i24_e32 v52, v55, v235
	;; [unrolled: 1-line block ×3, first 2 shown]
	v_add3_u32 v58, v59, v82, v58
	v_perm_b32 v3, v3, v3, 0xc030201
	v_add3_u32 v24, v66, v79, v24
	s_delay_alu instid0(VALU_DEP_4) | instskip(NEXT) | instid1(VALU_DEP_4)
	v_add3_u32 v55, v65, v81, v55
	v_add3_u32 v52, v54, v52, v58
	s_delay_alu instid0(VALU_DEP_1) | instskip(SKIP_4) | instid1(VALU_DEP_2)
	v_add3_u32 v24, v24, v55, v52
	ds_load_u16 v52, v238
	s_wait_dscnt 0x0
	v_bfe_i32 v66, v52, 0, 8
	v_lshrrev_b16 v54, 8, v52
	v_mul_lo_u32 v52, v50, v66
	s_delay_alu instid0(VALU_DEP_2) | instskip(NEXT) | instid1(VALU_DEP_1)
	v_bfe_i32 v238, v54, 0, 8
	v_mad_co_u64_u32 v[58:59], null, v67, v238, v[52:53]
	v_mul_lo_u32 v52, v51, v66
	v_perm_b32 v51, v0, v0, 0xc0c0302
	s_delay_alu instid0(VALU_DEP_3) | instskip(NEXT) | instid1(VALU_DEP_3)
	v_cvt_f32_i32_e32 v50, v58
	v_mad_co_u64_u32 v[58:59], null, v24, v238, v[52:53]
	v_mul_f32_e32 v24, v159, v62
	s_delay_alu instid0(VALU_DEP_3) | instskip(NEXT) | instid1(VALU_DEP_3)
	v_fmac_f32_e32 v80, v77, v50
	v_cvt_f32_i32_e32 v50, v58
	s_delay_alu instid0(VALU_DEP_1) | instskip(SKIP_2) | instid1(VALU_DEP_2)
	v_fmac_f32_e32 v57, v24, v50
	v_mul_i32_i24_e32 v24, v64, v160
	v_perm_b32 v50, v4, v4, 0xc0c0302
	v_mad_i32_i24 v24, v63, v161, v24
	s_delay_alu instid0(VALU_DEP_1) | instskip(SKIP_1) | instid1(VALU_DEP_2)
	v_dot4_i32_iu8 v4, v50, v216, v24 neg_lo:[1,1,0]
	v_mul_i32_i24_e32 v24, v34, v222
	v_mad_i32_i24 v4, v56, v217, v4
	s_delay_alu instid0(VALU_DEP_2) | instskip(NEXT) | instid1(VALU_DEP_2)
	v_mad_i32_i24 v24, v33, v223, v24
	v_dot4_i32_iu8 v4, v5, v218, v4 neg_lo:[1,1,0]
	s_delay_alu instid0(VALU_DEP_2) | instskip(SKIP_1) | instid1(VALU_DEP_3)
	v_dot4_i32_iu8 v0, v51, v164, v24 neg_lo:[1,1,0]
	v_perm_b32 v24, v1, v1, 0xc030201
	v_mad_i32_i24 v4, v49, v215, v4
	s_delay_alu instid0(VALU_DEP_3) | instskip(NEXT) | instid1(VALU_DEP_2)
	v_mad_i32_i24 v0, v38, v165, v0
	v_dot4_i32_iu8 v4, v6, v219, v4 neg_lo:[1,1,0]
	s_delay_alu instid0(VALU_DEP_2) | instskip(NEXT) | instid1(VALU_DEP_2)
	v_dot4_i32_iu8 v0, v24, v166, v0 neg_lo:[1,1,0]
	v_mad_i32_i24 v4, v36, v213, v4
	s_delay_alu instid0(VALU_DEP_2) | instskip(NEXT) | instid1(VALU_DEP_2)
	v_mad_i32_i24 v0, v41, v163, v0
	v_dot4_i32_iu8 v4, v7, v220, v4 neg_lo:[1,1,0]
	s_delay_alu instid0(VALU_DEP_2) | instskip(NEXT) | instid1(VALU_DEP_2)
	v_dot4_i32_iu8 v0, v2, v167, v0 neg_lo:[1,1,0]
	v_mul_lo_u32 v4, v4, v221
	s_delay_alu instid0(VALU_DEP_2) | instskip(NEXT) | instid1(VALU_DEP_1)
	v_mad_i32_i24 v0, v8, v162, v0
	v_dot4_i32_iu8 v0, v3, v168, v0 neg_lo:[1,1,0]
	s_delay_alu instid0(VALU_DEP_1) | instskip(SKIP_1) | instid1(VALU_DEP_2)
	v_mad_co_u64_u32 v[0:1], null, v0, v169, v[4:5]
	v_mul_f32_e32 v1, v156, v62
	v_cvt_f32_i32_e32 v0, v0
	s_delay_alu instid0(VALU_DEP_1) | instskip(SKIP_2) | instid1(VALU_DEP_2)
	v_fmac_f32_e32 v48, v1, v0
	v_mul_i32_i24_e32 v0, v64, v203
	v_mul_i32_i24_e32 v1, v34, v158
	v_mad_i32_i24 v0, v63, v204, v0
	s_delay_alu instid0(VALU_DEP_2) | instskip(NEXT) | instid1(VALU_DEP_2)
	v_mad_i32_i24 v1, v33, v157, v1
	v_dot4_i32_iu8 v0, v50, v207, v0 neg_lo:[1,1,0]
	s_delay_alu instid0(VALU_DEP_2) | instskip(NEXT) | instid1(VALU_DEP_2)
	v_dot4_i32_iu8 v1, v51, v155, v1 neg_lo:[1,1,0]
	v_mad_i32_i24 v0, v56, v209, v0
	s_delay_alu instid0(VALU_DEP_2) | instskip(NEXT) | instid1(VALU_DEP_2)
	v_mad_i32_i24 v1, v38, v154, v1
	v_dot4_i32_iu8 v0, v5, v210, v0 neg_lo:[1,1,0]
	s_delay_alu instid0(VALU_DEP_2) | instskip(NEXT) | instid1(VALU_DEP_2)
	v_dot4_i32_iu8 v1, v24, v153, v1 neg_lo:[1,1,0]
	;; [unrolled: 6-line block ×4, first 2 shown]
	v_mul_lo_u32 v0, v0, v214
	s_delay_alu instid0(VALU_DEP_1) | instskip(SKIP_1) | instid1(VALU_DEP_2)
	v_mad_co_u64_u32 v[0:1], null, v1, v148, v[0:1]
	v_mul_f32_e32 v1, v147, v62
	v_cvt_f32_i32_e32 v0, v0
	s_delay_alu instid0(VALU_DEP_1) | instskip(SKIP_1) | instid1(VALU_DEP_1)
	v_fmac_f32_e32 v47, v1, v0
	v_or_b32_e32 v0, s17, v103
	v_lshlrev_b32_e32 v1, 2, v0
	v_lshrrev_b32_e32 v0, 1, v0
	ds_load_b32 v8, v0 offset:38816
	ds_load_b128 v[4:7], v1 offset:25344
	ds_load_b128 v[0:3], v1 offset:25360
	s_wait_dscnt 0x1
	v_bfe_i32 v33, v4, 0, 8
	v_bfe_i32 v34, v4, 8, 8
	;; [unrolled: 1-line block ×3, first 2 shown]
	v_ashrrev_i32_e32 v50, 24, v4
	v_bfe_i32 v36, v5, 0, 8
	v_mul_i32_i24_e32 v59, v170, v33
	v_bfe_i32 v51, v5, 8, 8
	v_mul_i32_i24_e32 v62, v171, v24
	v_mul_i32_i24_e32 v63, v172, v50
	v_bfe_i32 v55, v5, 16, 8
	v_mad_i32_i24 v59, v173, v34, v59
	v_ashrrev_i32_e32 v64, 24, v5
	s_wait_dscnt 0x0
	v_bfe_i32 v49, v0, 0, 8
	v_bfe_i32 v52, v0, 8, 8
	;; [unrolled: 1-line block ×3, first 2 shown]
	v_add3_u32 v59, v59, v62, v63
	v_mul_i32_i24_e32 v62, v177, v36
	v_mul_i32_i24_e32 v63, v176, v51
	v_ashrrev_i32_e32 v74, 24, v0
	v_mul_i32_i24_e32 v87, v175, v55
	v_mul_i32_i24_e32 v88, v174, v64
	v_bfe_i32 v38, v6, 0, 8
	v_add3_u32 v59, v59, v62, v63
	v_mul_i32_i24_e32 v62, v186, v49
	v_bfe_i32 v65, v6, 8, 8
	v_bfe_i32 v54, v1, 0, 8
	;; [unrolled: 1-line block ×3, first 2 shown]
	v_add3_u32 v59, v59, v87, v88
	v_mul_i32_i24_e32 v63, v187, v73
	v_mul_i32_i24_e32 v87, v188, v74
	v_mad_i32_i24 v62, v189, v52, v62
	v_bfe_i32 v67, v6, 16, 8
	v_ashrrev_i32_e32 v68, 24, v6
	v_bfe_i32 v77, v1, 16, 8
	v_ashrrev_i32_e32 v79, 24, v1
	v_mul_i32_i24_e32 v89, v181, v38
	v_mul_i32_i24_e32 v90, v180, v65
	v_add3_u32 v62, v62, v63, v87
	v_mul_i32_i24_e32 v63, v193, v54
	v_mul_i32_i24_e32 v87, v192, v76
	v_bfe_i32 v41, v7, 0, 8
	v_bfe_i32 v70, v7, 8, 8
	v_bfe_i32 v56, v2, 0, 8
	v_bfe_i32 v81, v2, 8, 8
	v_mul_i32_i24_e32 v91, v179, v67
	v_mul_i32_i24_e32 v92, v178, v68
	v_add3_u32 v59, v59, v89, v90
	v_mul_i32_i24_e32 v88, v191, v77
	v_mul_i32_i24_e32 v89, v190, v79
	v_add3_u32 v62, v62, v63, v87
	v_bfe_i32 v71, v7, 16, 8
	v_ashrrev_i32_e32 v72, 24, v7
	v_bfe_i32 v82, v2, 16, 8
	v_ashrrev_i32_e32 v83, 24, v2
	v_mul_i32_i24_e32 v93, v185, v41
	v_mul_i32_i24_e32 v94, v184, v70
	v_add3_u32 v59, v59, v91, v92
	v_mul_i32_i24_e32 v90, v197, v56
	v_mul_i32_i24_e32 v91, v196, v81
	v_add3_u32 v62, v62, v88, v89
	v_bfe_i32 v58, v3, 0, 8
	v_bfe_i32 v84, v3, 8, 8
	v_mul_i32_i24_e32 v95, v183, v71
	v_mul_i32_i24_e32 v96, v182, v72
	v_add3_u32 v59, v59, v93, v94
	v_mul_i32_i24_e32 v92, v195, v82
	v_mul_i32_i24_e32 v93, v194, v83
	v_add3_u32 v62, v62, v90, v91
	v_bfe_i32 v85, v3, 16, 8
	v_ashrrev_i32_e32 v86, 24, v3
	v_add3_u32 v59, v59, v95, v96
	v_mul_i32_i24_e32 v94, v201, v58
	v_mul_i32_i24_e32 v95, v200, v84
	v_add3_u32 v62, v62, v92, v93
	v_mul_i32_i24_e32 v96, v199, v85
	v_mul_i32_i24_e32 v117, v198, v86
	v_mul_lo_u32 v59, v59, v206
	v_mul_i32_i24_e32 v24, v241, v24
	v_add3_u32 v62, v62, v94, v95
	v_mul_i32_i24_e32 v50, v240, v50
	v_mul_i32_i24_e32 v51, v245, v51
	;; [unrolled: 1-line block ×3, first 2 shown]
	v_perm_b32 v5, v5, v5, 0xc030201
	v_add3_u32 v62, v62, v96, v117
	v_perm_b32 v6, v6, v6, 0xc030201
	v_perm_b32 v2, v2, v2, 0xc030201
	;; [unrolled: 1-line block ×4, first 2 shown]
	v_mad_co_u64_u32 v[62:63], null, v62, v202, v[59:60]
	v_mul_f32_e32 v59, v11, v8
	v_mul_i32_i24_e32 v63, v249, v65
	v_mul_i32_i24_e32 v65, v247, v68
	v_mul_i32_i24_e32 v68, v253, v70
	v_mul_i32_i24_e32 v70, v252, v71
	v_mul_i32_i24_e32 v71, v251, v72
	v_cvt_f32_i32_e32 v62, v62
	v_mul_i32_i24_e32 v72, v233, v86
	s_delay_alu instid0(VALU_DEP_2) | instskip(SKIP_2) | instid1(VALU_DEP_2)
	v_fmac_f32_e32 v46, v59, v62
	v_mul_i32_i24_e32 v59, v242, v33
	v_mul_i32_i24_e32 v62, v250, v38
	v_mad_i32_i24 v59, v239, v34, v59
	s_delay_alu instid0(VALU_DEP_1) | instskip(SKIP_4) | instid1(VALU_DEP_4)
	v_add3_u32 v24, v59, v24, v50
	v_mul_i32_i24_e32 v50, v246, v36
	v_mul_i32_i24_e32 v59, v243, v64
	;; [unrolled: 1-line block ×4, first 2 shown]
	v_add3_u32 v24, v24, v50, v51
	v_mul_i32_i24_e32 v50, v53, v73
	v_mul_i32_i24_e32 v51, v42, v74
	s_delay_alu instid0(VALU_DEP_3) | instskip(SKIP_1) | instid1(VALU_DEP_2)
	v_add3_u32 v24, v24, v55, v59
	v_mul_i32_i24_e32 v55, v227, v77
	v_add3_u32 v24, v24, v62, v63
	v_mul_i32_i24_e32 v62, v226, v79
	v_mul_i32_i24_e32 v63, v232, v56
	s_delay_alu instid0(VALU_DEP_3) | instskip(SKIP_2) | instid1(VALU_DEP_3)
	v_add3_u32 v24, v24, v64, v65
	v_mul_i32_i24_e32 v64, v231, v81
	v_mul_i32_i24_e32 v65, v230, v82
	v_add3_u32 v24, v24, v67, v68
	v_mul_i32_i24_e32 v67, v229, v83
	v_mul_i32_i24_e32 v68, v236, v58
	s_delay_alu instid0(VALU_DEP_3) | instskip(SKIP_2) | instid1(VALU_DEP_3)
	v_add3_u32 v24, v24, v70, v71
	v_mul_i32_i24_e32 v70, v235, v84
	v_mul_i32_i24_e32 v71, v234, v85
	v_mul_lo_u32 v59, v24, v66
	v_mul_i32_i24_e32 v24, v61, v49
	s_delay_alu instid0(VALU_DEP_1) | instskip(NEXT) | instid1(VALU_DEP_1)
	v_mad_i32_i24 v24, v255, v52, v24
	v_add3_u32 v24, v24, v50, v51
	v_mul_i32_i24_e32 v50, v237, v54
	v_mul_i32_i24_e32 v51, v228, v76
	s_delay_alu instid0(VALU_DEP_1) | instskip(SKIP_1) | instid1(VALU_DEP_2)
	v_add3_u32 v24, v24, v50, v51
	v_perm_b32 v51, v0, v0, 0xc0c0302
	v_add3_u32 v24, v24, v55, v62
	s_delay_alu instid0(VALU_DEP_1) | instskip(NEXT) | instid1(VALU_DEP_1)
	v_add3_u32 v24, v24, v63, v64
	v_add3_u32 v24, v24, v65, v67
	s_delay_alu instid0(VALU_DEP_1) | instskip(NEXT) | instid1(VALU_DEP_1)
	v_add3_u32 v24, v24, v68, v70
	v_add3_u32 v24, v24, v71, v72
	s_delay_alu instid0(VALU_DEP_1) | instskip(SKIP_1) | instid1(VALU_DEP_2)
	v_mad_co_u64_u32 v[62:63], null, v24, v238, v[59:60]
	v_mul_f32_e32 v24, v159, v8
	v_cvt_f32_i32_e32 v50, v62
	s_delay_alu instid0(VALU_DEP_1) | instskip(SKIP_2) | instid1(VALU_DEP_2)
	v_fmac_f32_e32 v45, v24, v50
	v_mul_i32_i24_e32 v24, v33, v160
	v_perm_b32 v50, v4, v4, 0xc0c0302
	v_mad_i32_i24 v24, v34, v161, v24
	s_delay_alu instid0(VALU_DEP_1) | instskip(SKIP_1) | instid1(VALU_DEP_2)
	v_dot4_i32_iu8 v4, v50, v216, v24 neg_lo:[1,1,0]
	v_mul_i32_i24_e32 v24, v49, v222
	v_mad_i32_i24 v4, v36, v217, v4
	s_delay_alu instid0(VALU_DEP_2) | instskip(NEXT) | instid1(VALU_DEP_2)
	v_mad_i32_i24 v24, v52, v223, v24
	v_dot4_i32_iu8 v4, v5, v218, v4 neg_lo:[1,1,0]
	s_delay_alu instid0(VALU_DEP_2) | instskip(SKIP_1) | instid1(VALU_DEP_3)
	v_dot4_i32_iu8 v0, v51, v164, v24 neg_lo:[1,1,0]
	v_perm_b32 v24, v1, v1, 0xc030201
	v_mad_i32_i24 v4, v38, v215, v4
	s_delay_alu instid0(VALU_DEP_3) | instskip(NEXT) | instid1(VALU_DEP_2)
	v_mad_i32_i24 v0, v54, v165, v0
	v_dot4_i32_iu8 v4, v6, v219, v4 neg_lo:[1,1,0]
	s_delay_alu instid0(VALU_DEP_2) | instskip(NEXT) | instid1(VALU_DEP_2)
	v_dot4_i32_iu8 v0, v24, v166, v0 neg_lo:[1,1,0]
	v_mad_i32_i24 v4, v41, v213, v4
	s_delay_alu instid0(VALU_DEP_2) | instskip(NEXT) | instid1(VALU_DEP_2)
	v_mad_i32_i24 v0, v56, v163, v0
	v_dot4_i32_iu8 v4, v7, v220, v4 neg_lo:[1,1,0]
	s_delay_alu instid0(VALU_DEP_2) | instskip(NEXT) | instid1(VALU_DEP_2)
	v_dot4_i32_iu8 v0, v2, v167, v0 neg_lo:[1,1,0]
	v_mul_lo_u32 v4, v4, v221
	s_delay_alu instid0(VALU_DEP_2) | instskip(NEXT) | instid1(VALU_DEP_1)
	v_mad_i32_i24 v0, v58, v162, v0
	v_dot4_i32_iu8 v0, v3, v168, v0 neg_lo:[1,1,0]
	s_delay_alu instid0(VALU_DEP_1) | instskip(SKIP_1) | instid1(VALU_DEP_2)
	v_mad_co_u64_u32 v[0:1], null, v0, v169, v[4:5]
	v_mul_f32_e32 v1, v156, v8
	v_cvt_f32_i32_e32 v0, v0
	s_delay_alu instid0(VALU_DEP_1) | instskip(SKIP_2) | instid1(VALU_DEP_2)
	v_fmac_f32_e32 v44, v1, v0
	v_mul_i32_i24_e32 v0, v33, v203
	v_mul_i32_i24_e32 v1, v49, v158
	v_mad_i32_i24 v0, v34, v204, v0
	s_delay_alu instid0(VALU_DEP_2) | instskip(NEXT) | instid1(VALU_DEP_2)
	v_mad_i32_i24 v1, v52, v157, v1
	v_dot4_i32_iu8 v0, v50, v207, v0 neg_lo:[1,1,0]
	s_delay_alu instid0(VALU_DEP_2) | instskip(NEXT) | instid1(VALU_DEP_2)
	v_dot4_i32_iu8 v1, v51, v155, v1 neg_lo:[1,1,0]
	v_mad_i32_i24 v0, v36, v209, v0
	s_delay_alu instid0(VALU_DEP_2) | instskip(NEXT) | instid1(VALU_DEP_2)
	v_mad_i32_i24 v1, v54, v154, v1
	v_dot4_i32_iu8 v0, v5, v210, v0 neg_lo:[1,1,0]
	s_delay_alu instid0(VALU_DEP_2) | instskip(NEXT) | instid1(VALU_DEP_2)
	v_dot4_i32_iu8 v1, v24, v153, v1 neg_lo:[1,1,0]
	;; [unrolled: 6-line block ×4, first 2 shown]
	v_mul_lo_u32 v0, v0, v214
	s_delay_alu instid0(VALU_DEP_1) | instskip(SKIP_1) | instid1(VALU_DEP_2)
	v_mad_co_u64_u32 v[0:1], null, v1, v148, v[0:1]
	v_mul_f32_e32 v1, v147, v8
	v_cvt_f32_i32_e32 v0, v0
	s_delay_alu instid0(VALU_DEP_1) | instskip(SKIP_1) | instid1(VALU_DEP_1)
	v_fmac_f32_e32 v43, v1, v0
	v_or_b32_e32 v0, s17, v104
	v_lshlrev_b32_e32 v1, 2, v0
	v_lshrrev_b32_e32 v0, 1, v0
	ds_load_b32 v8, v0 offset:38816
	ds_load_b128 v[4:7], v1 offset:25344
	ds_load_b128 v[0:3], v1 offset:25360
	s_wait_dscnt 0x1
	v_bfe_i32 v33, v4, 0, 8
	v_bfe_i32 v34, v4, 8, 8
	;; [unrolled: 1-line block ×3, first 2 shown]
	v_ashrrev_i32_e32 v50, 24, v4
	v_bfe_i32 v36, v5, 0, 8
	v_mul_i32_i24_e32 v59, v170, v33
	v_bfe_i32 v51, v5, 8, 8
	v_mul_i32_i24_e32 v62, v171, v24
	v_mul_i32_i24_e32 v63, v172, v50
	v_bfe_i32 v55, v5, 16, 8
	v_mad_i32_i24 v59, v173, v34, v59
	v_ashrrev_i32_e32 v64, 24, v5
	s_wait_dscnt 0x0
	v_bfe_i32 v49, v0, 0, 8
	v_bfe_i32 v52, v0, 8, 8
	v_bfe_i32 v73, v0, 16, 8
	v_add3_u32 v59, v59, v62, v63
	v_mul_i32_i24_e32 v62, v177, v36
	v_mul_i32_i24_e32 v63, v176, v51
	v_ashrrev_i32_e32 v74, 24, v0
	v_mul_i32_i24_e32 v87, v175, v55
	v_mul_i32_i24_e32 v88, v174, v64
	v_bfe_i32 v38, v6, 0, 8
	v_add3_u32 v59, v59, v62, v63
	v_mul_i32_i24_e32 v62, v186, v49
	v_bfe_i32 v65, v6, 8, 8
	v_bfe_i32 v54, v1, 0, 8
	;; [unrolled: 1-line block ×3, first 2 shown]
	v_add3_u32 v59, v59, v87, v88
	v_mul_i32_i24_e32 v63, v187, v73
	v_mul_i32_i24_e32 v87, v188, v74
	v_mad_i32_i24 v62, v189, v52, v62
	v_bfe_i32 v67, v6, 16, 8
	v_ashrrev_i32_e32 v68, 24, v6
	v_bfe_i32 v77, v1, 16, 8
	v_ashrrev_i32_e32 v79, 24, v1
	v_mul_i32_i24_e32 v89, v181, v38
	v_mul_i32_i24_e32 v90, v180, v65
	v_add3_u32 v62, v62, v63, v87
	v_mul_i32_i24_e32 v63, v193, v54
	v_mul_i32_i24_e32 v87, v192, v76
	v_bfe_i32 v41, v7, 0, 8
	v_bfe_i32 v70, v7, 8, 8
	;; [unrolled: 1-line block ×4, first 2 shown]
	v_mul_i32_i24_e32 v91, v179, v67
	v_mul_i32_i24_e32 v92, v178, v68
	v_add3_u32 v59, v59, v89, v90
	v_mul_i32_i24_e32 v88, v191, v77
	v_mul_i32_i24_e32 v89, v190, v79
	v_add3_u32 v62, v62, v63, v87
	v_bfe_i32 v71, v7, 16, 8
	v_ashrrev_i32_e32 v72, 24, v7
	v_bfe_i32 v82, v2, 16, 8
	v_ashrrev_i32_e32 v83, 24, v2
	v_mul_i32_i24_e32 v93, v185, v41
	v_mul_i32_i24_e32 v94, v184, v70
	v_add3_u32 v59, v59, v91, v92
	v_mul_i32_i24_e32 v90, v197, v56
	v_mul_i32_i24_e32 v91, v196, v81
	v_add3_u32 v62, v62, v88, v89
	v_bfe_i32 v58, v3, 0, 8
	v_bfe_i32 v84, v3, 8, 8
	v_mul_i32_i24_e32 v95, v183, v71
	v_mul_i32_i24_e32 v96, v182, v72
	v_add3_u32 v59, v59, v93, v94
	v_mul_i32_i24_e32 v92, v195, v82
	v_mul_i32_i24_e32 v93, v194, v83
	v_add3_u32 v62, v62, v90, v91
	v_bfe_i32 v85, v3, 16, 8
	v_ashrrev_i32_e32 v86, 24, v3
	v_add3_u32 v59, v59, v95, v96
	v_mul_i32_i24_e32 v94, v201, v58
	v_mul_i32_i24_e32 v95, v200, v84
	v_add3_u32 v62, v62, v92, v93
	v_mul_i32_i24_e32 v96, v199, v85
	v_mul_i32_i24_e32 v117, v198, v86
	v_mul_lo_u32 v59, v59, v206
	v_mul_i32_i24_e32 v24, v241, v24
	v_add3_u32 v62, v62, v94, v95
	v_mul_i32_i24_e32 v50, v240, v50
	v_mul_i32_i24_e32 v51, v245, v51
	;; [unrolled: 1-line block ×3, first 2 shown]
	v_perm_b32 v5, v5, v5, 0xc030201
	v_add3_u32 v62, v62, v96, v117
	v_perm_b32 v6, v6, v6, 0xc030201
	v_perm_b32 v2, v2, v2, 0xc030201
	;; [unrolled: 1-line block ×4, first 2 shown]
	v_mad_co_u64_u32 v[62:63], null, v62, v202, v[59:60]
	v_mul_f32_e32 v59, v11, v8
	v_mul_i32_i24_e32 v63, v249, v65
	v_mul_i32_i24_e32 v65, v247, v68
	;; [unrolled: 1-line block ×5, first 2 shown]
	v_cvt_f32_i32_e32 v62, v62
	v_mul_i32_i24_e32 v72, v233, v86
	s_delay_alu instid0(VALU_DEP_2) | instskip(SKIP_2) | instid1(VALU_DEP_2)
	v_fmac_f32_e32 v40, v59, v62
	v_mul_i32_i24_e32 v59, v242, v33
	v_mul_i32_i24_e32 v62, v250, v38
	v_mad_i32_i24 v59, v239, v34, v59
	s_delay_alu instid0(VALU_DEP_1) | instskip(SKIP_4) | instid1(VALU_DEP_4)
	v_add3_u32 v24, v59, v24, v50
	v_mul_i32_i24_e32 v50, v246, v36
	v_mul_i32_i24_e32 v59, v243, v64
	;; [unrolled: 1-line block ×4, first 2 shown]
	v_add3_u32 v24, v24, v50, v51
	v_mul_i32_i24_e32 v50, v53, v73
	v_mul_i32_i24_e32 v51, v42, v74
	s_delay_alu instid0(VALU_DEP_3) | instskip(SKIP_1) | instid1(VALU_DEP_2)
	v_add3_u32 v24, v24, v55, v59
	v_mul_i32_i24_e32 v55, v227, v77
	v_add3_u32 v24, v24, v62, v63
	v_mul_i32_i24_e32 v62, v226, v79
	v_mul_i32_i24_e32 v63, v232, v56
	s_delay_alu instid0(VALU_DEP_3) | instskip(SKIP_2) | instid1(VALU_DEP_3)
	v_add3_u32 v24, v24, v64, v65
	v_mul_i32_i24_e32 v64, v231, v81
	v_mul_i32_i24_e32 v65, v230, v82
	v_add3_u32 v24, v24, v67, v68
	v_mul_i32_i24_e32 v67, v229, v83
	v_mul_i32_i24_e32 v68, v236, v58
	s_delay_alu instid0(VALU_DEP_3) | instskip(SKIP_2) | instid1(VALU_DEP_3)
	v_add3_u32 v24, v24, v70, v71
	v_mul_i32_i24_e32 v70, v235, v84
	v_mul_i32_i24_e32 v71, v234, v85
	v_mul_lo_u32 v59, v24, v66
	v_mul_i32_i24_e32 v24, v61, v49
	s_delay_alu instid0(VALU_DEP_1) | instskip(NEXT) | instid1(VALU_DEP_1)
	v_mad_i32_i24 v24, v255, v52, v24
	v_add3_u32 v24, v24, v50, v51
	v_mul_i32_i24_e32 v50, v237, v54
	v_mul_i32_i24_e32 v51, v228, v76
	s_delay_alu instid0(VALU_DEP_1) | instskip(SKIP_1) | instid1(VALU_DEP_2)
	v_add3_u32 v24, v24, v50, v51
	v_perm_b32 v51, v0, v0, 0xc0c0302
	v_add3_u32 v24, v24, v55, v62
	s_delay_alu instid0(VALU_DEP_1) | instskip(NEXT) | instid1(VALU_DEP_1)
	v_add3_u32 v24, v24, v63, v64
	v_add3_u32 v24, v24, v65, v67
	s_delay_alu instid0(VALU_DEP_1) | instskip(NEXT) | instid1(VALU_DEP_1)
	v_add3_u32 v24, v24, v68, v70
	v_add3_u32 v24, v24, v71, v72
	s_delay_alu instid0(VALU_DEP_1) | instskip(SKIP_1) | instid1(VALU_DEP_2)
	v_mad_co_u64_u32 v[62:63], null, v24, v238, v[59:60]
	v_mul_f32_e32 v24, v159, v8
	v_cvt_f32_i32_e32 v50, v62
	s_delay_alu instid0(VALU_DEP_1) | instskip(SKIP_2) | instid1(VALU_DEP_2)
	v_fmac_f32_e32 v37, v24, v50
	v_mul_i32_i24_e32 v24, v33, v160
	v_perm_b32 v50, v4, v4, 0xc0c0302
	v_mad_i32_i24 v24, v34, v161, v24
	s_delay_alu instid0(VALU_DEP_1) | instskip(SKIP_1) | instid1(VALU_DEP_2)
	v_dot4_i32_iu8 v4, v50, v216, v24 neg_lo:[1,1,0]
	v_mul_i32_i24_e32 v24, v49, v222
	v_mad_i32_i24 v4, v36, v217, v4
	s_delay_alu instid0(VALU_DEP_2) | instskip(NEXT) | instid1(VALU_DEP_2)
	v_mad_i32_i24 v24, v52, v223, v24
	v_dot4_i32_iu8 v4, v5, v218, v4 neg_lo:[1,1,0]
	s_delay_alu instid0(VALU_DEP_2) | instskip(SKIP_1) | instid1(VALU_DEP_3)
	v_dot4_i32_iu8 v0, v51, v164, v24 neg_lo:[1,1,0]
	v_perm_b32 v24, v1, v1, 0xc030201
	v_mad_i32_i24 v4, v38, v215, v4
	s_delay_alu instid0(VALU_DEP_3) | instskip(NEXT) | instid1(VALU_DEP_2)
	v_mad_i32_i24 v0, v54, v165, v0
	v_dot4_i32_iu8 v4, v6, v219, v4 neg_lo:[1,1,0]
	s_delay_alu instid0(VALU_DEP_2) | instskip(NEXT) | instid1(VALU_DEP_2)
	v_dot4_i32_iu8 v0, v24, v166, v0 neg_lo:[1,1,0]
	v_mad_i32_i24 v4, v41, v213, v4
	s_delay_alu instid0(VALU_DEP_2) | instskip(NEXT) | instid1(VALU_DEP_2)
	v_mad_i32_i24 v0, v56, v163, v0
	v_dot4_i32_iu8 v4, v7, v220, v4 neg_lo:[1,1,0]
	s_delay_alu instid0(VALU_DEP_2) | instskip(NEXT) | instid1(VALU_DEP_2)
	v_dot4_i32_iu8 v0, v2, v167, v0 neg_lo:[1,1,0]
	v_mul_lo_u32 v4, v4, v221
	s_delay_alu instid0(VALU_DEP_2) | instskip(NEXT) | instid1(VALU_DEP_1)
	v_mad_i32_i24 v0, v58, v162, v0
	v_dot4_i32_iu8 v0, v3, v168, v0 neg_lo:[1,1,0]
	s_delay_alu instid0(VALU_DEP_1) | instskip(SKIP_1) | instid1(VALU_DEP_2)
	v_mad_co_u64_u32 v[0:1], null, v0, v169, v[4:5]
	v_mul_f32_e32 v1, v156, v8
	v_cvt_f32_i32_e32 v0, v0
	s_delay_alu instid0(VALU_DEP_1) | instskip(SKIP_2) | instid1(VALU_DEP_2)
	v_fmac_f32_e32 v35, v1, v0
	v_mul_i32_i24_e32 v0, v33, v203
	v_mul_i32_i24_e32 v1, v49, v158
	v_mad_i32_i24 v0, v34, v204, v0
	s_delay_alu instid0(VALU_DEP_2) | instskip(NEXT) | instid1(VALU_DEP_2)
	v_mad_i32_i24 v1, v52, v157, v1
	v_dot4_i32_iu8 v0, v50, v207, v0 neg_lo:[1,1,0]
	s_delay_alu instid0(VALU_DEP_2) | instskip(NEXT) | instid1(VALU_DEP_2)
	v_dot4_i32_iu8 v1, v51, v155, v1 neg_lo:[1,1,0]
	v_mad_i32_i24 v0, v36, v209, v0
	s_delay_alu instid0(VALU_DEP_2) | instskip(NEXT) | instid1(VALU_DEP_2)
	v_mad_i32_i24 v1, v54, v154, v1
	v_dot4_i32_iu8 v0, v5, v210, v0 neg_lo:[1,1,0]
	s_delay_alu instid0(VALU_DEP_2) | instskip(NEXT) | instid1(VALU_DEP_2)
	v_dot4_i32_iu8 v1, v24, v153, v1 neg_lo:[1,1,0]
	v_mad_i32_i24 v0, v38, v208, v0
	s_delay_alu instid0(VALU_DEP_2) | instskip(NEXT) | instid1(VALU_DEP_2)
	v_mad_i32_i24 v1, v56, v152, v1
	v_dot4_i32_iu8 v0, v6, v211, v0 neg_lo:[1,1,0]
	s_delay_alu instid0(VALU_DEP_2) | instskip(NEXT) | instid1(VALU_DEP_2)
	v_dot4_i32_iu8 v1, v2, v151, v1 neg_lo:[1,1,0]
	v_mad_i32_i24 v0, v41, v205, v0
	s_delay_alu instid0(VALU_DEP_2) | instskip(NEXT) | instid1(VALU_DEP_2)
	v_mad_i32_i24 v1, v58, v150, v1
	v_dot4_i32_iu8 v0, v7, v212, v0 neg_lo:[1,1,0]
	s_delay_alu instid0(VALU_DEP_2) | instskip(NEXT) | instid1(VALU_DEP_2)
	v_dot4_i32_iu8 v1, v3, v149, v1 neg_lo:[1,1,0]
	v_mul_lo_u32 v0, v0, v214
	s_delay_alu instid0(VALU_DEP_1) | instskip(SKIP_1) | instid1(VALU_DEP_2)
	v_mad_co_u64_u32 v[0:1], null, v1, v148, v[0:1]
	v_mul_f32_e32 v1, v147, v8
	v_cvt_f32_i32_e32 v0, v0
	s_delay_alu instid0(VALU_DEP_1) | instskip(SKIP_1) | instid1(VALU_DEP_1)
	v_fmac_f32_e32 v32, v1, v0
	v_or_b32_e32 v0, s17, v105
	v_lshlrev_b32_e32 v1, 2, v0
	v_lshrrev_b32_e32 v0, 1, v0
	ds_load_b32 v8, v0 offset:38816
	ds_load_b128 v[4:7], v1 offset:25344
	ds_load_b128 v[0:3], v1 offset:25360
	s_wait_dscnt 0x1
	v_bfe_i32 v33, v4, 0, 8
	v_bfe_i32 v34, v4, 8, 8
	;; [unrolled: 1-line block ×3, first 2 shown]
	v_ashrrev_i32_e32 v50, 24, v4
	v_bfe_i32 v36, v5, 0, 8
	v_mul_i32_i24_e32 v59, v170, v33
	v_bfe_i32 v51, v5, 8, 8
	v_mul_i32_i24_e32 v62, v171, v24
	v_mul_i32_i24_e32 v63, v172, v50
	v_bfe_i32 v55, v5, 16, 8
	v_mad_i32_i24 v59, v173, v34, v59
	v_ashrrev_i32_e32 v64, 24, v5
	s_wait_dscnt 0x0
	v_bfe_i32 v49, v0, 0, 8
	v_bfe_i32 v52, v0, 8, 8
	v_bfe_i32 v73, v0, 16, 8
	v_add3_u32 v59, v59, v62, v63
	v_mul_i32_i24_e32 v62, v177, v36
	v_mul_i32_i24_e32 v63, v176, v51
	v_ashrrev_i32_e32 v74, 24, v0
	v_mul_i32_i24_e32 v87, v175, v55
	v_mul_i32_i24_e32 v88, v174, v64
	v_bfe_i32 v38, v6, 0, 8
	v_add3_u32 v59, v59, v62, v63
	v_mul_i32_i24_e32 v62, v186, v49
	v_bfe_i32 v65, v6, 8, 8
	v_bfe_i32 v54, v1, 0, 8
	;; [unrolled: 1-line block ×3, first 2 shown]
	v_add3_u32 v59, v59, v87, v88
	v_mul_i32_i24_e32 v63, v187, v73
	v_mul_i32_i24_e32 v87, v188, v74
	v_mad_i32_i24 v62, v189, v52, v62
	v_bfe_i32 v67, v6, 16, 8
	v_ashrrev_i32_e32 v68, 24, v6
	v_bfe_i32 v77, v1, 16, 8
	v_ashrrev_i32_e32 v79, 24, v1
	v_mul_i32_i24_e32 v89, v181, v38
	v_mul_i32_i24_e32 v90, v180, v65
	v_add3_u32 v62, v62, v63, v87
	v_mul_i32_i24_e32 v63, v193, v54
	v_mul_i32_i24_e32 v87, v192, v76
	v_bfe_i32 v41, v7, 0, 8
	v_bfe_i32 v70, v7, 8, 8
	;; [unrolled: 1-line block ×4, first 2 shown]
	v_mul_i32_i24_e32 v91, v179, v67
	v_mul_i32_i24_e32 v92, v178, v68
	v_add3_u32 v59, v59, v89, v90
	v_mul_i32_i24_e32 v88, v191, v77
	v_mul_i32_i24_e32 v89, v190, v79
	v_add3_u32 v62, v62, v63, v87
	v_bfe_i32 v71, v7, 16, 8
	v_ashrrev_i32_e32 v72, 24, v7
	v_bfe_i32 v82, v2, 16, 8
	v_ashrrev_i32_e32 v83, 24, v2
	v_mul_i32_i24_e32 v93, v185, v41
	v_mul_i32_i24_e32 v94, v184, v70
	v_add3_u32 v59, v59, v91, v92
	v_mul_i32_i24_e32 v90, v197, v56
	v_mul_i32_i24_e32 v91, v196, v81
	v_add3_u32 v62, v62, v88, v89
	v_bfe_i32 v58, v3, 0, 8
	v_bfe_i32 v84, v3, 8, 8
	v_mul_i32_i24_e32 v95, v183, v71
	v_mul_i32_i24_e32 v96, v182, v72
	v_add3_u32 v59, v59, v93, v94
	v_mul_i32_i24_e32 v92, v195, v82
	v_mul_i32_i24_e32 v93, v194, v83
	v_add3_u32 v62, v62, v90, v91
	v_bfe_i32 v85, v3, 16, 8
	v_ashrrev_i32_e32 v86, 24, v3
	v_add3_u32 v59, v59, v95, v96
	v_mul_i32_i24_e32 v94, v201, v58
	v_mul_i32_i24_e32 v95, v200, v84
	v_add3_u32 v62, v62, v92, v93
	v_mul_i32_i24_e32 v96, v199, v85
	v_mul_i32_i24_e32 v117, v198, v86
	v_mul_lo_u32 v59, v59, v206
	v_mul_i32_i24_e32 v24, v241, v24
	v_add3_u32 v62, v62, v94, v95
	v_mul_i32_i24_e32 v50, v240, v50
	v_mul_i32_i24_e32 v51, v245, v51
	;; [unrolled: 1-line block ×3, first 2 shown]
	v_perm_b32 v5, v5, v5, 0xc030201
	v_add3_u32 v62, v62, v96, v117
	v_perm_b32 v6, v6, v6, 0xc030201
	v_perm_b32 v2, v2, v2, 0xc030201
	;; [unrolled: 1-line block ×4, first 2 shown]
	v_mad_co_u64_u32 v[62:63], null, v62, v202, v[59:60]
	v_mul_f32_e32 v59, v11, v8
	v_mul_i32_i24_e32 v63, v249, v65
	v_mul_i32_i24_e32 v65, v247, v68
	;; [unrolled: 1-line block ×5, first 2 shown]
	v_cvt_f32_i32_e32 v62, v62
	v_mul_i32_i24_e32 v72, v233, v86
	s_delay_alu instid0(VALU_DEP_2) | instskip(SKIP_2) | instid1(VALU_DEP_2)
	v_fmac_f32_e32 v30, v59, v62
	v_mul_i32_i24_e32 v59, v242, v33
	v_mul_i32_i24_e32 v62, v250, v38
	v_mad_i32_i24 v59, v239, v34, v59
	s_delay_alu instid0(VALU_DEP_1) | instskip(SKIP_4) | instid1(VALU_DEP_4)
	v_add3_u32 v24, v59, v24, v50
	v_mul_i32_i24_e32 v50, v246, v36
	v_mul_i32_i24_e32 v59, v243, v64
	;; [unrolled: 1-line block ×4, first 2 shown]
	v_add3_u32 v24, v24, v50, v51
	v_mul_i32_i24_e32 v50, v53, v73
	v_mul_i32_i24_e32 v51, v42, v74
	s_delay_alu instid0(VALU_DEP_3) | instskip(SKIP_1) | instid1(VALU_DEP_2)
	v_add3_u32 v24, v24, v55, v59
	v_mul_i32_i24_e32 v55, v227, v77
	v_add3_u32 v24, v24, v62, v63
	v_mul_i32_i24_e32 v62, v226, v79
	v_mul_i32_i24_e32 v63, v232, v56
	s_delay_alu instid0(VALU_DEP_3) | instskip(SKIP_2) | instid1(VALU_DEP_3)
	v_add3_u32 v24, v24, v64, v65
	v_mul_i32_i24_e32 v64, v231, v81
	v_mul_i32_i24_e32 v65, v230, v82
	v_add3_u32 v24, v24, v67, v68
	v_mul_i32_i24_e32 v67, v229, v83
	v_mul_i32_i24_e32 v68, v236, v58
	s_delay_alu instid0(VALU_DEP_3) | instskip(SKIP_2) | instid1(VALU_DEP_3)
	v_add3_u32 v24, v24, v70, v71
	v_mul_i32_i24_e32 v70, v235, v84
	v_mul_i32_i24_e32 v71, v234, v85
	v_mul_lo_u32 v59, v24, v66
	v_mul_i32_i24_e32 v24, v61, v49
	s_delay_alu instid0(VALU_DEP_1) | instskip(NEXT) | instid1(VALU_DEP_1)
	v_mad_i32_i24 v24, v255, v52, v24
	v_add3_u32 v24, v24, v50, v51
	v_mul_i32_i24_e32 v50, v237, v54
	v_mul_i32_i24_e32 v51, v228, v76
	s_delay_alu instid0(VALU_DEP_1) | instskip(SKIP_1) | instid1(VALU_DEP_2)
	v_add3_u32 v24, v24, v50, v51
	v_perm_b32 v51, v0, v0, 0xc0c0302
	v_add3_u32 v24, v24, v55, v62
	s_delay_alu instid0(VALU_DEP_1) | instskip(NEXT) | instid1(VALU_DEP_1)
	v_add3_u32 v24, v24, v63, v64
	v_add3_u32 v24, v24, v65, v67
	s_delay_alu instid0(VALU_DEP_1) | instskip(NEXT) | instid1(VALU_DEP_1)
	v_add3_u32 v24, v24, v68, v70
	v_add3_u32 v24, v24, v71, v72
	s_delay_alu instid0(VALU_DEP_1) | instskip(SKIP_1) | instid1(VALU_DEP_2)
	v_mad_co_u64_u32 v[62:63], null, v24, v238, v[59:60]
	v_mul_f32_e32 v24, v159, v8
	v_cvt_f32_i32_e32 v50, v62
	s_delay_alu instid0(VALU_DEP_1) | instskip(SKIP_2) | instid1(VALU_DEP_2)
	v_fmac_f32_e32 v29, v24, v50
	v_mul_i32_i24_e32 v24, v33, v160
	v_perm_b32 v50, v4, v4, 0xc0c0302
	v_mad_i32_i24 v24, v34, v161, v24
	s_delay_alu instid0(VALU_DEP_1) | instskip(SKIP_1) | instid1(VALU_DEP_2)
	v_dot4_i32_iu8 v4, v50, v216, v24 neg_lo:[1,1,0]
	v_mul_i32_i24_e32 v24, v49, v222
	v_mad_i32_i24 v4, v36, v217, v4
	s_delay_alu instid0(VALU_DEP_2) | instskip(NEXT) | instid1(VALU_DEP_2)
	v_mad_i32_i24 v24, v52, v223, v24
	v_dot4_i32_iu8 v4, v5, v218, v4 neg_lo:[1,1,0]
	s_delay_alu instid0(VALU_DEP_2) | instskip(SKIP_1) | instid1(VALU_DEP_3)
	v_dot4_i32_iu8 v0, v51, v164, v24 neg_lo:[1,1,0]
	v_perm_b32 v24, v1, v1, 0xc030201
	v_mad_i32_i24 v4, v38, v215, v4
	s_delay_alu instid0(VALU_DEP_3) | instskip(NEXT) | instid1(VALU_DEP_2)
	v_mad_i32_i24 v0, v54, v165, v0
	v_dot4_i32_iu8 v4, v6, v219, v4 neg_lo:[1,1,0]
	s_delay_alu instid0(VALU_DEP_2) | instskip(NEXT) | instid1(VALU_DEP_2)
	v_dot4_i32_iu8 v0, v24, v166, v0 neg_lo:[1,1,0]
	v_mad_i32_i24 v4, v41, v213, v4
	s_delay_alu instid0(VALU_DEP_2) | instskip(NEXT) | instid1(VALU_DEP_2)
	v_mad_i32_i24 v0, v56, v163, v0
	v_dot4_i32_iu8 v4, v7, v220, v4 neg_lo:[1,1,0]
	s_delay_alu instid0(VALU_DEP_2) | instskip(NEXT) | instid1(VALU_DEP_2)
	v_dot4_i32_iu8 v0, v2, v167, v0 neg_lo:[1,1,0]
	v_mul_lo_u32 v4, v4, v221
	s_delay_alu instid0(VALU_DEP_2) | instskip(NEXT) | instid1(VALU_DEP_1)
	v_mad_i32_i24 v0, v58, v162, v0
	v_dot4_i32_iu8 v0, v3, v168, v0 neg_lo:[1,1,0]
	s_delay_alu instid0(VALU_DEP_1) | instskip(SKIP_1) | instid1(VALU_DEP_2)
	v_mad_co_u64_u32 v[0:1], null, v0, v169, v[4:5]
	v_mul_f32_e32 v1, v156, v8
	v_cvt_f32_i32_e32 v0, v0
	s_delay_alu instid0(VALU_DEP_1) | instskip(SKIP_2) | instid1(VALU_DEP_2)
	v_fmac_f32_e32 v28, v1, v0
	v_mul_i32_i24_e32 v0, v33, v203
	v_mul_i32_i24_e32 v1, v49, v158
	v_mad_i32_i24 v0, v34, v204, v0
	s_delay_alu instid0(VALU_DEP_2) | instskip(NEXT) | instid1(VALU_DEP_2)
	v_mad_i32_i24 v1, v52, v157, v1
	v_dot4_i32_iu8 v0, v50, v207, v0 neg_lo:[1,1,0]
	s_delay_alu instid0(VALU_DEP_2) | instskip(NEXT) | instid1(VALU_DEP_2)
	v_dot4_i32_iu8 v1, v51, v155, v1 neg_lo:[1,1,0]
	v_mad_i32_i24 v0, v36, v209, v0
	s_delay_alu instid0(VALU_DEP_2) | instskip(NEXT) | instid1(VALU_DEP_2)
	v_mad_i32_i24 v1, v54, v154, v1
	v_dot4_i32_iu8 v0, v5, v210, v0 neg_lo:[1,1,0]
	s_delay_alu instid0(VALU_DEP_2) | instskip(NEXT) | instid1(VALU_DEP_2)
	v_dot4_i32_iu8 v1, v24, v153, v1 neg_lo:[1,1,0]
	;; [unrolled: 6-line block ×4, first 2 shown]
	v_mul_lo_u32 v0, v0, v214
	s_delay_alu instid0(VALU_DEP_1) | instskip(SKIP_1) | instid1(VALU_DEP_2)
	v_mad_co_u64_u32 v[0:1], null, v1, v148, v[0:1]
	v_mul_f32_e32 v1, v147, v8
	v_cvt_f32_i32_e32 v0, v0
	s_delay_alu instid0(VALU_DEP_1) | instskip(SKIP_1) | instid1(VALU_DEP_1)
	v_fmac_f32_e32 v26, v1, v0
	v_or_b32_e32 v0, s17, v106
	v_lshlrev_b32_e32 v1, 2, v0
	v_lshrrev_b32_e32 v0, 1, v0
	ds_load_b32 v8, v0 offset:38816
	ds_load_b128 v[4:7], v1 offset:25344
	ds_load_b128 v[0:3], v1 offset:25360
	s_wait_dscnt 0x1
	v_bfe_i32 v33, v4, 0, 8
	v_bfe_i32 v34, v4, 8, 8
	;; [unrolled: 1-line block ×3, first 2 shown]
	v_ashrrev_i32_e32 v50, 24, v4
	v_bfe_i32 v36, v5, 0, 8
	v_mul_i32_i24_e32 v59, v170, v33
	v_bfe_i32 v51, v5, 8, 8
	v_mul_i32_i24_e32 v62, v171, v24
	v_mul_i32_i24_e32 v63, v172, v50
	v_bfe_i32 v55, v5, 16, 8
	v_mad_i32_i24 v59, v173, v34, v59
	v_ashrrev_i32_e32 v64, 24, v5
	s_wait_dscnt 0x0
	v_bfe_i32 v49, v0, 0, 8
	v_bfe_i32 v52, v0, 8, 8
	;; [unrolled: 1-line block ×3, first 2 shown]
	v_add3_u32 v59, v59, v62, v63
	v_mul_i32_i24_e32 v62, v177, v36
	v_mul_i32_i24_e32 v63, v176, v51
	v_ashrrev_i32_e32 v74, 24, v0
	v_mul_i32_i24_e32 v87, v175, v55
	v_mul_i32_i24_e32 v88, v174, v64
	v_bfe_i32 v38, v6, 0, 8
	v_add3_u32 v59, v59, v62, v63
	v_mul_i32_i24_e32 v62, v186, v49
	v_bfe_i32 v65, v6, 8, 8
	v_bfe_i32 v54, v1, 0, 8
	;; [unrolled: 1-line block ×3, first 2 shown]
	v_add3_u32 v59, v59, v87, v88
	v_mul_i32_i24_e32 v63, v187, v73
	v_mul_i32_i24_e32 v87, v188, v74
	v_mad_i32_i24 v62, v189, v52, v62
	v_bfe_i32 v67, v6, 16, 8
	v_ashrrev_i32_e32 v68, 24, v6
	v_bfe_i32 v77, v1, 16, 8
	v_ashrrev_i32_e32 v79, 24, v1
	v_mul_i32_i24_e32 v89, v181, v38
	v_mul_i32_i24_e32 v90, v180, v65
	v_add3_u32 v62, v62, v63, v87
	v_mul_i32_i24_e32 v63, v193, v54
	v_mul_i32_i24_e32 v87, v192, v76
	v_bfe_i32 v41, v7, 0, 8
	v_bfe_i32 v70, v7, 8, 8
	;; [unrolled: 1-line block ×4, first 2 shown]
	v_mul_i32_i24_e32 v91, v179, v67
	v_mul_i32_i24_e32 v92, v178, v68
	v_add3_u32 v59, v59, v89, v90
	v_mul_i32_i24_e32 v88, v191, v77
	v_mul_i32_i24_e32 v89, v190, v79
	v_add3_u32 v62, v62, v63, v87
	v_bfe_i32 v71, v7, 16, 8
	v_ashrrev_i32_e32 v72, 24, v7
	v_bfe_i32 v82, v2, 16, 8
	v_ashrrev_i32_e32 v83, 24, v2
	v_mul_i32_i24_e32 v93, v185, v41
	v_mul_i32_i24_e32 v94, v184, v70
	v_add3_u32 v59, v59, v91, v92
	v_mul_i32_i24_e32 v90, v197, v56
	v_mul_i32_i24_e32 v91, v196, v81
	v_add3_u32 v62, v62, v88, v89
	v_bfe_i32 v58, v3, 0, 8
	v_bfe_i32 v84, v3, 8, 8
	v_mul_i32_i24_e32 v95, v183, v71
	v_mul_i32_i24_e32 v96, v182, v72
	v_add3_u32 v59, v59, v93, v94
	v_mul_i32_i24_e32 v92, v195, v82
	v_mul_i32_i24_e32 v93, v194, v83
	v_add3_u32 v62, v62, v90, v91
	v_bfe_i32 v85, v3, 16, 8
	v_ashrrev_i32_e32 v86, 24, v3
	v_add3_u32 v59, v59, v95, v96
	v_mul_i32_i24_e32 v94, v201, v58
	v_mul_i32_i24_e32 v95, v200, v84
	v_add3_u32 v62, v62, v92, v93
	v_mul_i32_i24_e32 v96, v199, v85
	v_mul_i32_i24_e32 v117, v198, v86
	v_mul_lo_u32 v59, v59, v206
	v_mul_i32_i24_e32 v24, v241, v24
	v_add3_u32 v62, v62, v94, v95
	v_mul_i32_i24_e32 v50, v240, v50
	v_mul_i32_i24_e32 v51, v245, v51
	v_mul_i32_i24_e32 v55, v244, v55
	v_perm_b32 v5, v5, v5, 0xc030201
	v_add3_u32 v62, v62, v96, v117
	v_perm_b32 v6, v6, v6, 0xc030201
	v_perm_b32 v2, v2, v2, 0xc030201
	;; [unrolled: 1-line block ×4, first 2 shown]
	v_mad_co_u64_u32 v[62:63], null, v62, v202, v[59:60]
	v_mul_f32_e32 v59, v11, v8
	v_mul_i32_i24_e32 v63, v249, v65
	v_mul_i32_i24_e32 v65, v247, v68
	;; [unrolled: 1-line block ×5, first 2 shown]
	v_cvt_f32_i32_e32 v62, v62
	v_mul_i32_i24_e32 v72, v233, v86
	s_delay_alu instid0(VALU_DEP_2) | instskip(SKIP_2) | instid1(VALU_DEP_2)
	v_fmac_f32_e32 v23, v59, v62
	v_mul_i32_i24_e32 v59, v242, v33
	v_mul_i32_i24_e32 v62, v250, v38
	v_mad_i32_i24 v59, v239, v34, v59
	s_delay_alu instid0(VALU_DEP_1) | instskip(SKIP_4) | instid1(VALU_DEP_4)
	v_add3_u32 v24, v59, v24, v50
	v_mul_i32_i24_e32 v50, v246, v36
	v_mul_i32_i24_e32 v59, v243, v64
	;; [unrolled: 1-line block ×4, first 2 shown]
	v_add3_u32 v24, v24, v50, v51
	v_mul_i32_i24_e32 v50, v53, v73
	v_mul_i32_i24_e32 v51, v42, v74
	s_delay_alu instid0(VALU_DEP_3) | instskip(SKIP_1) | instid1(VALU_DEP_2)
	v_add3_u32 v24, v24, v55, v59
	v_mul_i32_i24_e32 v55, v227, v77
	v_add3_u32 v24, v24, v62, v63
	v_mul_i32_i24_e32 v62, v226, v79
	v_mul_i32_i24_e32 v63, v232, v56
	s_delay_alu instid0(VALU_DEP_3) | instskip(SKIP_2) | instid1(VALU_DEP_3)
	v_add3_u32 v24, v24, v64, v65
	v_mul_i32_i24_e32 v64, v231, v81
	v_mul_i32_i24_e32 v65, v230, v82
	v_add3_u32 v24, v24, v67, v68
	v_mul_i32_i24_e32 v67, v229, v83
	v_mul_i32_i24_e32 v68, v236, v58
	s_delay_alu instid0(VALU_DEP_3) | instskip(SKIP_2) | instid1(VALU_DEP_3)
	v_add3_u32 v24, v24, v70, v71
	v_mul_i32_i24_e32 v70, v235, v84
	v_mul_i32_i24_e32 v71, v234, v85
	v_mul_lo_u32 v59, v24, v66
	v_mul_i32_i24_e32 v24, v61, v49
	s_delay_alu instid0(VALU_DEP_1) | instskip(NEXT) | instid1(VALU_DEP_1)
	v_mad_i32_i24 v24, v255, v52, v24
	v_add3_u32 v24, v24, v50, v51
	v_mul_i32_i24_e32 v50, v237, v54
	v_mul_i32_i24_e32 v51, v228, v76
	s_delay_alu instid0(VALU_DEP_1) | instskip(SKIP_1) | instid1(VALU_DEP_2)
	v_add3_u32 v24, v24, v50, v51
	v_perm_b32 v51, v0, v0, 0xc0c0302
	v_add3_u32 v24, v24, v55, v62
	s_delay_alu instid0(VALU_DEP_1) | instskip(NEXT) | instid1(VALU_DEP_1)
	v_add3_u32 v24, v24, v63, v64
	v_add3_u32 v24, v24, v65, v67
	s_delay_alu instid0(VALU_DEP_1) | instskip(NEXT) | instid1(VALU_DEP_1)
	v_add3_u32 v24, v24, v68, v70
	v_add3_u32 v24, v24, v71, v72
	s_delay_alu instid0(VALU_DEP_1) | instskip(SKIP_1) | instid1(VALU_DEP_2)
	v_mad_co_u64_u32 v[62:63], null, v24, v238, v[59:60]
	v_mul_f32_e32 v24, v159, v8
	v_cvt_f32_i32_e32 v50, v62
	s_delay_alu instid0(VALU_DEP_1) | instskip(SKIP_2) | instid1(VALU_DEP_2)
	v_fmac_f32_e32 v22, v24, v50
	v_mul_i32_i24_e32 v24, v33, v160
	v_perm_b32 v50, v4, v4, 0xc0c0302
	v_mad_i32_i24 v24, v34, v161, v24
	s_delay_alu instid0(VALU_DEP_1) | instskip(SKIP_1) | instid1(VALU_DEP_2)
	v_dot4_i32_iu8 v4, v50, v216, v24 neg_lo:[1,1,0]
	v_mul_i32_i24_e32 v24, v49, v222
	v_mad_i32_i24 v4, v36, v217, v4
	s_delay_alu instid0(VALU_DEP_2) | instskip(NEXT) | instid1(VALU_DEP_2)
	v_mad_i32_i24 v24, v52, v223, v24
	v_dot4_i32_iu8 v4, v5, v218, v4 neg_lo:[1,1,0]
	s_delay_alu instid0(VALU_DEP_2) | instskip(SKIP_1) | instid1(VALU_DEP_3)
	v_dot4_i32_iu8 v0, v51, v164, v24 neg_lo:[1,1,0]
	v_perm_b32 v24, v1, v1, 0xc030201
	v_mad_i32_i24 v4, v38, v215, v4
	s_delay_alu instid0(VALU_DEP_3) | instskip(NEXT) | instid1(VALU_DEP_2)
	v_mad_i32_i24 v0, v54, v165, v0
	v_dot4_i32_iu8 v4, v6, v219, v4 neg_lo:[1,1,0]
	s_delay_alu instid0(VALU_DEP_2) | instskip(NEXT) | instid1(VALU_DEP_2)
	v_dot4_i32_iu8 v0, v24, v166, v0 neg_lo:[1,1,0]
	v_mad_i32_i24 v4, v41, v213, v4
	s_delay_alu instid0(VALU_DEP_2) | instskip(NEXT) | instid1(VALU_DEP_2)
	v_mad_i32_i24 v0, v56, v163, v0
	v_dot4_i32_iu8 v4, v7, v220, v4 neg_lo:[1,1,0]
	s_delay_alu instid0(VALU_DEP_2) | instskip(NEXT) | instid1(VALU_DEP_2)
	v_dot4_i32_iu8 v0, v2, v167, v0 neg_lo:[1,1,0]
	v_mul_lo_u32 v4, v4, v221
	s_delay_alu instid0(VALU_DEP_2) | instskip(NEXT) | instid1(VALU_DEP_1)
	v_mad_i32_i24 v0, v58, v162, v0
	v_dot4_i32_iu8 v0, v3, v168, v0 neg_lo:[1,1,0]
	s_delay_alu instid0(VALU_DEP_1) | instskip(SKIP_1) | instid1(VALU_DEP_2)
	v_mad_co_u64_u32 v[0:1], null, v0, v169, v[4:5]
	v_mul_f32_e32 v1, v156, v8
	v_cvt_f32_i32_e32 v0, v0
	s_delay_alu instid0(VALU_DEP_1) | instskip(SKIP_2) | instid1(VALU_DEP_2)
	v_fmac_f32_e32 v21, v1, v0
	v_mul_i32_i24_e32 v0, v33, v203
	v_mul_i32_i24_e32 v1, v49, v158
	v_mad_i32_i24 v0, v34, v204, v0
	s_delay_alu instid0(VALU_DEP_2) | instskip(NEXT) | instid1(VALU_DEP_2)
	v_mad_i32_i24 v1, v52, v157, v1
	v_dot4_i32_iu8 v0, v50, v207, v0 neg_lo:[1,1,0]
	s_delay_alu instid0(VALU_DEP_2) | instskip(NEXT) | instid1(VALU_DEP_2)
	v_dot4_i32_iu8 v1, v51, v155, v1 neg_lo:[1,1,0]
	v_mad_i32_i24 v0, v36, v209, v0
	s_delay_alu instid0(VALU_DEP_2) | instskip(NEXT) | instid1(VALU_DEP_2)
	v_mad_i32_i24 v1, v54, v154, v1
	v_dot4_i32_iu8 v0, v5, v210, v0 neg_lo:[1,1,0]
	s_delay_alu instid0(VALU_DEP_2) | instskip(NEXT) | instid1(VALU_DEP_2)
	v_dot4_i32_iu8 v1, v24, v153, v1 neg_lo:[1,1,0]
	;; [unrolled: 6-line block ×4, first 2 shown]
	v_mul_lo_u32 v0, v0, v214
	s_delay_alu instid0(VALU_DEP_1) | instskip(SKIP_1) | instid1(VALU_DEP_2)
	v_mad_co_u64_u32 v[0:1], null, v1, v148, v[0:1]
	v_mul_f32_e32 v1, v147, v8
	v_cvt_f32_i32_e32 v0, v0
	s_delay_alu instid0(VALU_DEP_1) | instskip(SKIP_1) | instid1(VALU_DEP_1)
	v_fmac_f32_e32 v20, v1, v0
	v_or_b32_e32 v0, s17, v107
	v_lshlrev_b32_e32 v1, 2, v0
	v_lshrrev_b32_e32 v0, 1, v0
	ds_load_b32 v4, v0 offset:38816
	ds_load_b128 v[117:120], v1 offset:25344
	ds_load_b128 v[0:3], v1 offset:25360
	s_wait_dscnt 0x1
	v_bfe_i32 v5, v117, 0, 8
	v_bfe_i32 v6, v117, 8, 8
	;; [unrolled: 1-line block ×3, first 2 shown]
	v_ashrrev_i32_e32 v50, 24, v117
	v_bfe_i32 v7, v118, 0, 8
	v_mul_i32_i24_e32 v52, v170, v5
	v_bfe_i32 v51, v118, 8, 8
	v_mul_i32_i24_e32 v58, v171, v24
	v_mul_i32_i24_e32 v59, v172, v50
	v_bfe_i32 v54, v118, 16, 8
	v_mad_i32_i24 v52, v173, v6, v52
	v_ashrrev_i32_e32 v55, 24, v118
	s_wait_dscnt 0x0
	v_bfe_i32 v34, v0, 0, 8
	v_bfe_i32 v36, v0, 8, 8
	;; [unrolled: 1-line block ×3, first 2 shown]
	v_add3_u32 v52, v52, v58, v59
	v_mul_i32_i24_e32 v58, v177, v7
	v_mul_i32_i24_e32 v59, v176, v51
	v_ashrrev_i32_e32 v70, 24, v0
	v_mul_i32_i24_e32 v83, v175, v54
	v_mul_i32_i24_e32 v84, v174, v55
	v_bfe_i32 v8, v119, 0, 8
	v_add3_u32 v52, v52, v58, v59
	v_mul_i32_i24_e32 v58, v186, v34
	v_bfe_i32 v56, v119, 8, 8
	v_bfe_i32 v38, v1, 0, 8
	;; [unrolled: 1-line block ×3, first 2 shown]
	v_add3_u32 v52, v52, v83, v84
	v_mul_i32_i24_e32 v59, v187, v68
	v_mul_i32_i24_e32 v83, v188, v70
	v_mad_i32_i24 v58, v189, v36, v58
	v_bfe_i32 v62, v119, 16, 8
	v_ashrrev_i32_e32 v63, 24, v119
	v_bfe_i32 v72, v1, 16, 8
	v_ashrrev_i32_e32 v73, 24, v1
	v_mul_i32_i24_e32 v85, v181, v8
	v_mul_i32_i24_e32 v86, v180, v56
	v_add3_u32 v58, v58, v59, v83
	v_mul_i32_i24_e32 v59, v193, v38
	v_mul_i32_i24_e32 v83, v192, v71
	v_bfe_i32 v33, v120, 0, 8
	v_bfe_i32 v64, v120, 8, 8
	;; [unrolled: 1-line block ×4, first 2 shown]
	v_mul_i32_i24_e32 v87, v179, v62
	v_mul_i32_i24_e32 v88, v178, v63
	v_add3_u32 v52, v52, v85, v86
	v_mul_i32_i24_e32 v84, v191, v72
	v_mul_i32_i24_e32 v85, v190, v73
	v_add3_u32 v58, v58, v59, v83
	v_bfe_i32 v65, v120, 16, 8
	v_ashrrev_i32_e32 v67, 24, v120
	v_bfe_i32 v76, v2, 16, 8
	v_ashrrev_i32_e32 v77, 24, v2
	v_mul_i32_i24_e32 v89, v185, v33
	v_mul_i32_i24_e32 v90, v184, v64
	v_add3_u32 v52, v52, v87, v88
	v_mul_i32_i24_e32 v86, v197, v41
	v_mul_i32_i24_e32 v87, v196, v74
	v_add3_u32 v58, v58, v84, v85
	v_bfe_i32 v49, v3, 0, 8
	v_bfe_i32 v79, v3, 8, 8
	v_mul_i32_i24_e32 v91, v183, v65
	v_mul_i32_i24_e32 v92, v182, v67
	v_add3_u32 v52, v52, v89, v90
	v_mul_i32_i24_e32 v88, v195, v76
	v_mul_i32_i24_e32 v89, v194, v77
	v_add3_u32 v58, v58, v86, v87
	v_bfe_i32 v81, v3, 16, 8
	v_ashrrev_i32_e32 v82, 24, v3
	v_add3_u32 v52, v52, v91, v92
	v_mul_i32_i24_e32 v90, v201, v49
	v_mul_i32_i24_e32 v91, v200, v79
	v_add3_u32 v58, v58, v88, v89
	v_mul_i32_i24_e32 v92, v199, v81
	v_mul_i32_i24_e32 v93, v198, v82
	v_mul_lo_u32 v52, v52, v206
	v_mul_i32_i24_e32 v24, v241, v24
	v_add3_u32 v58, v58, v90, v91
	v_mul_i32_i24_e32 v50, v240, v50
	v_mul_i32_i24_e32 v51, v245, v51
	;; [unrolled: 1-line block ×3, first 2 shown]
	v_perm_b32 v2, v2, v2, 0xc030201
	v_add3_u32 v58, v58, v92, v93
	v_perm_b32 v3, v3, v3, 0xc030201
	s_delay_alu instid0(VALU_DEP_2)
	v_mad_co_u64_u32 v[58:59], null, v58, v202, v[52:53]
	v_mul_f32_e32 v52, v11, v4
	v_mul_i32_i24_e32 v59, v247, v63
	v_mul_i32_i24_e32 v63, v253, v64
	;; [unrolled: 1-line block ×5, first 2 shown]
	v_cvt_f32_i32_e32 v58, v58
	s_delay_alu instid0(VALU_DEP_1) | instskip(SKIP_3) | instid1(VALU_DEP_3)
	v_fmac_f32_e32 v19, v52, v58
	v_mul_i32_i24_e32 v52, v242, v5
	v_mul_i32_i24_e32 v58, v248, v62
	v_mul_i32_i24_e32 v62, v254, v33
	v_mad_i32_i24 v52, v239, v6, v52
	s_delay_alu instid0(VALU_DEP_1) | instskip(SKIP_4) | instid1(VALU_DEP_4)
	v_add3_u32 v24, v52, v24, v50
	v_mul_i32_i24_e32 v50, v246, v7
	v_mul_i32_i24_e32 v52, v244, v54
	;; [unrolled: 1-line block ×4, first 2 shown]
	v_add3_u32 v24, v24, v50, v51
	v_mul_i32_i24_e32 v50, v53, v68
	v_mul_i32_i24_e32 v51, v42, v70
	s_delay_alu instid0(VALU_DEP_3) | instskip(SKIP_1) | instid1(VALU_DEP_2)
	v_add3_u32 v24, v24, v52, v54
	v_mul_i32_i24_e32 v54, v227, v72
	v_add3_u32 v24, v24, v55, v56
	v_mul_i32_i24_e32 v55, v226, v73
	v_mul_i32_i24_e32 v56, v232, v41
	s_delay_alu instid0(VALU_DEP_3) | instskip(SKIP_2) | instid1(VALU_DEP_3)
	v_add3_u32 v24, v24, v58, v59
	v_mul_i32_i24_e32 v58, v231, v74
	v_mul_i32_i24_e32 v59, v230, v76
	v_add3_u32 v24, v24, v62, v63
	v_mul_i32_i24_e32 v62, v229, v77
	v_mul_i32_i24_e32 v63, v236, v49
	s_delay_alu instid0(VALU_DEP_3) | instskip(SKIP_2) | instid1(VALU_DEP_3)
	v_add3_u32 v24, v24, v64, v65
	v_mul_i32_i24_e32 v64, v235, v79
	v_mul_i32_i24_e32 v65, v234, v81
	v_mul_lo_u32 v52, v24, v66
	v_mul_i32_i24_e32 v24, v61, v34
	s_delay_alu instid0(VALU_DEP_1) | instskip(NEXT) | instid1(VALU_DEP_1)
	v_mad_i32_i24 v24, v255, v36, v24
	v_add3_u32 v24, v24, v50, v51
	v_mul_i32_i24_e32 v50, v237, v38
	v_mul_i32_i24_e32 v51, v228, v71
	s_delay_alu instid0(VALU_DEP_1) | instskip(SKIP_1) | instid1(VALU_DEP_2)
	v_add3_u32 v24, v24, v50, v51
	v_perm_b32 v51, v118, v118, 0xc030201
	v_add3_u32 v24, v24, v54, v55
	v_perm_b32 v54, v119, v119, 0xc030201
	v_perm_b32 v55, v120, v120, 0xc030201
	s_delay_alu instid0(VALU_DEP_3) | instskip(SKIP_1) | instid1(VALU_DEP_2)
	v_add3_u32 v24, v24, v56, v58
	v_perm_b32 v56, v0, v0, 0xc0c0302
	v_add3_u32 v24, v24, v59, v62
	s_delay_alu instid0(VALU_DEP_1) | instskip(NEXT) | instid1(VALU_DEP_1)
	v_add3_u32 v24, v24, v63, v64
	v_add3_u32 v24, v24, v65, v67
	s_delay_alu instid0(VALU_DEP_1) | instskip(SKIP_1) | instid1(VALU_DEP_2)
	v_mad_co_u64_u32 v[58:59], null, v24, v238, v[52:53]
	v_mul_f32_e32 v24, v159, v4
	v_cvt_f32_i32_e32 v50, v58
	s_delay_alu instid0(VALU_DEP_1) | instskip(SKIP_2) | instid1(VALU_DEP_2)
	v_fmac_f32_e32 v18, v24, v50
	v_mul_i32_i24_e32 v24, v5, v160
	v_perm_b32 v50, v117, v117, 0xc0c0302
	v_mad_i32_i24 v24, v6, v161, v24
	s_delay_alu instid0(VALU_DEP_1) | instskip(NEXT) | instid1(VALU_DEP_1)
	v_dot4_i32_iu8 v24, v50, v216, v24 neg_lo:[1,1,0]
	v_mad_i32_i24 v24, v7, v217, v24
	s_delay_alu instid0(VALU_DEP_1) | instskip(NEXT) | instid1(VALU_DEP_1)
	v_dot4_i32_iu8 v24, v51, v218, v24 neg_lo:[1,1,0]
	;; [unrolled: 3-line block ×4, first 2 shown]
	v_mul_lo_u32 v52, v24, v221
	v_mul_i32_i24_e32 v24, v34, v222
	s_delay_alu instid0(VALU_DEP_1) | instskip(NEXT) | instid1(VALU_DEP_1)
	v_mad_i32_i24 v24, v36, v223, v24
	v_dot4_i32_iu8 v0, v56, v164, v24 neg_lo:[1,1,0]
	v_perm_b32 v24, v1, v1, 0xc030201
	s_delay_alu instid0(VALU_DEP_2) | instskip(NEXT) | instid1(VALU_DEP_1)
	v_mad_i32_i24 v0, v38, v165, v0
	v_dot4_i32_iu8 v0, v24, v166, v0 neg_lo:[1,1,0]
	s_delay_alu instid0(VALU_DEP_1) | instskip(NEXT) | instid1(VALU_DEP_1)
	v_mad_i32_i24 v0, v41, v163, v0
	v_dot4_i32_iu8 v0, v2, v167, v0 neg_lo:[1,1,0]
	s_delay_alu instid0(VALU_DEP_1) | instskip(NEXT) | instid1(VALU_DEP_1)
	v_mad_i32_i24 v0, v49, v162, v0
	v_dot4_i32_iu8 v0, v3, v168, v0 neg_lo:[1,1,0]
	s_delay_alu instid0(VALU_DEP_1) | instskip(SKIP_1) | instid1(VALU_DEP_2)
	v_mad_co_u64_u32 v[0:1], null, v0, v169, v[52:53]
	v_mul_f32_e32 v1, v156, v4
	v_cvt_f32_i32_e32 v0, v0
	s_delay_alu instid0(VALU_DEP_1) | instskip(SKIP_2) | instid1(VALU_DEP_2)
	v_fmac_f32_e32 v17, v1, v0
	v_mul_i32_i24_e32 v0, v5, v203
	v_mul_i32_i24_e32 v1, v34, v158
	v_mad_i32_i24 v0, v6, v204, v0
	s_delay_alu instid0(VALU_DEP_2) | instskip(NEXT) | instid1(VALU_DEP_2)
	v_mad_i32_i24 v1, v36, v157, v1
	v_dot4_i32_iu8 v0, v50, v207, v0 neg_lo:[1,1,0]
	s_delay_alu instid0(VALU_DEP_2) | instskip(NEXT) | instid1(VALU_DEP_2)
	v_dot4_i32_iu8 v1, v56, v155, v1 neg_lo:[1,1,0]
	v_mad_i32_i24 v0, v7, v209, v0
	s_delay_alu instid0(VALU_DEP_2) | instskip(NEXT) | instid1(VALU_DEP_2)
	v_mad_i32_i24 v1, v38, v154, v1
	v_dot4_i32_iu8 v0, v51, v210, v0 neg_lo:[1,1,0]
	s_delay_alu instid0(VALU_DEP_2) | instskip(NEXT) | instid1(VALU_DEP_2)
	v_dot4_i32_iu8 v1, v24, v153, v1 neg_lo:[1,1,0]
	;; [unrolled: 6-line block ×4, first 2 shown]
	v_mul_lo_u32 v0, v0, v214
	s_delay_alu instid0(VALU_DEP_1) | instskip(SKIP_1) | instid1(VALU_DEP_2)
	v_mad_co_u64_u32 v[0:1], null, v1, v148, v[0:1]
	v_mul_f32_e32 v1, v147, v4
	v_cvt_f32_i32_e32 v0, v0
	s_delay_alu instid0(VALU_DEP_1) | instskip(SKIP_1) | instid1(VALU_DEP_1)
	v_fmac_f32_e32 v16, v1, v0
	v_or_b32_e32 v0, s17, v108
	v_lshlrev_b32_e32 v1, 2, v0
	v_lshrrev_b32_e32 v0, 1, v0
	ds_load_b32 v224, v0 offset:38816
	ds_load_b128 v[4:7], v1 offset:25344
	ds_load_b128 v[0:3], v1 offset:25360
	s_wait_dscnt 0x2
	v_mul_f32_e32 v11, v11, v224
	s_wait_dscnt 0x1
	v_bfe_i32 v34, v4, 0, 8
	v_bfe_i32 v36, v4, 8, 8
	;; [unrolled: 1-line block ×3, first 2 shown]
	v_ashrrev_i32_e32 v50, 24, v4
	v_bfe_i32 v38, v5, 0, 8
	v_mul_i32_i24_e32 v79, v170, v34
	v_bfe_i32 v51, v5, 8, 8
	v_mul_i32_i24_e32 v83, v171, v24
	v_mul_i32_i24_e32 v84, v172, v50
	v_bfe_i32 v55, v5, 16, 8
	v_mad_i32_i24 v79, v173, v36, v79
	v_ashrrev_i32_e32 v65, 24, v5
	s_wait_dscnt 0x0
	v_bfe_i32 v33, v0, 0, 8
	v_bfe_i32 v8, v0, 8, 8
	;; [unrolled: 1-line block ×3, first 2 shown]
	v_add3_u32 v79, v79, v83, v84
	v_mul_i32_i24_e32 v83, v177, v38
	v_mul_i32_i24_e32 v84, v176, v51
	v_ashrrev_i32_e32 v82, 24, v0
	v_mul_i32_i24_e32 v85, v175, v55
	v_mul_i32_i24_e32 v86, v174, v65
	v_bfe_i32 v41, v6, 0, 8
	v_add3_u32 v79, v79, v83, v84
	v_mul_i32_i24_e32 v83, v186, v33
	v_bfe_i32 v70, v6, 8, 8
	v_bfe_i32 v68, v1, 0, 8
	;; [unrolled: 1-line block ×3, first 2 shown]
	v_add3_u32 v79, v79, v85, v86
	v_mul_i32_i24_e32 v84, v187, v81
	v_mul_i32_i24_e32 v85, v188, v82
	v_mad_i32_i24 v83, v189, v8, v83
	v_bfe_i32 v71, v6, 16, 8
	v_ashrrev_i32_e32 v72, 24, v6
	v_bfe_i32 v54, v1, 16, 8
	v_ashrrev_i32_e32 v56, 24, v1
	v_mul_i32_i24_e32 v87, v181, v41
	v_mul_i32_i24_e32 v88, v180, v70
	v_add3_u32 v83, v83, v84, v85
	v_mul_i32_i24_e32 v84, v193, v68
	v_mul_i32_i24_e32 v85, v192, v52
	v_bfe_i32 v49, v7, 0, 8
	v_bfe_i32 v73, v7, 8, 8
	v_bfe_i32 v67, v2, 0, 8
	v_bfe_i32 v58, v2, 8, 8
	v_mul_i32_i24_e32 v89, v179, v71
	v_mul_i32_i24_e32 v90, v178, v72
	v_add3_u32 v79, v79, v87, v88
	v_mul_i32_i24_e32 v86, v191, v54
	v_mul_i32_i24_e32 v87, v190, v56
	v_add3_u32 v83, v83, v84, v85
	v_bfe_i32 v74, v7, 16, 8
	v_ashrrev_i32_e32 v76, 24, v7
	v_bfe_i32 v59, v2, 16, 8
	v_ashrrev_i32_e32 v62, 24, v2
	v_mul_i32_i24_e32 v91, v185, v49
	v_mul_i32_i24_e32 v92, v184, v73
	v_add3_u32 v79, v79, v89, v90
	v_mul_i32_i24_e32 v88, v197, v67
	v_mul_i32_i24_e32 v89, v196, v58
	v_add3_u32 v83, v83, v86, v87
	v_bfe_i32 v225, v3, 0, 8
	v_bfe_i32 v63, v3, 8, 8
	v_mul_i32_i24_e32 v93, v183, v74
	v_mul_i32_i24_e32 v94, v182, v76
	v_add3_u32 v79, v79, v91, v92
	v_mul_i32_i24_e32 v90, v195, v59
	v_mul_i32_i24_e32 v91, v194, v62
	v_add3_u32 v83, v83, v88, v89
	v_bfe_i32 v64, v3, 16, 8
	v_ashrrev_i32_e32 v77, 24, v3
	v_add3_u32 v79, v79, v93, v94
	v_mul_i32_i24_e32 v92, v201, v225
	v_mul_i32_i24_e32 v93, v200, v63
	v_add3_u32 v83, v83, v90, v91
	v_mul_i32_i24_e32 v94, v199, v64
	v_mul_i32_i24_e32 v95, v198, v77
	v_mul_lo_u32 v79, v79, v206
	v_mul_i32_i24_e32 v24, v241, v24
	v_add3_u32 v83, v83, v92, v93
	v_mul_i32_i24_e32 v50, v240, v50
	v_mul_i32_i24_e32 v42, v42, v82
	;; [unrolled: 1-line block ×4, first 2 shown]
	v_add3_u32 v83, v83, v94, v95
	v_mul_i32_i24_e32 v72, v247, v72
	v_mul_i32_i24_e32 v73, v253, v73
	v_mul_i32_i24_e32 v74, v252, v74
	v_mul_i32_i24_e32 v76, v251, v76
	v_mad_co_u64_u32 v[117:118], null, v83, v202, v[79:80]
	v_perm_b32 v2, v2, v2, 0xc030201
	s_delay_alu instid0(VALU_DEP_2) | instskip(NEXT) | instid1(VALU_DEP_1)
	v_cvt_f32_i32_e32 v79, v117
	v_fmac_f32_e32 v15, v11, v79
	v_mul_i32_i24_e32 v11, v242, v34
	v_mul_i32_i24_e32 v79, v254, v49
	s_delay_alu instid0(VALU_DEP_2) | instskip(NEXT) | instid1(VALU_DEP_1)
	v_mad_i32_i24 v11, v239, v36, v11
	v_add3_u32 v11, v11, v24, v50
	v_mul_i32_i24_e32 v24, v246, v38
	v_mul_i32_i24_e32 v50, v245, v51
	;; [unrolled: 1-line block ×5, first 2 shown]
	s_delay_alu instid0(VALU_DEP_4)
	v_add3_u32 v11, v11, v24, v50
	v_mul_i32_i24_e32 v24, v61, v33
	v_mul_i32_i24_e32 v50, v53, v81
	;; [unrolled: 1-line block ×4, first 2 shown]
	v_add3_u32 v11, v11, v51, v55
	v_mad_i32_i24 v24, v255, v8, v24
	v_mul_i32_i24_e32 v51, v227, v54
	v_mul_i32_i24_e32 v54, v231, v58
	;; [unrolled: 1-line block ×3, first 2 shown]
	v_add3_u32 v11, v11, v65, v70
	v_add3_u32 v42, v24, v50, v42
	v_mul_i32_i24_e32 v24, v237, v68
	v_mul_i32_i24_e32 v50, v228, v52
	;; [unrolled: 1-line block ×3, first 2 shown]
	v_add3_u32 v11, v11, v71, v72
	v_mul_i32_i24_e32 v56, v229, v62
	v_mul_i32_i24_e32 v58, v236, v225
	v_add3_u32 v24, v42, v24, v50
	v_mul_i32_i24_e32 v59, v235, v63
	v_add3_u32 v11, v11, v79, v73
	v_mul_i32_i24_e32 v62, v233, v77
	v_perm_b32 v42, v6, v6, 0xc030201
	v_add3_u32 v24, v24, v51, v52
	v_perm_b32 v50, v7, v7, 0xc030201
	v_add3_u32 v11, v11, v74, v76
	s_delay_alu instid0(VALU_DEP_3) | instskip(NEXT) | instid1(VALU_DEP_2)
	v_add3_u32 v24, v24, v53, v54
	v_mul_lo_u32 v11, v11, v66
	s_delay_alu instid0(VALU_DEP_2) | instskip(NEXT) | instid1(VALU_DEP_1)
	v_add3_u32 v24, v24, v55, v56
	v_add3_u32 v24, v24, v58, v59
	s_delay_alu instid0(VALU_DEP_1) | instskip(NEXT) | instid1(VALU_DEP_1)
	v_add3_u32 v24, v24, v61, v62
	v_mad_co_u64_u32 v[52:53], null, v24, v238, v[11:12]
	v_mul_f32_e32 v11, v159, v224
	s_delay_alu instid0(VALU_DEP_2) | instskip(NEXT) | instid1(VALU_DEP_1)
	v_cvt_f32_i32_e32 v24, v52
	v_fmac_f32_e32 v14, v11, v24
	v_mul_i32_i24_e32 v11, v34, v160
	v_perm_b32 v24, v4, v4, 0xc0c0302
	s_delay_alu instid0(VALU_DEP_2) | instskip(NEXT) | instid1(VALU_DEP_1)
	v_mad_i32_i24 v11, v36, v161, v11
	v_dot4_i32_iu8 v4, v24, v216, v11 neg_lo:[1,1,0]
	v_perm_b32 v11, v5, v5, 0xc030201
	v_perm_b32 v5, v0, v0, 0xc0c0302
	s_delay_alu instid0(VALU_DEP_3) | instskip(NEXT) | instid1(VALU_DEP_1)
	v_mad_i32_i24 v4, v38, v217, v4
	v_dot4_i32_iu8 v4, v11, v218, v4 neg_lo:[1,1,0]
	s_delay_alu instid0(VALU_DEP_1) | instskip(NEXT) | instid1(VALU_DEP_1)
	v_mad_i32_i24 v4, v41, v215, v4
	v_dot4_i32_iu8 v4, v42, v219, v4 neg_lo:[1,1,0]
	s_delay_alu instid0(VALU_DEP_1) | instskip(NEXT) | instid1(VALU_DEP_1)
	v_mad_i32_i24 v4, v49, v213, v4
	v_dot4_i32_iu8 v4, v50, v220, v4 neg_lo:[1,1,0]
	s_delay_alu instid0(VALU_DEP_1) | instskip(SKIP_1) | instid1(VALU_DEP_1)
	v_mul_lo_u32 v6, v4, v221
	v_mul_i32_i24_e32 v4, v33, v222
	v_mad_i32_i24 v4, v8, v223, v4
	s_delay_alu instid0(VALU_DEP_1) | instskip(SKIP_2) | instid1(VALU_DEP_3)
	v_dot4_i32_iu8 v0, v5, v164, v4 neg_lo:[1,1,0]
	v_perm_b32 v4, v1, v1, 0xc030201
	v_perm_b32 v1, v3, v3, 0xc030201
	v_mad_i32_i24 v0, v68, v165, v0
	s_delay_alu instid0(VALU_DEP_1) | instskip(NEXT) | instid1(VALU_DEP_1)
	v_dot4_i32_iu8 v0, v4, v166, v0 neg_lo:[1,1,0]
	v_mad_i32_i24 v0, v67, v163, v0
	s_delay_alu instid0(VALU_DEP_1) | instskip(NEXT) | instid1(VALU_DEP_1)
	v_dot4_i32_iu8 v0, v2, v167, v0 neg_lo:[1,1,0]
	;; [unrolled: 3-line block ×3, first 2 shown]
	v_mad_co_u64_u32 v[6:7], null, v0, v169, v[6:7]
	v_mul_f32_e32 v0, v156, v224
	s_delay_alu instid0(VALU_DEP_2) | instskip(NEXT) | instid1(VALU_DEP_1)
	v_cvt_f32_i32_e32 v3, v6
	v_fmac_f32_e32 v13, v0, v3
	v_mul_i32_i24_e32 v0, v34, v203
	v_mul_i32_i24_e32 v3, v33, v158
	s_delay_alu instid0(VALU_DEP_2) | instskip(NEXT) | instid1(VALU_DEP_2)
	v_mad_i32_i24 v0, v36, v204, v0
	v_mad_i32_i24 v3, v8, v157, v3
	s_delay_alu instid0(VALU_DEP_2) | instskip(NEXT) | instid1(VALU_DEP_2)
	v_dot4_i32_iu8 v0, v24, v207, v0 neg_lo:[1,1,0]
	v_dot4_i32_iu8 v3, v5, v155, v3 neg_lo:[1,1,0]
	s_delay_alu instid0(VALU_DEP_2) | instskip(NEXT) | instid1(VALU_DEP_2)
	v_mad_i32_i24 v0, v38, v209, v0
	v_mad_i32_i24 v3, v68, v154, v3
	s_delay_alu instid0(VALU_DEP_2) | instskip(NEXT) | instid1(VALU_DEP_2)
	v_dot4_i32_iu8 v0, v11, v210, v0 neg_lo:[1,1,0]
	v_dot4_i32_iu8 v3, v4, v153, v3 neg_lo:[1,1,0]
	s_delay_alu instid0(VALU_DEP_2) | instskip(NEXT) | instid1(VALU_DEP_2)
	v_mad_i32_i24 v0, v41, v208, v0
	v_mad_i32_i24 v3, v67, v152, v3
	s_delay_alu instid0(VALU_DEP_2) | instskip(NEXT) | instid1(VALU_DEP_2)
	v_dot4_i32_iu8 v0, v42, v211, v0 neg_lo:[1,1,0]
	v_dot4_i32_iu8 v2, v2, v151, v3 neg_lo:[1,1,0]
	s_delay_alu instid0(VALU_DEP_2) | instskip(NEXT) | instid1(VALU_DEP_2)
	v_mad_i32_i24 v0, v49, v205, v0
	v_mad_i32_i24 v2, v225, v150, v2
	s_delay_alu instid0(VALU_DEP_2) | instskip(NEXT) | instid1(VALU_DEP_2)
	v_dot4_i32_iu8 v0, v50, v212, v0 neg_lo:[1,1,0]
	v_dot4_i32_iu8 v1, v1, v149, v2 neg_lo:[1,1,0]
	s_delay_alu instid0(VALU_DEP_2) | instskip(NEXT) | instid1(VALU_DEP_1)
	v_mul_lo_u32 v0, v0, v214
	v_mad_co_u64_u32 v[0:1], null, v1, v148, v[0:1]
	v_mul_f32_e32 v1, v147, v224
	s_delay_alu instid0(VALU_DEP_2) | instskip(NEXT) | instid1(VALU_DEP_1)
	v_cvt_f32_i32_e32 v0, v0
	v_fmac_f32_e32 v12, v1, v0
	s_cbranch_scc1 .LBB169_12
; %bb.13:                               ;   in Loop: Header=BB169_8 Depth=2
	s_wait_loadcnt 0x0
	s_barrier_signal -1
	s_barrier_wait -1
	global_inv scope:SCOPE_SE
	v_dual_mov_b32 v90, v130 :: v_dual_mov_b32 v91, v131
	v_dual_mov_b32 v96, v136 :: v_dual_mov_b32 v129, v25
	s_clause 0x1
	scratch_load_b32 v25, off, off offset:36
	scratch_load_b32 v131, off, off offset:32
	s_cmp_eq_u32 s12, 4
	v_dual_mov_b32 v92, v132 :: v_dual_mov_b32 v93, v133
	s_cselect_b32 s13, -1, 0
	v_dual_mov_b32 v94, v134 :: v_dual_mov_b32 v95, v135
	v_mov_b32_e32 v130, v143
	s_wait_alu 0xfffe
	s_and_b32 vcc_lo, exec_lo, s13
	s_wait_alu 0xfffe
	s_cbranch_vccz .LBB169_8
	s_branch .LBB169_5
.LBB169_14:
	s_clause 0x1
	scratch_load_b32 v1, off, off offset:40 th:TH_LOAD_LU
	scratch_load_b32 v3, off, off offset:248
	s_wait_loadcnt 0x3
	v_mov_b32_e32 v2, v25
.LBB169_15:
	s_mov_b32 s0, exec_lo
	s_wait_loadcnt 0x0
	v_cmpx_gt_u32_e64 s4, v3
	s_cbranch_execz .LBB169_66
; %bb.16:
	v_add_nc_u32_e32 v0, s14, v2
	v_mul_lo_u32 v5, v3, s6
	s_delay_alu instid0(VALU_DEP_2)
	v_cmp_gt_u32_e32 vcc_lo, s6, v0
	s_and_saveexec_b32 s1, vcc_lo
	s_cbranch_execz .LBB169_18
; %bb.17:
	v_bfe_u32 v3, v27, 16, 1
	s_delay_alu instid0(VALU_DEP_3) | instskip(SKIP_1) | instid1(VALU_DEP_3)
	v_add_nc_u32_e32 v2, v0, v5
	v_cmp_o_f32_e64 s0, v27, v27
	v_add3_u32 v4, v27, v3, 0x7fff
	v_mov_b32_e32 v3, 0
	s_delay_alu instid0(VALU_DEP_2) | instskip(NEXT) | instid1(VALU_DEP_2)
	v_lshrrev_b32_e32 v4, 16, v4
	v_lshlrev_b64_e32 v[2:3], 1, v[2:3]
	s_delay_alu instid0(VALU_DEP_2) | instskip(SKIP_1) | instid1(VALU_DEP_2)
	v_cndmask_b32_e64 v4, 0x7fc0, v4, s0
	s_wait_kmcnt 0x0
	v_add_co_u32 v2, s0, s8, v2
	s_wait_alu 0xf1ff
	s_delay_alu instid0(VALU_DEP_3)
	v_add_co_ci_u32_e64 v3, null, s9, v3, s0
	global_store_b16 v[2:3], v4, off
.LBB169_18:
	s_or_b32 exec_lo, exec_lo, s1
	v_add_nc_u32_e32 v2, 32, v0
	s_delay_alu instid0(VALU_DEP_1)
	v_cmp_gt_u32_e64 s0, s6, v2
	s_and_saveexec_b32 s2, s0
	s_cbranch_execz .LBB169_20
; %bb.19:
	v_bfe_u32 v4, v80, 16, 1
	v_add_nc_u32_e32 v3, v2, v5
	v_cmp_o_f32_e64 s1, v80, v80
	s_delay_alu instid0(VALU_DEP_3) | instskip(SKIP_1) | instid1(VALU_DEP_2)
	v_add3_u32 v6, v80, v4, 0x7fff
	v_mov_b32_e32 v4, 0
	v_lshrrev_b32_e32 v6, 16, v6
	s_delay_alu instid0(VALU_DEP_2) | instskip(SKIP_1) | instid1(VALU_DEP_2)
	v_lshlrev_b64_e32 v[3:4], 1, v[3:4]
	s_wait_alu 0xf1ff
	v_cndmask_b32_e64 v6, 0x7fc0, v6, s1
	s_wait_kmcnt 0x0
	s_delay_alu instid0(VALU_DEP_2)
	v_add_co_u32 v3, s1, s8, v3
	s_wait_alu 0xf1ff
	v_add_co_ci_u32_e64 v4, null, s9, v4, s1
	global_store_b16 v[3:4], v6, off
.LBB169_20:
	s_wait_alu 0xfffe
	s_or_b32 exec_lo, exec_lo, s2
	v_add_nc_u32_e32 v3, 64, v0
	s_delay_alu instid0(VALU_DEP_1)
	v_cmp_gt_u32_e64 s1, s6, v3
	s_and_saveexec_b32 s3, s1
	s_cbranch_execz .LBB169_22
; %bb.21:
	v_bfe_u32 v4, v75, 16, 1
	v_dual_mov_b32 v7, 0 :: v_dual_add_nc_u32 v6, v3, v5
	v_cmp_o_f32_e64 s2, v75, v75
	s_delay_alu instid0(VALU_DEP_3) | instskip(NEXT) | instid1(VALU_DEP_3)
	v_add3_u32 v4, v75, v4, 0x7fff
	v_lshlrev_b64_e32 v[6:7], 1, v[6:7]
	s_delay_alu instid0(VALU_DEP_2) | instskip(SKIP_1) | instid1(VALU_DEP_1)
	v_lshrrev_b32_e32 v4, 16, v4
	s_wait_alu 0xf1ff
	v_cndmask_b32_e64 v4, 0x7fc0, v4, s2
	s_wait_kmcnt 0x0
	s_delay_alu instid0(VALU_DEP_3)
	v_add_co_u32 v6, s2, s8, v6
	s_wait_alu 0xf1ff
	v_add_co_ci_u32_e64 v7, null, s9, v7, s2
	global_store_b16 v[6:7], v4, off
.LBB169_22:
	s_wait_alu 0xfffe
	s_or_b32 exec_lo, exec_lo, s3
	v_add_nc_u32_e32 v4, 0x60, v0
	s_delay_alu instid0(VALU_DEP_1)
	v_cmp_gt_u32_e64 s2, s6, v4
	s_and_saveexec_b32 s5, s2
	s_cbranch_execz .LBB169_24
; %bb.23:
	v_bfe_u32 v6, v69, 16, 1
	v_add_nc_u32_e32 v5, v4, v5
	v_cmp_o_f32_e64 s3, v69, v69
	s_delay_alu instid0(VALU_DEP_3) | instskip(SKIP_1) | instid1(VALU_DEP_2)
	v_add3_u32 v7, v69, v6, 0x7fff
	v_mov_b32_e32 v6, 0
	v_lshrrev_b32_e32 v7, 16, v7
	s_delay_alu instid0(VALU_DEP_2) | instskip(SKIP_1) | instid1(VALU_DEP_2)
	v_lshlrev_b64_e32 v[5:6], 1, v[5:6]
	s_wait_alu 0xf1ff
	v_cndmask_b32_e64 v7, 0x7fc0, v7, s3
	s_wait_kmcnt 0x0
	s_delay_alu instid0(VALU_DEP_2)
	v_add_co_u32 v5, s3, s8, v5
	s_wait_alu 0xf1ff
	v_add_co_ci_u32_e64 v6, null, s9, v6, s3
	global_store_b16 v[5:6], v7, off
.LBB169_24:
	s_wait_alu 0xfffe
	s_or_b32 exec_lo, exec_lo, s5
	v_add3_u32 v5, v1, s7, 8
	s_delay_alu instid0(VALU_DEP_1)
	v_cmp_gt_u32_e64 s3, s4, v5
	s_and_b32 exec_lo, exec_lo, s3
	s_cbranch_execz .LBB169_66
; %bb.25:
	v_mul_lo_u32 v5, v5, s6
	s_and_saveexec_b32 s5, vcc_lo
	s_cbranch_execnz .LBB169_67
; %bb.26:
	s_wait_alu 0xfffe
	s_or_b32 exec_lo, exec_lo, s5
	s_and_saveexec_b32 s5, s0
	s_cbranch_execnz .LBB169_68
.LBB169_27:
	s_wait_alu 0xfffe
	s_or_b32 exec_lo, exec_lo, s5
	s_and_saveexec_b32 s5, s1
	s_cbranch_execnz .LBB169_69
.LBB169_28:
	s_wait_alu 0xfffe
	s_or_b32 exec_lo, exec_lo, s5
	s_and_saveexec_b32 s5, s2
	s_cbranch_execz .LBB169_30
.LBB169_29:
	v_bfe_u32 v6, v47, 16, 1
	v_add_nc_u32_e32 v5, v5, v4
	v_cmp_o_f32_e64 s3, v47, v47
	s_delay_alu instid0(VALU_DEP_3) | instskip(SKIP_1) | instid1(VALU_DEP_2)
	v_add3_u32 v7, v47, v6, 0x7fff
	v_mov_b32_e32 v6, 0
	v_lshrrev_b32_e32 v7, 16, v7
	s_delay_alu instid0(VALU_DEP_2) | instskip(SKIP_1) | instid1(VALU_DEP_2)
	v_lshlrev_b64_e32 v[5:6], 1, v[5:6]
	s_wait_alu 0xf1ff
	v_cndmask_b32_e64 v7, 0x7fc0, v7, s3
	s_wait_kmcnt 0x0
	s_delay_alu instid0(VALU_DEP_2)
	v_add_co_u32 v5, s3, s8, v5
	s_wait_alu 0xf1ff
	v_add_co_ci_u32_e64 v6, null, s9, v6, s3
	global_store_b16 v[5:6], v7, off
.LBB169_30:
	s_wait_alu 0xfffe
	s_or_b32 exec_lo, exec_lo, s5
	v_add3_u32 v5, v1, s7, 16
	s_delay_alu instid0(VALU_DEP_1)
	v_cmp_gt_u32_e64 s3, s4, v5
	s_and_b32 exec_lo, exec_lo, s3
	s_cbranch_execz .LBB169_66
; %bb.31:
	v_mul_lo_u32 v5, v5, s6
	s_and_saveexec_b32 s5, vcc_lo
	s_cbranch_execnz .LBB169_70
; %bb.32:
	s_wait_alu 0xfffe
	s_or_b32 exec_lo, exec_lo, s5
	s_and_saveexec_b32 s5, s0
	s_cbranch_execnz .LBB169_71
.LBB169_33:
	s_wait_alu 0xfffe
	s_or_b32 exec_lo, exec_lo, s5
	s_and_saveexec_b32 s5, s1
	s_cbranch_execnz .LBB169_72
.LBB169_34:
	s_wait_alu 0xfffe
	s_or_b32 exec_lo, exec_lo, s5
	s_and_saveexec_b32 s5, s2
	s_cbranch_execz .LBB169_36
.LBB169_35:
	v_bfe_u32 v6, v43, 16, 1
	v_add_nc_u32_e32 v5, v5, v4
	v_cmp_o_f32_e64 s3, v43, v43
	s_delay_alu instid0(VALU_DEP_3) | instskip(SKIP_1) | instid1(VALU_DEP_2)
	v_add3_u32 v7, v43, v6, 0x7fff
	v_mov_b32_e32 v6, 0
	v_lshrrev_b32_e32 v7, 16, v7
	s_delay_alu instid0(VALU_DEP_2) | instskip(SKIP_1) | instid1(VALU_DEP_2)
	v_lshlrev_b64_e32 v[5:6], 1, v[5:6]
	s_wait_alu 0xf1ff
	v_cndmask_b32_e64 v7, 0x7fc0, v7, s3
	s_wait_kmcnt 0x0
	s_delay_alu instid0(VALU_DEP_2)
	v_add_co_u32 v5, s3, s8, v5
	s_wait_alu 0xf1ff
	v_add_co_ci_u32_e64 v6, null, s9, v6, s3
	global_store_b16 v[5:6], v7, off
.LBB169_36:
	s_wait_alu 0xfffe
	s_or_b32 exec_lo, exec_lo, s5
	v_add3_u32 v5, v1, s7, 24
	s_delay_alu instid0(VALU_DEP_1)
	v_cmp_gt_u32_e64 s3, s4, v5
	s_and_b32 exec_lo, exec_lo, s3
	s_cbranch_execz .LBB169_66
; %bb.37:
	v_mul_lo_u32 v5, v5, s6
	s_and_saveexec_b32 s5, vcc_lo
	s_cbranch_execnz .LBB169_73
; %bb.38:
	s_wait_alu 0xfffe
	s_or_b32 exec_lo, exec_lo, s5
	s_and_saveexec_b32 s5, s0
	s_cbranch_execnz .LBB169_74
.LBB169_39:
	s_wait_alu 0xfffe
	s_or_b32 exec_lo, exec_lo, s5
	s_and_saveexec_b32 s5, s1
	s_cbranch_execnz .LBB169_75
.LBB169_40:
	s_wait_alu 0xfffe
	s_or_b32 exec_lo, exec_lo, s5
	s_and_saveexec_b32 s5, s2
	s_cbranch_execz .LBB169_42
.LBB169_41:
	v_bfe_u32 v6, v32, 16, 1
	v_add_nc_u32_e32 v5, v5, v4
	v_cmp_o_f32_e64 s3, v32, v32
	s_delay_alu instid0(VALU_DEP_3) | instskip(SKIP_1) | instid1(VALU_DEP_2)
	v_add3_u32 v7, v32, v6, 0x7fff
	v_mov_b32_e32 v6, 0
	v_lshrrev_b32_e32 v7, 16, v7
	s_delay_alu instid0(VALU_DEP_2) | instskip(SKIP_1) | instid1(VALU_DEP_2)
	v_lshlrev_b64_e32 v[5:6], 1, v[5:6]
	s_wait_alu 0xf1ff
	v_cndmask_b32_e64 v7, 0x7fc0, v7, s3
	s_wait_kmcnt 0x0
	s_delay_alu instid0(VALU_DEP_2)
	v_add_co_u32 v5, s3, s8, v5
	s_wait_alu 0xf1ff
	v_add_co_ci_u32_e64 v6, null, s9, v6, s3
	global_store_b16 v[5:6], v7, off
.LBB169_42:
	s_wait_alu 0xfffe
	s_or_b32 exec_lo, exec_lo, s5
	v_add3_u32 v5, v1, s7, 32
	s_delay_alu instid0(VALU_DEP_1)
	v_cmp_gt_u32_e64 s3, s4, v5
	s_and_b32 exec_lo, exec_lo, s3
	s_cbranch_execz .LBB169_66
; %bb.43:
	v_mul_lo_u32 v5, v5, s6
	s_and_saveexec_b32 s5, vcc_lo
	s_cbranch_execnz .LBB169_76
; %bb.44:
	s_wait_alu 0xfffe
	s_or_b32 exec_lo, exec_lo, s5
	s_and_saveexec_b32 s5, s0
	s_cbranch_execnz .LBB169_77
.LBB169_45:
	s_wait_alu 0xfffe
	s_or_b32 exec_lo, exec_lo, s5
	s_and_saveexec_b32 s5, s1
	s_cbranch_execnz .LBB169_78
.LBB169_46:
	s_wait_alu 0xfffe
	s_or_b32 exec_lo, exec_lo, s5
	s_and_saveexec_b32 s5, s2
	s_cbranch_execz .LBB169_48
.LBB169_47:
	v_bfe_u32 v6, v26, 16, 1
	v_add_nc_u32_e32 v5, v5, v4
	v_cmp_o_f32_e64 s3, v26, v26
	s_delay_alu instid0(VALU_DEP_3) | instskip(SKIP_1) | instid1(VALU_DEP_2)
	v_add3_u32 v7, v26, v6, 0x7fff
	v_mov_b32_e32 v6, 0
	v_lshrrev_b32_e32 v7, 16, v7
	s_delay_alu instid0(VALU_DEP_2) | instskip(SKIP_1) | instid1(VALU_DEP_2)
	v_lshlrev_b64_e32 v[5:6], 1, v[5:6]
	s_wait_alu 0xf1ff
	v_cndmask_b32_e64 v7, 0x7fc0, v7, s3
	s_wait_kmcnt 0x0
	s_delay_alu instid0(VALU_DEP_2)
	v_add_co_u32 v5, s3, s8, v5
	s_wait_alu 0xf1ff
	v_add_co_ci_u32_e64 v6, null, s9, v6, s3
	global_store_b16 v[5:6], v7, off
.LBB169_48:
	s_wait_alu 0xfffe
	s_or_b32 exec_lo, exec_lo, s5
	v_add3_u32 v5, v1, s7, 40
	s_delay_alu instid0(VALU_DEP_1)
	v_cmp_gt_u32_e64 s3, s4, v5
	s_and_b32 exec_lo, exec_lo, s3
	s_cbranch_execz .LBB169_66
; %bb.49:
	v_mul_lo_u32 v5, v5, s6
	s_and_saveexec_b32 s5, vcc_lo
	s_cbranch_execnz .LBB169_79
; %bb.50:
	s_wait_alu 0xfffe
	s_or_b32 exec_lo, exec_lo, s5
	s_and_saveexec_b32 s5, s0
	s_cbranch_execnz .LBB169_80
.LBB169_51:
	s_wait_alu 0xfffe
	s_or_b32 exec_lo, exec_lo, s5
	s_and_saveexec_b32 s5, s1
	s_cbranch_execnz .LBB169_81
.LBB169_52:
	s_wait_alu 0xfffe
	s_or_b32 exec_lo, exec_lo, s5
	s_and_saveexec_b32 s5, s2
	s_cbranch_execz .LBB169_54
.LBB169_53:
	v_bfe_u32 v6, v20, 16, 1
	v_add_nc_u32_e32 v5, v5, v4
	v_cmp_o_f32_e64 s3, v20, v20
	s_delay_alu instid0(VALU_DEP_3) | instskip(SKIP_1) | instid1(VALU_DEP_2)
	v_add3_u32 v7, v20, v6, 0x7fff
	v_mov_b32_e32 v6, 0
	v_lshrrev_b32_e32 v7, 16, v7
	s_delay_alu instid0(VALU_DEP_2) | instskip(SKIP_1) | instid1(VALU_DEP_2)
	v_lshlrev_b64_e32 v[5:6], 1, v[5:6]
	s_wait_alu 0xf1ff
	v_cndmask_b32_e64 v7, 0x7fc0, v7, s3
	s_wait_kmcnt 0x0
	s_delay_alu instid0(VALU_DEP_2)
	v_add_co_u32 v5, s3, s8, v5
	s_wait_alu 0xf1ff
	v_add_co_ci_u32_e64 v6, null, s9, v6, s3
	global_store_b16 v[5:6], v7, off
.LBB169_54:
	s_wait_alu 0xfffe
	s_or_b32 exec_lo, exec_lo, s5
	v_add3_u32 v5, v1, s7, 48
	s_delay_alu instid0(VALU_DEP_1)
	v_cmp_gt_u32_e64 s3, s4, v5
	s_and_b32 exec_lo, exec_lo, s3
	s_cbranch_execz .LBB169_66
; %bb.55:
	v_mul_lo_u32 v5, v5, s6
	s_and_saveexec_b32 s5, vcc_lo
	s_cbranch_execnz .LBB169_82
; %bb.56:
	s_wait_alu 0xfffe
	s_or_b32 exec_lo, exec_lo, s5
	s_and_saveexec_b32 s5, s0
	s_cbranch_execnz .LBB169_83
.LBB169_57:
	s_wait_alu 0xfffe
	s_or_b32 exec_lo, exec_lo, s5
	s_and_saveexec_b32 s5, s1
	s_cbranch_execnz .LBB169_84
.LBB169_58:
	s_wait_alu 0xfffe
	s_or_b32 exec_lo, exec_lo, s5
	s_and_saveexec_b32 s5, s2
	s_cbranch_execz .LBB169_60
.LBB169_59:
	v_bfe_u32 v6, v16, 16, 1
	v_add_nc_u32_e32 v5, v5, v4
	v_cmp_o_f32_e64 s3, v16, v16
	s_delay_alu instid0(VALU_DEP_3) | instskip(SKIP_1) | instid1(VALU_DEP_2)
	v_add3_u32 v7, v16, v6, 0x7fff
	v_mov_b32_e32 v6, 0
	v_lshrrev_b32_e32 v7, 16, v7
	s_delay_alu instid0(VALU_DEP_2) | instskip(SKIP_1) | instid1(VALU_DEP_2)
	v_lshlrev_b64_e32 v[5:6], 1, v[5:6]
	s_wait_alu 0xf1ff
	v_cndmask_b32_e64 v7, 0x7fc0, v7, s3
	s_wait_kmcnt 0x0
	s_delay_alu instid0(VALU_DEP_2)
	v_add_co_u32 v5, s3, s8, v5
	s_wait_alu 0xf1ff
	v_add_co_ci_u32_e64 v6, null, s9, v6, s3
	global_store_b16 v[5:6], v7, off
.LBB169_60:
	s_wait_alu 0xfffe
	s_or_b32 exec_lo, exec_lo, s5
	v_add3_u32 v1, v1, s7, 56
	s_delay_alu instid0(VALU_DEP_1)
	v_cmp_gt_u32_e64 s3, s4, v1
	s_and_b32 exec_lo, exec_lo, s3
	s_cbranch_execz .LBB169_66
; %bb.61:
	v_mul_lo_u32 v1, v1, s6
	s_and_saveexec_b32 s3, vcc_lo
	s_cbranch_execnz .LBB169_85
; %bb.62:
	s_wait_alu 0xfffe
	s_or_b32 exec_lo, exec_lo, s3
	s_and_saveexec_b32 s3, s0
	s_cbranch_execnz .LBB169_86
.LBB169_63:
	s_wait_alu 0xfffe
	s_or_b32 exec_lo, exec_lo, s3
	s_and_saveexec_b32 s0, s1
	s_cbranch_execnz .LBB169_87
.LBB169_64:
	s_wait_alu 0xfffe
	s_or_b32 exec_lo, exec_lo, s0
	s_delay_alu instid0(SALU_CYCLE_1)
	s_and_b32 exec_lo, exec_lo, s2
	s_cbranch_execz .LBB169_66
.LBB169_65:
	v_bfe_u32 v2, v12, 16, 1
	v_dual_mov_b32 v1, 0 :: v_dual_add_nc_u32 v0, v1, v4
	v_cmp_o_f32_e32 vcc_lo, v12, v12
	s_delay_alu instid0(VALU_DEP_3) | instskip(NEXT) | instid1(VALU_DEP_3)
	v_add3_u32 v2, v12, v2, 0x7fff
	v_lshlrev_b64_e32 v[0:1], 1, v[0:1]
	s_delay_alu instid0(VALU_DEP_2) | instskip(SKIP_1) | instid1(VALU_DEP_1)
	v_lshrrev_b32_e32 v2, 16, v2
	s_wait_alu 0xfffd
	v_cndmask_b32_e32 v2, 0x7fc0, v2, vcc_lo
	s_wait_kmcnt 0x0
	s_delay_alu instid0(VALU_DEP_3)
	v_add_co_u32 v0, vcc_lo, s8, v0
	s_wait_alu 0xfffd
	v_add_co_ci_u32_e64 v1, null, s9, v1, vcc_lo
	global_store_b16 v[0:1], v2, off
.LBB169_66:
	s_nop 0
	s_sendmsg sendmsg(MSG_DEALLOC_VGPRS)
	s_endpgm
.LBB169_67:
	v_bfe_u32 v7, v60, 16, 1
	s_delay_alu instid0(VALU_DEP_2) | instskip(SKIP_1) | instid1(VALU_DEP_3)
	v_add_nc_u32_e32 v6, v5, v0
	v_cmp_o_f32_e64 s3, v60, v60
	v_add3_u32 v8, v60, v7, 0x7fff
	v_mov_b32_e32 v7, 0
	s_delay_alu instid0(VALU_DEP_2) | instskip(NEXT) | instid1(VALU_DEP_2)
	v_lshrrev_b32_e32 v8, 16, v8
	v_lshlrev_b64_e32 v[6:7], 1, v[6:7]
	s_wait_alu 0xf1ff
	s_delay_alu instid0(VALU_DEP_2) | instskip(SKIP_1) | instid1(VALU_DEP_2)
	v_cndmask_b32_e64 v8, 0x7fc0, v8, s3
	s_wait_kmcnt 0x0
	v_add_co_u32 v6, s3, s8, v6
	s_wait_alu 0xf1ff
	v_add_co_ci_u32_e64 v7, null, s9, v7, s3
	global_store_b16 v[6:7], v8, off
	s_wait_alu 0xfffe
	s_or_b32 exec_lo, exec_lo, s5
	s_and_saveexec_b32 s5, s0
	s_cbranch_execz .LBB169_27
.LBB169_68:
	v_bfe_u32 v7, v57, 16, 1
	v_add_nc_u32_e32 v6, v5, v2
	v_cmp_o_f32_e64 s3, v57, v57
	s_delay_alu instid0(VALU_DEP_3) | instskip(SKIP_1) | instid1(VALU_DEP_2)
	v_add3_u32 v8, v57, v7, 0x7fff
	v_mov_b32_e32 v7, 0
	v_lshrrev_b32_e32 v8, 16, v8
	s_delay_alu instid0(VALU_DEP_2) | instskip(SKIP_1) | instid1(VALU_DEP_2)
	v_lshlrev_b64_e32 v[6:7], 1, v[6:7]
	s_wait_alu 0xf1ff
	v_cndmask_b32_e64 v8, 0x7fc0, v8, s3
	s_wait_kmcnt 0x0
	s_delay_alu instid0(VALU_DEP_2)
	v_add_co_u32 v6, s3, s8, v6
	s_wait_alu 0xf1ff
	v_add_co_ci_u32_e64 v7, null, s9, v7, s3
	global_store_b16 v[6:7], v8, off
	s_wait_alu 0xfffe
	s_or_b32 exec_lo, exec_lo, s5
	s_and_saveexec_b32 s5, s1
	s_cbranch_execz .LBB169_28
.LBB169_69:
	v_bfe_u32 v7, v48, 16, 1
	v_add_nc_u32_e32 v6, v5, v3
	v_cmp_o_f32_e64 s3, v48, v48
	s_delay_alu instid0(VALU_DEP_3) | instskip(SKIP_1) | instid1(VALU_DEP_2)
	v_add3_u32 v8, v48, v7, 0x7fff
	v_mov_b32_e32 v7, 0
	v_lshrrev_b32_e32 v8, 16, v8
	s_delay_alu instid0(VALU_DEP_2) | instskip(SKIP_1) | instid1(VALU_DEP_2)
	v_lshlrev_b64_e32 v[6:7], 1, v[6:7]
	s_wait_alu 0xf1ff
	v_cndmask_b32_e64 v8, 0x7fc0, v8, s3
	s_wait_kmcnt 0x0
	s_delay_alu instid0(VALU_DEP_2)
	v_add_co_u32 v6, s3, s8, v6
	s_wait_alu 0xf1ff
	v_add_co_ci_u32_e64 v7, null, s9, v7, s3
	global_store_b16 v[6:7], v8, off
	s_wait_alu 0xfffe
	s_or_b32 exec_lo, exec_lo, s5
	s_and_saveexec_b32 s5, s2
	s_cbranch_execnz .LBB169_29
	s_branch .LBB169_30
.LBB169_70:
	v_bfe_u32 v7, v46, 16, 1
	s_delay_alu instid0(VALU_DEP_2) | instskip(SKIP_1) | instid1(VALU_DEP_3)
	v_add_nc_u32_e32 v6, v5, v0
	v_cmp_o_f32_e64 s3, v46, v46
	v_add3_u32 v8, v46, v7, 0x7fff
	v_mov_b32_e32 v7, 0
	s_delay_alu instid0(VALU_DEP_2) | instskip(NEXT) | instid1(VALU_DEP_2)
	v_lshrrev_b32_e32 v8, 16, v8
	v_lshlrev_b64_e32 v[6:7], 1, v[6:7]
	s_wait_alu 0xf1ff
	s_delay_alu instid0(VALU_DEP_2) | instskip(SKIP_1) | instid1(VALU_DEP_2)
	v_cndmask_b32_e64 v8, 0x7fc0, v8, s3
	s_wait_kmcnt 0x0
	v_add_co_u32 v6, s3, s8, v6
	s_wait_alu 0xf1ff
	v_add_co_ci_u32_e64 v7, null, s9, v7, s3
	global_store_b16 v[6:7], v8, off
	s_wait_alu 0xfffe
	s_or_b32 exec_lo, exec_lo, s5
	s_and_saveexec_b32 s5, s0
	s_cbranch_execz .LBB169_33
.LBB169_71:
	v_bfe_u32 v7, v45, 16, 1
	v_add_nc_u32_e32 v6, v5, v2
	v_cmp_o_f32_e64 s3, v45, v45
	s_delay_alu instid0(VALU_DEP_3) | instskip(SKIP_1) | instid1(VALU_DEP_2)
	v_add3_u32 v8, v45, v7, 0x7fff
	v_mov_b32_e32 v7, 0
	v_lshrrev_b32_e32 v8, 16, v8
	s_delay_alu instid0(VALU_DEP_2) | instskip(SKIP_1) | instid1(VALU_DEP_2)
	v_lshlrev_b64_e32 v[6:7], 1, v[6:7]
	s_wait_alu 0xf1ff
	v_cndmask_b32_e64 v8, 0x7fc0, v8, s3
	s_wait_kmcnt 0x0
	s_delay_alu instid0(VALU_DEP_2)
	v_add_co_u32 v6, s3, s8, v6
	s_wait_alu 0xf1ff
	v_add_co_ci_u32_e64 v7, null, s9, v7, s3
	global_store_b16 v[6:7], v8, off
	s_wait_alu 0xfffe
	s_or_b32 exec_lo, exec_lo, s5
	s_and_saveexec_b32 s5, s1
	s_cbranch_execz .LBB169_34
.LBB169_72:
	v_bfe_u32 v7, v44, 16, 1
	v_add_nc_u32_e32 v6, v5, v3
	v_cmp_o_f32_e64 s3, v44, v44
	s_delay_alu instid0(VALU_DEP_3) | instskip(SKIP_1) | instid1(VALU_DEP_2)
	v_add3_u32 v8, v44, v7, 0x7fff
	v_mov_b32_e32 v7, 0
	v_lshrrev_b32_e32 v8, 16, v8
	s_delay_alu instid0(VALU_DEP_2) | instskip(SKIP_1) | instid1(VALU_DEP_2)
	v_lshlrev_b64_e32 v[6:7], 1, v[6:7]
	s_wait_alu 0xf1ff
	v_cndmask_b32_e64 v8, 0x7fc0, v8, s3
	s_wait_kmcnt 0x0
	s_delay_alu instid0(VALU_DEP_2)
	v_add_co_u32 v6, s3, s8, v6
	s_wait_alu 0xf1ff
	v_add_co_ci_u32_e64 v7, null, s9, v7, s3
	global_store_b16 v[6:7], v8, off
	s_wait_alu 0xfffe
	s_or_b32 exec_lo, exec_lo, s5
	s_and_saveexec_b32 s5, s2
	s_cbranch_execnz .LBB169_35
	s_branch .LBB169_36
.LBB169_73:
	v_bfe_u32 v7, v40, 16, 1
	s_delay_alu instid0(VALU_DEP_2) | instskip(SKIP_1) | instid1(VALU_DEP_3)
	v_add_nc_u32_e32 v6, v5, v0
	v_cmp_o_f32_e64 s3, v40, v40
	v_add3_u32 v8, v40, v7, 0x7fff
	v_mov_b32_e32 v7, 0
	s_delay_alu instid0(VALU_DEP_2) | instskip(NEXT) | instid1(VALU_DEP_2)
	v_lshrrev_b32_e32 v8, 16, v8
	v_lshlrev_b64_e32 v[6:7], 1, v[6:7]
	s_wait_alu 0xf1ff
	s_delay_alu instid0(VALU_DEP_2) | instskip(SKIP_1) | instid1(VALU_DEP_2)
	v_cndmask_b32_e64 v8, 0x7fc0, v8, s3
	s_wait_kmcnt 0x0
	v_add_co_u32 v6, s3, s8, v6
	s_wait_alu 0xf1ff
	v_add_co_ci_u32_e64 v7, null, s9, v7, s3
	global_store_b16 v[6:7], v8, off
	s_wait_alu 0xfffe
	s_or_b32 exec_lo, exec_lo, s5
	s_and_saveexec_b32 s5, s0
	s_cbranch_execz .LBB169_39
.LBB169_74:
	v_bfe_u32 v7, v37, 16, 1
	v_add_nc_u32_e32 v6, v5, v2
	v_cmp_o_f32_e64 s3, v37, v37
	s_delay_alu instid0(VALU_DEP_3) | instskip(SKIP_1) | instid1(VALU_DEP_2)
	v_add3_u32 v8, v37, v7, 0x7fff
	v_mov_b32_e32 v7, 0
	v_lshrrev_b32_e32 v8, 16, v8
	s_delay_alu instid0(VALU_DEP_2) | instskip(SKIP_1) | instid1(VALU_DEP_2)
	v_lshlrev_b64_e32 v[6:7], 1, v[6:7]
	s_wait_alu 0xf1ff
	v_cndmask_b32_e64 v8, 0x7fc0, v8, s3
	s_wait_kmcnt 0x0
	s_delay_alu instid0(VALU_DEP_2)
	v_add_co_u32 v6, s3, s8, v6
	s_wait_alu 0xf1ff
	v_add_co_ci_u32_e64 v7, null, s9, v7, s3
	global_store_b16 v[6:7], v8, off
	s_wait_alu 0xfffe
	s_or_b32 exec_lo, exec_lo, s5
	s_and_saveexec_b32 s5, s1
	s_cbranch_execz .LBB169_40
.LBB169_75:
	v_bfe_u32 v7, v35, 16, 1
	v_add_nc_u32_e32 v6, v5, v3
	v_cmp_o_f32_e64 s3, v35, v35
	s_delay_alu instid0(VALU_DEP_3) | instskip(SKIP_1) | instid1(VALU_DEP_2)
	v_add3_u32 v8, v35, v7, 0x7fff
	v_mov_b32_e32 v7, 0
	v_lshrrev_b32_e32 v8, 16, v8
	s_delay_alu instid0(VALU_DEP_2) | instskip(SKIP_1) | instid1(VALU_DEP_2)
	v_lshlrev_b64_e32 v[6:7], 1, v[6:7]
	s_wait_alu 0xf1ff
	v_cndmask_b32_e64 v8, 0x7fc0, v8, s3
	s_wait_kmcnt 0x0
	s_delay_alu instid0(VALU_DEP_2)
	v_add_co_u32 v6, s3, s8, v6
	s_wait_alu 0xf1ff
	v_add_co_ci_u32_e64 v7, null, s9, v7, s3
	global_store_b16 v[6:7], v8, off
	s_wait_alu 0xfffe
	s_or_b32 exec_lo, exec_lo, s5
	s_and_saveexec_b32 s5, s2
	s_cbranch_execnz .LBB169_41
	s_branch .LBB169_42
.LBB169_76:
	v_bfe_u32 v7, v30, 16, 1
	s_delay_alu instid0(VALU_DEP_2) | instskip(SKIP_1) | instid1(VALU_DEP_3)
	v_add_nc_u32_e32 v6, v5, v0
	v_cmp_o_f32_e64 s3, v30, v30
	v_add3_u32 v8, v30, v7, 0x7fff
	v_mov_b32_e32 v7, 0
	s_delay_alu instid0(VALU_DEP_2) | instskip(NEXT) | instid1(VALU_DEP_2)
	v_lshrrev_b32_e32 v8, 16, v8
	v_lshlrev_b64_e32 v[6:7], 1, v[6:7]
	s_wait_alu 0xf1ff
	s_delay_alu instid0(VALU_DEP_2) | instskip(SKIP_1) | instid1(VALU_DEP_2)
	v_cndmask_b32_e64 v8, 0x7fc0, v8, s3
	s_wait_kmcnt 0x0
	v_add_co_u32 v6, s3, s8, v6
	s_wait_alu 0xf1ff
	v_add_co_ci_u32_e64 v7, null, s9, v7, s3
	global_store_b16 v[6:7], v8, off
	s_wait_alu 0xfffe
	s_or_b32 exec_lo, exec_lo, s5
	s_and_saveexec_b32 s5, s0
	s_cbranch_execz .LBB169_45
.LBB169_77:
	v_bfe_u32 v7, v29, 16, 1
	v_add_nc_u32_e32 v6, v5, v2
	v_cmp_o_f32_e64 s3, v29, v29
	s_delay_alu instid0(VALU_DEP_3) | instskip(SKIP_1) | instid1(VALU_DEP_2)
	v_add3_u32 v8, v29, v7, 0x7fff
	v_mov_b32_e32 v7, 0
	v_lshrrev_b32_e32 v8, 16, v8
	s_delay_alu instid0(VALU_DEP_2) | instskip(SKIP_1) | instid1(VALU_DEP_2)
	v_lshlrev_b64_e32 v[6:7], 1, v[6:7]
	s_wait_alu 0xf1ff
	v_cndmask_b32_e64 v8, 0x7fc0, v8, s3
	s_wait_kmcnt 0x0
	s_delay_alu instid0(VALU_DEP_2)
	v_add_co_u32 v6, s3, s8, v6
	s_wait_alu 0xf1ff
	v_add_co_ci_u32_e64 v7, null, s9, v7, s3
	global_store_b16 v[6:7], v8, off
	s_wait_alu 0xfffe
	s_or_b32 exec_lo, exec_lo, s5
	s_and_saveexec_b32 s5, s1
	s_cbranch_execz .LBB169_46
.LBB169_78:
	v_bfe_u32 v7, v28, 16, 1
	v_add_nc_u32_e32 v6, v5, v3
	v_cmp_o_f32_e64 s3, v28, v28
	s_delay_alu instid0(VALU_DEP_3) | instskip(SKIP_1) | instid1(VALU_DEP_2)
	v_add3_u32 v8, v28, v7, 0x7fff
	v_mov_b32_e32 v7, 0
	v_lshrrev_b32_e32 v8, 16, v8
	s_delay_alu instid0(VALU_DEP_2) | instskip(SKIP_1) | instid1(VALU_DEP_2)
	v_lshlrev_b64_e32 v[6:7], 1, v[6:7]
	s_wait_alu 0xf1ff
	v_cndmask_b32_e64 v8, 0x7fc0, v8, s3
	s_wait_kmcnt 0x0
	s_delay_alu instid0(VALU_DEP_2)
	v_add_co_u32 v6, s3, s8, v6
	s_wait_alu 0xf1ff
	v_add_co_ci_u32_e64 v7, null, s9, v7, s3
	global_store_b16 v[6:7], v8, off
	s_wait_alu 0xfffe
	s_or_b32 exec_lo, exec_lo, s5
	s_and_saveexec_b32 s5, s2
	s_cbranch_execnz .LBB169_47
	s_branch .LBB169_48
.LBB169_79:
	v_bfe_u32 v7, v23, 16, 1
	s_delay_alu instid0(VALU_DEP_2) | instskip(SKIP_1) | instid1(VALU_DEP_3)
	v_add_nc_u32_e32 v6, v5, v0
	v_cmp_o_f32_e64 s3, v23, v23
	v_add3_u32 v8, v23, v7, 0x7fff
	v_mov_b32_e32 v7, 0
	s_delay_alu instid0(VALU_DEP_2) | instskip(NEXT) | instid1(VALU_DEP_2)
	v_lshrrev_b32_e32 v8, 16, v8
	v_lshlrev_b64_e32 v[6:7], 1, v[6:7]
	s_wait_alu 0xf1ff
	s_delay_alu instid0(VALU_DEP_2) | instskip(SKIP_1) | instid1(VALU_DEP_2)
	v_cndmask_b32_e64 v8, 0x7fc0, v8, s3
	s_wait_kmcnt 0x0
	v_add_co_u32 v6, s3, s8, v6
	s_wait_alu 0xf1ff
	v_add_co_ci_u32_e64 v7, null, s9, v7, s3
	global_store_b16 v[6:7], v8, off
	s_wait_alu 0xfffe
	s_or_b32 exec_lo, exec_lo, s5
	s_and_saveexec_b32 s5, s0
	s_cbranch_execz .LBB169_51
.LBB169_80:
	v_bfe_u32 v7, v22, 16, 1
	v_add_nc_u32_e32 v6, v5, v2
	v_cmp_o_f32_e64 s3, v22, v22
	s_delay_alu instid0(VALU_DEP_3) | instskip(SKIP_1) | instid1(VALU_DEP_2)
	v_add3_u32 v8, v22, v7, 0x7fff
	v_mov_b32_e32 v7, 0
	v_lshrrev_b32_e32 v8, 16, v8
	s_delay_alu instid0(VALU_DEP_2) | instskip(SKIP_1) | instid1(VALU_DEP_2)
	v_lshlrev_b64_e32 v[6:7], 1, v[6:7]
	s_wait_alu 0xf1ff
	v_cndmask_b32_e64 v8, 0x7fc0, v8, s3
	s_wait_kmcnt 0x0
	s_delay_alu instid0(VALU_DEP_2)
	v_add_co_u32 v6, s3, s8, v6
	s_wait_alu 0xf1ff
	v_add_co_ci_u32_e64 v7, null, s9, v7, s3
	global_store_b16 v[6:7], v8, off
	s_wait_alu 0xfffe
	s_or_b32 exec_lo, exec_lo, s5
	s_and_saveexec_b32 s5, s1
	s_cbranch_execz .LBB169_52
.LBB169_81:
	v_bfe_u32 v7, v21, 16, 1
	v_add_nc_u32_e32 v6, v5, v3
	v_cmp_o_f32_e64 s3, v21, v21
	s_delay_alu instid0(VALU_DEP_3) | instskip(SKIP_1) | instid1(VALU_DEP_2)
	v_add3_u32 v8, v21, v7, 0x7fff
	v_mov_b32_e32 v7, 0
	v_lshrrev_b32_e32 v8, 16, v8
	s_delay_alu instid0(VALU_DEP_2) | instskip(SKIP_1) | instid1(VALU_DEP_2)
	v_lshlrev_b64_e32 v[6:7], 1, v[6:7]
	s_wait_alu 0xf1ff
	v_cndmask_b32_e64 v8, 0x7fc0, v8, s3
	s_wait_kmcnt 0x0
	s_delay_alu instid0(VALU_DEP_2)
	v_add_co_u32 v6, s3, s8, v6
	s_wait_alu 0xf1ff
	v_add_co_ci_u32_e64 v7, null, s9, v7, s3
	global_store_b16 v[6:7], v8, off
	s_wait_alu 0xfffe
	s_or_b32 exec_lo, exec_lo, s5
	s_and_saveexec_b32 s5, s2
	s_cbranch_execnz .LBB169_53
	s_branch .LBB169_54
.LBB169_82:
	v_bfe_u32 v7, v19, 16, 1
	s_delay_alu instid0(VALU_DEP_2) | instskip(SKIP_1) | instid1(VALU_DEP_3)
	v_add_nc_u32_e32 v6, v5, v0
	v_cmp_o_f32_e64 s3, v19, v19
	v_add3_u32 v8, v19, v7, 0x7fff
	v_mov_b32_e32 v7, 0
	s_delay_alu instid0(VALU_DEP_2) | instskip(NEXT) | instid1(VALU_DEP_2)
	v_lshrrev_b32_e32 v8, 16, v8
	v_lshlrev_b64_e32 v[6:7], 1, v[6:7]
	s_wait_alu 0xf1ff
	s_delay_alu instid0(VALU_DEP_2) | instskip(SKIP_1) | instid1(VALU_DEP_2)
	v_cndmask_b32_e64 v8, 0x7fc0, v8, s3
	s_wait_kmcnt 0x0
	v_add_co_u32 v6, s3, s8, v6
	s_wait_alu 0xf1ff
	v_add_co_ci_u32_e64 v7, null, s9, v7, s3
	global_store_b16 v[6:7], v8, off
	s_wait_alu 0xfffe
	s_or_b32 exec_lo, exec_lo, s5
	s_and_saveexec_b32 s5, s0
	s_cbranch_execz .LBB169_57
.LBB169_83:
	v_bfe_u32 v7, v18, 16, 1
	v_add_nc_u32_e32 v6, v5, v2
	v_cmp_o_f32_e64 s3, v18, v18
	s_delay_alu instid0(VALU_DEP_3) | instskip(SKIP_1) | instid1(VALU_DEP_2)
	v_add3_u32 v8, v18, v7, 0x7fff
	v_mov_b32_e32 v7, 0
	v_lshrrev_b32_e32 v8, 16, v8
	s_delay_alu instid0(VALU_DEP_2) | instskip(SKIP_1) | instid1(VALU_DEP_2)
	v_lshlrev_b64_e32 v[6:7], 1, v[6:7]
	s_wait_alu 0xf1ff
	v_cndmask_b32_e64 v8, 0x7fc0, v8, s3
	s_wait_kmcnt 0x0
	s_delay_alu instid0(VALU_DEP_2)
	v_add_co_u32 v6, s3, s8, v6
	s_wait_alu 0xf1ff
	v_add_co_ci_u32_e64 v7, null, s9, v7, s3
	global_store_b16 v[6:7], v8, off
	s_wait_alu 0xfffe
	s_or_b32 exec_lo, exec_lo, s5
	s_and_saveexec_b32 s5, s1
	s_cbranch_execz .LBB169_58
.LBB169_84:
	v_bfe_u32 v7, v17, 16, 1
	v_add_nc_u32_e32 v6, v5, v3
	v_cmp_o_f32_e64 s3, v17, v17
	s_delay_alu instid0(VALU_DEP_3) | instskip(SKIP_1) | instid1(VALU_DEP_2)
	v_add3_u32 v8, v17, v7, 0x7fff
	v_mov_b32_e32 v7, 0
	v_lshrrev_b32_e32 v8, 16, v8
	s_delay_alu instid0(VALU_DEP_2) | instskip(SKIP_1) | instid1(VALU_DEP_2)
	v_lshlrev_b64_e32 v[6:7], 1, v[6:7]
	s_wait_alu 0xf1ff
	v_cndmask_b32_e64 v8, 0x7fc0, v8, s3
	s_wait_kmcnt 0x0
	s_delay_alu instid0(VALU_DEP_2)
	v_add_co_u32 v6, s3, s8, v6
	s_wait_alu 0xf1ff
	v_add_co_ci_u32_e64 v7, null, s9, v7, s3
	global_store_b16 v[6:7], v8, off
	s_wait_alu 0xfffe
	s_or_b32 exec_lo, exec_lo, s5
	s_and_saveexec_b32 s5, s2
	s_cbranch_execnz .LBB169_59
	s_branch .LBB169_60
.LBB169_85:
	v_bfe_u32 v6, v15, 16, 1
	s_delay_alu instid0(VALU_DEP_2) | instskip(SKIP_1) | instid1(VALU_DEP_3)
	v_add_nc_u32_e32 v5, v1, v0
	v_cmp_o_f32_e32 vcc_lo, v15, v15
	v_add3_u32 v0, v15, v6, 0x7fff
	v_mov_b32_e32 v6, 0
	s_delay_alu instid0(VALU_DEP_2) | instskip(NEXT) | instid1(VALU_DEP_2)
	v_lshrrev_b32_e32 v0, 16, v0
	v_lshlrev_b64_e32 v[5:6], 1, v[5:6]
	s_wait_alu 0xfffd
	s_delay_alu instid0(VALU_DEP_2) | instskip(SKIP_1) | instid1(VALU_DEP_2)
	v_cndmask_b32_e32 v0, 0x7fc0, v0, vcc_lo
	s_wait_kmcnt 0x0
	v_add_co_u32 v5, vcc_lo, s8, v5
	s_wait_alu 0xfffd
	v_add_co_ci_u32_e64 v6, null, s9, v6, vcc_lo
	global_store_b16 v[5:6], v0, off
	s_wait_alu 0xfffe
	s_or_b32 exec_lo, exec_lo, s3
	s_and_saveexec_b32 s3, s0
	s_cbranch_execz .LBB169_63
.LBB169_86:
	v_bfe_u32 v0, v14, 16, 1
	v_dual_mov_b32 v6, 0 :: v_dual_add_nc_u32 v5, v1, v2
	v_cmp_o_f32_e32 vcc_lo, v14, v14
	s_delay_alu instid0(VALU_DEP_3) | instskip(NEXT) | instid1(VALU_DEP_3)
	v_add3_u32 v0, v14, v0, 0x7fff
	v_lshlrev_b64_e32 v[5:6], 1, v[5:6]
	s_delay_alu instid0(VALU_DEP_2) | instskip(SKIP_1) | instid1(VALU_DEP_1)
	v_lshrrev_b32_e32 v0, 16, v0
	s_wait_alu 0xfffd
	v_cndmask_b32_e32 v0, 0x7fc0, v0, vcc_lo
	s_wait_kmcnt 0x0
	s_delay_alu instid0(VALU_DEP_3)
	v_add_co_u32 v5, vcc_lo, s8, v5
	s_wait_alu 0xfffd
	v_add_co_ci_u32_e64 v6, null, s9, v6, vcc_lo
	global_store_b16 v[5:6], v0, off
	s_wait_alu 0xfffe
	s_or_b32 exec_lo, exec_lo, s3
	s_and_saveexec_b32 s0, s1
	s_cbranch_execz .LBB169_64
.LBB169_87:
	v_bfe_u32 v0, v13, 16, 1
	v_dual_mov_b32 v3, 0 :: v_dual_add_nc_u32 v2, v1, v3
	v_cmp_o_f32_e32 vcc_lo, v13, v13
	s_delay_alu instid0(VALU_DEP_3) | instskip(NEXT) | instid1(VALU_DEP_3)
	v_add3_u32 v0, v13, v0, 0x7fff
	v_lshlrev_b64_e32 v[2:3], 1, v[2:3]
	s_delay_alu instid0(VALU_DEP_2) | instskip(SKIP_1) | instid1(VALU_DEP_1)
	v_lshrrev_b32_e32 v0, 16, v0
	s_wait_alu 0xfffd
	v_cndmask_b32_e32 v0, 0x7fc0, v0, vcc_lo
	s_wait_kmcnt 0x0
	s_delay_alu instid0(VALU_DEP_3)
	v_add_co_u32 v2, vcc_lo, s8, v2
	s_wait_alu 0xfffd
	v_add_co_ci_u32_e64 v3, null, s9, v3, vcc_lo
	global_store_b16 v[2:3], v0, off
	s_wait_alu 0xfffe
	s_or_b32 exec_lo, exec_lo, s0
	s_delay_alu instid0(SALU_CYCLE_1)
	s_and_b32 exec_lo, exec_lo, s2
	s_cbranch_execnz .LBB169_65
	s_branch .LBB169_66
	.section	.rodata,"a",@progbits
	.p2align	6, 0x0
	.amdhsa_kernel _ZL12mul_mat_q3_KIN3c108BFloat16ELb0EEvPKvS3_PT_iiiii
		.amdhsa_group_segment_fixed_size 39840
		.amdhsa_private_segment_fixed_size 256
		.amdhsa_kernarg_size 44
		.amdhsa_user_sgpr_count 2
		.amdhsa_user_sgpr_dispatch_ptr 0
		.amdhsa_user_sgpr_queue_ptr 0
		.amdhsa_user_sgpr_kernarg_segment_ptr 1
		.amdhsa_user_sgpr_dispatch_id 0
		.amdhsa_user_sgpr_private_segment_size 0
		.amdhsa_wavefront_size32 1
		.amdhsa_uses_dynamic_stack 0
		.amdhsa_enable_private_segment 1
		.amdhsa_system_sgpr_workgroup_id_x 1
		.amdhsa_system_sgpr_workgroup_id_y 1
		.amdhsa_system_sgpr_workgroup_id_z 0
		.amdhsa_system_sgpr_workgroup_info 0
		.amdhsa_system_vgpr_workitem_id 1
		.amdhsa_next_free_vgpr 256
		.amdhsa_next_free_sgpr 25
		.amdhsa_reserve_vcc 1
		.amdhsa_float_round_mode_32 0
		.amdhsa_float_round_mode_16_64 0
		.amdhsa_float_denorm_mode_32 3
		.amdhsa_float_denorm_mode_16_64 3
		.amdhsa_fp16_overflow 0
		.amdhsa_workgroup_processor_mode 1
		.amdhsa_memory_ordered 1
		.amdhsa_forward_progress 1
		.amdhsa_inst_pref_size 255
		.amdhsa_round_robin_scheduling 0
		.amdhsa_exception_fp_ieee_invalid_op 0
		.amdhsa_exception_fp_denorm_src 0
		.amdhsa_exception_fp_ieee_div_zero 0
		.amdhsa_exception_fp_ieee_overflow 0
		.amdhsa_exception_fp_ieee_underflow 0
		.amdhsa_exception_fp_ieee_inexact 0
		.amdhsa_exception_int_div_zero 0
	.end_amdhsa_kernel
	.section	.text._ZL12mul_mat_q3_KIN3c108BFloat16ELb0EEvPKvS3_PT_iiiii,"axG",@progbits,_ZL12mul_mat_q3_KIN3c108BFloat16ELb0EEvPKvS3_PT_iiiii,comdat
.Lfunc_end169:
	.size	_ZL12mul_mat_q3_KIN3c108BFloat16ELb0EEvPKvS3_PT_iiiii, .Lfunc_end169-_ZL12mul_mat_q3_KIN3c108BFloat16ELb0EEvPKvS3_PT_iiiii
                                        ; -- End function
	.set _ZL12mul_mat_q3_KIN3c108BFloat16ELb0EEvPKvS3_PT_iiiii.num_vgpr, 256
	.set _ZL12mul_mat_q3_KIN3c108BFloat16ELb0EEvPKvS3_PT_iiiii.num_agpr, 0
	.set _ZL12mul_mat_q3_KIN3c108BFloat16ELb0EEvPKvS3_PT_iiiii.numbered_sgpr, 25
	.set _ZL12mul_mat_q3_KIN3c108BFloat16ELb0EEvPKvS3_PT_iiiii.num_named_barrier, 0
	.set _ZL12mul_mat_q3_KIN3c108BFloat16ELb0EEvPKvS3_PT_iiiii.private_seg_size, 256
	.set _ZL12mul_mat_q3_KIN3c108BFloat16ELb0EEvPKvS3_PT_iiiii.uses_vcc, 1
	.set _ZL12mul_mat_q3_KIN3c108BFloat16ELb0EEvPKvS3_PT_iiiii.uses_flat_scratch, 1
	.set _ZL12mul_mat_q3_KIN3c108BFloat16ELb0EEvPKvS3_PT_iiiii.has_dyn_sized_stack, 0
	.set _ZL12mul_mat_q3_KIN3c108BFloat16ELb0EEvPKvS3_PT_iiiii.has_recursion, 0
	.set _ZL12mul_mat_q3_KIN3c108BFloat16ELb0EEvPKvS3_PT_iiiii.has_indirect_call, 0
	.section	.AMDGPU.csdata,"",@progbits
; Kernel info:
; codeLenInByte = 45552
; TotalNumSgprs: 27
; NumVgprs: 256
; ScratchSize: 256
; MemoryBound: 0
; FloatMode: 240
; IeeeMode: 1
; LDSByteSize: 39840 bytes/workgroup (compile time only)
; SGPRBlocks: 0
; VGPRBlocks: 31
; NumSGPRsForWavesPerEU: 27
; NumVGPRsForWavesPerEU: 256
; Occupancy: 5
; WaveLimiterHint : 0
; COMPUTE_PGM_RSRC2:SCRATCH_EN: 1
; COMPUTE_PGM_RSRC2:USER_SGPR: 2
; COMPUTE_PGM_RSRC2:TRAP_HANDLER: 0
; COMPUTE_PGM_RSRC2:TGID_X_EN: 1
; COMPUTE_PGM_RSRC2:TGID_Y_EN: 1
; COMPUTE_PGM_RSRC2:TGID_Z_EN: 0
; COMPUTE_PGM_RSRC2:TIDIG_COMP_CNT: 1
	.section	.text._ZL12mul_mat_q3_KIN3c108BFloat16ELb1EEvPKvS3_PT_iiiii,"axG",@progbits,_ZL12mul_mat_q3_KIN3c108BFloat16ELb1EEvPKvS3_PT_iiiii,comdat
	.globl	_ZL12mul_mat_q3_KIN3c108BFloat16ELb1EEvPKvS3_PT_iiiii ; -- Begin function _ZL12mul_mat_q3_KIN3c108BFloat16ELb1EEvPKvS3_PT_iiiii
	.p2align	8
	.type	_ZL12mul_mat_q3_KIN3c108BFloat16ELb1EEvPKvS3_PT_iiiii,@function
_ZL12mul_mat_q3_KIN3c108BFloat16ELb1EEvPKvS3_PT_iiiii: ; @_ZL12mul_mat_q3_KIN3c108BFloat16ELb1EEvPKvS3_PT_iiiii
; %bb.0:
	s_clause 0x1
	s_load_b128 s[4:7], s[0:1], 0x18
	s_load_b32 s12, s[0:1], 0x28
	v_bfe_u32 v39, v0, 10, 10
	v_and_b32_e32 v104, 0x3ff, v0
	s_lshl_b32 s13, ttmp7, 6
	s_wait_kmcnt 0x0
	s_cmp_gt_i32 s4, 0xff
	s_cbranch_scc1 .LBB170_2
; %bb.1:
	v_bfe_u32 v1, v0, 10, 10
	v_and_b32_e32 v2, 0x3ff, v0
	s_mov_b32 s2, 0
	s_delay_alu instid0(VALU_DEP_2)
	v_add_nc_u32_e32 v3, s13, v1
	s_branch .LBB170_3
.LBB170_2:
	s_mov_b32 s2, -1
                                        ; implicit-def: $vgpr1
                                        ; implicit-def: $vgpr2
                                        ; implicit-def: $vgpr3
.LBB170_3:
	s_load_b64 s[8:9], s[0:1], 0x10
	v_dual_mov_b32 v27, 0 :: v_dual_mov_b32 v42, 0
	v_dual_mov_b32 v31, 0 :: v_dual_mov_b32 v50, 0
	;; [unrolled: 1-line block ×16, first 2 shown]
	s_and_not1_b32 vcc_lo, exec_lo, s2
	s_lshl_b32 s14, ttmp9, 7
	s_cbranch_vccnz .LBB170_15
; %bb.4:
	s_not_b32 s16, s14
	s_ashr_i32 s10, s4, 31
	s_add_co_i32 s5, s5, s16
	s_lshr_b32 s10, s10, 24
	v_min_i32_e32 v3, s5, v39
	s_add_co_i32 s4, s4, s10
	v_dual_mov_b32 v80, 0 :: v_dual_and_b32 v5, 15, v0
	s_wait_alu 0xfffe
	s_ashr_i32 s15, s4, 8
	v_dual_mov_b32 v41, 0 :: v_dual_lshlrev_b32 v4, 2, v104
	v_mul_lo_u32 v2, v3, s15
	v_dual_mov_b32 v62, 0 :: v_dual_add_nc_u32 v1, 8, v39
	v_bfe_u32 v46, v0, 4, 6
	s_delay_alu instid0(VALU_DEP_4) | instskip(NEXT) | instid1(VALU_DEP_3)
	v_mad_co_u64_u32 v[7:8], null, 0x84, v3, v[4:5]
	v_min_i32_e32 v6, s5, v1
	v_mov_b32_e32 v85, 0
	scratch_store_b32 off, v2, off offset:44 ; 4-byte Folded Spill
	v_add_nc_u32_e32 v2, 16, v39
	v_lshl_add_u32 v19, v39, 1, v46
	v_mul_lo_u32 v3, v6, s15
	scratch_store_b64 off, v[7:8], off offset:48 ; 8-byte Folded Spill
	v_mad_co_u64_u32 v[8:9], null, 0x84, v6, v[4:5]
	v_min_i32_e32 v7, s5, v2
	v_add_nc_u32_e32 v20, 0x60, v19
	v_add_nc_u32_e32 v24, 32, v39
	;; [unrolled: 1-line block ×3, first 2 shown]
	scratch_store_b32 off, v3, off offset:56 ; 4-byte Folded Spill
	v_mul_lo_u32 v6, v7, s15
	v_add_nc_u32_e32 v3, 24, v39
	scratch_store_b64 off, v[8:9], off offset:60 ; 8-byte Folded Spill
	v_mad_co_u64_u32 v[7:8], null, 0x84, v7, v[4:5]
	v_min_i32_e32 v44, s5, v20
	v_add_nc_u32_e32 v25, 40, v39
	v_dual_mov_b32 v77, 0 :: v_dual_add_nc_u32 v26, 48, v39
	scratch_store_b32 off, v6, off offset:68 ; 4-byte Folded Spill
	v_min_i32_e32 v6, s5, v3
	v_mul_lo_u32 v51, v44, s15
	scratch_store_b64 off, v[7:8], off offset:72 ; 8-byte Folded Spill
	v_min_i32_e32 v7, s5, v24
	v_dual_mov_b32 v98, 0 :: v_dual_add_nc_u32 v27, 56, v39
	v_mul_lo_u32 v8, v6, s15
	v_bfe_u32 v59, v0, 1, 9
	v_cmp_lt_u32_e32 vcc_lo, 7, v5
	v_lshlrev_b32_e32 v47, 2, v5
	s_ashr_i32 s11, s7, 31
	v_add_nc_u32_e32 v15, 32, v43
	s_lshr_b32 s4, s11, 27
	v_add_nc_u32_e32 v17, 40, v43
	s_clause 0x1
	scratch_store_b32 off, v8, off offset:80
	scratch_store_b32 off, v43, off offset:376
	v_mad_co_u64_u32 v[8:9], null, 0x84, v6, v[4:5]
	v_mul_lo_u32 v6, v7, s15
	s_wait_alu 0xfffe
	s_add_co_i32 s4, s7, s4
	s_add_co_i32 s7, s6, -1
	v_cvt_f64_u32_e32 v[15:16], v15
	v_cvt_f64_u32_e32 v[17:18], v17
	v_add_nc_u32_e32 v22, 48, v43
	scratch_store_b64 off, v[8:9], off offset:84 ; 8-byte Folded Spill
	v_mad_co_u64_u32 v[7:8], null, 0x84, v7, v[4:5]
	scratch_store_b32 off, v6, off offset:92 ; 4-byte Folded Spill
	v_min_i32_e32 v6, s5, v25
	v_add_nc_u32_e32 v45, 0x70, v19
	scratch_store_b32 off, v51, off offset:276 ; 4-byte Folded Spill
	s_wait_alu 0xfffe
	s_ashr_i32 s4, s4, 5
	v_lshlrev_b32_e32 v116, 5, v1
	scratch_store_b64 off, v[7:8], off offset:96 ; 8-byte Folded Spill
	v_mul_lo_u32 v7, v6, s15
	v_mad_co_u64_u32 v[8:9], null, 0x84, v6, v[4:5]
	v_min_i32_e32 v6, s5, v27
	s_load_b128 s[0:3], s[0:1], 0x0
	s_mul_i32 s10, s15, s14
	v_lshlrev_b32_e32 v92, 1, v104
	s_ashr_i32 s11, s10, 31
	s_clause 0x1
	scratch_store_b32 off, v7, off offset:104
	scratch_store_b64 off, v[8:9], off offset:108
	v_min_i32_e32 v7, s5, v26
	v_add_nc_u32_e32 v8, 64, v39
	v_lshlrev_b32_e32 v111, 5, v39
	v_lshlrev_b32_e32 v117, 5, v2
	;; [unrolled: 1-line block ×3, first 2 shown]
	v_mul_lo_u32 v9, v7, s15
	v_lshlrev_b32_e32 v122, 5, v27
	v_mul_u32_u24_e32 v123, 0x84, v104
	v_lshlrev_b32_e32 v124, 6, v104
	s_mul_u64 s[10:11], s[10:11], 0x6e
	v_dual_mov_b32 v84, 0 :: v_dual_mov_b32 v91, 0
	v_mov_b32_e32 v83, 0
	scratch_store_b32 off, v9, off offset:116 ; 4-byte Folded Spill
	v_mad_co_u64_u32 v[9:10], null, 0x84, v7, v[4:5]
	v_mul_lo_u32 v7, v6, s15
	s_wait_kmcnt 0x0
	s_add_nc_u64 s[0:1], s[0:1], s[10:11]
	v_mov_b32_e32 v73, 0
	v_dual_mov_b32 v69, 0 :: v_dual_mov_b32 v58, 0
	v_mov_b32_e32 v86, 0
	scratch_store_b64 off, v[9:10], off offset:120 ; 8-byte Folded Spill
	v_mad_co_u64_u32 v[9:10], null, 0x84, v6, v[4:5]
	scratch_store_b32 off, v7, off offset:128 ; 4-byte Folded Spill
	v_min_i32_e32 v7, s5, v8
	v_add_nc_u32_e32 v8, 0x48, v39
	v_mov_b32_e32 v82, 0
	s_delay_alu instid0(VALU_DEP_3)
	v_mul_lo_u32 v6, v7, s15
	scratch_store_b64 off, v[9:10], off offset:132 ; 8-byte Folded Spill
	v_mad_co_u64_u32 v[10:11], null, 0x84, v7, v[4:5]
	v_lshl_add_u32 v9, v39, 4, v59
	scratch_store_b32 off, v6, off offset:140 ; 4-byte Folded Spill
	v_min_i32_e32 v6, s5, v8
	v_add_nc_u32_e32 v8, 0x50, v39
	v_and_b32_e32 v9, 0x7f, v9
	s_delay_alu instid0(VALU_DEP_3)
	v_mul_lo_u32 v7, v6, s15
	scratch_store_b64 off, v[10:11], off offset:144 ; 8-byte Folded Spill
	v_mad_co_u64_u32 v[10:11], null, 0x84, v6, v[4:5]
	v_min_i32_e32 v9, s5, v9
	scratch_store_b32 off, v7, off offset:152 ; 4-byte Folded Spill
	v_min_i32_e32 v7, s5, v8
	v_add_nc_u32_e32 v8, 0x58, v39
	v_lshlrev_b32_e32 v29, 3, v9
	s_delay_alu instid0(VALU_DEP_3)
	v_mul_lo_u32 v6, v7, s15
	scratch_store_b64 off, v[10:11], off offset:156 ; 8-byte Folded Spill
	v_mad_co_u64_u32 v[10:11], null, 0x84, v7, v[4:5]
	scratch_store_b32 off, v6, off offset:164 ; 4-byte Folded Spill
	v_min_i32_e32 v6, s5, v8
	v_add_nc_u32_e32 v8, 0x60, v39
	s_delay_alu instid0(VALU_DEP_2)
	v_mul_lo_u32 v7, v6, s15
	scratch_store_b64 off, v[10:11], off offset:168 ; 8-byte Folded Spill
	v_mad_co_u64_u32 v[11:12], null, 0x84, v6, v[4:5]
	v_ashrrev_i32_e32 v10, 31, v9
	scratch_store_b32 off, v7, off offset:176 ; 4-byte Folded Spill
	v_min_i32_e32 v7, s5, v8
	v_add_nc_u32_e32 v8, 0x68, v39
	v_lshrrev_b32_e32 v10, 28, v10
	s_delay_alu instid0(VALU_DEP_3)
	v_mul_lo_u32 v6, v7, s15
	scratch_store_b64 off, v[11:12], off offset:180 ; 8-byte Folded Spill
	v_mad_co_u64_u32 v[11:12], null, 0x84, v7, v[4:5]
	v_add_nc_u32_e32 v10, v9, v10
	scratch_store_b32 off, v6, off offset:188 ; 4-byte Folded Spill
	v_min_i32_e32 v6, s5, v8
	v_add_nc_u32_e32 v8, 0x70, v39
	s_delay_alu instid0(VALU_DEP_2)
	v_mul_lo_u32 v7, v6, s15
	scratch_store_b64 off, v[11:12], off offset:192 ; 8-byte Folded Spill
	v_mad_co_u64_u32 v[11:12], null, 0x84, v6, v[4:5]
	scratch_store_b32 off, v7, off offset:200 ; 4-byte Folded Spill
	v_min_i32_e32 v7, s5, v8
	v_add_nc_u32_e32 v8, 0x78, v39
	s_delay_alu instid0(VALU_DEP_2)
	v_mul_lo_u32 v6, v7, s15
	scratch_store_b64 off, v[11:12], off offset:204 ; 8-byte Folded Spill
	v_mad_co_u64_u32 v[12:13], null, 0x84, v7, v[4:5]
	v_and_b32_e32 v11, 1, v0
	scratch_store_b32 off, v6, off offset:212 ; 4-byte Folded Spill
	v_min_i32_e32 v6, s5, v8
	v_ashrrev_i32_e32 v8, 4, v10
	scratch_store_b32 off, v11, off offset:216 ; 4-byte Folded Spill
	v_min_i32_e32 v10, s5, v19
	v_mul_lo_u32 v7, v6, s15
	scratch_store_b64 off, v[12:13], off offset:220 ; 8-byte Folded Spill
	v_add_nc_u32_e32 v13, 24, v43
	v_lshlrev_b32_e32 v32, 6, v10
	s_delay_alu instid0(VALU_DEP_2)
	v_cvt_f64_u32_e32 v[13:14], v13
	scratch_store_b32 off, v7, off offset:228 ; 4-byte Folded Spill
	v_lshlrev_b32_e32 v7, 2, v8
	v_lshlrev_b32_e32 v8, 2, v11
	v_mad_co_u64_u32 v[11:12], null, 0x84, v6, v[4:5]
	v_mul_lo_u32 v6, v9, s15
	v_cndmask_b32_e64 v5, 0, 1, vcc_lo
	s_delay_alu instid0(VALU_DEP_4)
	v_add3_u32 v28, v7, v8, 0x9380
	v_add_nc_u32_e32 v8, 32, v19
	v_add_nc_u32_e32 v9, 48, v19
	v_and_b32_e32 v4, 28, v4
	scratch_store_b64 off, v[11:12], off offset:232 ; 8-byte Folded Spill
	v_lshrrev_b32_e32 v11, 31, v10
	scratch_store_b32 off, v6, off offset:240 ; 4-byte Folded Spill
	v_add_nc_u32_e32 v6, 16, v19
	v_min_i32_e32 v8, s5, v8
	v_add_lshl_u32 v7, v10, v11, 1
	v_mul_lo_u32 v11, v10, s15
	s_delay_alu instid0(VALU_DEP_4)
	v_min_i32_e32 v6, s5, v6
	scratch_store_b32 off, v5, off offset:244 ; 4-byte Folded Spill
	v_lshlrev_b32_e32 v36, 6, v8
	v_and_b32_e32 v7, -4, v7
	v_lshrrev_b32_e32 v5, 31, v6
	v_mul_lo_u32 v10, v6, s15
	scratch_store_b32 off, v11, off offset:252 ; 4-byte Folded Spill
	v_lshrrev_b32_e32 v11, 31, v8
	v_add3_u32 v31, v7, v47, 0x4200
	v_add_lshl_u32 v5, v6, v5, 1
	v_min_i32_e32 v7, s5, v9
	v_lshlrev_b32_e32 v34, 6, v6
	v_add_lshl_u32 v9, v8, v11, 1
	v_add_nc_u32_e32 v11, 16, v43
	v_and_b32_e32 v5, -4, v5
	v_lshlrev_b32_e32 v40, 6, v7
	s_delay_alu instid0(VALU_DEP_4) | instskip(NEXT) | instid1(VALU_DEP_4)
	v_and_b32_e32 v9, -4, v9
	v_cvt_f64_u32_e32 v[11:12], v11
	s_delay_alu instid0(VALU_DEP_4) | instskip(SKIP_1) | instid1(VALU_DEP_4)
	v_add3_u32 v33, v5, v47, 0x4200
	v_add_nc_u32_e32 v5, 64, v19
	v_add3_u32 v35, v9, v47, 0x4200
	v_mul_lo_u32 v9, v7, s15
	scratch_store_b32 off, v10, off offset:256 ; 4-byte Folded Spill
	v_lshrrev_b32_e32 v10, 31, v7
	v_min_i32_e32 v23, s5, v5
	v_add_nc_u32_e32 v5, 0x50, v19
	v_cvt_f64_u32_e32 v[19:20], v22
	s_delay_alu instid0(VALU_DEP_4)
	v_add_lshl_u32 v6, v7, v10, 1
	v_mul_lo_u32 v10, v8, s15
	v_lshrrev_b32_e32 v8, 31, v23
	v_min_i32_e32 v37, s5, v5
	v_mul_lo_u32 v49, v23, s15
	v_and_b32_e32 v6, -4, v6
	v_lshlrev_b32_e32 v50, 6, v23
	v_add_lshl_u32 v21, v23, v8, 1
	v_mul_lo_u32 v23, v37, s15
	scratch_store_b32 off, v9, off offset:264 ; 4-byte Folded Spill
	v_add_nc_u32_e32 v9, 8, v43
	s_clause 0x1
	scratch_store_b32 off, v10, off offset:260
	scratch_store_b32 off, v49, off offset:268
	v_add3_u32 v38, v6, v47, 0x4200
	v_cvt_f64_i32_e32 v[5:6], s7
	v_cvt_f64_u32_e32 v[9:10], v9
	v_cvt_f64_u32_e32 v[7:8], v43
	v_add_nc_u32_e32 v43, 56, v43
	v_and_b32_e32 v48, -4, v21
	scratch_store_b32 off, v23, off offset:272 ; 4-byte Folded Spill
	v_lshrrev_b32_e32 v42, 31, v37
	v_cvt_f64_u32_e32 v[21:22], v43
	v_min_i32_e32 v43, s5, v45
	v_lshrrev_b32_e32 v45, 31, v44
	s_delay_alu instid0(VALU_DEP_4)
	v_add_lshl_u32 v42, v37, v42, 1
	v_add3_u32 v48, v48, v47, 0x4200
	v_lshlrev_b32_e32 v37, 6, v37
	v_lshrrev_b32_e32 v49, 31, v43
	v_mul_lo_u32 v51, v43, s15
	s_clause 0x1
	scratch_store_b32 off, v51, off offset:280
	scratch_store_b32 off, v47, off offset:40
	v_add_lshl_u32 v23, v43, v49, 1
	v_add_lshl_u32 v45, v44, v45, 1
	v_bfe_u32 v49, v0, 3, 7
	v_and_b32_e32 v42, -4, v42
	v_lshlrev_b32_e32 v44, 6, v44
	v_and_b32_e32 v23, -4, v23
	v_and_b32_e32 v45, -4, v45
	v_lshl_add_u32 v49, v39, 2, v49
	v_add3_u32 v42, v42, v47, 0x4200
	v_lshlrev_b32_e32 v43, 6, v43
	v_add3_u32 v51, v23, v47, 0x4200
	v_and_b32_e32 v23, 3, v0
	v_add3_u32 v45, v45, v47, 0x4200
	v_min_i32_e32 v52, s5, v49
	v_min_num_f64_e32 v[13:14], v[13:14], v[5:6]
	v_min_num_f64_e32 v[9:10], v[9:10], v[5:6]
	;; [unrolled: 1-line block ×4, first 2 shown]
	v_add_nc_u16 v53, v23, -2
	v_cmp_gt_u32_e32 vcc_lo, 2, v23
	v_min_num_f64_e32 v[19:20], v[19:20], v[5:6]
	v_and_b32_e32 v30, 7, v0
	v_min_num_f64_e32 v[7:8], v[7:8], v[5:6]
	v_min_num_f64_e32 v[11:12], v[11:12], v[5:6]
	s_wait_alu 0xfffd
	v_cndmask_b32_e32 v53, v53, v23, vcc_lo
	v_min_num_f64_e32 v[5:6], v[21:22], v[5:6]
	v_cmp_lt_u32_e32 vcc_lo, 3, v30
	v_lshlrev_b32_e32 v55, 2, v30
	v_lshlrev_b32_e32 v47, 1, v23
	v_and_b32_e32 v22, 0xff, v53
	v_add_nc_u32_e32 v53, 32, v49
	s_wait_alu 0xfffd
	v_cndmask_b32_e64 v30, 0, 1, vcc_lo
	v_ashrrev_i32_e32 v54, 31, v52
	v_lshlrev_b32_e32 v22, 2, v22
	scratch_store_b32 off, v30, off offset:284 ; 4-byte Folded Spill
	v_min_i32_e32 v30, s5, v53
	v_lshrrev_b32_e32 v21, 30, v54
	scratch_store_b32 off, v22, off offset:288 ; 4-byte Folded Spill
	v_add_nc_u32_e32 v22, 64, v49
	v_add_nc_u32_e32 v49, 0x60, v49
	v_ashrrev_i32_e32 v53, 31, v30
	v_add_nc_u32_e32 v21, v52, v21
	s_delay_alu instid0(VALU_DEP_4) | instskip(NEXT) | instid1(VALU_DEP_4)
	v_min_i32_e32 v22, s5, v22
	v_min_i32_e32 v49, s5, v49
	s_delay_alu instid0(VALU_DEP_4) | instskip(NEXT) | instid1(VALU_DEP_4)
	v_lshrrev_b32_e32 v53, 30, v53
	v_and_b32_e32 v21, -4, v21
	s_mov_b32 s5, 0
	v_ashrrev_i32_e32 v54, 31, v22
	v_cvt_i32_f64_e32 v13, v[13:14]
	v_cvt_i32_f64_e32 v9, v[9:10]
	;; [unrolled: 1-line block ×4, first 2 shown]
	v_mul_lo_u32 v18, v22, s15
	scratch_store_b32 off, v47, off offset:292 ; 4-byte Folded Spill
	v_mul_lo_u32 v47, v52, s15
	v_cvt_i32_f64_e32 v17, v[19:20]
	v_mul_lo_u32 v19, v49, s15
	v_cvt_i32_f64_e32 v11, v[11:12]
	v_add_nc_u32_e32 v53, v30, v53
	v_cvt_i32_f64_e32 v5, v[5:6]
	scratch_store_b32 off, v18, off offset:304 ; 4-byte Folded Spill
	v_cvt_i32_f64_e32 v7, v[7:8]
	scratch_store_b32 off, v47, off offset:296 ; 4-byte Folded Spill
	v_mul_lo_u32 v47, v30, s15
	v_lshrrev_b32_e32 v8, 30, v54
	v_ashrrev_i32_e32 v10, 31, v49
	v_lshlrev_b32_e32 v52, 5, v52
	v_and_b32_e32 v12, -4, v53
	v_bfe_u32 v16, v0, 2, 8
	v_add_nc_u32_e32 v8, v22, v8
	v_lshrrev_b32_e32 v10, 30, v10
	s_clause 0x2
	scratch_store_b32 off, v47, off offset:300
	scratch_store_b32 off, v19, off offset:308
	scratch_store_b32 off, v55, off offset:248
	v_lshlrev_b32_e32 v18, 5, v22
	v_and_b32_e32 v8, -4, v8
	v_add_nc_u32_e32 v6, v49, v10
	v_lshl_add_u32 v10, v39, 3, v16
	v_lshlrev_b32_e32 v16, 5, v30
	v_lshlrev_b32_e32 v20, 2, v23
	v_and_b32_e32 v22, 31, v0
	v_and_b32_e32 v6, -4, v6
	v_and_b32_e32 v10, 63, v10
	v_lshlrev_b32_e32 v30, 5, v49
	v_and_b32_e32 v0, 0xfc, v0
	v_add_nc_u32_e32 v49, 64, v104
	scratch_store_b32 off, v104, off offset:36 ; 4-byte Folded Spill
	v_or_b32_e32 v19, s13, v10
	v_mul_lo_u32 v107, s4, v9
	v_lshlrev_b32_e32 v9, 7, v1
	v_add_nc_u32_e32 v1, v28, v29
	v_lshl_or_b32 v10, v10, 4, v20
	v_lshl_or_b32 v20, v22, 2, 0x6300
	v_min_i32_e32 v19, s7, v19
	v_mul_lo_u32 v145, s4, v15
	scratch_store_b32 off, v1, off offset:320 ; 4-byte Folded Spill
	v_dual_mov_b32 v32, 0 :: v_dual_add_nc_u32 v1, v31, v32
	v_add3_u32 v21, v21, v55, 0x8300
	v_add3_u32 v12, v12, v55, 0x8300
	;; [unrolled: 1-line block ×3, first 2 shown]
	scratch_store_b32 off, v1, off offset:324 ; 4-byte Folded Spill
	v_add_nc_u32_e32 v1, v33, v34
	v_add3_u32 v6, v6, v55, 0x8300
	v_mul_lo_u32 v15, s4, v17
	v_mul_lo_u32 v5, s4, v5
	v_add_nc_u32_e32 v105, 0x97a0, v10
	scratch_store_b32 off, v1, off offset:328 ; 4-byte Folded Spill
	v_add_nc_u32_e32 v1, v35, v36
	v_lshlrev_b32_e32 v10, 7, v2
	v_mul_lo_u32 v108, s4, v11
	v_dual_mov_b32 v34, 0 :: v_dual_lshlrev_b32 v11, 7, v3
	scratch_store_b32 off, v1, off offset:332 ; 4-byte Folded Spill
	v_add_nc_u32_e32 v1, v38, v40
	scratch_store_b32 off, v15, off         ; 4-byte Folded Spill
	v_mul_lo_u32 v109, s4, v13
	v_mul_lo_u32 v110, s4, v14
	v_mul_lo_u32 v106, s4, v7
	scratch_store_b32 off, v1, off offset:336 ; 4-byte Folded Spill
	v_add_nc_u32_e32 v1, v48, v50
	v_lshlrev_b32_e32 v7, 7, v39
	v_lshlrev_b32_e32 v15, 7, v26
	;; [unrolled: 1-line block ×3, first 2 shown]
	v_lshrrev_b32_e32 v56, 1, v49
	scratch_store_b32 off, v1, off offset:340 ; 4-byte Folded Spill
	v_add_nc_u32_e32 v1, v42, v37
	v_lshlrev_b32_e32 v118, 5, v3
	v_lshlrev_b32_e32 v127, 6, v49
	;; [unrolled: 1-line block ×3, first 2 shown]
	v_add_nc_u32_e32 v158, v20, v17
	scratch_store_b32 off, v1, off offset:344 ; 4-byte Folded Spill
	v_add_nc_u32_e32 v1, v45, v44
	v_mov_b32_e32 v45, 0
	v_mad_co_u64_u32 v[22:23], null, v19, s4, v[23:24]
	v_lshlrev_b32_e32 v19, 5, v104
	scratch_store_b32 off, v1, off offset:348 ; 4-byte Folded Spill
	v_add_nc_u32_e32 v1, v51, v43
	v_lshlrev_b32_e32 v13, 7, v24
	v_lshlrev_b32_e32 v119, 5, v24
	v_add3_u32 v112, v19, v0, 0x8300
	v_add_nc_u32_e32 v19, 0x60, v104
	scratch_store_b32 off, v1, off offset:352 ; 4-byte Folded Spill
	v_add_nc_u32_e32 v1, v21, v52
	v_lshlrev_b32_e32 v154, 2, v56
	v_mov_b32_e32 v40, 0
	v_lshlrev_b32_e32 v54, 5, v19
	v_and_b32_e32 v55, 0x1fc, v19
	scratch_store_b32 off, v1, off offset:356 ; 4-byte Folded Spill
	v_add_nc_u32_e32 v1, v12, v16
	v_lshlrev_b32_e32 v129, 6, v19
	v_lshlrev_b32_e32 v130, 3, v19
	v_add3_u32 v115, v54, v55, 0x8300
	v_lshrrev_b32_e32 v54, 4, v19
	scratch_store_b32 off, v1, off offset:360 ; 4-byte Folded Spill
	v_dual_mov_b32 v44, 0 :: v_dual_add_nc_u32 v1, v8, v18
	v_mov_b32_e32 v37, 0
	v_lshlrev_b32_e32 v157, 2, v54
	v_mov_b32_e32 v33, 0
	scratch_store_b32 off, v1, off offset:364 ; 4-byte Folded Spill
	v_dual_mov_b32 v30, 0 :: v_dual_add_nc_u32 v1, v6, v30
	v_lshlrev_b32_e32 v14, 7, v25
	v_lshlrev_b32_e32 v120, 5, v25
	v_add_co_u32 v25, s4, s2, v4
	scratch_store_b32 off, v1, off offset:368 ; 4-byte Folded Spill
	v_add_nc_u32_e32 v1, v20, v9
	scratch_store_b32 off, v5, off offset:4 ; 4-byte Folded Spill
	v_add_nc_u32_e32 v5, 32, v104
	s_wait_alu 0xf1ff
	v_add_co_ci_u32_e64 v26, null, s3, 0, s4
	scratch_store_b32 off, v1, off offset:8 ; 4-byte Folded Spill
	v_add_nc_u32_e32 v1, v20, v10
	scratch_store_b64 off, v[22:23], off offset:312 ; 8-byte Folded Spill
	v_lshlrev_b32_e32 v22, 5, v5
	v_and_b32_e32 v23, 0x1fc, v5
	v_lshrrev_b32_e32 v0, 1, v5
	scratch_store_b32 off, v1, off offset:12 ; 4-byte Folded Spill
	v_add_nc_u32_e32 v1, v20, v11
	scratch_store_b32 off, v39, off offset:372 ; 4-byte Folded Spill
	v_add3_u32 v113, v22, v23, 0x8300
	v_lshlrev_b32_e32 v22, 5, v49
	v_and_b32_e32 v23, 0x1fc, v49
	scratch_store_b32 off, v1, off offset:16 ; 4-byte Folded Spill
	v_add_nc_u32_e32 v1, v20, v13
	v_lshrrev_b32_e32 v53, 4, v5
	v_lshlrev_b32_e32 v125, 6, v5
	v_add3_u32 v114, v22, v23, 0x8300
	v_lshrrev_b32_e32 v22, 4, v49
	v_lshrrev_b32_e32 v23, 1, v19
	scratch_store_b32 off, v1, off offset:20 ; 4-byte Folded Spill
	v_add_nc_u32_e32 v1, v20, v14
	v_lshlrev_b32_e32 v126, 3, v5
	v_add_nc_u32_e32 v39, v20, v7
	v_lshlrev_b32_e32 v152, 2, v0
	v_lshlrev_b32_e32 v153, 2, v53
	scratch_store_b32 off, v1, off offset:24 ; 4-byte Folded Spill
	v_add_nc_u32_e32 v1, v20, v15
	v_lshlrev_b32_e32 v155, 2, v22
	v_dual_mov_b32 v29, 0 :: v_dual_lshlrev_b32 v156, 2, v23
	v_mov_b32_e32 v55, 0
	v_dual_mov_b32 v43, 0 :: v_dual_mov_b32 v36, 0
	v_mov_b32_e32 v28, 0
	v_mov_b32_e32 v50, 0
	v_dual_mov_b32 v42, 0 :: v_dual_mov_b32 v35, 0
	v_mov_b32_e32 v31, 0
	v_mov_b32_e32 v27, 0
	s_wait_alu 0xfffe
	s_mov_b32 s4, s5
	scratch_store_b32 off, v1, off offset:28 ; 4-byte Folded Spill
	s_branch .LBB170_6
.LBB170_5:                              ;   in Loop: Header=BB170_6 Depth=1
	s_add_co_i32 s4, s4, 2
	s_wait_alu 0xfffe
	s_cmp_ge_i32 s4, s15
	s_cbranch_scc1 .LBB170_14
.LBB170_6:                              ; =>This Loop Header: Depth=1
                                        ;     Child Loop BB170_8 Depth 2
                                        ;       Child Loop BB170_10 Depth 3
                                        ;       Child Loop BB170_12 Depth 3
	s_clause 0x9
	scratch_load_b32 v2, off, off offset:44
	scratch_load_b32 v4, off, off offset:56
	;; [unrolled: 1-line block ×10, first 2 shown]
	s_wait_alu 0xfffe
	s_mul_u64 s[10:11], s[4:5], 0x6e
	s_lshl_b32 s7, s4, 3
	s_wait_alu 0xfffe
	s_add_nc_u64 s[10:11], s[0:1], s[10:11]
	s_wait_alu 0xfffe
	v_mad_co_u64_u32 v[0:1], null, 0x6e, v46, s[10:11]
	s_wait_loadcnt 0x9
	s_delay_alu instid0(VALU_DEP_1)
	v_mad_co_i64_i32 v[2:3], null, 0x6e, v2, v[0:1]
	s_wait_loadcnt 0x8
	v_mad_co_i64_i32 v[4:5], null, 0x6e, v4, v[0:1]
	s_wait_loadcnt 0x7
	;; [unrolled: 2-line block ×4, first 2 shown]
	v_add_co_u32 v2, vcc_lo, v2, v20
	v_mad_co_i64_i32 v[10:11], null, 0x6e, v10, v[0:1]
	s_wait_alu 0xfffd
	v_add_co_ci_u32_e64 v3, null, 0, v3, vcc_lo
	v_add_co_u32 v4, vcc_lo, v4, v20
	v_mad_co_i64_i32 v[12:13], null, 0x6e, v12, v[0:1]
	s_wait_alu 0xfffd
	v_add_co_ci_u32_e64 v5, null, 0, v5, vcc_lo
	;; [unrolled: 4-line block ×3, first 2 shown]
	v_add_co_u32 v8, vcc_lo, v8, v20
	s_wait_loadcnt 0x1
	v_mad_co_i64_i32 v[16:17], null, 0x6e, v16, v[0:1]
	s_wait_alu 0xfffd
	v_add_co_ci_u32_e64 v9, null, 0, v9, vcc_lo
	v_add_co_u32 v10, vcc_lo, v10, v20
	s_wait_alu 0xfffd
	v_add_co_ci_u32_e64 v11, null, 0, v11, vcc_lo
	v_add_co_u32 v12, vcc_lo, v12, v20
	;; [unrolled: 3-line block ×4, first 2 shown]
	s_wait_alu 0xfffd
	v_add_co_ci_u32_e64 v17, null, 0, v17, vcc_lo
	s_clause 0x7
	global_load_b32 v22, v[2:3], off offset:32
	global_load_b32 v23, v[4:5], off offset:32
	;; [unrolled: 1-line block ×8, first 2 shown]
	s_clause 0x6
	scratch_load_b32 v2, off, off offset:152
	scratch_load_b32 v6, off, off offset:164
	;; [unrolled: 1-line block ×7, first 2 shown]
	s_wait_loadcnt 0xf
	v_mad_co_i64_i32 v[18:19], null, 0x6e, v18, v[0:1]
	s_delay_alu instid0(VALU_DEP_1)
	v_add_co_u32 v4, vcc_lo, v18, v20
	scratch_load_b32 v18, off, off offset:240 ; 4-byte Folded Reload
	s_wait_alu 0xfffd
	v_add_co_ci_u32_e64 v5, null, 0, v19, vcc_lo
	s_wait_loadcnt 0x7
	v_mad_co_i64_i32 v[2:3], null, 0x6e, v2, v[0:1]
	s_wait_loadcnt 0x6
	v_mad_co_i64_i32 v[6:7], null, 0x6e, v6, v[0:1]
	s_wait_loadcnt 0x5
	v_mad_co_i64_i32 v[8:9], null, 0x6e, v8, v[0:1]
	s_wait_loadcnt 0x4
	v_mad_co_i64_i32 v[10:11], null, 0x6e, v10, v[0:1]
	s_delay_alu instid0(VALU_DEP_4)
	v_add_co_u32 v2, vcc_lo, v2, v20
	s_wait_loadcnt 0x3
	v_mad_co_i64_i32 v[12:13], null, 0x6e, v12, v[0:1]
	s_wait_alu 0xfffd
	v_add_co_ci_u32_e64 v3, null, 0, v3, vcc_lo
	v_add_co_u32 v6, vcc_lo, v6, v20
	s_wait_loadcnt 0x2
	v_mad_co_i64_i32 v[14:15], null, 0x6e, v14, v[0:1]
	s_wait_alu 0xfffd
	v_add_co_ci_u32_e64 v7, null, 0, v7, vcc_lo
	;; [unrolled: 5-line block ×3, first 2 shown]
	v_add_co_u32 v10, vcc_lo, v10, v20
	s_wait_alu 0xfffd
	v_add_co_ci_u32_e64 v11, null, 0, v11, vcc_lo
	v_add_co_u32 v12, vcc_lo, v12, v20
	s_wait_alu 0xfffd
	v_add_co_ci_u32_e64 v13, null, 0, v13, vcc_lo
	;; [unrolled: 3-line block ×3, first 2 shown]
	v_add_co_u32 v0, vcc_lo, v0, v20
	s_clause 0x1
	scratch_load_b32 v16, off, off offset:244
	scratch_load_b32 v20, off, off offset:248
	s_wait_alu 0xfffd
	v_add_co_ci_u32_e64 v1, null, 0, v1, vcc_lo
	s_clause 0x7
	global_load_b32 v53, v[4:5], off offset:32
	global_load_b32 v54, v[2:3], off offset:32
	;; [unrolled: 1-line block ×8, first 2 shown]
	scratch_load_b32 v0, off, off offset:216 ; 4-byte Folded Reload
	s_wait_loadcnt 0xb
	v_mad_co_i64_i32 v[18:19], null, 0x6e, v18, s[10:11]
	s_clause 0x6
	scratch_load_b32 v2, off, off offset:252
	scratch_load_b32 v4, off, off offset:256
	;; [unrolled: 1-line block ×7, first 2 shown]
	s_wait_loadcnt 0x11
	v_mad_co_u64_u32 v[16:17], null, 0x6e, v16, s[10:11]
	s_wait_loadcnt 0x7
	v_mad_co_u64_u32 v[0:1], null, 0x6e, v0, v[18:19]
	scratch_load_b32 v18, off, off offset:276 ; 4-byte Folded Reload
	v_add_co_u32 v16, vcc_lo, v16, v20
	s_wait_alu 0xfffd
	v_add_co_ci_u32_e64 v17, null, 0, v17, vcc_lo
	scratch_load_b32 v20, off, off offset:296 ; 4-byte Folded Reload
	s_wait_loadcnt 0x2
	v_mad_co_u64_u32 v[10:11], null, 0x6e, v10, s[10:11]
	v_mad_co_i64_i32 v[2:3], null, 0x6e, v2, v[16:17]
	v_mad_co_i64_i32 v[4:5], null, 0x6e, v4, v[16:17]
	;; [unrolled: 1-line block ×6, first 2 shown]
	s_mov_b32 s10, 0
	s_wait_loadcnt 0x1
	v_mad_co_i64_i32 v[18:19], null, 0x6e, v18, v[16:17]
	s_clause 0x7
	global_load_u16 v65, v[0:1], off offset:108
	global_load_b32 v66, v[2:3], off
	global_load_b32 v67, v[4:5], off
	;; [unrolled: 1-line block ×7, first 2 shown]
	s_clause 0x4
	scratch_load_b32 v0, off, off offset:280
	scratch_load_b32 v2, off, off offset:300
	;; [unrolled: 1-line block ×5, first 2 shown]
	s_wait_loadcnt 0xd
	v_mad_co_i64_i32 v[20:21], null, 0x6e, v20, v[10:11]
	s_wait_loadcnt 0x4
	v_mad_co_i64_i32 v[0:1], null, 0x6e, v0, v[16:17]
	;; [unrolled: 2-line block ×5, first 2 shown]
	s_wait_loadcnt 0x0
	v_add_co_u32 v4, vcc_lo, v20, v14
	s_wait_alu 0xfffd
	v_add_co_ci_u32_e64 v5, null, 0, v21, vcc_lo
	v_add_co_u32 v10, vcc_lo, v2, v14
	s_wait_alu 0xfffd
	v_add_co_ci_u32_e64 v11, null, 0, v3, vcc_lo
	v_add_co_u32 v12, vcc_lo, v6, v14
	s_wait_alu 0xfffd
	v_add_co_ci_u32_e64 v13, null, 0, v7, vcc_lo
	v_add_co_u32 v14, vcc_lo, v8, v14
	s_wait_alu 0xfffd
	v_add_co_ci_u32_e64 v15, null, 0, v9, vcc_lo
	s_clause 0x8
	global_load_b32 v0, v[0:1], off
	global_load_b32 v1, v[4:5], off offset:96
	global_load_b32 v4, v[8:9], off offset:104
	;; [unrolled: 1-line block ×8, first 2 shown]
	scratch_load_b64 v[9:10], off, off offset:312 ; 8-byte Folded Reload
	s_wait_loadcnt 0x0
	scratch_load_b64 v[10:11], off, off offset:48 ; 8-byte Folded Reload
	v_not_b32_e32 v16, v18
	scratch_load_b32 v18, off, off offset:292 ; 4-byte Folded Reload
	v_and_b32_e32 v17, 4, v92
	v_not_b32_e32 v12, v70
	v_not_b32_e32 v13, v71
	;; [unrolled: 1-line block ×5, first 2 shown]
	v_ashrrev_i32_e32 v1, v17, v1
	v_ashrrev_i32_e32 v6, v17, v6
	;; [unrolled: 1-line block ×4, first 2 shown]
	v_add_nc_u32_e32 v144, s7, v9
	s_wait_loadcnt 0x1
	ds_store_b32 v10, v22
	s_clause 0x1
	scratch_load_b64 v[10:11], off, off offset:60
	scratch_load_b32 v17, off, off offset:320
	v_cvt_f32_f16_e32 v9, v65
	s_wait_loadcnt 0x2
	v_ashrrev_i32_e32 v3, v18, v3
	v_and_b32_e32 v1, 0xf0f0f0f, v1
	v_ashrrev_i32_e32 v5, v18, v5
	v_ashrrev_i32_e32 v2, v18, v2
	v_and_b32_e32 v7, 0xf0f0f0f, v7
	v_lshlrev_b32_e32 v3, 4, v3
	v_and_b32_e32 v6, 0xf0f0f0f, v6
	v_lshlrev_b32_e32 v5, 4, v5
	v_lshlrev_b32_e32 v2, 4, v2
	v_ashrrev_i32_e32 v4, v18, v4
	v_and_or_b32 v1, 0x30303030, v3, v1
	v_and_b32_e32 v8, 0xf0f0f0f, v8
	scratch_store_b32 off, v144, off offset:32 ; 4-byte Folded Spill
	v_and_or_b32 v2, 0x30303030, v2, v6
	v_lshlrev_b32_e32 v4, 4, v4
	v_and_b32_e32 v6, 0x3f00, v1
	scratch_load_b32 v3, off, off offset:344 ; 4-byte Folded Reload
	v_and_or_b32 v4, 0x30303030, v4, v8
	v_and_b32_e32 v8, 0x3f00, v2
	s_wait_loadcnt 0x2
	ds_store_b32 v10, v23
	s_wait_loadcnt 0x1
	ds_store_b32 v17, v9
	s_clause 0x1
	scratch_load_b64 v[10:11], off, off offset:72
	scratch_load_b32 v9, off, off offset:324
	s_wait_loadcnt 0x1
	ds_store_b32 v10, v24
	scratch_load_b64 v[10:11], off, off offset:84 ; 8-byte Folded Reload
	s_wait_loadcnt 0x0
	ds_store_b32 v10, v38
	scratch_load_b64 v[10:11], off, off offset:96 ; 8-byte Folded Reload
	;; [unrolled: 3-line block ×13, first 2 shown]
	s_wait_loadcnt 0x0
	v_not_b32_e32 v11, v67
	ds_store_b32 v10, v64
	v_not_b32_e32 v10, v66
	ds_store_b32 v9, v10
	scratch_load_b32 v9, off, off offset:328 ; 4-byte Folded Reload
	s_wait_loadcnt 0x0
	ds_store_b32 v9, v11
	scratch_load_b32 v9, off, off offset:332 ; 4-byte Folded Reload
	v_lshrrev_b32_e32 v11, 16, v4
	s_delay_alu instid0(VALU_DEP_1) | instskip(SKIP_1) | instid1(VALU_DEP_1)
	v_and_b32_e32 v17, 0x3f00, v11
	v_lshlrev_b16 v11, 8, v11
	v_add_nc_u16 v11, 0xe000, v11
	s_wait_loadcnt 0x0
	ds_store_b32 v9, v12
	scratch_load_b32 v9, off, off offset:336 ; 4-byte Folded Reload
	v_and_b32_e32 v12, 0x3f00, v4
	v_lshlrev_b16 v4, 8, v4
	s_delay_alu instid0(VALU_DEP_1) | instskip(NEXT) | instid1(VALU_DEP_1)
	v_add_nc_u16 v4, 0xe000, v4
	v_lshrrev_b16 v4, 8, v4
	s_delay_alu instid0(VALU_DEP_1) | instskip(NEXT) | instid1(VALU_DEP_1)
	v_or_b32_e32 v4, v12, v4
	v_add_nc_u16 v4, 0xe000, v4
	s_delay_alu instid0(VALU_DEP_1)
	v_and_b32_e32 v4, 0xffff, v4
	s_wait_loadcnt 0x0
	ds_store_b32 v9, v13
	scratch_load_b32 v9, off, off offset:340 ; 4-byte Folded Reload
	s_wait_loadcnt 0x0
	ds_store_b32 v9, v14
	ds_store_b32 v3, v15
	v_and_or_b32 v3, 0x30303030, v5, v7
	v_lshrrev_b32_e32 v5, 16, v1
	v_lshlrev_b16 v1, 8, v1
	v_lshrrev_b32_e32 v7, 16, v2
	v_lshlrev_b16 v2, 8, v2
	v_lshrrev_b32_e32 v9, 16, v3
	v_and_b32_e32 v13, 0x3f00, v5
	v_lshlrev_b16 v5, 8, v5
	v_add_nc_u16 v1, 0xe000, v1
	v_and_b32_e32 v14, 0x3f00, v7
	v_lshlrev_b16 v7, 8, v7
	v_and_b32_e32 v15, 0x3f00, v9
	v_add_nc_u16 v5, 0xe000, v5
	v_lshrrev_b16 v1, 8, v1
	v_lshlrev_b16 v9, 8, v9
	v_add_nc_u16 v7, 0xe000, v7
	v_add_nc_u16 v2, 0xe000, v2
	v_lshrrev_b16 v5, 8, v5
	v_or_b32_e32 v1, v6, v1
	v_add_nc_u16 v9, 0xe000, v9
	v_lshrrev_b16 v6, 8, v7
	v_lshrrev_b16 v2, 8, v2
	v_or_b32_e32 v5, v13, v5
	v_add_nc_u16 v1, 0xe000, v1
	v_lshrrev_b16 v7, 8, v9
	scratch_load_b32 v9, off, off offset:348 ; 4-byte Folded Reload
	v_or_b32_e32 v2, v8, v2
	v_add_nc_u16 v5, 0xe000, v5
	v_and_b32_e32 v1, 0xffff, v1
	v_or_b32_e32 v6, v14, v6
	v_and_b32_e32 v10, 0x3f00, v3
	v_add_nc_u16 v2, 0xe000, v2
	v_lshlrev_b32_e32 v5, 16, v5
	v_lshlrev_b16 v3, 8, v3
	v_add_nc_u16 v6, 0xe000, v6
	v_or_b32_e32 v7, v15, v7
	v_and_b32_e32 v2, 0xffff, v2
	v_or_b32_e32 v1, v1, v5
	scratch_load_b32 v5, off, off offset:352 ; 4-byte Folded Reload
	v_lshlrev_b32_e32 v6, 16, v6
	v_add_nc_u16 v3, 0xe000, v3
	v_add_nc_u16 v7, 0xe000, v7
	v_lshrrev_b16 v8, 8, v11
	s_delay_alu instid0(VALU_DEP_4) | instskip(NEXT) | instid1(VALU_DEP_4)
	v_or_b32_e32 v2, v2, v6
	v_lshrrev_b16 v3, 8, v3
	s_delay_alu instid0(VALU_DEP_4) | instskip(NEXT) | instid1(VALU_DEP_4)
	v_lshlrev_b32_e32 v7, 16, v7
	v_or_b32_e32 v8, v17, v8
	s_delay_alu instid0(VALU_DEP_3) | instskip(NEXT) | instid1(VALU_DEP_2)
	v_or_b32_e32 v3, v10, v3
	v_add_nc_u16 v8, 0xe000, v8
	s_delay_alu instid0(VALU_DEP_2) | instskip(NEXT) | instid1(VALU_DEP_2)
	v_add_nc_u16 v3, 0xe000, v3
	v_lshlrev_b32_e32 v8, 16, v8
	s_delay_alu instid0(VALU_DEP_2) | instskip(NEXT) | instid1(VALU_DEP_2)
	v_and_b32_e32 v3, 0xffff, v3
	v_or_b32_e32 v4, v4, v8
	s_delay_alu instid0(VALU_DEP_2)
	v_or_b32_e32 v3, v3, v7
	s_wait_loadcnt 0x1
	ds_store_b32 v9, v16
	s_wait_loadcnt 0x0
	ds_store_b32 v5, v0
	scratch_load_b32 v0, off, off offset:356 ; 4-byte Folded Reload
	s_wait_loadcnt 0x0
	ds_store_b32 v0, v1
	scratch_load_b32 v0, off, off offset:360 ; 4-byte Folded Reload
	;; [unrolled: 3-line block ×4, first 2 shown]
	s_wait_loadcnt 0x0
	ds_store_b32 v0, v4
	s_branch .LBB170_8
.LBB170_7:                              ;   in Loop: Header=BB170_8 Depth=2
                                        ; implicit-def: $sgpr10
	s_wait_alu 0xfffe
	s_and_b32 vcc_lo, exec_lo, s11
	s_wait_alu 0xfffe
	s_cbranch_vccnz .LBB170_5
.LBB170_8:                              ;   Parent Loop BB170_6 Depth=1
                                        ; =>  This Loop Header: Depth=2
                                        ;       Child Loop BB170_10 Depth 3
                                        ;       Child Loop BB170_12 Depth 3
	s_wait_alu 0xfffe
	s_lshr_b32 s11, s10, 1
	s_wait_alu 0xfffe
	s_or_b32 s11, s11, s4
	s_wait_alu 0xfffe
	s_cmp_lt_i32 s11, s15
	s_mov_b32 s11, -1
	s_cbranch_scc0 .LBB170_7
; %bb.9:                                ;   in Loop: Header=BB170_8 Depth=2
	scratch_load_b32 v3, off, off           ; 4-byte Folded Reload
	s_wait_loadcnt 0x2
	v_lshl_add_u32 v0, s10, 5, v104
	s_wait_loadcnt 0x1
	v_lshl_add_u32 v8, s10, 2, v144
	s_or_b32 s16, s10, 1
	s_lshl_b32 s17, s10, 3
	s_wait_alu 0xfffe
	s_lshl_b32 s11, s16, 3
	v_lshrrev_b32_e32 v0, 3, v0
	v_mad_co_u64_u32 v[8:9], null, v8, 36, s[2:3]
	s_delay_alu instid0(VALU_DEP_2) | instskip(NEXT) | instid1(VALU_DEP_1)
	v_add_nc_u32_e32 v0, s7, v0
	v_add_nc_u32_e32 v1, v0, v106
	;; [unrolled: 1-line block ×7, first 2 shown]
	s_delay_alu instid0(VALU_DEP_4) | instskip(NEXT) | instid1(VALU_DEP_4)
	v_mad_co_i64_i32 v[4:5], null, v4, 36, v[25:26]
	v_mad_co_i64_i32 v[6:7], null, v6, 36, v[25:26]
	s_delay_alu instid0(VALU_DEP_4) | instskip(NEXT) | instid1(VALU_DEP_4)
	v_mad_co_i64_i32 v[12:13], null, v12, 36, v[25:26]
	v_mad_co_i64_i32 v[14:15], null, v14, 36, v[25:26]
	s_wait_loadcnt 0x0
	v_add_nc_u32_e32 v16, v0, v3
	scratch_load_b32 v3, off, off offset:4  ; 4-byte Folded Reload
	v_mad_co_i64_i32 v[16:17], null, v16, 36, v[25:26]
	s_wait_loadcnt 0x0
	v_add_nc_u32_e32 v10, v0, v3
	v_mad_co_i64_i32 v[0:1], null, v1, 36, v[25:26]
	v_mad_co_i64_i32 v[2:3], null, v2, 36, v[25:26]
	s_delay_alu instid0(VALU_DEP_3)
	v_mad_co_i64_i32 v[10:11], null, v10, 36, v[25:26]
	s_clause 0x8
	global_load_b32 v8, v[8:9], off
	global_load_b32 v9, v[10:11], off offset:4
	global_load_b32 v0, v[0:1], off offset:4
	;; [unrolled: 1-line block ×8, first 2 shown]
	s_wait_loadcnt 0x7
	ds_store_b32 v158, v9
	s_wait_loadcnt 0x6
	ds_store_b32 v39, v0
	scratch_load_b32 v0, off, off offset:8  ; 4-byte Folded Reload
	v_cvt_f32_f16_e32 v7, v8
	s_wait_loadcnt 0x0
	ds_store_b32 v0, v1
	scratch_load_b32 v0, off, off offset:12 ; 4-byte Folded Reload
	s_wait_loadcnt 0x0
	ds_store_b32 v0, v2
	scratch_load_b32 v0, off, off offset:16 ; 4-byte Folded Reload
	;; [unrolled: 3-line block ×5, first 2 shown]
	s_wait_loadcnt 0x0
	ds_store_b32 v0, v6
	ds_store_b32 v105, v7
	s_wait_storecnt_dscnt 0x0
	s_barrier_signal -1
	s_barrier_wait -1
	global_inv scope:SCOPE_SE
.LBB170_10:                             ;   Parent Loop BB170_6 Depth=1
                                        ;     Parent Loop BB170_8 Depth=2
                                        ; =>    This Inner Loop Header: Depth=3
	s_lshl_b32 s18, s17, 2
	s_lshr_b32 s21, s17, 4
	s_wait_alu 0xfffe
	s_and_b32 s18, s18, 24
	v_lshlrev_b32_e32 v159, 2, v59
	s_wait_alu 0xfffe
	v_or_b32_e32 v0, s18, v111
	s_lshl_b32 s23, s21, 5
	s_and_b32 s22, s17, 0x3ffffff8
	s_wait_alu 0xfffe
	s_addk_co_i32 s23, 0x4200
	v_lshl_add_u32 v162, s22, 2, v123
	v_lshlrev_b32_e32 v8, 2, v0
	v_lshrrev_b32_e32 v0, 1, v0
	s_wait_alu 0xfffe
	v_add3_u32 v7, s23, v159, v124
	s_bfe_u32 s19, s17, 0x30001
	s_and_b32 s20, s17, 6
	v_lshlrev_b32_e32 v160, 2, v46
	ds_load_b32 v131, v0 offset:38816
	ds_load_2addr_b32 v[2:3], v7 offset1:1
	ds_load_2addr_b32 v[0:1], v162 offset1:1
	v_lshlrev_b32_e32 v161, 2, v92
	s_lshl_b32 s24, s21, 2
	s_and_b32 s21, s17, -2
	s_add_co_i32 s22, s24, 0x9380
	s_wait_alu 0xfffe
	v_add_nc_u32_e32 v88, s21, v112
	v_add3_u32 v168, s23, v154, v127
	v_add_nc_u32_e32 v236, s21, v114
	s_add_co_i32 s17, s17, 2
	s_wait_alu 0xfffe
	s_cmp_lt_u32 s17, s11
	s_wait_dscnt 0x1
	v_ashrrev_i32_e32 v2, s19, v2
	s_wait_dscnt 0x0
	v_ashrrev_i32_e32 v0, s20, v0
	v_ashrrev_i32_e32 v3, s19, v3
	s_delay_alu instid0(VALU_DEP_3) | instskip(NEXT) | instid1(VALU_DEP_3)
	v_lshlrev_b32_e32 v2, 2, v2
	v_and_b32_e32 v4, 0x3030303, v0
	v_bfe_u32 v0, v0, 24, 2
	s_delay_alu instid0(VALU_DEP_4) | instskip(NEXT) | instid1(VALU_DEP_4)
	v_lshlrev_b32_e32 v3, 2, v3
	v_and_b32_e32 v2, 0x4040404, v2
	s_delay_alu instid0(VALU_DEP_4) | instskip(SKIP_1) | instid1(VALU_DEP_4)
	v_lshrrev_b32_e32 v5, 16, v4
	v_lshrrev_b16 v6, 8, v4
	v_and_b32_e32 v3, 0x4040404, v3
	s_delay_alu instid0(VALU_DEP_4) | instskip(SKIP_3) | instid1(VALU_DEP_4)
	v_lshrrev_b32_e32 v10, 24, v2
	v_lshrrev_b32_e32 v9, 16, v2
	v_lshrrev_b16 v11, 8, v2
	v_sub_nc_u16 v13, v4, v2
	v_sub_nc_u16 v10, v0, v10
	v_ashrrev_i32_e32 v0, s20, v1
	s_delay_alu instid0(VALU_DEP_4)
	v_sub_nc_u16 v11, v6, v11
	v_sub_nc_u16 v12, v5, v9
	v_lshrrev_b32_e32 v5, 24, v3
	v_lshrrev_b32_e32 v6, 16, v3
	v_bfe_u32 v1, v0, 24, 2
	v_and_b32_e32 v0, 0x3030303, v0
	v_lshrrev_b16 v9, 8, v3
	v_bfe_i32 v188, v10, 0, 16
	v_bfe_i32 v187, v12, 0, 8
	v_sub_nc_u16 v17, v1, v5
	v_lshrrev_b32_e32 v2, 16, v0
	v_lshrrev_b16 v4, 8, v0
	v_sub_nc_u16 v14, v0, v3
	ds_load_2addr_b32 v[0:1], v162 offset0:2 offset1:3
	v_bfe_i32 v190, v17, 0, 16
	v_sub_nc_u16 v16, v2, v6
	ds_load_2addr_b32 v[2:3], v7 offset0:2 offset1:3
	v_sub_nc_u16 v15, v4, v9
	v_bfe_i32 v189, v11, 0, 16
	v_bfe_i32 v193, v14, 0, 8
	;; [unrolled: 1-line block ×5, first 2 shown]
	s_wait_dscnt 0x1
	v_ashrrev_i32_e32 v0, s20, v0
	s_wait_dscnt 0x0
	v_ashrrev_i32_e32 v2, s19, v2
	v_ashrrev_i32_e32 v3, s19, v3
	s_delay_alu instid0(VALU_DEP_3) | instskip(SKIP_1) | instid1(VALU_DEP_4)
	v_bfe_u32 v4, v0, 24, 2
	v_and_b32_e32 v0, 0x3030303, v0
	v_lshlrev_b32_e32 v2, 2, v2
	s_delay_alu instid0(VALU_DEP_4) | instskip(NEXT) | instid1(VALU_DEP_3)
	v_lshlrev_b32_e32 v3, 2, v3
	v_lshrrev_b32_e32 v5, 16, v0
	v_lshrrev_b16 v6, 8, v0
	s_delay_alu instid0(VALU_DEP_4) | instskip(NEXT) | instid1(VALU_DEP_4)
	v_and_b32_e32 v2, 0x4040404, v2
	v_and_b32_e32 v3, 0x4040404, v3
	s_delay_alu instid0(VALU_DEP_2)
	v_sub_nc_u16 v20, v0, v2
	v_ashrrev_i32_e32 v0, s20, v1
	v_lshrrev_b32_e32 v18, 16, v2
	v_lshrrev_b16 v19, 8, v2
	v_lshrrev_b32_e32 v9, 24, v2
	v_bfe_i32 v197, v20, 0, 8
	v_bfe_u32 v1, v0, 24, 2
	v_and_b32_e32 v0, 0x3030303, v0
	v_sub_nc_u16 v19, v6, v19
	v_sub_nc_u16 v18, v5, v18
	v_lshrrev_b32_e32 v5, 24, v3
	v_lshrrev_b32_e32 v6, 16, v3
	;; [unrolled: 1-line block ×3, first 2 shown]
	v_sub_nc_u16 v21, v4, v9
	v_lshrrev_b16 v4, 8, v0
	v_lshrrev_b16 v9, 8, v3
	v_sub_nc_u16 v22, v0, v3
	v_sub_nc_u16 v24, v2, v6
	;; [unrolled: 1-line block ×3, first 2 shown]
	ds_load_2addr_b32 v[0:1], v162 offset0:4 offset1:5
	ds_load_2addr_b32 v[2:3], v7 offset0:4 offset1:5
	v_sub_nc_u16 v23, v4, v9
	v_bfe_i32 v194, v21, 0, 16
	v_bfe_i32 v196, v19, 0, 16
	;; [unrolled: 1-line block ×7, first 2 shown]
	s_wait_dscnt 0x1
	v_ashrrev_i32_e32 v0, s20, v0
	s_wait_dscnt 0x0
	v_ashrrev_i32_e32 v2, s19, v2
	v_ashrrev_i32_e32 v3, s19, v3
	s_delay_alu instid0(VALU_DEP_3) | instskip(NEXT) | instid1(VALU_DEP_3)
	v_and_b32_e32 v4, 0x3030303, v0
	v_lshlrev_b32_e32 v2, 2, v2
	v_bfe_u32 v0, v0, 24, 2
	s_delay_alu instid0(VALU_DEP_4) | instskip(NEXT) | instid1(VALU_DEP_4)
	v_lshlrev_b32_e32 v3, 2, v3
	v_lshrrev_b32_e32 v5, 16, v4
	s_delay_alu instid0(VALU_DEP_4) | instskip(SKIP_1) | instid1(VALU_DEP_4)
	v_and_b32_e32 v2, 0x4040404, v2
	v_lshrrev_b16 v6, 8, v4
	v_and_b32_e32 v3, 0x4040404, v3
	s_delay_alu instid0(VALU_DEP_3) | instskip(SKIP_3) | instid1(VALU_DEP_4)
	v_lshrrev_b32_e32 v48, 24, v2
	v_lshrrev_b32_e32 v9, 16, v2
	v_lshrrev_b16 v49, 8, v2
	v_sub_nc_u16 v64, v4, v2
	v_sub_nc_u16 v48, v0, v48
	v_ashrrev_i32_e32 v0, s20, v1
	s_delay_alu instid0(VALU_DEP_4)
	v_sub_nc_u16 v61, v6, v49
	v_sub_nc_u16 v63, v5, v9
	v_lshrrev_b32_e32 v5, 24, v3
	v_lshrrev_b32_e32 v6, 16, v3
	v_bfe_u32 v1, v0, 24, 2
	v_and_b32_e32 v0, 0x3030303, v0
	v_lshrrev_b16 v9, 8, v3
	v_bfe_i32 v202, v64, 0, 8
	v_bfe_i32 v204, v48, 0, 16
	v_sub_nc_u16 v70, v1, v5
	v_lshrrev_b32_e32 v2, 16, v0
	v_lshrrev_b16 v4, 8, v0
	v_sub_nc_u16 v65, v0, v3
	ds_load_2addr_b32 v[0:1], v162 offset0:6 offset1:7
	v_bfe_i32 v206, v70, 0, 16
	v_sub_nc_u16 v67, v2, v6
	ds_load_2addr_b32 v[2:3], v7 offset0:6 offset1:7
	v_sub_nc_u16 v66, v4, v9
	v_bfe_i32 v209, v65, 0, 8
	v_bfe_i32 v205, v61, 0, 16
	;; [unrolled: 1-line block ×5, first 2 shown]
	s_wait_dscnt 0x1
	v_ashrrev_i32_e32 v0, s20, v0
	s_wait_dscnt 0x0
	v_ashrrev_i32_e32 v2, s19, v2
	v_ashrrev_i32_e32 v3, s19, v3
	s_delay_alu instid0(VALU_DEP_3) | instskip(SKIP_1) | instid1(VALU_DEP_4)
	v_bfe_u32 v4, v0, 24, 2
	v_and_b32_e32 v0, 0x3030303, v0
	v_lshlrev_b32_e32 v2, 2, v2
	s_delay_alu instid0(VALU_DEP_4) | instskip(NEXT) | instid1(VALU_DEP_3)
	v_lshlrev_b32_e32 v3, 2, v3
	v_lshrrev_b32_e32 v5, 16, v0
	v_lshrrev_b16 v6, 8, v0
	s_delay_alu instid0(VALU_DEP_4) | instskip(NEXT) | instid1(VALU_DEP_4)
	v_and_b32_e32 v2, 0x4040404, v2
	v_and_b32_e32 v3, 0x4040404, v3
	s_delay_alu instid0(VALU_DEP_2)
	v_sub_nc_u16 v71, v0, v2
	v_ashrrev_i32_e32 v0, s20, v1
	v_lshrrev_b32_e32 v7, 24, v2
	v_lshrrev_b32_e32 v9, 16, v2
	v_lshrrev_b16 v49, 8, v2
	v_bfe_i32 v213, v71, 0, 8
	v_bfe_u32 v1, v0, 24, 2
	v_and_b32_e32 v0, 0x3030303, v0
	v_sub_nc_u16 v74, v5, v9
	v_sub_nc_u16 v72, v6, v49
	;; [unrolled: 1-line block ×3, first 2 shown]
	v_lshrrev_b32_e32 v5, 24, v3
	v_lshrrev_b32_e32 v2, 16, v0
	v_lshrrev_b16 v4, 8, v0
	v_lshrrev_b32_e32 v6, 16, v3
	v_lshrrev_b16 v7, 8, v3
	v_sub_nc_u16 v78, v0, v3
	v_add3_u32 v0, s22, v160, v161
	v_sub_nc_u16 v87, v1, v5
	v_sub_nc_u16 v81, v2, v6
	;; [unrolled: 1-line block ×3, first 2 shown]
	ds_load_b32 v174, v0
	ds_load_b128 v[4:7], v8 offset:25344
	ds_load_b128 v[0:3], v8 offset:25360
	v_bfe_i32 v210, v76, 0, 16
	v_bfe_i32 v212, v72, 0, 16
	v_bfe_i32 v214, v87, 0, 16
	v_bfe_i32 v217, v78, 0, 8
	v_bfe_i32 v211, v74, 0, 8
	v_bfe_i32 v215, v81, 0, 8
	v_bfe_i32 v216, v79, 0, 16
	s_wait_dscnt 0x1
	v_lshrrev_b16 v51, 8, v4
	v_lshrrev_b16 v52, 8, v5
	;; [unrolled: 1-line block ×3, first 2 shown]
	v_ashrrev_i32_e32 v10, 24, v5
	v_lshrrev_b16 v57, 8, v7
	v_ashrrev_i32_e32 v49, 24, v4
	v_bfe_i32 v51, v51, 0, 8
	v_bfe_i32 v11, v5, 16, 8
	;; [unrolled: 1-line block ×4, first 2 shown]
	v_mul_i32_i24_e32 v93, v190, v10
	v_ashrrev_i32_e32 v12, 24, v6
	v_bfe_i32 v54, v54, 0, 8
	v_ashrrev_i32_e32 v14, 24, v7
	v_bfe_i32 v8, v4, 0, 8
	v_bfe_i32 v9, v4, 16, 8
	v_mul_i32_i24_e32 v89, v189, v51
	v_mul_i32_i24_e32 v16, v193, v53
	;; [unrolled: 1-line block ×4, first 2 shown]
	v_bfe_i32 v13, v6, 16, 8
	v_bfe_i32 v56, v6, 0, 8
	v_mul_i32_i24_e32 v19, v196, v54
	v_mul_i32_i24_e32 v21, v194, v12
	v_bfe_i32 v15, v7, 16, 8
	v_bfe_i32 v57, v57, 0, 8
	;; [unrolled: 1-line block ×3, first 2 shown]
	v_mul_i32_i24_e32 v38, v198, v14
	v_mad_i32_i24 v93, v188, v49, v93
	v_mul_i32_i24_e32 v18, v197, v56
	v_mul_i32_i24_e32 v20, v195, v13
	v_mul_i32_i24_e32 v22, v201, v60
	v_mul_i32_i24_e32 v23, v200, v57
	v_mul_i32_i24_e32 v24, v199, v15
	v_mad_i32_i24 v90, v187, v9, v90
	v_mad_i32_i24 v16, v186, v8, v16
	v_add3_u32 v17, v89, v17, v19
	v_add3_u32 v19, v93, v21, v38
	s_wait_dscnt 0x0
	v_ashrrev_i32_e32 v244, 24, v1
	v_bfe_i32 v247, v1, 0, 8
	v_add3_u32 v16, v16, v18, v22
	v_add3_u32 v18, v90, v20, v24
	v_add3_u32 v17, v17, v23, v19
	v_lshrrev_b16 v19, 8, v2
	v_lshrrev_b16 v20, 8, v3
	v_bfe_i32 v241, v0, 0, 8
	v_ashrrev_i32_e32 v243, 24, v0
	v_add3_u32 v18, v16, v18, v17
	v_lshrrev_b16 v16, 8, v0
	v_lshrrev_b16 v17, 8, v1
	v_bfe_i32 v245, v1, 16, 8
	v_mul_i32_i24_e32 v22, v209, v247
	v_mul_i32_i24_e32 v38, v206, v244
	v_bfe_i32 v250, v16, 0, 8
	v_bfe_i32 v246, v17, 0, 8
	v_ashrrev_i32_e32 v248, 24, v2
	v_bfe_i32 v251, v19, 0, 8
	v_bfe_i32 v252, v2, 0, 8
	v_ashrrev_i32_e32 v16, 24, v3
	v_bfe_i32 v240, v3, 0, 8
	v_bfe_i32 v242, v0, 16, 8
	v_mul_i32_i24_e32 v21, v205, v250
	v_mul_i32_i24_e32 v23, v208, v246
	;; [unrolled: 1-line block ×3, first 2 shown]
	v_bfe_i32 v249, v2, 16, 8
	v_mul_i32_i24_e32 v19, v213, v252
	v_mul_i32_i24_e32 v48, v212, v251
	;; [unrolled: 1-line block ×3, first 2 shown]
	v_bfe_i32 v17, v3, 16, 8
	v_bfe_i32 v61, v20, 0, 8
	v_mul_i32_i24_e32 v20, v217, v240
	v_mul_i32_i24_e32 v67, v214, v16
	v_mad_i32_i24 v38, v204, v243, v38
	v_mad_i32_i24 v22, v202, v241, v22
	v_mul_i32_i24_e32 v63, v211, v249
	v_mul_i32_i24_e32 v65, v216, v61
	;; [unrolled: 1-line block ×3, first 2 shown]
	v_mad_i32_i24 v24, v203, v242, v24
	v_add3_u32 v21, v21, v23, v48
	v_add3_u32 v19, v22, v19, v20
	;; [unrolled: 1-line block ×3, first 2 shown]
	v_perm_b32 v134, v0, v0, 0xc0c0302
	v_add3_u32 v20, v24, v63, v66
	v_add3_u32 v63, s23, v152, v125
	v_perm_b32 v5, v5, v5, 0xc030201
	v_add3_u32 v21, v21, v65, v22
	v_perm_b32 v6, v6, v6, 0xc030201
	v_perm_b32 v7, v7, v7, 0xc030201
	;; [unrolled: 1-line block ×3, first 2 shown]
	s_delay_alu instid0(VALU_DEP_4) | instskip(SKIP_4) | instid1(VALU_DEP_2)
	v_add3_u32 v19, v19, v20, v21
	ds_load_u16 v20, v88
	s_wait_dscnt 0x0
	v_bfe_i32 v224, v20, 0, 8
	v_lshrrev_b16 v21, 8, v20
	v_mul_lo_u32 v18, v18, v224
	s_delay_alu instid0(VALU_DEP_2) | instskip(SKIP_3) | instid1(VALU_DEP_2)
	v_bfe_i32 v218, v21, 0, 8
	ds_load_2addr_b32 v[20:21], v63 offset1:1
	v_mad_co_u64_u32 v[18:19], null, v19, v218, v[18:19]
	v_mul_f32_e32 v19, v131, v174
	v_cvt_f32_i32_e32 v18, v18
	s_delay_alu instid0(VALU_DEP_1)
	v_fmac_f32_e32 v41, v19, v18
	v_add_nc_u32_e32 v18, 0x1080, v162
	s_wait_dscnt 0x0
	v_ashrrev_i32_e32 v20, s19, v20
	v_ashrrev_i32_e32 v21, s19, v21
	ds_load_2addr_b32 v[18:19], v18 offset1:1
	v_lshlrev_b32_e32 v20, 2, v20
	v_lshlrev_b32_e32 v21, 2, v21
	s_delay_alu instid0(VALU_DEP_2) | instskip(NEXT) | instid1(VALU_DEP_2)
	v_and_b32_e32 v20, 0x4040404, v20
	v_and_b32_e32 v21, 0x4040404, v21
	s_delay_alu instid0(VALU_DEP_2) | instskip(SKIP_4) | instid1(VALU_DEP_1)
	v_lshrrev_b32_e32 v65, 24, v20
	v_lshrrev_b16 v64, 8, v20
	v_lshrrev_b32_e32 v38, 16, v20
	s_wait_dscnt 0x0
	v_ashrrev_i32_e32 v18, s20, v18
	v_and_b32_e32 v22, 0x3030303, v18
	v_bfe_u32 v18, v18, 24, 2
	s_delay_alu instid0(VALU_DEP_2) | instskip(NEXT) | instid1(VALU_DEP_2)
	v_lshrrev_b16 v23, 8, v22
	v_sub_nc_u16 v72, v18, v65
	v_ashrrev_i32_e32 v18, s20, v19
	v_lshrrev_b32_e32 v24, 16, v22
	v_sub_nc_u16 v48, v22, v20
	v_sub_nc_u16 v255, v23, v64
	v_lshrrev_b32_e32 v23, 24, v21
	v_bfe_u32 v19, v18, 24, 2
	v_and_b32_e32 v18, 0x3030303, v18
	v_sub_nc_u16 v38, v24, v38
	v_lshrrev_b32_e32 v24, 16, v21
	v_lshrrev_b16 v64, 8, v21
	v_bfe_i32 v48, v48, 0, 8
	v_lshrrev_b32_e32 v20, 16, v18
	v_lshrrev_b16 v22, 8, v18
	v_sub_nc_u16 v99, v18, v21
	v_add_nc_u32_e32 v18, 0x1088, v162
	v_bfe_i32 v255, v255, 0, 16
	v_sub_nc_u16 v101, v20, v24
	v_sub_nc_u16 v24, v19, v23
	ds_load_2addr_b32 v[20:21], v63 offset0:2 offset1:3
	ds_load_2addr_b32 v[18:19], v18 offset1:1
	v_sub_nc_u16 v100, v22, v64
	v_bfe_i32 v72, v72, 0, 16
	v_bfe_i32 v38, v38, 0, 8
	s_wait_dscnt 0x1
	v_ashrrev_i32_e32 v20, s19, v20
	s_wait_dscnt 0x0
	v_ashrrev_i32_e32 v18, s20, v18
	v_ashrrev_i32_e32 v21, s19, v21
	s_delay_alu instid0(VALU_DEP_3) | instskip(NEXT) | instid1(VALU_DEP_3)
	v_lshlrev_b32_e32 v20, 2, v20
	v_bfe_u32 v22, v18, 24, 2
	v_and_b32_e32 v18, 0x3030303, v18
	s_delay_alu instid0(VALU_DEP_4) | instskip(NEXT) | instid1(VALU_DEP_4)
	v_lshlrev_b32_e32 v21, 2, v21
	v_and_b32_e32 v20, 0x4040404, v20
	s_delay_alu instid0(VALU_DEP_3) | instskip(SKIP_1) | instid1(VALU_DEP_4)
	v_lshrrev_b32_e32 v23, 16, v18
	v_lshrrev_b16 v64, 8, v18
	v_and_b32_e32 v21, 0x4040404, v21
	s_delay_alu instid0(VALU_DEP_4) | instskip(SKIP_4) | instid1(VALU_DEP_4)
	v_sub_nc_u16 v89, v18, v20
	v_ashrrev_i32_e32 v18, s20, v19
	v_lshrrev_b32_e32 v65, 24, v20
	v_lshrrev_b32_e32 v66, 16, v20
	v_lshrrev_b16 v67, 8, v20
	v_bfe_u32 v19, v18, 24, 2
	v_and_b32_e32 v18, 0x3030303, v18
	s_delay_alu instid0(VALU_DEP_4) | instskip(NEXT) | instid1(VALU_DEP_4)
	v_sub_nc_u16 v93, v23, v66
	v_sub_nc_u16 v90, v64, v67
	v_sub_nc_u16 v97, v22, v65
	v_lshrrev_b32_e32 v23, 24, v21
	v_lshrrev_b32_e32 v20, 16, v18
	v_lshrrev_b16 v22, 8, v18
	v_lshrrev_b32_e32 v64, 16, v21
	v_sub_nc_u16 v79, v18, v21
	v_add_nc_u32_e32 v18, 0x1090, v162
	v_lshrrev_b16 v65, 8, v21
	v_sub_nc_u16 v88, v19, v23
	v_sub_nc_u16 v87, v20, v64
	ds_load_2addr_b32 v[20:21], v63 offset0:4 offset1:5
	ds_load_2addr_b32 v[18:19], v18 offset1:1
	v_sub_nc_u16 v81, v22, v65
	s_wait_dscnt 0x1
	v_ashrrev_i32_e32 v20, s19, v20
	s_wait_dscnt 0x0
	v_ashrrev_i32_e32 v18, s20, v18
	v_ashrrev_i32_e32 v21, s19, v21
	s_delay_alu instid0(VALU_DEP_3) | instskip(NEXT) | instid1(VALU_DEP_3)
	v_lshlrev_b32_e32 v20, 2, v20
	v_and_b32_e32 v22, 0x3030303, v18
	v_bfe_u32 v18, v18, 24, 2
	s_delay_alu instid0(VALU_DEP_4) | instskip(NEXT) | instid1(VALU_DEP_4)
	v_lshlrev_b32_e32 v21, 2, v21
	v_and_b32_e32 v20, 0x4040404, v20
	s_delay_alu instid0(VALU_DEP_4) | instskip(SKIP_1) | instid1(VALU_DEP_4)
	v_lshrrev_b16 v23, 8, v22
	v_lshrrev_b32_e32 v64, 16, v22
	v_and_b32_e32 v21, 0x4040404, v21
	s_delay_alu instid0(VALU_DEP_4) | instskip(SKIP_3) | instid1(VALU_DEP_4)
	v_lshrrev_b32_e32 v66, 24, v20
	v_lshrrev_b16 v65, 8, v20
	v_lshrrev_b32_e32 v67, 16, v20
	v_sub_nc_u16 v71, v22, v20
	v_sub_nc_u16 v76, v18, v66
	v_ashrrev_i32_e32 v18, s20, v19
	s_delay_alu instid0(VALU_DEP_4)
	v_sub_nc_u16 v74, v64, v67
	v_sub_nc_u16 v78, v23, v65
	v_lshrrev_b32_e32 v23, 24, v21
	v_lshrrev_b32_e32 v64, 16, v21
	v_bfe_u32 v19, v18, 24, 2
	v_and_b32_e32 v18, 0x3030303, v18
	v_lshrrev_b16 v65, 8, v21
	s_delay_alu instid0(VALU_DEP_3) | instskip(NEXT) | instid1(VALU_DEP_3)
	v_sub_nc_u16 v23, v19, v23
	v_lshrrev_b32_e32 v20, 16, v18
	v_lshrrev_b16 v22, 8, v18
	v_sub_nc_u16 v21, v18, v21
	v_add_nc_u32_e32 v18, 0x1098, v162
	s_delay_alu instid0(VALU_DEP_4)
	v_sub_nc_u16 v70, v20, v64
	ds_load_2addr_b32 v[63:64], v63 offset0:6 offset1:7
	v_sub_nc_u16 v22, v22, v65
	ds_load_2addr_b32 v[18:19], v18 offset1:1
	s_wait_dscnt 0x1
	v_ashrrev_i32_e32 v63, s19, v63
	v_ashrrev_i32_e32 v64, s19, v64
	s_wait_dscnt 0x0
	v_ashrrev_i32_e32 v18, s20, v18
	s_delay_alu instid0(VALU_DEP_3) | instskip(NEXT) | instid1(VALU_DEP_3)
	v_lshlrev_b32_e32 v63, 2, v63
	v_lshlrev_b32_e32 v64, 2, v64
	s_delay_alu instid0(VALU_DEP_3) | instskip(SKIP_1) | instid1(VALU_DEP_4)
	v_bfe_u32 v67, v18, 24, 2
	v_and_b32_e32 v18, 0x3030303, v18
	v_and_b32_e32 v63, 0x4040404, v63
	s_delay_alu instid0(VALU_DEP_4) | instskip(NEXT) | instid1(VALU_DEP_3)
	v_and_b32_e32 v64, 0x4040404, v64
	v_lshrrev_b32_e32 v66, 16, v18
	v_lshrrev_b16 v20, 8, v18
	s_delay_alu instid0(VALU_DEP_4)
	v_sub_nc_u16 v65, v18, v63
	v_ashrrev_i32_e32 v18, s20, v19
	v_lshrrev_b32_e32 v132, 24, v63
	v_lshrrev_b16 v163, 8, v63
	v_lshrrev_b16 v164, 8, v64
	v_lshrrev_b32_e32 v133, 16, v63
	v_bfe_u32 v19, v18, 24, 2
	v_and_b32_e32 v18, 0x3030303, v18
	v_sub_nc_u16 v67, v67, v132
	v_sub_nc_u16 v20, v20, v163
	v_lshrrev_b32_e32 v163, 16, v64
	v_sub_nc_u16 v66, v66, v133
	v_lshrrev_b16 v132, 8, v18
	v_lshrrev_b32_e32 v63, 16, v18
	v_sub_nc_u16 v254, v18, v64
	v_lshrrev_b32_e32 v133, 24, v64
	s_delay_alu instid0(VALU_DEP_4)
	v_sub_nc_u16 v18, v132, v164
	v_add3_u32 v132, s22, v153, v126
	v_sub_nc_u16 v64, v63, v163
	ds_load_2addr_b32 v[163:164], v168 offset1:1
	v_sub_nc_u16 v19, v19, v133
	v_add_nc_u32_e32 v63, s21, v113
	ds_load_b32 v175, v132
	v_add_nc_u32_e32 v132, 0x2100, v162
	ds_load_2addr_b32 v[132:133], v132 offset1:1
	s_wait_dscnt 0x2
	v_ashrrev_i32_e32 v163, s19, v163
	v_ashrrev_i32_e32 v164, s19, v164
	s_wait_dscnt 0x1
	v_mul_f32_e32 v253, v131, v175
	s_delay_alu instid0(VALU_DEP_3) | instskip(NEXT) | instid1(VALU_DEP_3)
	v_lshlrev_b32_e32 v163, 2, v163
	v_lshlrev_b32_e32 v164, 2, v164
	s_wait_dscnt 0x0
	v_ashrrev_i32_e32 v132, s20, v132
	s_delay_alu instid0(VALU_DEP_3) | instskip(NEXT) | instid1(VALU_DEP_3)
	v_and_b32_e32 v163, 0x4040404, v163
	v_and_b32_e32 v164, 0x4040404, v164
	s_delay_alu instid0(VALU_DEP_3) | instskip(SKIP_1) | instid1(VALU_DEP_4)
	v_and_b32_e32 v165, 0x3030303, v132
	v_bfe_u32 v132, v132, 24, 2
	v_lshrrev_b32_e32 v170, 16, v163
	v_lshrrev_b32_e32 v171, 24, v163
	v_lshrrev_b16 v169, 8, v163
	v_lshrrev_b32_e32 v167, 16, v165
	v_lshrrev_b16 v166, 8, v165
	v_sub_nc_u16 v177, v165, v163
	v_sub_nc_u16 v132, v132, v171
	s_delay_alu instid0(VALU_DEP_4) | instskip(NEXT) | instid1(VALU_DEP_3)
	v_sub_nc_u16 v179, v167, v170
	v_bfe_i32 v177, v177, 0, 8
	s_delay_alu instid0(VALU_DEP_3) | instskip(NEXT) | instid1(VALU_DEP_3)
	v_lshlrev_b16 v132, 8, v132
	v_and_b32_e32 v167, 0xff, v179
	s_delay_alu instid0(VALU_DEP_1) | instskip(SKIP_4) | instid1(VALU_DEP_4)
	v_or_b32_e32 v181, v167, v132
	v_sub_nc_u16 v132, v166, v169
	v_lshrrev_b32_e32 v167, 16, v164
	v_lshrrev_b32_e32 v169, 24, v164
	v_lshrrev_b16 v166, 8, v164
	v_lshlrev_b16 v178, 8, v132
	v_ashrrev_i32_e32 v132, s20, v133
	s_delay_alu instid0(VALU_DEP_2) | instskip(NEXT) | instid1(VALU_DEP_2)
	v_bfe_i32 v178, v178, 8, 8
	v_and_b32_e32 v133, 0x3030303, v132
	v_bfe_u32 v132, v132, 24, 2
	s_delay_alu instid0(VALU_DEP_2) | instskip(NEXT) | instid1(VALU_DEP_2)
	v_lshrrev_b32_e32 v165, 16, v133
	v_sub_nc_u16 v132, v132, v169
	v_lshrrev_b16 v163, 8, v133
	v_sub_nc_u16 v219, v133, v164
	s_delay_alu instid0(VALU_DEP_4) | instskip(NEXT) | instid1(VALU_DEP_4)
	v_sub_nc_u16 v180, v165, v167
	v_lshlrev_b16 v132, 8, v132
	s_delay_alu instid0(VALU_DEP_2) | instskip(NEXT) | instid1(VALU_DEP_1)
	v_and_b32_e32 v165, 0xff, v180
	v_or_b32_e32 v182, v165, v132
	v_sub_nc_u16 v132, v163, v166
	ds_load_2addr_b32 v[163:164], v168 offset0:2 offset1:3
	v_lshlrev_b16 v183, 8, v132
	v_add_nc_u32_e32 v132, 0x2108, v162
	ds_load_2addr_b32 v[132:133], v132 offset1:1
	s_wait_dscnt 0x1
	v_ashrrev_i32_e32 v163, s19, v163
	v_ashrrev_i32_e32 v164, s19, v164
	s_delay_alu instid0(VALU_DEP_2) | instskip(NEXT) | instid1(VALU_DEP_2)
	v_lshlrev_b32_e32 v163, 2, v163
	v_lshlrev_b32_e32 v164, 2, v164
	s_wait_dscnt 0x0
	v_ashrrev_i32_e32 v132, s20, v132
	s_delay_alu instid0(VALU_DEP_3) | instskip(NEXT) | instid1(VALU_DEP_3)
	v_and_b32_e32 v163, 0x4040404, v163
	v_and_b32_e32 v164, 0x4040404, v164
	s_delay_alu instid0(VALU_DEP_3) | instskip(SKIP_1) | instid1(VALU_DEP_4)
	v_and_b32_e32 v165, 0x3030303, v132
	v_bfe_u32 v132, v132, 24, 2
	v_lshrrev_b32_e32 v170, 16, v163
	v_lshrrev_b32_e32 v171, 24, v163
	v_lshrrev_b16 v169, 8, v163
	v_lshrrev_b32_e32 v167, 16, v165
	v_lshrrev_b16 v166, 8, v165
	v_sub_nc_u16 v220, v165, v163
	v_sub_nc_u16 v132, v132, v171
	s_delay_alu instid0(VALU_DEP_4) | instskip(NEXT) | instid1(VALU_DEP_3)
	v_sub_nc_u16 v223, v167, v170
	v_bfe_i32 v220, v220, 0, 8
	s_delay_alu instid0(VALU_DEP_3) | instskip(NEXT) | instid1(VALU_DEP_3)
	v_lshlrev_b16 v132, 8, v132
	v_and_b32_e32 v167, 0xff, v223
	s_delay_alu instid0(VALU_DEP_1) | instskip(SKIP_4) | instid1(VALU_DEP_4)
	v_or_b32_e32 v225, v167, v132
	v_sub_nc_u16 v132, v166, v169
	v_lshrrev_b32_e32 v167, 16, v164
	v_lshrrev_b32_e32 v169, 24, v164
	v_lshrrev_b16 v166, 8, v164
	v_lshlrev_b16 v226, 8, v132
	v_ashrrev_i32_e32 v132, s20, v133
	s_delay_alu instid0(VALU_DEP_1) | instskip(SKIP_1) | instid1(VALU_DEP_2)
	v_and_b32_e32 v133, 0x3030303, v132
	v_bfe_u32 v132, v132, 24, 2
	v_lshrrev_b32_e32 v165, 16, v133
	s_delay_alu instid0(VALU_DEP_2) | instskip(SKIP_2) | instid1(VALU_DEP_4)
	v_sub_nc_u16 v132, v132, v169
	v_lshrrev_b16 v163, 8, v133
	v_sub_nc_u16 v230, v133, v164
	v_sub_nc_u16 v227, v165, v167
	s_delay_alu instid0(VALU_DEP_4) | instskip(NEXT) | instid1(VALU_DEP_2)
	v_lshlrev_b16 v132, 8, v132
	v_and_b32_e32 v165, 0xff, v227
	s_delay_alu instid0(VALU_DEP_1)
	v_or_b32_e32 v228, v165, v132
	v_sub_nc_u16 v132, v163, v166
	ds_load_2addr_b32 v[163:164], v168 offset0:4 offset1:5
	v_lshlrev_b16 v229, 8, v132
	v_add_nc_u32_e32 v132, 0x2110, v162
	ds_load_2addr_b32 v[132:133], v132 offset1:1
	s_wait_dscnt 0x1
	v_ashrrev_i32_e32 v163, s19, v163
	v_ashrrev_i32_e32 v164, s19, v164
	s_delay_alu instid0(VALU_DEP_2) | instskip(NEXT) | instid1(VALU_DEP_2)
	v_lshlrev_b32_e32 v163, 2, v163
	v_lshlrev_b32_e32 v164, 2, v164
	s_wait_dscnt 0x0
	v_ashrrev_i32_e32 v132, s20, v132
	s_delay_alu instid0(VALU_DEP_3) | instskip(NEXT) | instid1(VALU_DEP_2)
	v_and_b32_e32 v169, 0x4040404, v163
	v_and_b32_e32 v166, 0x3030303, v132
	v_bfe_u32 v132, v132, 24, 2
	s_delay_alu instid0(VALU_DEP_3)
	v_lshrrev_b32_e32 v163, 16, v169
	v_lshrrev_b32_e32 v171, 24, v169
	v_lshrrev_b16 v170, 8, v169
	v_lshrrev_b32_e32 v165, 16, v166
	v_lshrrev_b16 v167, 8, v166
	v_sub_nc_u16 v234, v166, v169
	v_sub_nc_u16 v132, v132, v171
	v_and_b32_e32 v169, 0x4040404, v164
	v_sub_nc_u16 v163, v165, v163
	s_delay_alu instid0(VALU_DEP_4) | instskip(NEXT) | instid1(VALU_DEP_4)
	v_bfe_i32 v238, v234, 0, 8
	v_lshlrev_b16 v132, 8, v132
	s_delay_alu instid0(VALU_DEP_4) | instskip(NEXT) | instid1(VALU_DEP_4)
	v_lshrrev_b32_e32 v164, 16, v169
	v_and_b32_e32 v165, 0xff, v163
	v_lshrrev_b32_e32 v171, 24, v169
	s_delay_alu instid0(VALU_DEP_2) | instskip(SKIP_2) | instid1(VALU_DEP_2)
	v_or_b32_e32 v165, v165, v132
	v_sub_nc_u16 v132, v167, v170
	v_lshrrev_b16 v170, 8, v169
	v_lshlrev_b16 v233, 8, v132
	v_ashrrev_i32_e32 v132, s20, v133
	s_delay_alu instid0(VALU_DEP_2) | instskip(NEXT) | instid1(VALU_DEP_2)
	v_bfe_i32 v239, v233, 8, 8
	v_and_b32_e32 v133, 0x3030303, v132
	v_bfe_u32 v132, v132, 24, 2
	s_delay_alu instid0(VALU_DEP_2) | instskip(NEXT) | instid1(VALU_DEP_2)
	v_lshrrev_b32_e32 v166, 16, v133
	v_sub_nc_u16 v132, v132, v171
	v_lshrrev_b16 v167, 8, v133
	v_sub_nc_u16 v176, v133, v169
	s_delay_alu instid0(VALU_DEP_4) | instskip(NEXT) | instid1(VALU_DEP_4)
	v_sub_nc_u16 v164, v166, v164
	v_lshlrev_b16 v132, 8, v132
	s_delay_alu instid0(VALU_DEP_2) | instskip(NEXT) | instid1(VALU_DEP_1)
	v_and_b32_e32 v166, 0xff, v164
	v_or_b32_e32 v166, v166, v132
	v_sub_nc_u16 v132, v167, v170
	ds_load_2addr_b32 v[170:171], v168 offset0:6 offset1:7
	v_lshlrev_b16 v167, 8, v132
	v_add_nc_u32_e32 v132, 0x2118, v162
	ds_load_2addr_b32 v[132:133], v132 offset1:1
	s_wait_dscnt 0x1
	v_ashrrev_i32_e32 v168, s19, v170
	v_ashrrev_i32_e32 v171, s19, v171
	s_delay_alu instid0(VALU_DEP_2) | instskip(NEXT) | instid1(VALU_DEP_2)
	v_lshlrev_b32_e32 v168, 2, v168
	v_lshlrev_b32_e32 v171, 2, v171
	s_wait_dscnt 0x0
	v_ashrrev_i32_e32 v132, s20, v132
	s_delay_alu instid0(VALU_DEP_3) | instskip(NEXT) | instid1(VALU_DEP_3)
	v_and_b32_e32 v184, 0x4040404, v168
	v_and_b32_e32 v171, 0x4040404, v171
	s_delay_alu instid0(VALU_DEP_3) | instskip(SKIP_1) | instid1(VALU_DEP_4)
	v_and_b32_e32 v172, 0x3030303, v132
	v_bfe_u32 v132, v132, 24, 2
	v_lshrrev_b32_e32 v168, 16, v184
	v_lshrrev_b32_e32 v185, 24, v184
	v_lshrrev_b16 v170, 8, v184
	v_lshrrev_b32_e32 v169, 16, v172
	v_lshrrev_b16 v173, 8, v172
	v_lshrrev_b32_e32 v222, 24, v171
	v_sub_nc_u16 v132, v132, v185
	v_sub_nc_u16 v185, v172, v184
	;; [unrolled: 1-line block ×3, first 2 shown]
	v_lshrrev_b16 v221, 8, v171
	s_delay_alu instid0(VALU_DEP_4) | instskip(NEXT) | instid1(VALU_DEP_3)
	v_lshlrev_b16 v132, 8, v132
	v_and_b32_e32 v169, 0xff, v168
	s_delay_alu instid0(VALU_DEP_1) | instskip(SKIP_2) | instid1(VALU_DEP_2)
	v_or_b32_e32 v169, v169, v132
	v_sub_nc_u16 v132, v173, v170
	v_lshrrev_b32_e32 v173, 16, v171
	v_lshlrev_b16 v170, 8, v132
	v_ashrrev_i32_e32 v132, s20, v133
	s_delay_alu instid0(VALU_DEP_1) | instskip(SKIP_1) | instid1(VALU_DEP_2)
	v_and_b32_e32 v133, 0x3030303, v132
	v_bfe_u32 v132, v132, 24, 2
	v_lshrrev_b32_e32 v172, 16, v133
	s_delay_alu instid0(VALU_DEP_2)
	v_sub_nc_u16 v132, v132, v222
	v_lshrrev_b16 v184, 8, v133
	v_sub_nc_u16 v231, v133, v171
	v_perm_b32 v133, v182, v180, 0xc05000c
	v_sub_nc_u16 v172, v172, v173
	v_lshlrev_b16 v132, 8, v132
	v_perm_b32 v180, v165, v163, 0xc0c0500
	v_perm_b32 v163, v167, v167, 0xc0c0c01
	s_delay_alu instid0(VALU_DEP_4) | instskip(NEXT) | instid1(VALU_DEP_1)
	v_and_b32_e32 v173, 0xff, v172
	v_or_b32_e32 v173, v173, v132
	v_sub_nc_u16 v132, v184, v221
	v_perm_b32 v221, v181, v179, 0xc0c0500
	v_perm_b32 v179, v183, v183, 0xc0c0c01
	v_bfe_i32 v181, v176, 0, 8
	v_bfe_i32 v176, v231, 0, 8
	v_lshlrev_b16 v184, 8, v132
	v_add3_u32 v132, s22, v155, v128
	ds_load_b32 v171, v132
	v_mul_i32_i24_e32 v132, v8, v177
	s_delay_alu instid0(VALU_DEP_1) | instskip(SKIP_1) | instid1(VALU_DEP_1)
	v_mad_i32_i24 v222, v51, v178, v132
	v_perm_b32 v132, v4, v4, 0xc0c0302
	v_dot4_i32_iu8 v4, v132, v221, v222 neg_lo:[1,1,0]
	v_bfe_i32 v222, v219, 0, 8
	v_bfe_i32 v219, v230, 0, 8
	v_or_b32_e32 v230, v133, v179
	v_perm_b32 v133, v225, v223, 0xc05000c
	v_perm_b32 v179, v226, v226, 0xc0c0c01
	v_mad_i32_i24 v4, v53, v222, v4
	s_delay_alu instid0(VALU_DEP_2) | instskip(SKIP_2) | instid1(VALU_DEP_4)
	v_or_b32_e32 v232, v133, v179
	v_perm_b32 v133, v228, v227, 0xc05000c
	v_perm_b32 v179, v229, v229, 0xc0c0c01
	v_dot4_i32_iu8 v4, v5, v230, v4 neg_lo:[1,1,0]
	s_delay_alu instid0(VALU_DEP_2) | instskip(SKIP_3) | instid1(VALU_DEP_2)
	v_or_b32_e32 v235, v133, v179
	ds_load_u16 v133, v236
	v_mad_i32_i24 v4, v56, v220, v4
	v_bfe_i32 v179, v185, 0, 8
	v_dot4_i32_iu8 v4, v6, v232, v4 neg_lo:[1,1,0]
	s_delay_alu instid0(VALU_DEP_1) | instskip(NEXT) | instid1(VALU_DEP_1)
	v_mad_i32_i24 v4, v60, v219, v4
	v_dot4_i32_iu8 v4, v7, v235, v4 neg_lo:[1,1,0]
	s_wait_dscnt 0x0
	v_lshrrev_b16 v223, 8, v133
	v_bfe_i32 v237, v133, 0, 8
	v_mul_i32_i24_e32 v133, v241, v238
	s_delay_alu instid0(VALU_DEP_3) | instskip(NEXT) | instid1(VALU_DEP_3)
	v_bfe_i32 v185, v223, 0, 8
	v_mul_lo_u32 v4, v4, v237
	s_delay_alu instid0(VALU_DEP_3) | instskip(NEXT) | instid1(VALU_DEP_1)
	v_mad_i32_i24 v133, v250, v239, v133
	v_dot4_i32_iu8 v0, v134, v180, v133 neg_lo:[1,1,0]
	v_perm_b32 v133, v1, v1, 0xc030201
	v_perm_b32 v1, v166, v164, 0xc05000c
	v_add3_u32 v166, s23, v156, v129
	s_delay_alu instid0(VALU_DEP_4) | instskip(NEXT) | instid1(VALU_DEP_3)
	v_mad_i32_i24 v0, v247, v181, v0
	v_or_b32_e32 v182, v1, v163
	v_perm_b32 v163, v2, v2, 0xc030201
	v_perm_b32 v1, v169, v168, 0xc05000c
	;; [unrolled: 1-line block ×3, first 2 shown]
	s_delay_alu instid0(VALU_DEP_4) | instskip(NEXT) | instid1(VALU_DEP_2)
	v_dot4_i32_iu8 v0, v133, v182, v0 neg_lo:[1,1,0]
	v_or_b32_e32 v183, v1, v2
	v_perm_b32 v1, v173, v172, 0xc05000c
	s_delay_alu instid0(VALU_DEP_3) | instskip(SKIP_1) | instid1(VALU_DEP_2)
	v_mad_i32_i24 v0, v252, v179, v0
	v_perm_b32 v2, v184, v184, 0xc0c0c01
	v_dot4_i32_iu8 v0, v163, v183, v0 neg_lo:[1,1,0]
	s_delay_alu instid0(VALU_DEP_2) | instskip(SKIP_2) | instid1(VALU_DEP_1)
	v_or_b32_e32 v184, v1, v2
	ds_load_2addr_b32 v[2:3], v166 offset1:1
	v_mad_i32_i24 v0, v240, v176, v0
	v_dot4_i32_iu8 v0, v135, v184, v0 neg_lo:[1,1,0]
	s_delay_alu instid0(VALU_DEP_1) | instskip(SKIP_3) | instid1(VALU_DEP_3)
	v_mad_co_u64_u32 v[0:1], null, v0, v185, v[4:5]
	v_mul_f32_e32 v1, v131, v171
	s_wait_dscnt 0x0
	v_ashrrev_i32_e32 v2, s19, v2
	v_cvt_f32_i32_e32 v0, v0
	v_ashrrev_i32_e32 v3, s19, v3
	s_delay_alu instid0(VALU_DEP_2) | instskip(SKIP_1) | instid1(VALU_DEP_3)
	v_dual_fmac_f32 v91, v1, v0 :: v_dual_lshlrev_b32 v2, 2, v2
	v_add_nc_u32_e32 v0, 0x3180, v162
	v_lshlrev_b32_e32 v3, 2, v3
	s_delay_alu instid0(VALU_DEP_3)
	v_and_b32_e32 v2, 0x4040404, v2
	ds_load_2addr_b32 v[0:1], v0 offset1:1
	v_and_b32_e32 v3, 0x4040404, v3
	v_lshrrev_b32_e32 v168, 16, v2
	v_lshrrev_b32_e32 v169, 24, v2
	v_lshrrev_b16 v167, 8, v2
	s_delay_alu instid0(VALU_DEP_4) | instskip(SKIP_3) | instid1(VALU_DEP_1)
	v_lshrrev_b32_e32 v170, 16, v3
	v_lshrrev_b32_e32 v172, 24, v3
	s_wait_dscnt 0x0
	v_ashrrev_i32_e32 v0, s20, v0
	v_and_b32_e32 v4, 0x3030303, v0
	v_bfe_u32 v0, v0, 24, 2
	s_delay_alu instid0(VALU_DEP_2) | instskip(NEXT) | instid1(VALU_DEP_2)
	v_lshrrev_b32_e32 v165, 16, v4
	v_sub_nc_u16 v0, v0, v169
	v_lshrrev_b16 v164, 8, v4
	v_sub_nc_u16 v4, v4, v2
	v_lshrrev_b16 v169, 8, v3
	v_sub_nc_u16 v165, v165, v168
	v_lshlrev_b16 v0, 8, v0
	s_delay_alu instid0(VALU_DEP_2) | instskip(NEXT) | instid1(VALU_DEP_1)
	v_and_b32_e32 v168, 0xff, v165
	v_or_b32_e32 v168, v168, v0
	v_sub_nc_u16 v0, v164, v167
	s_delay_alu instid0(VALU_DEP_1) | instskip(SKIP_1) | instid1(VALU_DEP_1)
	v_lshlrev_b16 v164, 8, v0
	v_ashrrev_i32_e32 v0, s20, v1
	v_and_b32_e32 v1, 0x3030303, v0
	v_bfe_u32 v0, v0, 24, 2
	s_delay_alu instid0(VALU_DEP_2) | instskip(NEXT) | instid1(VALU_DEP_2)
	v_lshrrev_b32_e32 v167, 16, v1
	v_sub_nc_u16 v0, v0, v172
	v_lshrrev_b16 v2, 8, v1
	v_sub_nc_u16 v172, v1, v3
	s_delay_alu instid0(VALU_DEP_4) | instskip(NEXT) | instid1(VALU_DEP_4)
	v_sub_nc_u16 v167, v167, v170
	v_lshlrev_b16 v0, 8, v0
	s_delay_alu instid0(VALU_DEP_2) | instskip(NEXT) | instid1(VALU_DEP_1)
	v_and_b32_e32 v170, 0xff, v167
	v_or_b32_e32 v170, v170, v0
	v_sub_nc_u16 v0, v2, v169
	ds_load_2addr_b32 v[2:3], v166 offset0:2 offset1:3
	v_lshlrev_b16 v169, 8, v0
	v_add_nc_u32_e32 v0, 0x3188, v162
	ds_load_2addr_b32 v[0:1], v0 offset1:1
	s_wait_dscnt 0x1
	v_ashrrev_i32_e32 v2, s19, v2
	v_ashrrev_i32_e32 v3, s19, v3
	s_delay_alu instid0(VALU_DEP_2) | instskip(NEXT) | instid1(VALU_DEP_2)
	v_lshlrev_b32_e32 v2, 2, v2
	v_lshlrev_b32_e32 v3, 2, v3
	s_wait_dscnt 0x0
	v_ashrrev_i32_e32 v0, s20, v0
	s_delay_alu instid0(VALU_DEP_3) | instskip(NEXT) | instid1(VALU_DEP_3)
	v_and_b32_e32 v2, 0x4040404, v2
	v_and_b32_e32 v3, 0x4040404, v3
	s_delay_alu instid0(VALU_DEP_3) | instskip(SKIP_1) | instid1(VALU_DEP_4)
	v_and_b32_e32 v173, 0x3030303, v0
	v_bfe_u32 v0, v0, 24, 2
	v_lshrrev_b32_e32 v227, 16, v2
	v_lshrrev_b32_e32 v228, 24, v2
	v_lshrrev_b16 v226, 8, v2
	v_lshrrev_b32_e32 v225, 16, v173
	v_lshrrev_b16 v223, 8, v173
	v_sub_nc_u16 v173, v173, v2
	v_sub_nc_u16 v0, v0, v228
	s_delay_alu instid0(VALU_DEP_4) | instskip(SKIP_1) | instid1(VALU_DEP_3)
	v_sub_nc_u16 v233, v225, v227
	v_lshrrev_b32_e32 v227, 24, v3
	v_lshlrev_b16 v0, 8, v0
	s_delay_alu instid0(VALU_DEP_3) | instskip(NEXT) | instid1(VALU_DEP_1)
	v_and_b32_e32 v225, 0xff, v233
	v_or_b32_e32 v234, v225, v0
	v_sub_nc_u16 v0, v223, v226
	v_lshrrev_b32_e32 v226, 16, v3
	v_lshrrev_b16 v225, 8, v3
	s_delay_alu instid0(VALU_DEP_3) | instskip(SKIP_1) | instid1(VALU_DEP_1)
	v_lshlrev_b16 v236, 8, v0
	v_ashrrev_i32_e32 v0, s20, v1
	v_and_b32_e32 v1, 0x3030303, v0
	v_bfe_u32 v0, v0, 24, 2
	s_delay_alu instid0(VALU_DEP_2) | instskip(NEXT) | instid1(VALU_DEP_2)
	v_lshrrev_b32_e32 v223, 16, v1
	v_sub_nc_u16 v0, v0, v227
	v_lshrrev_b16 v2, 8, v1
	s_delay_alu instid0(VALU_DEP_3) | instskip(NEXT) | instid1(VALU_DEP_3)
	v_sub_nc_u16 v136, v223, v226
	v_lshlrev_b16 v0, 8, v0
	v_sub_nc_u16 v226, v1, v3
	s_delay_alu instid0(VALU_DEP_3) | instskip(NEXT) | instid1(VALU_DEP_2)
	v_and_b32_e32 v223, 0xff, v136
	v_bfe_i32 v226, v226, 0, 8
	s_delay_alu instid0(VALU_DEP_2)
	v_or_b32_e32 v137, v223, v0
	v_sub_nc_u16 v0, v2, v225
	ds_load_2addr_b32 v[2:3], v166 offset0:4 offset1:5
	v_lshlrev_b16 v138, 8, v0
	v_add_nc_u32_e32 v0, 0x3190, v162
	ds_load_2addr_b32 v[0:1], v0 offset1:1
	s_wait_dscnt 0x1
	v_ashrrev_i32_e32 v2, s19, v2
	v_ashrrev_i32_e32 v3, s19, v3
	s_delay_alu instid0(VALU_DEP_2) | instskip(NEXT) | instid1(VALU_DEP_2)
	v_lshlrev_b32_e32 v2, 2, v2
	v_lshlrev_b32_e32 v3, 2, v3
	s_wait_dscnt 0x0
	v_ashrrev_i32_e32 v0, s20, v0
	s_delay_alu instid0(VALU_DEP_3) | instskip(NEXT) | instid1(VALU_DEP_3)
	v_and_b32_e32 v2, 0x4040404, v2
	v_and_b32_e32 v3, 0x4040404, v3
	s_delay_alu instid0(VALU_DEP_3) | instskip(SKIP_1) | instid1(VALU_DEP_4)
	v_and_b32_e32 v223, 0x3030303, v0
	v_bfe_u32 v0, v0, 24, 2
	v_lshrrev_b32_e32 v229, 16, v2
	v_lshrrev_b32_e32 v231, 24, v2
	v_lshrrev_b16 v228, 8, v2
	v_lshrrev_b32_e32 v227, 16, v223
	v_lshrrev_b16 v225, 8, v223
	v_sub_nc_u16 v142, v223, v2
	v_sub_nc_u16 v0, v0, v231
	s_delay_alu instid0(VALU_DEP_4) | instskip(SKIP_1) | instid1(VALU_DEP_3)
	v_sub_nc_u16 v139, v227, v229
	v_bfe_i32 v229, v172, 0, 8
	v_lshlrev_b16 v0, 8, v0
	s_delay_alu instid0(VALU_DEP_3) | instskip(NEXT) | instid1(VALU_DEP_1)
	v_and_b32_e32 v227, 0xff, v139
	v_or_b32_e32 v140, v227, v0
	v_sub_nc_u16 v0, v225, v228
	v_lshrrev_b32_e32 v227, 16, v3
	v_lshrrev_b32_e32 v228, 24, v3
	v_lshrrev_b16 v225, 8, v3
	s_delay_alu instid0(VALU_DEP_4) | instskip(SKIP_1) | instid1(VALU_DEP_2)
	v_lshlrev_b16 v141, 8, v0
	v_ashrrev_i32_e32 v0, s20, v1
	v_bfe_i32 v172, v141, 8, 8
	s_delay_alu instid0(VALU_DEP_2) | instskip(SKIP_1) | instid1(VALU_DEP_2)
	v_and_b32_e32 v1, 0x3030303, v0
	v_bfe_u32 v0, v0, 24, 2
	v_lshrrev_b32_e32 v223, 16, v1
	s_delay_alu instid0(VALU_DEP_2) | instskip(SKIP_2) | instid1(VALU_DEP_4)
	v_sub_nc_u16 v0, v0, v228
	v_lshrrev_b16 v2, 8, v1
	v_sub_nc_u16 v94, v1, v3
	v_sub_nc_u16 v143, v223, v227
	s_delay_alu instid0(VALU_DEP_4) | instskip(NEXT) | instid1(VALU_DEP_2)
	v_lshlrev_b16 v0, 8, v0
	v_and_b32_e32 v223, 0xff, v143
	s_delay_alu instid0(VALU_DEP_1)
	v_or_b32_e32 v68, v223, v0
	v_sub_nc_u16 v0, v2, v225
	ds_load_2addr_b32 v[2:3], v166 offset0:6 offset1:7
	v_lshlrev_b16 v75, 8, v0
	v_add_nc_u32_e32 v0, 0x3198, v162
	ds_load_2addr_b32 v[0:1], v0 offset1:1
	s_wait_dscnt 0x1
	v_ashrrev_i32_e32 v2, s19, v2
	v_ashrrev_i32_e32 v3, s19, v3
	s_delay_alu instid0(VALU_DEP_2) | instskip(NEXT) | instid1(VALU_DEP_2)
	v_lshlrev_b32_e32 v2, 2, v2
	v_lshlrev_b32_e32 v3, 2, v3
	s_wait_dscnt 0x0
	v_ashrrev_i32_e32 v0, s20, v0
	s_delay_alu instid0(VALU_DEP_3) | instskip(NEXT) | instid1(VALU_DEP_3)
	v_and_b32_e32 v2, 0x4040404, v2
	v_and_b32_e32 v3, 0x4040404, v3
	s_delay_alu instid0(VALU_DEP_3) | instskip(SKIP_1) | instid1(VALU_DEP_4)
	v_and_b32_e32 v162, 0x3030303, v0
	v_bfe_u32 v0, v0, 24, 2
	v_lshrrev_b32_e32 v227, 16, v2
	v_lshrrev_b32_e32 v228, 24, v2
	v_lshrrev_b16 v166, 8, v2
	v_lshrrev_b32_e32 v225, 16, v162
	v_lshrrev_b16 v223, 8, v162
	v_sub_nc_u16 v2, v162, v2
	v_sub_nc_u16 v0, v0, v228
	v_lshrrev_b32_e32 v228, 24, v3
	v_sub_nc_u16 v95, v225, v227
	v_lshrrev_b32_e32 v227, 16, v3
	s_delay_alu instid0(VALU_DEP_4) | instskip(NEXT) | instid1(VALU_DEP_3)
	v_lshlrev_b16 v0, 8, v0
	v_and_b32_e32 v225, 0xff, v95
	s_delay_alu instid0(VALU_DEP_1) | instskip(SKIP_2) | instid1(VALU_DEP_2)
	v_or_b32_e32 v96, v225, v0
	v_sub_nc_u16 v0, v223, v166
	v_lshrrev_b16 v225, 8, v3
	v_lshlrev_b16 v166, 8, v0
	v_ashrrev_i32_e32 v0, s20, v1
	s_delay_alu instid0(VALU_DEP_1) | instskip(SKIP_1) | instid1(VALU_DEP_2)
	v_and_b32_e32 v1, 0x3030303, v0
	v_bfe_u32 v0, v0, 24, 2
	v_lshrrev_b32_e32 v223, 16, v1
	s_delay_alu instid0(VALU_DEP_2)
	v_sub_nc_u16 v0, v0, v228
	v_lshrrev_b16 v162, 8, v1
	v_sub_nc_u16 v1, v1, v3
	v_add3_u32 v3, s22, v157, v130
	v_sub_nc_u16 v47, v223, v227
	v_lshlrev_b16 v0, 8, v0
	v_perm_b32 v227, v168, v165, 0xc0c0500
	v_bfe_i32 v228, v173, 0, 8
	v_bfe_i32 v173, v142, 0, 8
	v_and_b32_e32 v223, 0xff, v47
	v_bfe_i32 v165, v1, 0, 8
	s_delay_alu instid0(VALU_DEP_2)
	v_or_b32_e32 v102, v223, v0
	v_sub_nc_u16 v0, v162, v225
	v_bfe_i32 v223, v4, 0, 8
	ds_load_b32 v162, v3
	v_bfe_i32 v225, v164, 8, 8
	v_perm_b32 v4, v170, v167, 0xc05000c
	v_lshlrev_b16 v103, 8, v0
	v_add_nc_u32_e32 v0, s21, v115
	v_perm_b32 v170, v140, v139, 0xc0c0500
	v_bfe_i32 v167, v2, 0, 8
	v_perm_b32 v2, v68, v143, 0xc05000c
	ds_load_u16 v0, v0
	v_mul_i32_i24_e32 v3, v8, v223
	s_delay_alu instid0(VALU_DEP_1) | instskip(NEXT) | instid1(VALU_DEP_1)
	v_mad_i32_i24 v3, v51, v225, v3
	v_dot4_i32_iu8 v3, v132, v227, v3 neg_lo:[1,1,0]
	v_perm_b32 v132, v169, v169, 0xc0c0c01
	v_bfe_i32 v169, v94, 0, 8
	s_delay_alu instid0(VALU_DEP_3) | instskip(NEXT) | instid1(VALU_DEP_3)
	v_mad_i32_i24 v3, v53, v229, v3
	v_or_b32_e32 v231, v4, v132
	v_perm_b32 v4, v234, v233, 0xc05000c
	s_delay_alu instid0(VALU_DEP_2) | instskip(SKIP_3) | instid1(VALU_DEP_3)
	v_dot4_i32_iu8 v3, v5, v231, v3 neg_lo:[1,1,0]
	v_perm_b32 v5, v236, v236, 0xc0c0c01
	s_wait_dscnt 0x0
	v_bfe_i32 v236, v0, 0, 8
	v_mad_i32_i24 v3, v56, v228, v3
	s_delay_alu instid0(VALU_DEP_3) | instskip(SKIP_2) | instid1(VALU_DEP_3)
	v_or_b32_e32 v233, v4, v5
	v_perm_b32 v4, v137, v136, 0xc05000c
	v_perm_b32 v5, v138, v138, 0xc0c0c01
	v_dot4_i32_iu8 v3, v6, v233, v3 neg_lo:[1,1,0]
	s_delay_alu instid0(VALU_DEP_2) | instskip(SKIP_1) | instid1(VALU_DEP_3)
	v_or_b32_e32 v234, v4, v5
	v_lshrrev_b16 v4, 8, v0
	v_mad_i32_i24 v3, v60, v226, v3
	s_delay_alu instid0(VALU_DEP_1) | instskip(NEXT) | instid1(VALU_DEP_1)
	v_dot4_i32_iu8 v3, v7, v234, v3 neg_lo:[1,1,0]
	v_mul_lo_u32 v0, v3, v236
	v_mul_i32_i24_e32 v3, v241, v173
	s_delay_alu instid0(VALU_DEP_1) | instskip(NEXT) | instid1(VALU_DEP_1)
	v_mad_i32_i24 v3, v250, v172, v3
	v_dot4_i32_iu8 v3, v134, v170, v3 neg_lo:[1,1,0]
	s_delay_alu instid0(VALU_DEP_1) | instskip(SKIP_1) | instid1(VALU_DEP_1)
	v_mad_i32_i24 v1, v247, v169, v3
	v_perm_b32 v3, v75, v75, 0xc0c0c01
	v_or_b32_e32 v168, v2, v3
	v_perm_b32 v2, v96, v95, 0xc05000c
	v_perm_b32 v3, v166, v166, 0xc0c0c01
	s_delay_alu instid0(VALU_DEP_3) | instskip(NEXT) | instid1(VALU_DEP_2)
	v_dot4_i32_iu8 v1, v133, v168, v1 neg_lo:[1,1,0]
	v_or_b32_e32 v166, v2, v3
	v_perm_b32 v2, v102, v47, 0xc05000c
	v_perm_b32 v3, v103, v103, 0xc0c0c01
	s_delay_alu instid0(VALU_DEP_4) | instskip(NEXT) | instid1(VALU_DEP_2)
	v_mad_i32_i24 v1, v252, v167, v1
	v_or_b32_e32 v164, v2, v3
	s_delay_alu instid0(VALU_DEP_2) | instskip(SKIP_3) | instid1(VALU_DEP_4)
	v_dot4_i32_iu8 v1, v163, v166, v1 neg_lo:[1,1,0]
	v_bfe_i32 v163, v4, 0, 8
	v_mul_i32_i24_e32 v2, v38, v9
	v_mul_i32_i24_e32 v3, v72, v49
	v_mad_i32_i24 v1, v240, v165, v1
	s_delay_alu instid0(VALU_DEP_1) | instskip(NEXT) | instid1(VALU_DEP_1)
	v_dot4_i32_iu8 v1, v135, v164, v1 neg_lo:[1,1,0]
	v_mad_co_u64_u32 v[0:1], null, v1, v163, v[0:1]
	v_mul_f32_e32 v1, v131, v162
	s_delay_alu instid0(VALU_DEP_2) | instskip(NEXT) | instid1(VALU_DEP_1)
	v_cvt_f32_i32_e32 v0, v0
	v_fmac_f32_e32 v86, v1, v0
	v_or_b32_e32 v0, s18, v116
	s_delay_alu instid0(VALU_DEP_1) | instskip(SKIP_3) | instid1(VALU_DEP_1)
	v_lshlrev_b32_e32 v1, 2, v0
	v_lshrrev_b32_e32 v0, 1, v0
	ds_load_b32 v131, v0 offset:38816
	v_mul_i32_i24_e32 v0, v48, v8
	v_mad_i32_i24 v0, v255, v51, v0
	v_bfe_i32 v51, v99, 0, 8
	s_delay_alu instid0(VALU_DEP_2)
	v_add3_u32 v68, v0, v2, v3
	ds_load_b128 v[4:7], v1 offset:25344
	ds_load_b128 v[0:3], v1 offset:25360
	v_mul_i32_i24_e32 v53, v51, v53
	s_wait_dscnt 0x2
	v_mul_f32_e32 v47, v174, v131
	s_wait_dscnt 0x1
	v_lshrrev_b16 v8, 8, v4
	v_bfe_i32 v133, v4, 0, 8
	v_ashrrev_i32_e32 v96, 24, v4
	v_bfe_i32 v102, v4, 16, 8
	v_lshrrev_b16 v75, 8, v5
	v_bfe_i32 v132, v8, 0, 8
	v_mul_i32_i24_e32 v8, v133, v186
	v_mul_i32_i24_e32 v49, v96, v188
	;; [unrolled: 1-line block ×3, first 2 shown]
	v_bfe_i32 v75, v75, 0, 8
	v_ashrrev_i32_e32 v99, 24, v5
	v_mad_i32_i24 v8, v132, v189, v8
	v_lshrrev_b16 v94, 8, v6
	v_lshrrev_b16 v95, 8, v7
	v_mul_i32_i24_e32 v135, v75, v192
	v_mul_i32_i24_e32 v137, v99, v190
	v_add3_u32 v103, v8, v9, v49
	v_bfe_i32 v9, v100, 0, 16
	v_bfe_i32 v8, v24, 0, 16
	;; [unrolled: 1-line block ×5, first 2 shown]
	v_mul_i32_i24_e32 v52, v9, v52
	v_mul_i32_i24_e32 v10, v8, v10
	;; [unrolled: 1-line block ×5, first 2 shown]
	v_add3_u32 v52, v68, v53, v52
	v_bfe_i32 v53, v89, 0, 8
	v_bfe_i32 v94, v94, 0, 8
	;; [unrolled: 1-line block ×4, first 2 shown]
	v_add3_u32 v68, v52, v11, v10
	v_add3_u32 v10, v103, v101, v135
	v_bfe_i32 v11, v90, 0, 16
	v_bfe_i32 v52, v93, 0, 8
	v_mul_i32_i24_e32 v56, v53, v56
	v_ashrrev_i32_e32 v90, 24, v6
	v_add3_u32 v101, v10, v136, v137
	v_bfe_i32 v10, v97, 0, 16
	v_mul_i32_i24_e32 v54, v11, v54
	v_mul_i32_i24_e32 v13, v52, v13
	v_bfe_i32 v93, v6, 16, 8
	v_mul_i32_i24_e32 v97, v89, v197
	v_mul_i32_i24_e32 v12, v10, v12
	;; [unrolled: 1-line block ×3, first 2 shown]
	v_add3_u32 v54, v68, v56, v54
	v_mul_i32_i24_e32 v136, v93, v195
	v_mul_i32_i24_e32 v137, v90, v194
	v_bfe_i32 v56, v79, 0, 8
	v_bfe_i32 v79, v7, 0, 8
	v_add3_u32 v68, v54, v13, v12
	v_add3_u32 v12, v101, v97, v135
	v_bfe_i32 v13, v81, 0, 16
	v_bfe_i32 v54, v87, 0, 8
	v_mul_i32_i24_e32 v60, v56, v60
	v_ashrrev_i32_e32 v87, 24, v7
	v_add3_u32 v97, v12, v136, v137
	v_bfe_i32 v12, v88, 0, 16
	v_mul_i32_i24_e32 v57, v13, v57
	v_mul_i32_i24_e32 v15, v54, v15
	v_bfe_i32 v88, v7, 16, 8
	v_mul_i32_i24_e32 v81, v79, v201
	v_mul_i32_i24_e32 v14, v12, v14
	;; [unrolled: 1-line block ×3, first 2 shown]
	v_add3_u32 v57, v68, v60, v57
	v_mul_i32_i24_e32 v99, v99, v8
	v_mul_i32_i24_e32 v136, v88, v199
	v_mul_i32_i24_e32 v137, v87, v198
	v_mul_i32_i24_e32 v134, v132, v255
	v_add3_u32 v68, v57, v15, v14
	v_add3_u32 v14, v97, v81, v135
	v_mul_i32_i24_e32 v103, v24, v51
	v_mul_i32_i24_e32 v75, v75, v9
	;; [unrolled: 1-line block ×5, first 2 shown]
	v_add3_u32 v14, v14, v136, v137
	v_mul_i32_i24_e32 v60, v87, v12
	v_mad_i32_i24 v87, v96, v72, v99
	v_mul_i32_i24_e32 v101, v89, v53
	v_mul_i32_i24_e32 v93, v93, v52
	v_mul_lo_u32 v81, v14, v224
	v_mul_i32_i24_e32 v14, v79, v56
	v_mul_i32_i24_e32 v15, v95, v13
	;; [unrolled: 1-line block ×3, first 2 shown]
	v_mad_i32_i24 v88, v102, v38, v100
	v_mad_i32_i24 v95, v133, v48, v103
	v_add3_u32 v75, v134, v75, v94
	v_add3_u32 v60, v87, v90, v60
	s_wait_dscnt 0x0
	v_bfe_i32 v90, v0, 16, 8
	v_add3_u32 v57, v88, v93, v57
	v_add3_u32 v14, v95, v101, v14
	v_bfe_i32 v93, v0, 0, 8
	v_add3_u32 v15, v75, v15, v60
	v_bfe_i32 v60, v71, 0, 8
	v_ashrrev_i32_e32 v88, 24, v0
	v_mul_i32_i24_e32 v95, v90, v203
	v_mul_i32_i24_e32 v94, v93, v202
	v_add3_u32 v75, v14, v57, v15
	v_bfe_i32 v14, v78, 0, 16
	v_bfe_i32 v57, v76, 0, 16
	;; [unrolled: 1-line block ×3, first 2 shown]
	v_mul_i32_i24_e32 v71, v60, v241
	v_mul_i32_i24_e32 v96, v88, v204
	v_bfe_i32 v241, v23, 0, 16
	v_mul_i32_i24_e32 v76, v57, v243
	v_mul_i32_i24_e32 v74, v15, v242
	v_mad_i32_i24 v71, v14, v250, v71
	v_bfe_i32 v243, v22, 0, 16
	v_bfe_i32 v250, v21, 0, 8
	;; [unrolled: 1-line block ×4, first 2 shown]
	v_add3_u32 v74, v71, v74, v76
	v_lshrrev_b16 v71, 8, v0
	v_lshrrev_b16 v76, 8, v1
	v_mul_i32_i24_e32 v21, v250, v247
	v_mul_i32_i24_e32 v22, v243, v246
	v_lshrrev_b16 v78, 8, v2
	v_bfe_i32 v71, v71, 0, 8
	v_bfe_i32 v76, v76, 0, 8
	v_mul_i32_i24_e32 v23, v242, v245
	v_mul_i32_i24_e32 v70, v241, v244
	v_bfe_i32 v97, v1, 16, 8
	v_mad_i32_i24 v94, v71, v205, v94
	v_mul_i32_i24_e32 v100, v99, v209
	v_mul_i32_i24_e32 v101, v76, v208
	v_add3_u32 v21, v74, v21, v22
	v_bfe_i32 v246, v20, 0, 16
	v_add3_u32 v94, v94, v95, v96
	v_ashrrev_i32_e32 v96, 24, v1
	v_bfe_i32 v247, v65, 0, 8
	v_mul_i32_i24_e32 v102, v97, v207
	v_add3_u32 v21, v21, v23, v70
	v_add3_u32 v22, v94, v100, v101
	v_mul_i32_i24_e32 v103, v96, v206
	v_mul_i32_i24_e32 v74, v97, v242
	v_bfe_i32 v244, v67, 0, 16
	v_bfe_i32 v245, v66, 0, 8
	v_mul_i32_i24_e32 v20, v247, v252
	v_mul_i32_i24_e32 v65, v246, v251
	v_bfe_i32 v78, v78, 0, 8
	v_bfe_i32 v97, v2, 0, 8
	v_lshrrev_b16 v87, 8, v3
	v_add3_u32 v22, v22, v102, v103
	v_mul_i32_i24_e32 v70, v76, v243
	v_mul_i32_i24_e32 v76, v96, v241
	;; [unrolled: 1-line block ×4, first 2 shown]
	v_ashrrev_i32_e32 v94, 24, v2
	v_bfe_i32 v96, v2, 16, 8
	v_mul_i32_i24_e32 v100, v97, v213
	v_mul_i32_i24_e32 v101, v78, v212
	v_add3_u32 v20, v21, v20, v65
	v_bfe_i32 v251, v18, 0, 16
	v_bfe_i32 v252, v254, 0, 8
	v_mul_i32_i24_e32 v102, v96, v211
	v_mul_i32_i24_e32 v103, v94, v210
	v_add3_u32 v20, v20, v66, v67
	v_add3_u32 v21, v22, v100, v101
	v_mul_i32_i24_e32 v65, v78, v246
	v_bfe_i32 v248, v19, 0, 16
	v_bfe_i32 v249, v64, 0, 8
	v_mul_i32_i24_e32 v18, v252, v240
	v_mul_i32_i24_e32 v19, v251, v61
	v_bfe_i32 v78, v87, 0, 8
	v_bfe_i32 v87, v3, 0, 8
	v_add3_u32 v21, v21, v102, v103
	v_mul_i32_i24_e32 v66, v96, v245
	v_mul_i32_i24_e32 v67, v94, v244
	;; [unrolled: 1-line block ×4, first 2 shown]
	v_ashrrev_i32_e32 v61, 24, v3
	v_bfe_i32 v64, v3, 16, 8
	v_mul_i32_i24_e32 v94, v87, v217
	v_mul_i32_i24_e32 v96, v78, v216
	v_add3_u32 v18, v20, v18, v19
	v_mul_i32_i24_e32 v101, v61, v214
	v_mul_i32_i24_e32 v100, v64, v215
	;; [unrolled: 1-line block ×4, first 2 shown]
	v_add3_u32 v18, v18, v17, v16
	v_add3_u32 v16, v21, v94, v96
	v_mul_i32_i24_e32 v20, v61, v248
	v_mad_i32_i24 v21, v88, v57, v76
	v_mul_i32_i24_e32 v22, v97, v247
	v_mul_i32_i24_e32 v19, v64, v249
	v_add3_u32 v16, v16, v100, v101
	v_mad_i32_i24 v23, v93, v60, v23
	v_add3_u32 v61, v95, v70, v65
	v_add3_u32 v20, v21, v67, v20
	v_perm_b32 v5, v5, v5, 0xc030201
	v_mad_co_u64_u32 v[16:17], null, v16, v218, v[81:82]
	v_mul_i32_i24_e32 v17, v78, v251
	v_perm_b32 v6, v6, v6, 0xc030201
	v_perm_b32 v2, v2, v2, 0xc030201
	;; [unrolled: 1-line block ×4, first 2 shown]
	v_add3_u32 v17, v61, v17, v20
	v_cvt_f32_i32_e32 v16, v16
	s_delay_alu instid0(VALU_DEP_1) | instskip(SKIP_2) | instid1(VALU_DEP_2)
	v_fmac_f32_e32 v85, v47, v16
	v_mul_i32_i24_e32 v16, v87, v252
	v_mad_i32_i24 v47, v90, v15, v74
	v_add3_u32 v16, v23, v22, v16
	s_delay_alu instid0(VALU_DEP_2) | instskip(NEXT) | instid1(VALU_DEP_1)
	v_add3_u32 v19, v47, v66, v19
	v_add3_u32 v19, v16, v19, v17
	ds_load_u16 v16, v63
	s_wait_dscnt 0x0
	v_lshrrev_b16 v17, 8, v16
	v_bfe_i32 v16, v16, 0, 8
	s_delay_alu instid0(VALU_DEP_2) | instskip(NEXT) | instid1(VALU_DEP_2)
	v_bfe_i32 v254, v17, 0, 8
	v_mul_lo_u32 v17, v68, v16
	s_delay_alu instid0(VALU_DEP_1) | instskip(NEXT) | instid1(VALU_DEP_1)
	v_mad_co_u64_u32 v[17:18], null, v18, v254, v[17:18]
                                        ; kill: def $vgpr18 killed $sgpr0 killed $exec
	v_cvt_f32_i32_e32 v17, v17
	s_delay_alu instid0(VALU_DEP_1) | instskip(SKIP_1) | instid1(VALU_DEP_1)
	v_fmac_f32_e32 v98, v253, v17
	v_mul_lo_u32 v17, v75, v16
	v_mad_co_u64_u32 v[17:18], null, v19, v254, v[17:18]
	v_mul_f32_e32 v18, v175, v131
	v_perm_b32 v19, v0, v0, 0xc0c0302
	s_delay_alu instid0(VALU_DEP_3) | instskip(NEXT) | instid1(VALU_DEP_1)
	v_cvt_f32_i32_e32 v17, v17
	v_fmac_f32_e32 v84, v18, v17
	v_mul_i32_i24_e32 v17, v133, v177
	v_perm_b32 v18, v4, v4, 0xc0c0302
	s_delay_alu instid0(VALU_DEP_2) | instskip(NEXT) | instid1(VALU_DEP_1)
	v_mad_i32_i24 v17, v132, v178, v17
	v_dot4_i32_iu8 v4, v18, v221, v17 neg_lo:[1,1,0]
	v_mul_i32_i24_e32 v17, v93, v238
	s_delay_alu instid0(VALU_DEP_2) | instskip(NEXT) | instid1(VALU_DEP_2)
	v_mad_i32_i24 v4, v24, v222, v4
	v_mad_i32_i24 v17, v71, v239, v17
	s_delay_alu instid0(VALU_DEP_2) | instskip(NEXT) | instid1(VALU_DEP_2)
	v_dot4_i32_iu8 v4, v5, v230, v4 neg_lo:[1,1,0]
	v_dot4_i32_iu8 v0, v19, v180, v17 neg_lo:[1,1,0]
	v_perm_b32 v17, v1, v1, 0xc030201
	s_delay_alu instid0(VALU_DEP_3) | instskip(NEXT) | instid1(VALU_DEP_3)
	v_mad_i32_i24 v4, v89, v220, v4
	v_mad_i32_i24 v0, v99, v181, v0
	s_delay_alu instid0(VALU_DEP_2) | instskip(NEXT) | instid1(VALU_DEP_2)
	v_dot4_i32_iu8 v4, v6, v232, v4 neg_lo:[1,1,0]
	v_dot4_i32_iu8 v0, v17, v182, v0 neg_lo:[1,1,0]
	s_delay_alu instid0(VALU_DEP_2) | instskip(NEXT) | instid1(VALU_DEP_2)
	v_mad_i32_i24 v4, v79, v219, v4
	v_mad_i32_i24 v0, v97, v179, v0
	s_delay_alu instid0(VALU_DEP_2) | instskip(NEXT) | instid1(VALU_DEP_2)
	v_dot4_i32_iu8 v4, v7, v235, v4 neg_lo:[1,1,0]
	v_dot4_i32_iu8 v0, v2, v183, v0 neg_lo:[1,1,0]
	s_delay_alu instid0(VALU_DEP_2) | instskip(NEXT) | instid1(VALU_DEP_2)
	v_mul_lo_u32 v4, v4, v237
	v_mad_i32_i24 v0, v87, v176, v0
	s_delay_alu instid0(VALU_DEP_1) | instskip(NEXT) | instid1(VALU_DEP_1)
	v_dot4_i32_iu8 v0, v3, v184, v0 neg_lo:[1,1,0]
	v_mad_co_u64_u32 v[0:1], null, v0, v185, v[4:5]
	v_mul_f32_e32 v1, v171, v131
	s_delay_alu instid0(VALU_DEP_2) | instskip(NEXT) | instid1(VALU_DEP_1)
	v_cvt_f32_i32_e32 v0, v0
	v_fmac_f32_e32 v83, v1, v0
	v_mul_i32_i24_e32 v0, v133, v223
	v_mul_i32_i24_e32 v1, v93, v173
	s_delay_alu instid0(VALU_DEP_2) | instskip(NEXT) | instid1(VALU_DEP_2)
	v_mad_i32_i24 v0, v132, v225, v0
	v_mad_i32_i24 v1, v71, v172, v1
	s_delay_alu instid0(VALU_DEP_2) | instskip(NEXT) | instid1(VALU_DEP_2)
	v_dot4_i32_iu8 v0, v18, v227, v0 neg_lo:[1,1,0]
	v_dot4_i32_iu8 v1, v19, v170, v1 neg_lo:[1,1,0]
	s_delay_alu instid0(VALU_DEP_2) | instskip(NEXT) | instid1(VALU_DEP_2)
	v_mad_i32_i24 v0, v24, v229, v0
	v_mad_i32_i24 v1, v99, v169, v1
	s_delay_alu instid0(VALU_DEP_2) | instskip(NEXT) | instid1(VALU_DEP_2)
	v_dot4_i32_iu8 v0, v5, v231, v0 neg_lo:[1,1,0]
	v_dot4_i32_iu8 v1, v17, v168, v1 neg_lo:[1,1,0]
	;; [unrolled: 6-line block ×4, first 2 shown]
	s_delay_alu instid0(VALU_DEP_2) | instskip(NEXT) | instid1(VALU_DEP_1)
	v_mul_lo_u32 v0, v0, v236
	v_mad_co_u64_u32 v[0:1], null, v1, v163, v[0:1]
	v_mul_f32_e32 v1, v162, v131
	s_delay_alu instid0(VALU_DEP_2) | instskip(NEXT) | instid1(VALU_DEP_1)
	v_cvt_f32_i32_e32 v0, v0
	v_fmac_f32_e32 v82, v1, v0
	v_or_b32_e32 v0, s18, v117
	s_delay_alu instid0(VALU_DEP_1)
	v_lshlrev_b32_e32 v4, 2, v0
	v_lshrrev_b32_e32 v0, 1, v0
	ds_load_b32 v19, v0 offset:38816
	ds_load_b128 v[0:3], v4 offset:25344
	ds_load_b128 v[4:7], v4 offset:25360
	s_wait_dscnt 0x1
	v_bfe_i32 v20, v0, 0, 8
	v_bfe_i32 v21, v0, 8, 8
	;; [unrolled: 1-line block ×3, first 2 shown]
	v_ashrrev_i32_e32 v23, 24, v0
	v_bfe_i32 v24, v1, 0, 8
	v_mul_i32_i24_e32 v17, v186, v20
	v_bfe_i32 v47, v1, 8, 8
	v_mul_i32_i24_e32 v18, v187, v22
	v_mul_i32_i24_e32 v101, v188, v23
	v_bfe_i32 v61, v1, 16, 8
	v_mad_i32_i24 v17, v189, v21, v17
	v_ashrrev_i32_e32 v63, 24, v1
	s_wait_dscnt 0x0
	v_bfe_i32 v75, v4, 0, 8
	v_bfe_i32 v76, v4, 8, 8
	;; [unrolled: 1-line block ×3, first 2 shown]
	v_add3_u32 v17, v17, v18, v101
	v_mul_i32_i24_e32 v18, v193, v24
	v_mul_i32_i24_e32 v101, v192, v47
	v_ashrrev_i32_e32 v79, 24, v4
	v_mul_i32_i24_e32 v102, v191, v61
	v_mul_i32_i24_e32 v103, v190, v63
	v_bfe_i32 v64, v2, 0, 8
	v_add3_u32 v17, v17, v18, v101
	v_mul_i32_i24_e32 v18, v202, v75
	v_bfe_i32 v65, v2, 8, 8
	v_bfe_i32 v81, v5, 0, 8
	;; [unrolled: 1-line block ×3, first 2 shown]
	v_add3_u32 v17, v17, v102, v103
	v_mul_i32_i24_e32 v101, v203, v78
	v_mul_i32_i24_e32 v102, v204, v79
	v_mad_i32_i24 v18, v205, v76, v18
	v_bfe_i32 v66, v2, 16, 8
	v_ashrrev_i32_e32 v67, 24, v2
	v_bfe_i32 v88, v5, 16, 8
	v_ashrrev_i32_e32 v89, 24, v5
	v_mul_i32_i24_e32 v131, v197, v64
	v_mul_i32_i24_e32 v132, v196, v65
	v_add3_u32 v18, v18, v101, v102
	v_mul_i32_i24_e32 v101, v209, v81
	v_mul_i32_i24_e32 v102, v208, v87
	v_bfe_i32 v68, v3, 0, 8
	v_bfe_i32 v70, v3, 8, 8
	;; [unrolled: 1-line block ×4, first 2 shown]
	v_mul_i32_i24_e32 v133, v195, v66
	v_mul_i32_i24_e32 v134, v194, v67
	v_add3_u32 v17, v17, v131, v132
	v_mul_i32_i24_e32 v103, v207, v88
	v_mul_i32_i24_e32 v131, v206, v89
	v_add3_u32 v18, v18, v101, v102
	v_bfe_i32 v71, v3, 16, 8
	v_ashrrev_i32_e32 v74, 24, v3
	v_bfe_i32 v94, v6, 16, 8
	v_ashrrev_i32_e32 v95, 24, v6
	v_mul_i32_i24_e32 v135, v201, v68
	v_mul_i32_i24_e32 v136, v200, v70
	v_add3_u32 v17, v17, v133, v134
	v_mul_i32_i24_e32 v132, v213, v90
	v_mul_i32_i24_e32 v133, v212, v93
	v_add3_u32 v18, v18, v103, v131
	v_bfe_i32 v96, v7, 0, 8
	v_bfe_i32 v97, v7, 8, 8
	v_mul_i32_i24_e32 v137, v199, v71
	v_mul_i32_i24_e32 v138, v198, v74
	v_add3_u32 v17, v17, v135, v136
	v_mul_i32_i24_e32 v134, v211, v94
	v_mul_i32_i24_e32 v135, v210, v95
	v_add3_u32 v18, v18, v132, v133
	v_bfe_i32 v99, v7, 16, 8
	v_ashrrev_i32_e32 v100, 24, v7
	v_add3_u32 v17, v17, v137, v138
	v_mul_i32_i24_e32 v136, v217, v96
	v_mul_i32_i24_e32 v137, v216, v97
	v_add3_u32 v18, v18, v134, v135
	v_mul_i32_i24_e32 v138, v215, v99
	v_mul_i32_i24_e32 v139, v214, v100
	v_mul_lo_u32 v17, v17, v224
	v_mul_i32_i24_e32 v70, v13, v70
	v_add3_u32 v18, v18, v136, v137
	v_mul_i32_i24_e32 v71, v54, v71
	v_mul_i32_i24_e32 v74, v12, v74
	v_perm_b32 v4, v4, v4, 0xc0c0302
	v_perm_b32 v5, v5, v5, 0xc030201
	v_add3_u32 v18, v18, v138, v139
	v_perm_b32 v2, v2, v2, 0xc030201
	v_perm_b32 v6, v6, v6, 0xc030201
	;; [unrolled: 1-line block ×4, first 2 shown]
	v_mad_co_u64_u32 v[17:18], null, v18, v218, v[17:18]
	v_mul_f32_e32 v18, v174, v19
	s_delay_alu instid0(VALU_DEP_2) | instskip(NEXT) | instid1(VALU_DEP_1)
	v_cvt_f32_i32_e32 v17, v17
	v_fmac_f32_e32 v80, v18, v17
	v_mul_i32_i24_e32 v17, v48, v20
	v_mul_i32_i24_e32 v18, v38, v22
	;; [unrolled: 1-line block ×5, first 2 shown]
	v_mad_i32_i24 v17, v255, v21, v17
	s_delay_alu instid0(VALU_DEP_1)
	v_add3_u32 v17, v17, v18, v22
	v_mul_i32_i24_e32 v18, v51, v24
	v_mul_i32_i24_e32 v22, v9, v47
	;; [unrolled: 1-line block ×6, first 2 shown]
	v_add3_u32 v17, v17, v18, v22
	v_mul_i32_i24_e32 v18, v60, v75
	v_mul_i32_i24_e32 v22, v15, v78
	v_mul_i32_i24_e32 v67, v56, v68
	v_mul_i32_i24_e32 v78, v248, v100
	v_add3_u32 v17, v17, v23, v47
	v_mul_i32_i24_e32 v23, v57, v79
	v_mad_i32_i24 v18, v14, v76, v18
	v_mul_i32_i24_e32 v47, v242, v88
	s_delay_alu instid0(VALU_DEP_4) | instskip(SKIP_1) | instid1(VALU_DEP_4)
	v_add3_u32 v17, v17, v61, v63
	v_mul_i32_i24_e32 v61, v241, v89
	v_add3_u32 v18, v18, v22, v23
	v_mul_i32_i24_e32 v22, v250, v81
	v_mul_i32_i24_e32 v23, v243, v87
	v_add3_u32 v17, v17, v65, v66
	v_mul_i32_i24_e32 v63, v247, v90
	v_mul_i32_i24_e32 v65, v246, v93
	;; [unrolled: 1-line block ×3, first 2 shown]
	v_add3_u32 v18, v18, v22, v23
	v_add3_u32 v17, v17, v67, v70
	v_mul_i32_i24_e32 v67, v244, v95
	v_mul_i32_i24_e32 v70, v252, v96
	s_delay_alu instid0(VALU_DEP_4) | instskip(NEXT) | instid1(VALU_DEP_4)
	v_add3_u32 v18, v18, v47, v61
	v_add3_u32 v17, v17, v71, v74
	v_mul_i32_i24_e32 v71, v251, v97
	v_mul_i32_i24_e32 v74, v249, v99
	s_delay_alu instid0(VALU_DEP_4) | instskip(NEXT) | instid1(VALU_DEP_4)
	v_add3_u32 v18, v18, v63, v65
	v_mul_lo_u32 v17, v17, v16
	s_delay_alu instid0(VALU_DEP_2) | instskip(NEXT) | instid1(VALU_DEP_1)
	v_add3_u32 v18, v18, v66, v67
	v_add3_u32 v18, v18, v70, v71
	s_delay_alu instid0(VALU_DEP_1) | instskip(NEXT) | instid1(VALU_DEP_1)
	v_add3_u32 v18, v18, v74, v78
	v_mad_co_u64_u32 v[17:18], null, v18, v254, v[17:18]
	v_mul_f32_e32 v18, v175, v19
	s_delay_alu instid0(VALU_DEP_2) | instskip(NEXT) | instid1(VALU_DEP_1)
	v_cvt_f32_i32_e32 v17, v17
	v_fmac_f32_e32 v77, v18, v17
	v_mul_i32_i24_e32 v17, v20, v177
	v_perm_b32 v18, v0, v0, 0xc0c0302
	s_delay_alu instid0(VALU_DEP_2) | instskip(NEXT) | instid1(VALU_DEP_1)
	v_mad_i32_i24 v17, v21, v178, v17
	v_dot4_i32_iu8 v0, v18, v221, v17 neg_lo:[1,1,0]
	v_perm_b32 v17, v1, v1, 0xc030201
	v_mul_i32_i24_e32 v1, v75, v238
	s_delay_alu instid0(VALU_DEP_3) | instskip(NEXT) | instid1(VALU_DEP_2)
	v_mad_i32_i24 v0, v24, v222, v0
	v_mad_i32_i24 v1, v76, v239, v1
	s_delay_alu instid0(VALU_DEP_2) | instskip(NEXT) | instid1(VALU_DEP_2)
	v_dot4_i32_iu8 v0, v17, v230, v0 neg_lo:[1,1,0]
	v_dot4_i32_iu8 v1, v4, v180, v1 neg_lo:[1,1,0]
	s_delay_alu instid0(VALU_DEP_2) | instskip(NEXT) | instid1(VALU_DEP_2)
	v_mad_i32_i24 v0, v64, v220, v0
	v_mad_i32_i24 v1, v81, v181, v1
	s_delay_alu instid0(VALU_DEP_2) | instskip(NEXT) | instid1(VALU_DEP_2)
	v_dot4_i32_iu8 v0, v2, v232, v0 neg_lo:[1,1,0]
	v_dot4_i32_iu8 v1, v5, v182, v1 neg_lo:[1,1,0]
	s_delay_alu instid0(VALU_DEP_2) | instskip(NEXT) | instid1(VALU_DEP_2)
	;; [unrolled: 6-line block ×3, first 2 shown]
	v_mul_lo_u32 v0, v0, v237
	v_mad_i32_i24 v1, v96, v176, v1
	s_delay_alu instid0(VALU_DEP_1) | instskip(NEXT) | instid1(VALU_DEP_1)
	v_dot4_i32_iu8 v1, v7, v184, v1 neg_lo:[1,1,0]
	v_mad_co_u64_u32 v[0:1], null, v1, v185, v[0:1]
	v_mul_f32_e32 v1, v171, v19
	s_delay_alu instid0(VALU_DEP_2) | instskip(NEXT) | instid1(VALU_DEP_1)
	v_cvt_f32_i32_e32 v0, v0
	v_fmac_f32_e32 v73, v1, v0
	v_mul_i32_i24_e32 v0, v20, v223
	v_mul_i32_i24_e32 v1, v75, v173
	s_delay_alu instid0(VALU_DEP_2) | instskip(NEXT) | instid1(VALU_DEP_2)
	v_mad_i32_i24 v0, v21, v225, v0
	v_mad_i32_i24 v1, v76, v172, v1
	s_delay_alu instid0(VALU_DEP_2) | instskip(NEXT) | instid1(VALU_DEP_2)
	v_dot4_i32_iu8 v0, v18, v227, v0 neg_lo:[1,1,0]
	v_dot4_i32_iu8 v1, v4, v170, v1 neg_lo:[1,1,0]
	s_delay_alu instid0(VALU_DEP_2) | instskip(NEXT) | instid1(VALU_DEP_2)
	v_mad_i32_i24 v0, v24, v229, v0
	v_mad_i32_i24 v1, v81, v169, v1
	s_delay_alu instid0(VALU_DEP_2) | instskip(NEXT) | instid1(VALU_DEP_2)
	v_dot4_i32_iu8 v0, v17, v231, v0 neg_lo:[1,1,0]
	v_dot4_i32_iu8 v1, v5, v168, v1 neg_lo:[1,1,0]
	;; [unrolled: 6-line block ×4, first 2 shown]
	s_delay_alu instid0(VALU_DEP_2) | instskip(NEXT) | instid1(VALU_DEP_1)
	v_mul_lo_u32 v0, v0, v236
	v_mad_co_u64_u32 v[0:1], null, v1, v163, v[0:1]
	v_mul_f32_e32 v1, v162, v19
	s_delay_alu instid0(VALU_DEP_2) | instskip(NEXT) | instid1(VALU_DEP_1)
	v_cvt_f32_i32_e32 v0, v0
	v_fmac_f32_e32 v69, v1, v0
	v_or_b32_e32 v0, s18, v118
	s_delay_alu instid0(VALU_DEP_1)
	v_lshlrev_b32_e32 v4, 2, v0
	v_lshrrev_b32_e32 v0, 1, v0
	ds_load_b32 v19, v0 offset:38816
	ds_load_b128 v[0:3], v4 offset:25344
	ds_load_b128 v[4:7], v4 offset:25360
	s_wait_dscnt 0x1
	v_bfe_i32 v20, v0, 0, 8
	v_bfe_i32 v21, v0, 8, 8
	v_bfe_i32 v22, v0, 16, 8
	v_ashrrev_i32_e32 v23, 24, v0
	v_bfe_i32 v24, v1, 0, 8
	v_mul_i32_i24_e32 v17, v186, v20
	v_bfe_i32 v47, v1, 8, 8
	v_mul_i32_i24_e32 v18, v187, v22
	v_mul_i32_i24_e32 v101, v188, v23
	v_bfe_i32 v61, v1, 16, 8
	v_mad_i32_i24 v17, v189, v21, v17
	v_ashrrev_i32_e32 v63, 24, v1
	s_wait_dscnt 0x0
	v_bfe_i32 v75, v4, 0, 8
	v_bfe_i32 v76, v4, 8, 8
	;; [unrolled: 1-line block ×3, first 2 shown]
	v_add3_u32 v17, v17, v18, v101
	v_mul_i32_i24_e32 v18, v193, v24
	v_mul_i32_i24_e32 v101, v192, v47
	v_ashrrev_i32_e32 v79, 24, v4
	v_mul_i32_i24_e32 v102, v191, v61
	v_mul_i32_i24_e32 v103, v190, v63
	v_bfe_i32 v64, v2, 0, 8
	v_add3_u32 v17, v17, v18, v101
	v_mul_i32_i24_e32 v18, v202, v75
	v_bfe_i32 v65, v2, 8, 8
	v_bfe_i32 v81, v5, 0, 8
	;; [unrolled: 1-line block ×3, first 2 shown]
	v_add3_u32 v17, v17, v102, v103
	v_mul_i32_i24_e32 v101, v203, v78
	v_mul_i32_i24_e32 v102, v204, v79
	v_mad_i32_i24 v18, v205, v76, v18
	v_bfe_i32 v66, v2, 16, 8
	v_ashrrev_i32_e32 v67, 24, v2
	v_bfe_i32 v88, v5, 16, 8
	v_ashrrev_i32_e32 v89, 24, v5
	v_mul_i32_i24_e32 v131, v197, v64
	v_mul_i32_i24_e32 v132, v196, v65
	v_add3_u32 v18, v18, v101, v102
	v_mul_i32_i24_e32 v101, v209, v81
	v_mul_i32_i24_e32 v102, v208, v87
	v_bfe_i32 v68, v3, 0, 8
	v_bfe_i32 v70, v3, 8, 8
	;; [unrolled: 1-line block ×4, first 2 shown]
	v_mul_i32_i24_e32 v133, v195, v66
	v_mul_i32_i24_e32 v134, v194, v67
	v_add3_u32 v17, v17, v131, v132
	v_mul_i32_i24_e32 v103, v207, v88
	v_mul_i32_i24_e32 v131, v206, v89
	v_add3_u32 v18, v18, v101, v102
	v_bfe_i32 v71, v3, 16, 8
	v_ashrrev_i32_e32 v74, 24, v3
	v_bfe_i32 v94, v6, 16, 8
	v_ashrrev_i32_e32 v95, 24, v6
	v_mul_i32_i24_e32 v135, v201, v68
	v_mul_i32_i24_e32 v136, v200, v70
	v_add3_u32 v17, v17, v133, v134
	v_mul_i32_i24_e32 v132, v213, v90
	v_mul_i32_i24_e32 v133, v212, v93
	v_add3_u32 v18, v18, v103, v131
	v_bfe_i32 v96, v7, 0, 8
	v_bfe_i32 v97, v7, 8, 8
	v_mul_i32_i24_e32 v137, v199, v71
	v_mul_i32_i24_e32 v138, v198, v74
	v_add3_u32 v17, v17, v135, v136
	v_mul_i32_i24_e32 v134, v211, v94
	v_mul_i32_i24_e32 v135, v210, v95
	v_add3_u32 v18, v18, v132, v133
	v_bfe_i32 v99, v7, 16, 8
	v_ashrrev_i32_e32 v100, 24, v7
	v_add3_u32 v17, v17, v137, v138
	v_mul_i32_i24_e32 v136, v217, v96
	v_mul_i32_i24_e32 v137, v216, v97
	v_add3_u32 v18, v18, v134, v135
	v_mul_i32_i24_e32 v138, v215, v99
	v_mul_i32_i24_e32 v139, v214, v100
	v_mul_lo_u32 v17, v17, v224
	v_mul_i32_i24_e32 v70, v13, v70
	v_add3_u32 v18, v18, v136, v137
	v_mul_i32_i24_e32 v71, v54, v71
	v_mul_i32_i24_e32 v74, v12, v74
	v_perm_b32 v4, v4, v4, 0xc0c0302
	v_perm_b32 v5, v5, v5, 0xc030201
	v_add3_u32 v18, v18, v138, v139
	v_perm_b32 v2, v2, v2, 0xc030201
	v_perm_b32 v6, v6, v6, 0xc030201
	;; [unrolled: 1-line block ×4, first 2 shown]
	v_mad_co_u64_u32 v[17:18], null, v18, v218, v[17:18]
	v_mul_f32_e32 v18, v174, v19
	s_delay_alu instid0(VALU_DEP_2) | instskip(NEXT) | instid1(VALU_DEP_1)
	v_cvt_f32_i32_e32 v17, v17
	v_fmac_f32_e32 v62, v18, v17
	v_mul_i32_i24_e32 v17, v48, v20
	v_mul_i32_i24_e32 v18, v38, v22
	;; [unrolled: 1-line block ×5, first 2 shown]
	v_mad_i32_i24 v17, v255, v21, v17
	s_delay_alu instid0(VALU_DEP_1)
	v_add3_u32 v17, v17, v18, v22
	v_mul_i32_i24_e32 v18, v51, v24
	v_mul_i32_i24_e32 v22, v9, v47
	;; [unrolled: 1-line block ×6, first 2 shown]
	v_add3_u32 v17, v17, v18, v22
	v_mul_i32_i24_e32 v18, v60, v75
	v_mul_i32_i24_e32 v22, v15, v78
	;; [unrolled: 1-line block ×4, first 2 shown]
	v_add3_u32 v17, v17, v23, v47
	v_mul_i32_i24_e32 v23, v57, v79
	v_mad_i32_i24 v18, v14, v76, v18
	v_mul_i32_i24_e32 v47, v242, v88
	s_delay_alu instid0(VALU_DEP_4) | instskip(SKIP_1) | instid1(VALU_DEP_4)
	v_add3_u32 v17, v17, v61, v63
	v_mul_i32_i24_e32 v61, v241, v89
	v_add3_u32 v18, v18, v22, v23
	v_mul_i32_i24_e32 v22, v250, v81
	v_mul_i32_i24_e32 v23, v243, v87
	v_add3_u32 v17, v17, v65, v66
	v_mul_i32_i24_e32 v63, v247, v90
	v_mul_i32_i24_e32 v65, v246, v93
	;; [unrolled: 1-line block ×3, first 2 shown]
	v_add3_u32 v18, v18, v22, v23
	v_add3_u32 v17, v17, v67, v70
	v_mul_i32_i24_e32 v67, v244, v95
	v_mul_i32_i24_e32 v70, v252, v96
	s_delay_alu instid0(VALU_DEP_4) | instskip(NEXT) | instid1(VALU_DEP_4)
	v_add3_u32 v18, v18, v47, v61
	v_add3_u32 v17, v17, v71, v74
	v_mul_i32_i24_e32 v71, v251, v97
	v_mul_i32_i24_e32 v74, v249, v99
	s_delay_alu instid0(VALU_DEP_4) | instskip(NEXT) | instid1(VALU_DEP_4)
	v_add3_u32 v18, v18, v63, v65
	v_mul_lo_u32 v17, v17, v16
	s_delay_alu instid0(VALU_DEP_2) | instskip(NEXT) | instid1(VALU_DEP_1)
	v_add3_u32 v18, v18, v66, v67
	v_add3_u32 v18, v18, v70, v71
	s_delay_alu instid0(VALU_DEP_1) | instskip(NEXT) | instid1(VALU_DEP_1)
	v_add3_u32 v18, v18, v74, v78
	v_mad_co_u64_u32 v[17:18], null, v18, v254, v[17:18]
	v_mul_f32_e32 v18, v175, v19
	s_delay_alu instid0(VALU_DEP_2) | instskip(NEXT) | instid1(VALU_DEP_1)
	v_cvt_f32_i32_e32 v17, v17
	v_fmac_f32_e32 v58, v18, v17
	v_mul_i32_i24_e32 v17, v20, v177
	v_perm_b32 v18, v0, v0, 0xc0c0302
	s_delay_alu instid0(VALU_DEP_2) | instskip(NEXT) | instid1(VALU_DEP_1)
	v_mad_i32_i24 v17, v21, v178, v17
	v_dot4_i32_iu8 v0, v18, v221, v17 neg_lo:[1,1,0]
	v_perm_b32 v17, v1, v1, 0xc030201
	v_mul_i32_i24_e32 v1, v75, v238
	s_delay_alu instid0(VALU_DEP_3) | instskip(NEXT) | instid1(VALU_DEP_2)
	v_mad_i32_i24 v0, v24, v222, v0
	v_mad_i32_i24 v1, v76, v239, v1
	s_delay_alu instid0(VALU_DEP_2) | instskip(NEXT) | instid1(VALU_DEP_2)
	v_dot4_i32_iu8 v0, v17, v230, v0 neg_lo:[1,1,0]
	v_dot4_i32_iu8 v1, v4, v180, v1 neg_lo:[1,1,0]
	s_delay_alu instid0(VALU_DEP_2) | instskip(NEXT) | instid1(VALU_DEP_2)
	v_mad_i32_i24 v0, v64, v220, v0
	v_mad_i32_i24 v1, v81, v181, v1
	s_delay_alu instid0(VALU_DEP_2) | instskip(NEXT) | instid1(VALU_DEP_2)
	v_dot4_i32_iu8 v0, v2, v232, v0 neg_lo:[1,1,0]
	v_dot4_i32_iu8 v1, v5, v182, v1 neg_lo:[1,1,0]
	s_delay_alu instid0(VALU_DEP_2) | instskip(NEXT) | instid1(VALU_DEP_2)
	;; [unrolled: 6-line block ×3, first 2 shown]
	v_mul_lo_u32 v0, v0, v237
	v_mad_i32_i24 v1, v96, v176, v1
	s_delay_alu instid0(VALU_DEP_1) | instskip(NEXT) | instid1(VALU_DEP_1)
	v_dot4_i32_iu8 v1, v7, v184, v1 neg_lo:[1,1,0]
	v_mad_co_u64_u32 v[0:1], null, v1, v185, v[0:1]
	v_mul_f32_e32 v1, v171, v19
	s_delay_alu instid0(VALU_DEP_2) | instskip(NEXT) | instid1(VALU_DEP_1)
	v_cvt_f32_i32_e32 v0, v0
	v_fmac_f32_e32 v55, v1, v0
	v_mul_i32_i24_e32 v0, v20, v223
	v_mul_i32_i24_e32 v1, v75, v173
	s_delay_alu instid0(VALU_DEP_2) | instskip(NEXT) | instid1(VALU_DEP_2)
	v_mad_i32_i24 v0, v21, v225, v0
	v_mad_i32_i24 v1, v76, v172, v1
	s_delay_alu instid0(VALU_DEP_2) | instskip(NEXT) | instid1(VALU_DEP_2)
	v_dot4_i32_iu8 v0, v18, v227, v0 neg_lo:[1,1,0]
	v_dot4_i32_iu8 v1, v4, v170, v1 neg_lo:[1,1,0]
	s_delay_alu instid0(VALU_DEP_2) | instskip(NEXT) | instid1(VALU_DEP_2)
	v_mad_i32_i24 v0, v24, v229, v0
	v_mad_i32_i24 v1, v81, v169, v1
	s_delay_alu instid0(VALU_DEP_2) | instskip(NEXT) | instid1(VALU_DEP_2)
	v_dot4_i32_iu8 v0, v17, v231, v0 neg_lo:[1,1,0]
	v_dot4_i32_iu8 v1, v5, v168, v1 neg_lo:[1,1,0]
	;; [unrolled: 6-line block ×4, first 2 shown]
	s_delay_alu instid0(VALU_DEP_2) | instskip(NEXT) | instid1(VALU_DEP_1)
	v_mul_lo_u32 v0, v0, v236
	v_mad_co_u64_u32 v[0:1], null, v1, v163, v[0:1]
	v_mul_f32_e32 v1, v162, v19
	s_delay_alu instid0(VALU_DEP_2) | instskip(NEXT) | instid1(VALU_DEP_1)
	v_cvt_f32_i32_e32 v0, v0
	v_fmac_f32_e32 v50, v1, v0
	v_or_b32_e32 v0, s18, v119
	s_delay_alu instid0(VALU_DEP_1)
	v_lshlrev_b32_e32 v1, 2, v0
	v_lshrrev_b32_e32 v0, 1, v0
	ds_load_b32 v17, v0 offset:38816
	ds_load_b128 v[4:7], v1 offset:25344
	ds_load_b128 v[0:3], v1 offset:25360
	s_wait_dscnt 0x1
	v_bfe_i32 v18, v4, 0, 8
	v_bfe_i32 v19, v4, 8, 8
	;; [unrolled: 1-line block ×3, first 2 shown]
	v_ashrrev_i32_e32 v67, 24, v4
	v_bfe_i32 v20, v5, 0, 8
	v_mul_i32_i24_e32 v65, v186, v18
	v_bfe_i32 v68, v5, 8, 8
	v_mul_i32_i24_e32 v66, v187, v47
	v_mul_i32_i24_e32 v101, v188, v67
	v_bfe_i32 v70, v5, 16, 8
	v_mad_i32_i24 v65, v189, v19, v65
	v_ashrrev_i32_e32 v71, 24, v5
	s_wait_dscnt 0x0
	v_bfe_i32 v23, v0, 0, 8
	v_bfe_i32 v24, v0, 8, 8
	;; [unrolled: 1-line block ×3, first 2 shown]
	v_add3_u32 v65, v65, v66, v101
	v_mul_i32_i24_e32 v66, v193, v20
	v_mul_i32_i24_e32 v101, v192, v68
	v_ashrrev_i32_e32 v88, 24, v0
	v_mul_i32_i24_e32 v102, v191, v70
	v_mul_i32_i24_e32 v103, v190, v71
	v_bfe_i32 v21, v6, 0, 8
	v_add3_u32 v65, v65, v66, v101
	v_mul_i32_i24_e32 v66, v202, v23
	v_bfe_i32 v74, v6, 8, 8
	v_bfe_i32 v61, v1, 0, 8
	;; [unrolled: 1-line block ×3, first 2 shown]
	v_add3_u32 v65, v65, v102, v103
	v_mul_i32_i24_e32 v101, v203, v87
	v_mul_i32_i24_e32 v102, v204, v88
	v_mad_i32_i24 v66, v205, v24, v66
	v_bfe_i32 v75, v6, 16, 8
	v_ashrrev_i32_e32 v76, 24, v6
	v_bfe_i32 v90, v1, 16, 8
	v_ashrrev_i32_e32 v93, 24, v1
	v_mul_i32_i24_e32 v131, v197, v21
	v_mul_i32_i24_e32 v132, v196, v74
	v_add3_u32 v66, v66, v101, v102
	v_mul_i32_i24_e32 v101, v209, v61
	v_mul_i32_i24_e32 v102, v208, v89
	v_bfe_i32 v22, v7, 0, 8
	v_bfe_i32 v78, v7, 8, 8
	;; [unrolled: 1-line block ×4, first 2 shown]
	v_mul_i32_i24_e32 v133, v195, v75
	v_mul_i32_i24_e32 v134, v194, v76
	v_add3_u32 v65, v65, v131, v132
	v_mul_i32_i24_e32 v103, v207, v90
	v_mul_i32_i24_e32 v131, v206, v93
	v_add3_u32 v66, v66, v101, v102
	v_bfe_i32 v79, v7, 16, 8
	v_ashrrev_i32_e32 v81, 24, v7
	v_bfe_i32 v95, v2, 16, 8
	v_ashrrev_i32_e32 v96, 24, v2
	v_mul_i32_i24_e32 v135, v201, v22
	v_mul_i32_i24_e32 v136, v200, v78
	v_add3_u32 v65, v65, v133, v134
	v_mul_i32_i24_e32 v132, v213, v63
	v_mul_i32_i24_e32 v133, v212, v94
	v_add3_u32 v66, v66, v103, v131
	v_bfe_i32 v64, v3, 0, 8
	v_bfe_i32 v97, v3, 8, 8
	v_mul_i32_i24_e32 v137, v199, v79
	v_mul_i32_i24_e32 v138, v198, v81
	v_add3_u32 v65, v65, v135, v136
	v_mul_i32_i24_e32 v134, v211, v95
	v_mul_i32_i24_e32 v135, v210, v96
	v_add3_u32 v66, v66, v132, v133
	v_bfe_i32 v99, v3, 16, 8
	v_ashrrev_i32_e32 v100, 24, v3
	v_add3_u32 v65, v65, v137, v138
	v_mul_i32_i24_e32 v136, v217, v64
	v_mul_i32_i24_e32 v137, v216, v97
	v_add3_u32 v66, v66, v134, v135
	v_mul_i32_i24_e32 v138, v215, v99
	v_mul_i32_i24_e32 v139, v214, v100
	v_mul_lo_u32 v65, v65, v224
	v_mul_i32_i24_e32 v47, v38, v47
	v_add3_u32 v66, v66, v136, v137
	v_mul_i32_i24_e32 v78, v13, v78
	v_mul_i32_i24_e32 v79, v54, v79
	;; [unrolled: 1-line block ×3, first 2 shown]
	v_perm_b32 v5, v5, v5, 0xc030201
	v_add3_u32 v66, v66, v138, v139
	v_perm_b32 v6, v6, v6, 0xc030201
	v_perm_b32 v2, v2, v2, 0xc030201
	;; [unrolled: 1-line block ×4, first 2 shown]
	v_mad_co_u64_u32 v[65:66], null, v66, v218, v[65:66]
	v_mul_f32_e32 v66, v174, v17
	s_delay_alu instid0(VALU_DEP_2) | instskip(NEXT) | instid1(VALU_DEP_1)
	v_cvt_f32_i32_e32 v65, v65
	v_fmac_f32_e32 v45, v66, v65
	v_mul_i32_i24_e32 v65, v48, v18
	v_mul_i32_i24_e32 v66, v72, v67
	v_mul_i32_i24_e32 v67, v49, v70
	v_mul_i32_i24_e32 v70, v53, v21
	s_delay_alu instid0(VALU_DEP_4) | instskip(NEXT) | instid1(VALU_DEP_1)
	v_mad_i32_i24 v65, v255, v19, v65
	v_add3_u32 v47, v65, v47, v66
	v_mul_i32_i24_e32 v65, v51, v20
	v_mul_i32_i24_e32 v66, v9, v68
	;; [unrolled: 1-line block ×6, first 2 shown]
	v_add3_u32 v47, v47, v65, v66
	v_mul_i32_i24_e32 v76, v56, v22
	v_mul_i32_i24_e32 v66, v15, v87
	;; [unrolled: 1-line block ×3, first 2 shown]
	s_delay_alu instid0(VALU_DEP_4) | instskip(SKIP_2) | instid1(VALU_DEP_3)
	v_add3_u32 v47, v47, v67, v68
	v_mul_i32_i24_e32 v67, v57, v88
	v_mul_i32_i24_e32 v68, v242, v90
	v_add3_u32 v47, v47, v70, v71
	v_mul_i32_i24_e32 v70, v241, v93
	v_mul_i32_i24_e32 v71, v247, v63
	s_delay_alu instid0(VALU_DEP_3) | instskip(SKIP_2) | instid1(VALU_DEP_3)
	v_add3_u32 v47, v47, v74, v75
	v_mul_i32_i24_e32 v74, v246, v94
	v_mul_i32_i24_e32 v75, v245, v95
	v_add3_u32 v47, v47, v76, v78
	v_mul_i32_i24_e32 v76, v244, v96
	v_mul_i32_i24_e32 v78, v252, v64
	s_delay_alu instid0(VALU_DEP_3) | instskip(SKIP_2) | instid1(VALU_DEP_3)
	v_add3_u32 v47, v47, v79, v81
	v_mul_i32_i24_e32 v79, v251, v97
	v_mul_i32_i24_e32 v81, v249, v99
	v_mul_lo_u32 v65, v47, v16
	v_mul_i32_i24_e32 v47, v60, v23
	s_delay_alu instid0(VALU_DEP_1) | instskip(NEXT) | instid1(VALU_DEP_1)
	v_mad_i32_i24 v47, v14, v24, v47
	v_add3_u32 v47, v47, v66, v67
	v_mul_i32_i24_e32 v66, v250, v61
	v_mul_i32_i24_e32 v67, v243, v89
	s_delay_alu instid0(VALU_DEP_1) | instskip(NEXT) | instid1(VALU_DEP_1)
	v_add3_u32 v47, v47, v66, v67
                                        ; kill: def $vgpr66 killed $sgpr0 killed $exec
	v_add3_u32 v47, v47, v68, v70
	s_delay_alu instid0(VALU_DEP_1) | instskip(NEXT) | instid1(VALU_DEP_1)
	v_add3_u32 v47, v47, v71, v74
	v_add3_u32 v47, v47, v75, v76
	s_delay_alu instid0(VALU_DEP_1) | instskip(NEXT) | instid1(VALU_DEP_1)
	v_add3_u32 v47, v47, v78, v79
	v_add3_u32 v47, v47, v81, v87
	s_delay_alu instid0(VALU_DEP_1) | instskip(SKIP_2) | instid1(VALU_DEP_3)
	v_mad_co_u64_u32 v[65:66], null, v47, v254, v[65:66]
	v_mul_f32_e32 v47, v175, v17
	v_perm_b32 v66, v0, v0, 0xc0c0302
	v_cvt_f32_i32_e32 v65, v65
	s_delay_alu instid0(VALU_DEP_1) | instskip(SKIP_2) | instid1(VALU_DEP_2)
	v_fmac_f32_e32 v44, v47, v65
	v_mul_i32_i24_e32 v47, v18, v177
	v_perm_b32 v65, v4, v4, 0xc0c0302
	v_mad_i32_i24 v47, v19, v178, v47
	s_delay_alu instid0(VALU_DEP_1) | instskip(SKIP_1) | instid1(VALU_DEP_2)
	v_dot4_i32_iu8 v4, v65, v221, v47 neg_lo:[1,1,0]
	v_mul_i32_i24_e32 v47, v23, v238
	v_mad_i32_i24 v4, v20, v222, v4
	s_delay_alu instid0(VALU_DEP_2) | instskip(NEXT) | instid1(VALU_DEP_2)
	v_mad_i32_i24 v47, v24, v239, v47
	v_dot4_i32_iu8 v4, v5, v230, v4 neg_lo:[1,1,0]
	s_delay_alu instid0(VALU_DEP_2) | instskip(SKIP_1) | instid1(VALU_DEP_3)
	v_dot4_i32_iu8 v0, v66, v180, v47 neg_lo:[1,1,0]
	v_perm_b32 v47, v1, v1, 0xc030201
	v_mad_i32_i24 v4, v21, v220, v4
	s_delay_alu instid0(VALU_DEP_3) | instskip(NEXT) | instid1(VALU_DEP_2)
	v_mad_i32_i24 v0, v61, v181, v0
	v_dot4_i32_iu8 v4, v6, v232, v4 neg_lo:[1,1,0]
	s_delay_alu instid0(VALU_DEP_2) | instskip(NEXT) | instid1(VALU_DEP_2)
	v_dot4_i32_iu8 v0, v47, v182, v0 neg_lo:[1,1,0]
	v_mad_i32_i24 v4, v22, v219, v4
	s_delay_alu instid0(VALU_DEP_2) | instskip(NEXT) | instid1(VALU_DEP_2)
	v_mad_i32_i24 v0, v63, v179, v0
	v_dot4_i32_iu8 v4, v7, v235, v4 neg_lo:[1,1,0]
	s_delay_alu instid0(VALU_DEP_2) | instskip(NEXT) | instid1(VALU_DEP_2)
	v_dot4_i32_iu8 v0, v2, v183, v0 neg_lo:[1,1,0]
	v_mul_lo_u32 v4, v4, v237
	s_delay_alu instid0(VALU_DEP_2) | instskip(NEXT) | instid1(VALU_DEP_1)
	v_mad_i32_i24 v0, v64, v176, v0
	v_dot4_i32_iu8 v0, v3, v184, v0 neg_lo:[1,1,0]
	s_delay_alu instid0(VALU_DEP_1) | instskip(SKIP_1) | instid1(VALU_DEP_2)
	v_mad_co_u64_u32 v[0:1], null, v0, v185, v[4:5]
	v_mul_f32_e32 v1, v171, v17
	v_cvt_f32_i32_e32 v0, v0
	s_delay_alu instid0(VALU_DEP_1) | instskip(SKIP_2) | instid1(VALU_DEP_2)
	v_fmac_f32_e32 v43, v1, v0
	v_mul_i32_i24_e32 v0, v18, v223
	v_mul_i32_i24_e32 v1, v23, v173
	v_mad_i32_i24 v0, v19, v225, v0
	s_delay_alu instid0(VALU_DEP_2) | instskip(NEXT) | instid1(VALU_DEP_2)
	v_mad_i32_i24 v1, v24, v172, v1
	v_dot4_i32_iu8 v0, v65, v227, v0 neg_lo:[1,1,0]
	s_delay_alu instid0(VALU_DEP_2) | instskip(NEXT) | instid1(VALU_DEP_2)
	v_dot4_i32_iu8 v1, v66, v170, v1 neg_lo:[1,1,0]
	v_mad_i32_i24 v0, v20, v229, v0
	s_delay_alu instid0(VALU_DEP_2) | instskip(NEXT) | instid1(VALU_DEP_2)
	v_mad_i32_i24 v1, v61, v169, v1
	v_dot4_i32_iu8 v0, v5, v231, v0 neg_lo:[1,1,0]
	s_delay_alu instid0(VALU_DEP_2) | instskip(NEXT) | instid1(VALU_DEP_2)
	v_dot4_i32_iu8 v1, v47, v168, v1 neg_lo:[1,1,0]
	;; [unrolled: 6-line block ×4, first 2 shown]
	v_mul_lo_u32 v0, v0, v236
	s_delay_alu instid0(VALU_DEP_1) | instskip(SKIP_1) | instid1(VALU_DEP_2)
	v_mad_co_u64_u32 v[0:1], null, v1, v163, v[0:1]
	v_mul_f32_e32 v1, v162, v17
	v_cvt_f32_i32_e32 v0, v0
	s_delay_alu instid0(VALU_DEP_1) | instskip(SKIP_1) | instid1(VALU_DEP_1)
	v_fmac_f32_e32 v42, v1, v0
	v_or_b32_e32 v0, s18, v120
	v_lshlrev_b32_e32 v1, 2, v0
	v_lshrrev_b32_e32 v0, 1, v0
	ds_load_b32 v17, v0 offset:38816
	ds_load_b128 v[4:7], v1 offset:25344
	ds_load_b128 v[0:3], v1 offset:25360
	s_wait_dscnt 0x1
	v_bfe_i32 v18, v4, 0, 8
	v_bfe_i32 v19, v4, 8, 8
	;; [unrolled: 1-line block ×3, first 2 shown]
	v_ashrrev_i32_e32 v67, 24, v4
	v_bfe_i32 v20, v5, 0, 8
	v_mul_i32_i24_e32 v65, v186, v18
	v_bfe_i32 v68, v5, 8, 8
	v_mul_i32_i24_e32 v66, v187, v47
	v_mul_i32_i24_e32 v101, v188, v67
	v_bfe_i32 v70, v5, 16, 8
	v_mad_i32_i24 v65, v189, v19, v65
	v_ashrrev_i32_e32 v71, 24, v5
	s_wait_dscnt 0x0
	v_bfe_i32 v23, v0, 0, 8
	v_bfe_i32 v24, v0, 8, 8
	v_bfe_i32 v87, v0, 16, 8
	v_add3_u32 v65, v65, v66, v101
	v_mul_i32_i24_e32 v66, v193, v20
	v_mul_i32_i24_e32 v101, v192, v68
	v_ashrrev_i32_e32 v88, 24, v0
	v_mul_i32_i24_e32 v102, v191, v70
	v_mul_i32_i24_e32 v103, v190, v71
	v_bfe_i32 v21, v6, 0, 8
	v_add3_u32 v65, v65, v66, v101
	v_mul_i32_i24_e32 v66, v202, v23
	v_bfe_i32 v74, v6, 8, 8
	v_bfe_i32 v61, v1, 0, 8
	;; [unrolled: 1-line block ×3, first 2 shown]
	v_add3_u32 v65, v65, v102, v103
	v_mul_i32_i24_e32 v101, v203, v87
	v_mul_i32_i24_e32 v102, v204, v88
	v_mad_i32_i24 v66, v205, v24, v66
	v_bfe_i32 v75, v6, 16, 8
	v_ashrrev_i32_e32 v76, 24, v6
	v_bfe_i32 v90, v1, 16, 8
	v_ashrrev_i32_e32 v93, 24, v1
	v_mul_i32_i24_e32 v131, v197, v21
	v_mul_i32_i24_e32 v132, v196, v74
	v_add3_u32 v66, v66, v101, v102
	v_mul_i32_i24_e32 v101, v209, v61
	v_mul_i32_i24_e32 v102, v208, v89
	v_bfe_i32 v22, v7, 0, 8
	v_bfe_i32 v78, v7, 8, 8
	;; [unrolled: 1-line block ×4, first 2 shown]
	v_mul_i32_i24_e32 v133, v195, v75
	v_mul_i32_i24_e32 v134, v194, v76
	v_add3_u32 v65, v65, v131, v132
	v_mul_i32_i24_e32 v103, v207, v90
	v_mul_i32_i24_e32 v131, v206, v93
	v_add3_u32 v66, v66, v101, v102
	v_bfe_i32 v79, v7, 16, 8
	v_ashrrev_i32_e32 v81, 24, v7
	v_bfe_i32 v95, v2, 16, 8
	v_ashrrev_i32_e32 v96, 24, v2
	v_mul_i32_i24_e32 v135, v201, v22
	v_mul_i32_i24_e32 v136, v200, v78
	v_add3_u32 v65, v65, v133, v134
	v_mul_i32_i24_e32 v132, v213, v63
	v_mul_i32_i24_e32 v133, v212, v94
	v_add3_u32 v66, v66, v103, v131
	v_bfe_i32 v64, v3, 0, 8
	v_bfe_i32 v97, v3, 8, 8
	v_mul_i32_i24_e32 v137, v199, v79
	v_mul_i32_i24_e32 v138, v198, v81
	v_add3_u32 v65, v65, v135, v136
	v_mul_i32_i24_e32 v134, v211, v95
	v_mul_i32_i24_e32 v135, v210, v96
	v_add3_u32 v66, v66, v132, v133
	v_bfe_i32 v99, v3, 16, 8
	v_ashrrev_i32_e32 v100, 24, v3
	v_add3_u32 v65, v65, v137, v138
	v_mul_i32_i24_e32 v136, v217, v64
	v_mul_i32_i24_e32 v137, v216, v97
	v_add3_u32 v66, v66, v134, v135
	v_mul_i32_i24_e32 v138, v215, v99
	v_mul_i32_i24_e32 v139, v214, v100
	v_mul_lo_u32 v65, v65, v224
	v_mul_i32_i24_e32 v47, v38, v47
	v_add3_u32 v66, v66, v136, v137
	v_mul_i32_i24_e32 v78, v13, v78
	v_mul_i32_i24_e32 v79, v54, v79
	;; [unrolled: 1-line block ×3, first 2 shown]
	v_perm_b32 v5, v5, v5, 0xc030201
	v_add3_u32 v66, v66, v138, v139
	v_perm_b32 v6, v6, v6, 0xc030201
	v_perm_b32 v2, v2, v2, 0xc030201
	;; [unrolled: 1-line block ×4, first 2 shown]
	v_mad_co_u64_u32 v[65:66], null, v66, v218, v[65:66]
	v_mul_f32_e32 v66, v174, v17
	s_delay_alu instid0(VALU_DEP_2) | instskip(NEXT) | instid1(VALU_DEP_1)
	v_cvt_f32_i32_e32 v65, v65
	v_fmac_f32_e32 v40, v66, v65
	v_mul_i32_i24_e32 v65, v48, v18
	v_mul_i32_i24_e32 v66, v72, v67
	;; [unrolled: 1-line block ×4, first 2 shown]
	s_delay_alu instid0(VALU_DEP_4) | instskip(NEXT) | instid1(VALU_DEP_1)
	v_mad_i32_i24 v65, v255, v19, v65
	v_add3_u32 v47, v65, v47, v66
	v_mul_i32_i24_e32 v65, v51, v20
	v_mul_i32_i24_e32 v66, v9, v68
	;; [unrolled: 1-line block ×6, first 2 shown]
	v_add3_u32 v47, v47, v65, v66
	v_mul_i32_i24_e32 v76, v56, v22
	v_mul_i32_i24_e32 v66, v15, v87
	v_mul_i32_i24_e32 v87, v248, v100
	s_delay_alu instid0(VALU_DEP_4) | instskip(SKIP_2) | instid1(VALU_DEP_3)
	v_add3_u32 v47, v47, v67, v68
	v_mul_i32_i24_e32 v67, v57, v88
	v_mul_i32_i24_e32 v68, v242, v90
	v_add3_u32 v47, v47, v70, v71
	v_mul_i32_i24_e32 v70, v241, v93
	v_mul_i32_i24_e32 v71, v247, v63
	s_delay_alu instid0(VALU_DEP_3) | instskip(SKIP_2) | instid1(VALU_DEP_3)
	v_add3_u32 v47, v47, v74, v75
	v_mul_i32_i24_e32 v74, v246, v94
	v_mul_i32_i24_e32 v75, v245, v95
	v_add3_u32 v47, v47, v76, v78
	v_mul_i32_i24_e32 v76, v244, v96
	v_mul_i32_i24_e32 v78, v252, v64
	s_delay_alu instid0(VALU_DEP_3) | instskip(SKIP_2) | instid1(VALU_DEP_3)
	v_add3_u32 v47, v47, v79, v81
	v_mul_i32_i24_e32 v79, v251, v97
	v_mul_i32_i24_e32 v81, v249, v99
	v_mul_lo_u32 v65, v47, v16
	v_mul_i32_i24_e32 v47, v60, v23
	s_delay_alu instid0(VALU_DEP_1) | instskip(NEXT) | instid1(VALU_DEP_1)
	v_mad_i32_i24 v47, v14, v24, v47
	v_add3_u32 v47, v47, v66, v67
	v_mul_i32_i24_e32 v66, v250, v61
	v_mul_i32_i24_e32 v67, v243, v89
	s_delay_alu instid0(VALU_DEP_1) | instskip(NEXT) | instid1(VALU_DEP_1)
	v_add3_u32 v47, v47, v66, v67
                                        ; kill: def $vgpr66 killed $sgpr0 killed $exec
	v_add3_u32 v47, v47, v68, v70
	s_delay_alu instid0(VALU_DEP_1) | instskip(NEXT) | instid1(VALU_DEP_1)
	v_add3_u32 v47, v47, v71, v74
	v_add3_u32 v47, v47, v75, v76
	s_delay_alu instid0(VALU_DEP_1) | instskip(NEXT) | instid1(VALU_DEP_1)
	v_add3_u32 v47, v47, v78, v79
	v_add3_u32 v47, v47, v81, v87
	s_delay_alu instid0(VALU_DEP_1) | instskip(SKIP_2) | instid1(VALU_DEP_3)
	v_mad_co_u64_u32 v[65:66], null, v47, v254, v[65:66]
	v_mul_f32_e32 v47, v175, v17
	v_perm_b32 v66, v0, v0, 0xc0c0302
	v_cvt_f32_i32_e32 v65, v65
	s_delay_alu instid0(VALU_DEP_1) | instskip(SKIP_2) | instid1(VALU_DEP_2)
	v_fmac_f32_e32 v37, v47, v65
	v_mul_i32_i24_e32 v47, v18, v177
	v_perm_b32 v65, v4, v4, 0xc0c0302
	v_mad_i32_i24 v47, v19, v178, v47
	s_delay_alu instid0(VALU_DEP_1) | instskip(SKIP_1) | instid1(VALU_DEP_2)
	v_dot4_i32_iu8 v4, v65, v221, v47 neg_lo:[1,1,0]
	v_mul_i32_i24_e32 v47, v23, v238
	v_mad_i32_i24 v4, v20, v222, v4
	s_delay_alu instid0(VALU_DEP_2) | instskip(NEXT) | instid1(VALU_DEP_2)
	v_mad_i32_i24 v47, v24, v239, v47
	v_dot4_i32_iu8 v4, v5, v230, v4 neg_lo:[1,1,0]
	s_delay_alu instid0(VALU_DEP_2) | instskip(SKIP_1) | instid1(VALU_DEP_3)
	v_dot4_i32_iu8 v0, v66, v180, v47 neg_lo:[1,1,0]
	v_perm_b32 v47, v1, v1, 0xc030201
	v_mad_i32_i24 v4, v21, v220, v4
	s_delay_alu instid0(VALU_DEP_3) | instskip(NEXT) | instid1(VALU_DEP_2)
	v_mad_i32_i24 v0, v61, v181, v0
	v_dot4_i32_iu8 v4, v6, v232, v4 neg_lo:[1,1,0]
	s_delay_alu instid0(VALU_DEP_2) | instskip(NEXT) | instid1(VALU_DEP_2)
	v_dot4_i32_iu8 v0, v47, v182, v0 neg_lo:[1,1,0]
	v_mad_i32_i24 v4, v22, v219, v4
	s_delay_alu instid0(VALU_DEP_2) | instskip(NEXT) | instid1(VALU_DEP_2)
	v_mad_i32_i24 v0, v63, v179, v0
	v_dot4_i32_iu8 v4, v7, v235, v4 neg_lo:[1,1,0]
	s_delay_alu instid0(VALU_DEP_2) | instskip(NEXT) | instid1(VALU_DEP_2)
	v_dot4_i32_iu8 v0, v2, v183, v0 neg_lo:[1,1,0]
	v_mul_lo_u32 v4, v4, v237
	s_delay_alu instid0(VALU_DEP_2) | instskip(NEXT) | instid1(VALU_DEP_1)
	v_mad_i32_i24 v0, v64, v176, v0
	v_dot4_i32_iu8 v0, v3, v184, v0 neg_lo:[1,1,0]
	s_delay_alu instid0(VALU_DEP_1) | instskip(SKIP_1) | instid1(VALU_DEP_2)
	v_mad_co_u64_u32 v[0:1], null, v0, v185, v[4:5]
	v_mul_f32_e32 v1, v171, v17
	v_cvt_f32_i32_e32 v0, v0
	s_delay_alu instid0(VALU_DEP_1) | instskip(SKIP_2) | instid1(VALU_DEP_2)
	v_fmac_f32_e32 v36, v1, v0
	v_mul_i32_i24_e32 v0, v18, v223
	v_mul_i32_i24_e32 v1, v23, v173
	v_mad_i32_i24 v0, v19, v225, v0
	s_delay_alu instid0(VALU_DEP_2) | instskip(NEXT) | instid1(VALU_DEP_2)
	v_mad_i32_i24 v1, v24, v172, v1
	v_dot4_i32_iu8 v0, v65, v227, v0 neg_lo:[1,1,0]
	s_delay_alu instid0(VALU_DEP_2) | instskip(NEXT) | instid1(VALU_DEP_2)
	v_dot4_i32_iu8 v1, v66, v170, v1 neg_lo:[1,1,0]
	v_mad_i32_i24 v0, v20, v229, v0
	s_delay_alu instid0(VALU_DEP_2) | instskip(NEXT) | instid1(VALU_DEP_2)
	v_mad_i32_i24 v1, v61, v169, v1
	v_dot4_i32_iu8 v0, v5, v231, v0 neg_lo:[1,1,0]
	s_delay_alu instid0(VALU_DEP_2) | instskip(NEXT) | instid1(VALU_DEP_2)
	v_dot4_i32_iu8 v1, v47, v168, v1 neg_lo:[1,1,0]
	;; [unrolled: 6-line block ×4, first 2 shown]
	v_mul_lo_u32 v0, v0, v236
	s_delay_alu instid0(VALU_DEP_1) | instskip(SKIP_1) | instid1(VALU_DEP_2)
	v_mad_co_u64_u32 v[0:1], null, v1, v163, v[0:1]
	v_mul_f32_e32 v1, v162, v17
	v_cvt_f32_i32_e32 v0, v0
	s_delay_alu instid0(VALU_DEP_1) | instskip(SKIP_1) | instid1(VALU_DEP_1)
	v_fmac_f32_e32 v35, v1, v0
	v_or_b32_e32 v0, s18, v121
	v_lshlrev_b32_e32 v4, 2, v0
	v_lshrrev_b32_e32 v0, 1, v0
	ds_load_b32 v19, v0 offset:38816
	ds_load_b128 v[0:3], v4 offset:25344
	ds_load_b128 v[4:7], v4 offset:25360
	s_wait_dscnt 0x1
	v_bfe_i32 v20, v0, 0, 8
	v_bfe_i32 v21, v0, 8, 8
	;; [unrolled: 1-line block ×3, first 2 shown]
	v_ashrrev_i32_e32 v23, 24, v0
	v_bfe_i32 v24, v1, 0, 8
	v_mul_i32_i24_e32 v17, v186, v20
	v_bfe_i32 v47, v1, 8, 8
	v_mul_i32_i24_e32 v18, v187, v22
	v_mul_i32_i24_e32 v101, v188, v23
	v_bfe_i32 v61, v1, 16, 8
	v_mad_i32_i24 v17, v189, v21, v17
	v_ashrrev_i32_e32 v63, 24, v1
	s_wait_dscnt 0x0
	v_bfe_i32 v75, v4, 0, 8
	v_bfe_i32 v76, v4, 8, 8
	;; [unrolled: 1-line block ×3, first 2 shown]
	v_add3_u32 v17, v17, v18, v101
	v_mul_i32_i24_e32 v18, v193, v24
	v_mul_i32_i24_e32 v101, v192, v47
	v_ashrrev_i32_e32 v79, 24, v4
	v_mul_i32_i24_e32 v102, v191, v61
	v_mul_i32_i24_e32 v103, v190, v63
	v_bfe_i32 v64, v2, 0, 8
	v_add3_u32 v17, v17, v18, v101
	v_mul_i32_i24_e32 v18, v202, v75
	v_bfe_i32 v65, v2, 8, 8
	v_bfe_i32 v81, v5, 0, 8
	;; [unrolled: 1-line block ×3, first 2 shown]
	v_add3_u32 v17, v17, v102, v103
	v_mul_i32_i24_e32 v101, v203, v78
	v_mul_i32_i24_e32 v102, v204, v79
	v_mad_i32_i24 v18, v205, v76, v18
	v_bfe_i32 v66, v2, 16, 8
	v_ashrrev_i32_e32 v67, 24, v2
	v_bfe_i32 v88, v5, 16, 8
	v_ashrrev_i32_e32 v89, 24, v5
	v_mul_i32_i24_e32 v131, v197, v64
	v_mul_i32_i24_e32 v132, v196, v65
	v_add3_u32 v18, v18, v101, v102
	v_mul_i32_i24_e32 v101, v209, v81
	v_mul_i32_i24_e32 v102, v208, v87
	v_bfe_i32 v68, v3, 0, 8
	v_bfe_i32 v70, v3, 8, 8
	;; [unrolled: 1-line block ×4, first 2 shown]
	v_mul_i32_i24_e32 v133, v195, v66
	v_mul_i32_i24_e32 v134, v194, v67
	v_add3_u32 v17, v17, v131, v132
	v_mul_i32_i24_e32 v103, v207, v88
	v_mul_i32_i24_e32 v131, v206, v89
	v_add3_u32 v18, v18, v101, v102
	v_bfe_i32 v71, v3, 16, 8
	v_ashrrev_i32_e32 v74, 24, v3
	v_bfe_i32 v94, v6, 16, 8
	v_ashrrev_i32_e32 v95, 24, v6
	v_mul_i32_i24_e32 v135, v201, v68
	v_mul_i32_i24_e32 v136, v200, v70
	v_add3_u32 v17, v17, v133, v134
	v_mul_i32_i24_e32 v132, v213, v90
	v_mul_i32_i24_e32 v133, v212, v93
	v_add3_u32 v18, v18, v103, v131
	v_bfe_i32 v96, v7, 0, 8
	v_bfe_i32 v97, v7, 8, 8
	v_mul_i32_i24_e32 v137, v199, v71
	v_mul_i32_i24_e32 v138, v198, v74
	v_add3_u32 v17, v17, v135, v136
	v_mul_i32_i24_e32 v134, v211, v94
	v_mul_i32_i24_e32 v135, v210, v95
	v_add3_u32 v18, v18, v132, v133
	v_bfe_i32 v99, v7, 16, 8
	v_ashrrev_i32_e32 v100, 24, v7
	v_add3_u32 v17, v17, v137, v138
	v_mul_i32_i24_e32 v136, v217, v96
	v_mul_i32_i24_e32 v137, v216, v97
	v_add3_u32 v18, v18, v134, v135
	v_mul_i32_i24_e32 v138, v215, v99
	v_mul_i32_i24_e32 v139, v214, v100
	v_mul_lo_u32 v17, v17, v224
	v_mul_i32_i24_e32 v70, v13, v70
	v_add3_u32 v18, v18, v136, v137
	v_mul_i32_i24_e32 v71, v54, v71
	v_mul_i32_i24_e32 v74, v12, v74
	v_perm_b32 v4, v4, v4, 0xc0c0302
	v_perm_b32 v5, v5, v5, 0xc030201
	v_add3_u32 v18, v18, v138, v139
	v_perm_b32 v2, v2, v2, 0xc030201
	v_perm_b32 v6, v6, v6, 0xc030201
	;; [unrolled: 1-line block ×4, first 2 shown]
	v_mad_co_u64_u32 v[17:18], null, v18, v218, v[17:18]
	v_mul_f32_e32 v18, v174, v19
	s_delay_alu instid0(VALU_DEP_2) | instskip(NEXT) | instid1(VALU_DEP_1)
	v_cvt_f32_i32_e32 v17, v17
	v_fmac_f32_e32 v34, v18, v17
	v_mul_i32_i24_e32 v17, v48, v20
	v_mul_i32_i24_e32 v18, v38, v22
	;; [unrolled: 1-line block ×5, first 2 shown]
	v_mad_i32_i24 v17, v255, v21, v17
	s_delay_alu instid0(VALU_DEP_1)
	v_add3_u32 v17, v17, v18, v22
	v_mul_i32_i24_e32 v18, v51, v24
	v_mul_i32_i24_e32 v22, v9, v47
	;; [unrolled: 1-line block ×6, first 2 shown]
	v_add3_u32 v17, v17, v18, v22
	v_mul_i32_i24_e32 v18, v60, v75
	v_mul_i32_i24_e32 v22, v15, v78
	;; [unrolled: 1-line block ×4, first 2 shown]
	v_add3_u32 v17, v17, v23, v47
	v_mul_i32_i24_e32 v23, v57, v79
	v_mad_i32_i24 v18, v14, v76, v18
	v_mul_i32_i24_e32 v47, v242, v88
	s_delay_alu instid0(VALU_DEP_4) | instskip(SKIP_1) | instid1(VALU_DEP_4)
	v_add3_u32 v17, v17, v61, v63
	v_mul_i32_i24_e32 v61, v241, v89
	v_add3_u32 v18, v18, v22, v23
	v_mul_i32_i24_e32 v22, v250, v81
	v_mul_i32_i24_e32 v23, v243, v87
	v_add3_u32 v17, v17, v65, v66
	v_mul_i32_i24_e32 v63, v247, v90
	v_mul_i32_i24_e32 v65, v246, v93
	;; [unrolled: 1-line block ×3, first 2 shown]
	v_add3_u32 v18, v18, v22, v23
	v_add3_u32 v17, v17, v67, v70
	v_mul_i32_i24_e32 v67, v244, v95
	v_mul_i32_i24_e32 v70, v252, v96
	s_delay_alu instid0(VALU_DEP_4) | instskip(NEXT) | instid1(VALU_DEP_4)
	v_add3_u32 v18, v18, v47, v61
	v_add3_u32 v17, v17, v71, v74
	v_mul_i32_i24_e32 v71, v251, v97
	v_mul_i32_i24_e32 v74, v249, v99
	s_delay_alu instid0(VALU_DEP_4) | instskip(NEXT) | instid1(VALU_DEP_4)
	v_add3_u32 v18, v18, v63, v65
	v_mul_lo_u32 v17, v17, v16
	s_delay_alu instid0(VALU_DEP_2) | instskip(NEXT) | instid1(VALU_DEP_1)
	v_add3_u32 v18, v18, v66, v67
	v_add3_u32 v18, v18, v70, v71
	s_delay_alu instid0(VALU_DEP_1) | instskip(NEXT) | instid1(VALU_DEP_1)
	v_add3_u32 v18, v18, v74, v78
	v_mad_co_u64_u32 v[17:18], null, v18, v254, v[17:18]
	v_mul_f32_e32 v18, v175, v19
	s_delay_alu instid0(VALU_DEP_2) | instskip(NEXT) | instid1(VALU_DEP_1)
	v_cvt_f32_i32_e32 v17, v17
	v_fmac_f32_e32 v33, v18, v17
	v_mul_i32_i24_e32 v17, v20, v177
	v_perm_b32 v18, v0, v0, 0xc0c0302
	s_delay_alu instid0(VALU_DEP_2) | instskip(NEXT) | instid1(VALU_DEP_1)
	v_mad_i32_i24 v17, v21, v178, v17
	v_dot4_i32_iu8 v0, v18, v221, v17 neg_lo:[1,1,0]
	v_perm_b32 v17, v1, v1, 0xc030201
	v_mul_i32_i24_e32 v1, v75, v238
	s_delay_alu instid0(VALU_DEP_3) | instskip(NEXT) | instid1(VALU_DEP_2)
	v_mad_i32_i24 v0, v24, v222, v0
	v_mad_i32_i24 v1, v76, v239, v1
	s_delay_alu instid0(VALU_DEP_2) | instskip(NEXT) | instid1(VALU_DEP_2)
	v_dot4_i32_iu8 v0, v17, v230, v0 neg_lo:[1,1,0]
	v_dot4_i32_iu8 v1, v4, v180, v1 neg_lo:[1,1,0]
	s_delay_alu instid0(VALU_DEP_2) | instskip(NEXT) | instid1(VALU_DEP_2)
	v_mad_i32_i24 v0, v64, v220, v0
	v_mad_i32_i24 v1, v81, v181, v1
	s_delay_alu instid0(VALU_DEP_2) | instskip(NEXT) | instid1(VALU_DEP_2)
	v_dot4_i32_iu8 v0, v2, v232, v0 neg_lo:[1,1,0]
	v_dot4_i32_iu8 v1, v5, v182, v1 neg_lo:[1,1,0]
	s_delay_alu instid0(VALU_DEP_2) | instskip(NEXT) | instid1(VALU_DEP_2)
	;; [unrolled: 6-line block ×3, first 2 shown]
	v_mul_lo_u32 v0, v0, v237
	v_mad_i32_i24 v1, v96, v176, v1
	s_delay_alu instid0(VALU_DEP_1) | instskip(NEXT) | instid1(VALU_DEP_1)
	v_dot4_i32_iu8 v1, v7, v184, v1 neg_lo:[1,1,0]
	v_mad_co_u64_u32 v[0:1], null, v1, v185, v[0:1]
	v_mul_f32_e32 v1, v171, v19
	s_delay_alu instid0(VALU_DEP_2) | instskip(NEXT) | instid1(VALU_DEP_1)
	v_cvt_f32_i32_e32 v0, v0
	v_fmac_f32_e32 v32, v1, v0
	v_mul_i32_i24_e32 v0, v20, v223
	v_mul_i32_i24_e32 v1, v75, v173
	s_delay_alu instid0(VALU_DEP_2) | instskip(NEXT) | instid1(VALU_DEP_2)
	v_mad_i32_i24 v0, v21, v225, v0
	v_mad_i32_i24 v1, v76, v172, v1
	s_delay_alu instid0(VALU_DEP_2) | instskip(NEXT) | instid1(VALU_DEP_2)
	v_dot4_i32_iu8 v0, v18, v227, v0 neg_lo:[1,1,0]
	v_dot4_i32_iu8 v1, v4, v170, v1 neg_lo:[1,1,0]
	s_delay_alu instid0(VALU_DEP_2) | instskip(NEXT) | instid1(VALU_DEP_2)
	v_mad_i32_i24 v0, v24, v229, v0
	v_mad_i32_i24 v1, v81, v169, v1
	s_delay_alu instid0(VALU_DEP_2) | instskip(NEXT) | instid1(VALU_DEP_2)
	v_dot4_i32_iu8 v0, v17, v231, v0 neg_lo:[1,1,0]
	v_dot4_i32_iu8 v1, v5, v168, v1 neg_lo:[1,1,0]
	;; [unrolled: 6-line block ×4, first 2 shown]
	s_delay_alu instid0(VALU_DEP_2) | instskip(NEXT) | instid1(VALU_DEP_1)
	v_mul_lo_u32 v0, v0, v236
	v_mad_co_u64_u32 v[0:1], null, v1, v163, v[0:1]
	v_mul_f32_e32 v1, v162, v19
	s_delay_alu instid0(VALU_DEP_2) | instskip(NEXT) | instid1(VALU_DEP_1)
	v_cvt_f32_i32_e32 v0, v0
	v_fmac_f32_e32 v31, v1, v0
	v_or_b32_e32 v0, s18, v122
	s_delay_alu instid0(VALU_DEP_1)
	v_lshlrev_b32_e32 v1, 2, v0
	v_lshrrev_b32_e32 v0, 1, v0
	ds_load_b32 v240, v0 offset:38816
	ds_load_b128 v[4:7], v1 offset:25344
	ds_load_b128 v[0:3], v1 offset:25360
	s_wait_dscnt 0x1
	v_bfe_i32 v20, v4, 0, 8
	v_bfe_i32 v21, v4, 8, 8
	;; [unrolled: 1-line block ×3, first 2 shown]
	v_ashrrev_i32_e32 v68, 24, v4
	v_bfe_i32 v22, v5, 0, 8
	v_mul_i32_i24_e32 v48, v48, v20
	v_bfe_i32 v75, v5, 8, 8
	v_mul_i32_i24_e32 v79, v187, v47
	v_mul_i32_i24_e32 v38, v38, v47
	;; [unrolled: 1-line block ×3, first 2 shown]
	v_mad_i32_i24 v48, v255, v21, v48
	v_bfe_i32 v81, v5, 16, 8
	v_ashrrev_i32_e32 v87, 24, v5
	v_mul_i32_i24_e32 v9, v9, v75
	v_bfe_i32 v23, v6, 0, 8
	v_add3_u32 v38, v48, v38, v47
	v_mul_i32_i24_e32 v47, v51, v22
	v_bfe_i32 v88, v6, 8, 8
	v_mul_i32_i24_e32 v48, v49, v81
	v_mul_i32_i24_e32 v8, v8, v87
	v_bfe_i32 v89, v6, 16, 8
	v_add3_u32 v9, v38, v47, v9
	v_ashrrev_i32_e32 v90, 24, v6
	s_wait_dscnt 0x0
	v_bfe_i32 v19, v0, 0, 8
	v_mul_i32_i24_e32 v49, v53, v23
	v_mul_i32_i24_e32 v11, v11, v88
	v_add3_u32 v8, v9, v48, v8
	v_bfe_i32 v24, v7, 0, 8
	v_bfe_i32 v93, v7, 8, 8
	;; [unrolled: 1-line block ×4, first 2 shown]
	v_ashrrev_i32_e32 v97, 24, v0
	v_mul_i32_i24_e32 v51, v52, v89
	v_mul_i32_i24_e32 v10, v10, v90
	v_add3_u32 v8, v8, v49, v11
	v_mul_i32_i24_e32 v9, v60, v19
	v_bfe_i32 v94, v7, 16, 8
	v_ashrrev_i32_e32 v95, 24, v7
	v_bfe_i32 v17, v1, 0, 8
	v_bfe_i32 v63, v1, 8, 8
	v_mul_i32_i24_e32 v52, v56, v24
	v_mul_i32_i24_e32 v13, v13, v93
	v_add3_u32 v8, v8, v51, v10
	v_mul_i32_i24_e32 v10, v15, v96
	v_mul_i32_i24_e32 v11, v57, v97
	v_mad_i32_i24 v9, v14, v18, v9
	v_bfe_i32 v64, v1, 16, 8
	v_ashrrev_i32_e32 v65, 24, v1
	v_mul_i32_i24_e32 v53, v54, v94
	v_mul_i32_i24_e32 v12, v12, v95
	v_add3_u32 v8, v8, v52, v13
	v_add3_u32 v9, v9, v10, v11
	v_mul_i32_i24_e32 v10, v250, v17
	v_mul_i32_i24_e32 v11, v243, v63
	v_bfe_i32 v61, v2, 0, 8
	v_bfe_i32 v66, v2, 8, 8
	v_add3_u32 v8, v8, v53, v12
	v_mul_i32_i24_e32 v12, v242, v64
	v_mul_i32_i24_e32 v13, v241, v65
	v_add3_u32 v9, v9, v10, v11
	v_bfe_i32 v67, v2, 16, 8
	v_ashrrev_i32_e32 v70, 24, v2
	v_mul_i32_i24_e32 v14, v247, v61
	v_mul_i32_i24_e32 v15, v246, v66
	v_add3_u32 v9, v9, v12, v13
	v_bfe_i32 v253, v3, 0, 8
	v_bfe_i32 v71, v3, 8, 8
	v_mul_lo_u32 v8, v8, v16
	v_mul_i32_i24_e32 v16, v245, v67
	v_mul_i32_i24_e32 v38, v244, v70
	v_add3_u32 v9, v9, v14, v15
	v_bfe_i32 v74, v3, 16, 8
	v_ashrrev_i32_e32 v76, 24, v3
	v_mul_i32_i24_e32 v47, v252, v253
	v_mul_i32_i24_e32 v48, v251, v71
	v_add3_u32 v9, v9, v16, v38
	v_mul_i32_i24_e32 v49, v249, v74
	v_mul_i32_i24_e32 v51, v248, v76
	v_perm_b32 v10, v6, v6, 0xc030201
	v_perm_b32 v11, v7, v7, 0xc030201
	v_add3_u32 v9, v9, v47, v48
	v_perm_b32 v2, v2, v2, 0xc030201
	v_mul_i32_i24_e32 v78, v186, v20
	v_mul_i32_i24_e32 v99, v188, v68
	;; [unrolled: 1-line block ×3, first 2 shown]
	v_add3_u32 v9, v9, v49, v51
	v_mul_i32_i24_e32 v101, v190, v87
	v_mad_i32_i24 v78, v189, v21, v78
	v_mul_i32_i24_e32 v102, v197, v23
	v_mul_i32_i24_e32 v103, v196, v88
	v_mad_co_u64_u32 v[8:9], null, v9, v254, v[8:9]
	v_mul_f32_e32 v9, v175, v240
	v_add3_u32 v78, v78, v79, v99
	v_mul_i32_i24_e32 v79, v193, v22
	v_mul_i32_i24_e32 v99, v192, v75
	;; [unrolled: 1-line block ×4, first 2 shown]
	v_cvt_f32_i32_e32 v8, v8
	v_mul_i32_i24_e32 v133, v201, v24
	v_add3_u32 v78, v78, v79, v99
	v_mul_i32_i24_e32 v79, v202, v19
	v_mul_i32_i24_e32 v99, v203, v96
	v_fmac_f32_e32 v29, v9, v8
	v_mul_i32_i24_e32 v8, v20, v177
	v_perm_b32 v9, v4, v4, 0xc0c0302
	v_add3_u32 v78, v78, v100, v101
	v_mul_i32_i24_e32 v100, v204, v97
	v_mad_i32_i24 v79, v205, v18, v79
	v_mad_i32_i24 v8, v21, v178, v8
	v_mul_i32_i24_e32 v101, v207, v64
	v_add3_u32 v78, v78, v102, v103
	v_mul_i32_i24_e32 v102, v206, v65
	v_add3_u32 v79, v79, v99, v100
	v_dot4_i32_iu8 v4, v9, v221, v8 neg_lo:[1,1,0]
	v_perm_b32 v8, v5, v5, 0xc030201
	v_perm_b32 v5, v0, v0, 0xc0c0302
	v_mul_i32_i24_e32 v99, v209, v17
	v_mul_i32_i24_e32 v100, v208, v63
	v_mad_i32_i24 v4, v22, v222, v4
	v_mul_i32_i24_e32 v134, v200, v93
	v_add3_u32 v78, v78, v131, v132
	v_mul_i32_i24_e32 v103, v213, v61
	v_add3_u32 v79, v79, v99, v100
	v_dot4_i32_iu8 v4, v8, v230, v4 neg_lo:[1,1,0]
	v_mul_i32_i24_e32 v131, v212, v66
	v_mul_i32_i24_e32 v135, v199, v94
	v_mul_i32_i24_e32 v136, v198, v95
	v_add3_u32 v79, v79, v101, v102
	v_mad_i32_i24 v4, v23, v220, v4
	v_add3_u32 v78, v78, v133, v134
	v_mul_i32_i24_e32 v132, v211, v67
	v_mul_i32_i24_e32 v133, v210, v70
	v_add3_u32 v79, v79, v103, v131
	v_dot4_i32_iu8 v4, v10, v232, v4 neg_lo:[1,1,0]
	v_add3_u32 v78, v78, v135, v136
	v_mul_i32_i24_e32 v134, v217, v253
	v_mul_i32_i24_e32 v135, v216, v71
	v_add3_u32 v79, v79, v132, v133
	v_mad_i32_i24 v4, v24, v219, v4
	v_mul_i32_i24_e32 v136, v215, v74
	v_mul_i32_i24_e32 v137, v214, v76
	v_mul_lo_u32 v78, v78, v224
	v_add3_u32 v79, v79, v134, v135
	v_dot4_i32_iu8 v4, v11, v235, v4 neg_lo:[1,1,0]
	s_delay_alu instid0(VALU_DEP_2) | instskip(NEXT) | instid1(VALU_DEP_2)
	v_add3_u32 v79, v79, v136, v137
	v_mul_lo_u32 v6, v4, v237
	v_mul_i32_i24_e32 v4, v19, v238
	s_delay_alu instid0(VALU_DEP_3) | instskip(NEXT) | instid1(VALU_DEP_2)
	v_mad_co_u64_u32 v[78:79], null, v79, v218, v[78:79]
	v_mad_i32_i24 v4, v18, v239, v4
	v_mul_f32_e32 v79, v174, v240
	s_delay_alu instid0(VALU_DEP_2) | instskip(SKIP_3) | instid1(VALU_DEP_4)
	v_dot4_i32_iu8 v0, v5, v180, v4 neg_lo:[1,1,0]
	v_perm_b32 v4, v1, v1, 0xc030201
	v_perm_b32 v1, v3, v3, 0xc030201
	v_cvt_f32_i32_e32 v78, v78
	v_mad_i32_i24 v0, v17, v181, v0
	s_delay_alu instid0(VALU_DEP_2) | instskip(NEXT) | instid1(VALU_DEP_2)
	v_fmac_f32_e32 v30, v79, v78
	v_dot4_i32_iu8 v0, v4, v182, v0 neg_lo:[1,1,0]
	s_delay_alu instid0(VALU_DEP_1) | instskip(NEXT) | instid1(VALU_DEP_1)
	v_mad_i32_i24 v0, v61, v179, v0
	v_dot4_i32_iu8 v0, v2, v183, v0 neg_lo:[1,1,0]
	s_delay_alu instid0(VALU_DEP_1) | instskip(NEXT) | instid1(VALU_DEP_1)
	v_mad_i32_i24 v0, v253, v176, v0
	v_dot4_i32_iu8 v0, v1, v184, v0 neg_lo:[1,1,0]
	s_delay_alu instid0(VALU_DEP_1) | instskip(SKIP_1) | instid1(VALU_DEP_2)
	v_mad_co_u64_u32 v[6:7], null, v0, v185, v[6:7]
	v_mul_f32_e32 v0, v171, v240
	v_cvt_f32_i32_e32 v3, v6
	s_delay_alu instid0(VALU_DEP_1) | instskip(SKIP_2) | instid1(VALU_DEP_2)
	v_fmac_f32_e32 v28, v0, v3
	v_mul_i32_i24_e32 v0, v20, v223
	v_mul_i32_i24_e32 v3, v19, v173
	v_mad_i32_i24 v0, v21, v225, v0
	s_delay_alu instid0(VALU_DEP_2) | instskip(NEXT) | instid1(VALU_DEP_2)
	v_mad_i32_i24 v3, v18, v172, v3
	v_dot4_i32_iu8 v0, v9, v227, v0 neg_lo:[1,1,0]
	s_delay_alu instid0(VALU_DEP_2) | instskip(NEXT) | instid1(VALU_DEP_2)
	v_dot4_i32_iu8 v3, v5, v170, v3 neg_lo:[1,1,0]
	v_mad_i32_i24 v0, v22, v229, v0
	s_delay_alu instid0(VALU_DEP_2) | instskip(NEXT) | instid1(VALU_DEP_2)
	v_mad_i32_i24 v3, v17, v169, v3
	v_dot4_i32_iu8 v0, v8, v231, v0 neg_lo:[1,1,0]
	s_delay_alu instid0(VALU_DEP_2) | instskip(NEXT) | instid1(VALU_DEP_2)
	v_dot4_i32_iu8 v3, v4, v168, v3 neg_lo:[1,1,0]
	;; [unrolled: 6-line block ×4, first 2 shown]
	v_mul_lo_u32 v0, v0, v236
	s_delay_alu instid0(VALU_DEP_1) | instskip(SKIP_1) | instid1(VALU_DEP_2)
	v_mad_co_u64_u32 v[0:1], null, v1, v163, v[0:1]
	v_mul_f32_e32 v1, v162, v240
	v_cvt_f32_i32_e32 v0, v0
	s_delay_alu instid0(VALU_DEP_1)
	v_fmac_f32_e32 v27, v1, v0
	s_cbranch_scc1 .LBB170_10
; %bb.11:                               ;   in Loop: Header=BB170_8 Depth=2
	s_wait_loadcnt 0x0
	s_barrier_signal -1
	s_barrier_wait -1
	global_inv scope:SCOPE_SE
	s_clause 0x1
	scratch_load_b32 v10, off, off offset:4
	scratch_load_b32 v11, off, off
	v_lshl_add_u32 v0, s16, 5, v104
	v_lshl_add_u32 v9, s16, 2, v144
	v_dual_mov_b32 v146, v106 :: v_dual_mov_b32 v149, v109
	v_mov_b32_e32 v147, v107
	s_delay_alu instid0(VALU_DEP_4) | instskip(SKIP_3) | instid1(VALU_DEP_4)
	v_lshrrev_b32_e32 v0, 3, v0
	v_mov_b32_e32 v148, v108
	v_mov_b32_e32 v150, v110
	v_dual_mov_b32 v144, v158 :: v_dual_mov_b32 v151, v145
	v_add_nc_u32_e32 v8, s7, v0
	s_add_co_i32 s10, s10, 2
	s_wait_alu 0xfffe
	s_lshl_b32 s16, s10, 3
	s_delay_alu instid0(VALU_DEP_1)
	v_add_nc_u32_e32 v0, v8, v106
	v_add_nc_u32_e32 v2, v8, v107
	;; [unrolled: 1-line block ×6, first 2 shown]
	v_mad_co_i64_i32 v[0:1], null, v0, 36, v[25:26]
	v_mov_b32_e32 v145, v105
	v_mad_co_i64_i32 v[2:3], null, v2, 36, v[25:26]
	v_mad_co_i64_i32 v[4:5], null, v4, 36, v[25:26]
	;; [unrolled: 1-line block ×5, first 2 shown]
	s_wait_loadcnt 0x1
	v_add_nc_u32_e32 v10, v8, v10
	s_wait_loadcnt 0x0
	v_add_nc_u32_e32 v16, v8, v11
	v_mad_co_u64_u32 v[8:9], null, v9, 36, s[2:3]
	s_delay_alu instid0(VALU_DEP_3) | instskip(NEXT) | instid1(VALU_DEP_3)
	v_mad_co_i64_i32 v[10:11], null, v10, 36, v[25:26]
	v_mad_co_i64_i32 v[16:17], null, v16, 36, v[25:26]
	s_clause 0x8
	global_load_b32 v8, v[8:9], off
	global_load_b32 v9, v[10:11], off offset:4
	global_load_b32 v0, v[0:1], off offset:4
	;; [unrolled: 1-line block ×8, first 2 shown]
	s_wait_loadcnt 0x8
	v_cvt_f32_f16_e32 v7, v8
	s_wait_loadcnt 0x6
	ds_store_b32 v39, v0
	scratch_load_b32 v0, off, off offset:8  ; 4-byte Folded Reload
	ds_store_b32 v105, v7
	s_wait_loadcnt 0x0
	ds_store_b32 v0, v1
	scratch_load_b32 v0, off, off offset:12 ; 4-byte Folded Reload
	ds_store_b32 v158, v9
	v_mov_b32_e32 v158, v39
	s_wait_loadcnt 0x0
	ds_store_b32 v0, v2
	scratch_load_b32 v0, off, off offset:16 ; 4-byte Folded Reload
	s_wait_loadcnt 0x0
	ds_store_b32 v0, v3
	scratch_load_b32 v0, off, off offset:20 ; 4-byte Folded Reload
	;; [unrolled: 3-line block ×4, first 2 shown]
	s_wait_loadcnt 0x0
	ds_store_b32 v0, v6
	s_wait_dscnt 0x0
	s_barrier_signal -1
	s_barrier_wait -1
	global_inv scope:SCOPE_SE
.LBB170_12:                             ;   Parent Loop BB170_6 Depth=1
                                        ;     Parent Loop BB170_8 Depth=2
                                        ; =>    This Inner Loop Header: Depth=3
	s_lshl_b32 s17, s11, 2
	s_lshr_b32 s20, s11, 4
	s_wait_alu 0xfffe
	s_and_b32 s17, s17, 24
	s_lshl_b32 s22, s20, 5
	s_wait_alu 0xfffe
	v_or_b32_e32 v0, s17, v111
	s_addk_co_i32 s22, 0x4200
	s_and_b32 s21, s11, 0x3ffffff8
	s_wait_alu 0xfffe
	v_add3_u32 v7, s22, v159, v124
	v_lshl_add_u32 v162, s21, 2, v123
	v_lshlrev_b32_e32 v8, 2, v0
	v_lshrrev_b32_e32 v0, 1, v0
	s_bfe_u32 s18, s11, 0x30001
	s_and_b32 s19, s11, 6
	s_lshl_b32 s23, s20, 2
	ds_load_2addr_b32 v[2:3], v7 offset1:1
	ds_load_b32 v131, v0 offset:38816
	ds_load_2addr_b32 v[0:1], v162 offset1:1
	s_wait_alu 0xfffe
	s_add_co_i32 s21, s23, 0x9380
	s_and_b32 s20, s11, -2
	v_add3_u32 v95, s22, v154, v127
	s_wait_alu 0xfffe
	v_add_nc_u32_e32 v79, s20, v112
	v_add_nc_u32_e32 v236, s20, v114
	;; [unrolled: 1-line block ×3, first 2 shown]
	s_add_co_i32 s11, s11, 2
	s_wait_alu 0xfffe
	s_cmp_lt_u32 s11, s16
	s_wait_dscnt 0x2
	v_ashrrev_i32_e32 v2, s18, v2
	v_ashrrev_i32_e32 v3, s18, v3
	s_wait_dscnt 0x0
	v_ashrrev_i32_e32 v0, s19, v0
	s_delay_alu instid0(VALU_DEP_3) | instskip(NEXT) | instid1(VALU_DEP_3)
	v_lshlrev_b32_e32 v2, 2, v2
	v_lshlrev_b32_e32 v3, 2, v3
	s_delay_alu instid0(VALU_DEP_3) | instskip(SKIP_1) | instid1(VALU_DEP_4)
	v_and_b32_e32 v4, 0x3030303, v0
	v_bfe_u32 v0, v0, 24, 2
	v_and_b32_e32 v2, 0x4040404, v2
	s_delay_alu instid0(VALU_DEP_4) | instskip(NEXT) | instid1(VALU_DEP_4)
	v_and_b32_e32 v3, 0x4040404, v3
	v_lshrrev_b32_e32 v5, 16, v4
	v_lshrrev_b16 v6, 8, v4
	s_delay_alu instid0(VALU_DEP_4) | instskip(SKIP_3) | instid1(VALU_DEP_4)
	v_lshrrev_b32_e32 v10, 24, v2
	v_lshrrev_b32_e32 v9, 16, v2
	v_lshrrev_b16 v11, 8, v2
	v_sub_nc_u16 v13, v4, v2
	v_sub_nc_u16 v10, v0, v10
	v_ashrrev_i32_e32 v0, s19, v1
	s_delay_alu instid0(VALU_DEP_4)
	v_sub_nc_u16 v11, v6, v11
	v_sub_nc_u16 v12, v5, v9
	v_lshrrev_b32_e32 v5, 24, v3
	v_lshrrev_b32_e32 v6, 16, v3
	v_bfe_u32 v1, v0, 24, 2
	v_and_b32_e32 v0, 0x3030303, v0
	v_lshrrev_b16 v9, 8, v3
	v_bfe_i32 v188, v10, 0, 16
	v_bfe_i32 v187, v12, 0, 8
	v_sub_nc_u16 v17, v1, v5
	v_lshrrev_b32_e32 v2, 16, v0
	v_lshrrev_b16 v4, 8, v0
	v_sub_nc_u16 v14, v0, v3
	ds_load_2addr_b32 v[0:1], v162 offset0:2 offset1:3
	v_bfe_i32 v190, v17, 0, 16
	v_sub_nc_u16 v16, v2, v6
	ds_load_2addr_b32 v[2:3], v7 offset0:2 offset1:3
	v_sub_nc_u16 v15, v4, v9
	v_bfe_i32 v189, v11, 0, 16
	v_bfe_i32 v193, v14, 0, 8
	;; [unrolled: 1-line block ×5, first 2 shown]
	s_wait_dscnt 0x1
	v_ashrrev_i32_e32 v0, s19, v0
	s_wait_dscnt 0x0
	v_ashrrev_i32_e32 v2, s18, v2
	v_ashrrev_i32_e32 v3, s18, v3
	s_delay_alu instid0(VALU_DEP_3) | instskip(SKIP_1) | instid1(VALU_DEP_4)
	v_bfe_u32 v4, v0, 24, 2
	v_and_b32_e32 v0, 0x3030303, v0
	v_lshlrev_b32_e32 v2, 2, v2
	s_delay_alu instid0(VALU_DEP_4) | instskip(NEXT) | instid1(VALU_DEP_3)
	v_lshlrev_b32_e32 v3, 2, v3
	v_lshrrev_b32_e32 v5, 16, v0
	v_lshrrev_b16 v6, 8, v0
	s_delay_alu instid0(VALU_DEP_4) | instskip(NEXT) | instid1(VALU_DEP_4)
	v_and_b32_e32 v2, 0x4040404, v2
	v_and_b32_e32 v3, 0x4040404, v3
	s_delay_alu instid0(VALU_DEP_2)
	v_sub_nc_u16 v20, v0, v2
	v_ashrrev_i32_e32 v0, s19, v1
	v_lshrrev_b32_e32 v18, 16, v2
	v_lshrrev_b16 v19, 8, v2
	v_lshrrev_b32_e32 v9, 24, v2
	v_bfe_i32 v197, v20, 0, 8
	v_bfe_u32 v1, v0, 24, 2
	v_and_b32_e32 v0, 0x3030303, v0
	v_sub_nc_u16 v19, v6, v19
	v_sub_nc_u16 v18, v5, v18
	v_lshrrev_b32_e32 v5, 24, v3
	v_lshrrev_b32_e32 v6, 16, v3
	;; [unrolled: 1-line block ×3, first 2 shown]
	v_sub_nc_u16 v21, v4, v9
	v_lshrrev_b16 v4, 8, v0
	v_lshrrev_b16 v9, 8, v3
	v_sub_nc_u16 v22, v0, v3
	v_sub_nc_u16 v38, v2, v6
	;; [unrolled: 1-line block ×3, first 2 shown]
	ds_load_2addr_b32 v[0:1], v162 offset0:4 offset1:5
	ds_load_2addr_b32 v[2:3], v7 offset0:4 offset1:5
	v_sub_nc_u16 v24, v4, v9
	v_bfe_i32 v194, v21, 0, 16
	v_bfe_i32 v196, v19, 0, 16
	v_bfe_i32 v198, v47, 0, 16
	v_bfe_i32 v195, v18, 0, 8
	v_bfe_i32 v199, v38, 0, 8
	v_bfe_i32 v200, v24, 0, 16
	v_bfe_i32 v201, v22, 0, 8
	s_wait_dscnt 0x1
	v_ashrrev_i32_e32 v0, s19, v0
	s_wait_dscnt 0x0
	v_ashrrev_i32_e32 v2, s18, v2
	v_ashrrev_i32_e32 v3, s18, v3
	s_delay_alu instid0(VALU_DEP_3) | instskip(NEXT) | instid1(VALU_DEP_3)
	v_and_b32_e32 v4, 0x3030303, v0
	v_lshlrev_b32_e32 v2, 2, v2
	v_bfe_u32 v0, v0, 24, 2
	s_delay_alu instid0(VALU_DEP_4) | instskip(NEXT) | instid1(VALU_DEP_4)
	v_lshlrev_b32_e32 v3, 2, v3
	v_lshrrev_b32_e32 v5, 16, v4
	s_delay_alu instid0(VALU_DEP_4) | instskip(SKIP_1) | instid1(VALU_DEP_4)
	v_and_b32_e32 v2, 0x4040404, v2
	v_lshrrev_b16 v6, 8, v4
	v_and_b32_e32 v3, 0x4040404, v3
	s_delay_alu instid0(VALU_DEP_3) | instskip(SKIP_3) | instid1(VALU_DEP_4)
	v_lshrrev_b32_e32 v23, 24, v2
	v_lshrrev_b32_e32 v9, 16, v2
	v_lshrrev_b16 v48, 8, v2
	v_sub_nc_u16 v63, v4, v2
	v_sub_nc_u16 v51, v0, v23
	v_ashrrev_i32_e32 v0, s19, v1
	s_delay_alu instid0(VALU_DEP_4)
	v_sub_nc_u16 v48, v6, v48
	v_sub_nc_u16 v61, v5, v9
	v_lshrrev_b32_e32 v5, 24, v3
	v_lshrrev_b32_e32 v6, 16, v3
	v_bfe_u32 v1, v0, 24, 2
	v_and_b32_e32 v0, 0x3030303, v0
	v_lshrrev_b16 v9, 8, v3
	v_bfe_i32 v202, v63, 0, 8
	v_bfe_i32 v204, v51, 0, 16
	v_sub_nc_u16 v67, v1, v5
	v_lshrrev_b32_e32 v2, 16, v0
	v_lshrrev_b16 v4, 8, v0
	v_sub_nc_u16 v64, v0, v3
	ds_load_2addr_b32 v[0:1], v162 offset0:6 offset1:7
	v_bfe_i32 v206, v67, 0, 16
	v_sub_nc_u16 v66, v2, v6
	ds_load_2addr_b32 v[2:3], v7 offset0:6 offset1:7
	v_sub_nc_u16 v65, v4, v9
	v_bfe_i32 v209, v64, 0, 8
	v_bfe_i32 v205, v48, 0, 16
	;; [unrolled: 1-line block ×5, first 2 shown]
	s_wait_dscnt 0x1
	v_ashrrev_i32_e32 v0, s19, v0
	s_wait_dscnt 0x0
	v_ashrrev_i32_e32 v2, s18, v2
	v_ashrrev_i32_e32 v3, s18, v3
	s_delay_alu instid0(VALU_DEP_3) | instskip(SKIP_1) | instid1(VALU_DEP_4)
	v_bfe_u32 v4, v0, 24, 2
	v_and_b32_e32 v0, 0x3030303, v0
	v_lshlrev_b32_e32 v2, 2, v2
	s_delay_alu instid0(VALU_DEP_4) | instskip(NEXT) | instid1(VALU_DEP_3)
	v_lshlrev_b32_e32 v3, 2, v3
	v_lshrrev_b32_e32 v5, 16, v0
	v_lshrrev_b16 v6, 8, v0
	s_delay_alu instid0(VALU_DEP_4) | instskip(NEXT) | instid1(VALU_DEP_4)
	v_and_b32_e32 v2, 0x4040404, v2
	v_and_b32_e32 v3, 0x4040404, v3
	s_delay_alu instid0(VALU_DEP_2)
	v_sub_nc_u16 v68, v0, v2
	v_ashrrev_i32_e32 v0, s19, v1
	v_lshrrev_b32_e32 v7, 24, v2
	v_lshrrev_b32_e32 v9, 16, v2
	v_lshrrev_b16 v23, 8, v2
	v_bfe_i32 v213, v68, 0, 8
	v_bfe_u32 v1, v0, 24, 2
	v_and_b32_e32 v0, 0x3030303, v0
	v_sub_nc_u16 v71, v5, v9
	v_sub_nc_u16 v70, v6, v23
	;; [unrolled: 1-line block ×3, first 2 shown]
	v_lshrrev_b32_e32 v5, 24, v3
	v_lshrrev_b32_e32 v2, 16, v0
	v_lshrrev_b16 v4, 8, v0
	v_lshrrev_b32_e32 v6, 16, v3
	v_lshrrev_b16 v7, 8, v3
	v_sub_nc_u16 v74, v0, v3
	v_add3_u32 v0, s21, v160, v161
	v_sub_nc_u16 v78, v1, v5
	v_sub_nc_u16 v76, v2, v6
	;; [unrolled: 1-line block ×3, first 2 shown]
	ds_load_b32 v174, v0
	ds_load_b128 v[4:7], v8 offset:25344
	ds_load_b128 v[0:3], v8 offset:25360
	v_bfe_i32 v210, v72, 0, 16
	v_bfe_i32 v212, v70, 0, 16
	;; [unrolled: 1-line block ×7, first 2 shown]
	ds_load_2addr_b32 v[163:164], v95 offset1:1
	ds_load_2addr_b32 v[170:171], v95 offset0:6 offset1:7
	s_wait_dscnt 0x3
	v_lshrrev_b16 v49, 8, v4
	v_lshrrev_b16 v52, 8, v5
	;; [unrolled: 1-line block ×3, first 2 shown]
	v_ashrrev_i32_e32 v10, 24, v5
	v_lshrrev_b16 v57, 8, v7
	v_ashrrev_i32_e32 v23, 24, v4
	v_bfe_i32 v49, v49, 0, 8
	v_bfe_i32 v11, v5, 16, 8
	;; [unrolled: 1-line block ×4, first 2 shown]
	v_mul_i32_i24_e32 v88, v190, v10
	v_ashrrev_i32_e32 v12, 24, v6
	v_bfe_i32 v54, v54, 0, 8
	v_ashrrev_i32_e32 v14, 24, v7
	v_bfe_i32 v8, v4, 0, 8
	v_bfe_i32 v9, v4, 16, 8
	v_mul_i32_i24_e32 v81, v189, v49
	v_mul_i32_i24_e32 v16, v193, v53
	;; [unrolled: 1-line block ×4, first 2 shown]
	v_bfe_i32 v13, v6, 16, 8
	v_bfe_i32 v56, v6, 0, 8
	v_mul_i32_i24_e32 v19, v196, v54
	v_mul_i32_i24_e32 v21, v194, v12
	v_bfe_i32 v15, v7, 16, 8
	v_bfe_i32 v57, v57, 0, 8
	v_bfe_i32 v60, v7, 0, 8
	v_mul_i32_i24_e32 v47, v198, v14
	v_mad_i32_i24 v88, v188, v23, v88
	v_mul_i32_i24_e32 v18, v197, v56
	v_mul_i32_i24_e32 v20, v195, v13
	;; [unrolled: 1-line block ×5, first 2 shown]
	v_mad_i32_i24 v87, v187, v9, v87
	v_mad_i32_i24 v16, v186, v8, v16
	v_add3_u32 v17, v81, v17, v19
	v_add3_u32 v19, v88, v21, v47
	s_wait_dscnt 0x2
	v_ashrrev_i32_e32 v245, 24, v1
	v_bfe_i32 v248, v1, 0, 8
	v_add3_u32 v16, v16, v18, v22
	v_add3_u32 v18, v87, v20, v38
	;; [unrolled: 1-line block ×3, first 2 shown]
	v_lshrrev_b16 v19, 8, v2
	v_lshrrev_b16 v20, 8, v3
	v_bfe_i32 v241, v0, 0, 8
	v_ashrrev_i32_e32 v243, 24, v0
	v_add3_u32 v18, v16, v18, v17
	v_lshrrev_b16 v16, 8, v0
	v_lshrrev_b16 v17, 8, v1
	v_bfe_i32 v246, v1, 16, 8
	v_mul_i32_i24_e32 v22, v209, v248
	v_mul_i32_i24_e32 v47, v206, v245
	v_bfe_i32 v251, v16, 0, 8
	v_bfe_i32 v247, v17, 0, 8
	v_ashrrev_i32_e32 v244, 24, v2
	v_bfe_i32 v250, v19, 0, 8
	v_bfe_i32 v252, v2, 0, 8
	v_ashrrev_i32_e32 v16, 24, v3
	v_bfe_i32 v240, v3, 0, 8
	v_bfe_i32 v242, v0, 16, 8
	v_mul_i32_i24_e32 v21, v205, v251
	v_mul_i32_i24_e32 v24, v208, v247
	;; [unrolled: 1-line block ×3, first 2 shown]
	v_bfe_i32 v249, v2, 16, 8
	v_mul_i32_i24_e32 v19, v213, v252
	v_mul_i32_i24_e32 v48, v212, v250
	;; [unrolled: 1-line block ×3, first 2 shown]
	v_bfe_i32 v17, v3, 16, 8
	v_bfe_i32 v61, v20, 0, 8
	v_mul_i32_i24_e32 v20, v217, v240
	v_mul_i32_i24_e32 v66, v214, v16
	v_mad_i32_i24 v47, v204, v243, v47
	v_mad_i32_i24 v22, v202, v241, v22
	v_mul_i32_i24_e32 v51, v211, v249
	v_mul_i32_i24_e32 v64, v216, v61
	v_mul_i32_i24_e32 v65, v215, v17
	v_mad_i32_i24 v38, v203, v242, v38
	v_add3_u32 v21, v21, v24, v48
	v_add3_u32 v19, v22, v19, v20
	;; [unrolled: 1-line block ×5, first 2 shown]
	s_wait_dscnt 0x1
	v_ashrrev_i32_e32 v96, s18, v163
	v_perm_b32 v5, v5, v5, 0xc030201
	v_add3_u32 v21, v21, v64, v22
	v_perm_b32 v6, v6, v6, 0xc030201
	v_perm_b32 v7, v7, v7, 0xc030201
	v_lshlrev_b32_e32 v96, 2, v96
	s_delay_alu instid0(VALU_DEP_4) | instskip(SKIP_2) | instid1(VALU_DEP_1)
	v_add3_u32 v19, v19, v20, v21
	ds_load_u16 v20, v79
	v_and_b32_e32 v96, 0x4040404, v96
	v_lshrrev_b32_e32 v103, 16, v96
	v_lshrrev_b16 v102, 8, v96
	s_wait_dscnt 0x0
	v_bfe_i32 v222, v20, 0, 8
	v_lshrrev_b16 v21, 8, v20
	s_delay_alu instid0(VALU_DEP_2) | instskip(NEXT) | instid1(VALU_DEP_2)
	v_mul_lo_u32 v18, v18, v222
	v_bfe_i32 v218, v21, 0, 8
	ds_load_2addr_b32 v[20:21], v47 offset1:1
	v_mad_co_u64_u32 v[18:19], null, v19, v218, v[18:19]
	v_mul_f32_e32 v19, v131, v174
	s_delay_alu instid0(VALU_DEP_2) | instskip(NEXT) | instid1(VALU_DEP_1)
	v_cvt_f32_i32_e32 v18, v18
	v_fmac_f32_e32 v41, v19, v18
	v_add_nc_u32_e32 v18, 0x1080, v162
	s_wait_dscnt 0x0
	v_ashrrev_i32_e32 v20, s18, v20
	v_ashrrev_i32_e32 v21, s18, v21
	ds_load_2addr_b32 v[18:19], v18 offset1:1
	v_lshlrev_b32_e32 v20, 2, v20
	v_lshlrev_b32_e32 v21, 2, v21
	s_delay_alu instid0(VALU_DEP_2) | instskip(NEXT) | instid1(VALU_DEP_2)
	v_and_b32_e32 v20, 0x4040404, v20
	v_and_b32_e32 v21, 0x4040404, v21
	s_delay_alu instid0(VALU_DEP_2) | instskip(SKIP_4) | instid1(VALU_DEP_1)
	v_lshrrev_b32_e32 v63, 24, v20
	v_lshrrev_b16 v51, 8, v20
	v_lshrrev_b32_e32 v64, 16, v20
	s_wait_dscnt 0x0
	v_ashrrev_i32_e32 v18, s19, v18
	v_and_b32_e32 v22, 0x3030303, v18
	v_bfe_u32 v18, v18, 24, 2
	s_delay_alu instid0(VALU_DEP_2) | instskip(NEXT) | instid1(VALU_DEP_2)
	v_lshrrev_b16 v24, 8, v22
	v_sub_nc_u16 v72, v18, v63
	v_ashrrev_i32_e32 v18, s19, v19
	v_lshrrev_b32_e32 v38, 16, v22
	v_sub_nc_u16 v48, v22, v20
	v_sub_nc_u16 v255, v24, v51
	v_lshrrev_b32_e32 v63, 24, v21
	v_bfe_u32 v19, v18, 24, 2
	v_and_b32_e32 v18, 0x3030303, v18
	v_lshrrev_b32_e32 v24, 16, v21
	v_sub_nc_u16 v38, v38, v64
	v_lshrrev_b16 v64, 8, v21
	v_sub_nc_u16 v101, v19, v63
	v_lshrrev_b32_e32 v20, 16, v18
	v_lshrrev_b16 v22, 8, v18
	v_sub_nc_u16 v51, v18, v21
	v_add_nc_u32_e32 v18, 0x1088, v162
	v_bfe_i32 v48, v48, 0, 8
	v_sub_nc_u16 v24, v20, v24
	ds_load_2addr_b32 v[20:21], v47 offset0:2 offset1:3
	v_sub_nc_u16 v100, v22, v64
	ds_load_2addr_b32 v[18:19], v18 offset1:1
	v_bfe_i32 v255, v255, 0, 16
	v_bfe_i32 v72, v72, 0, 16
	;; [unrolled: 1-line block ×4, first 2 shown]
	s_wait_dscnt 0x1
	v_ashrrev_i32_e32 v20, s18, v20
	v_ashrrev_i32_e32 v21, s18, v21
	s_wait_dscnt 0x0
	v_ashrrev_i32_e32 v18, s19, v18
	s_delay_alu instid0(VALU_DEP_3) | instskip(NEXT) | instid1(VALU_DEP_3)
	v_lshlrev_b32_e32 v20, 2, v20
	v_lshlrev_b32_e32 v21, 2, v21
	s_delay_alu instid0(VALU_DEP_3) | instskip(SKIP_1) | instid1(VALU_DEP_4)
	v_bfe_u32 v22, v18, 24, 2
	v_and_b32_e32 v18, 0x3030303, v18
	v_and_b32_e32 v20, 0x4040404, v20
	s_delay_alu instid0(VALU_DEP_4) | instskip(NEXT) | instid1(VALU_DEP_3)
	v_and_b32_e32 v21, 0x4040404, v21
	v_lshrrev_b32_e32 v63, 16, v18
	v_lshrrev_b16 v64, 8, v18
	s_delay_alu instid0(VALU_DEP_4) | instskip(SKIP_4) | instid1(VALU_DEP_4)
	v_sub_nc_u16 v90, v18, v20
	v_ashrrev_i32_e32 v18, s19, v19
	v_lshrrev_b32_e32 v65, 24, v20
	v_lshrrev_b32_e32 v66, 16, v20
	v_lshrrev_b16 v67, 8, v20
	v_bfe_u32 v19, v18, 24, 2
	v_and_b32_e32 v18, 0x3030303, v18
	s_delay_alu instid0(VALU_DEP_4) | instskip(NEXT) | instid1(VALU_DEP_4)
	v_sub_nc_u16 v97, v63, v66
	v_sub_nc_u16 v93, v64, v67
	;; [unrolled: 1-line block ×3, first 2 shown]
	v_lshrrev_b32_e32 v63, 24, v21
	v_lshrrev_b32_e32 v20, 16, v18
	v_lshrrev_b16 v22, 8, v18
	v_lshrrev_b32_e32 v64, 16, v21
	v_sub_nc_u16 v81, v18, v21
	v_add_nc_u32_e32 v18, 0x1090, v162
	v_lshrrev_b16 v65, 8, v21
	v_sub_nc_u16 v89, v19, v63
	v_sub_nc_u16 v88, v20, v64
	ds_load_2addr_b32 v[20:21], v47 offset0:4 offset1:5
	ds_load_2addr_b32 v[18:19], v18 offset1:1
	v_sub_nc_u16 v87, v22, v65
	s_wait_dscnt 0x1
	v_ashrrev_i32_e32 v20, s18, v20
	s_wait_dscnt 0x0
	v_ashrrev_i32_e32 v18, s19, v18
	v_ashrrev_i32_e32 v21, s18, v21
	s_delay_alu instid0(VALU_DEP_3) | instskip(NEXT) | instid1(VALU_DEP_3)
	v_lshlrev_b32_e32 v20, 2, v20
	v_and_b32_e32 v22, 0x3030303, v18
	v_bfe_u32 v18, v18, 24, 2
	s_delay_alu instid0(VALU_DEP_4) | instskip(NEXT) | instid1(VALU_DEP_4)
	v_lshlrev_b32_e32 v21, 2, v21
	v_and_b32_e32 v20, 0x4040404, v20
	s_delay_alu instid0(VALU_DEP_4) | instskip(SKIP_1) | instid1(VALU_DEP_4)
	v_lshrrev_b16 v63, 8, v22
	v_lshrrev_b32_e32 v64, 16, v22
	v_and_b32_e32 v21, 0x4040404, v21
	s_delay_alu instid0(VALU_DEP_4) | instskip(SKIP_3) | instid1(VALU_DEP_4)
	v_lshrrev_b32_e32 v66, 24, v20
	v_lshrrev_b16 v65, 8, v20
	v_lshrrev_b32_e32 v67, 16, v20
	v_sub_nc_u16 v74, v22, v20
	v_sub_nc_u16 v78, v18, v66
	v_ashrrev_i32_e32 v18, s19, v19
	s_delay_alu instid0(VALU_DEP_4)
	v_sub_nc_u16 v76, v64, v67
	v_sub_nc_u16 v79, v63, v65
	v_lshrrev_b32_e32 v64, 24, v21
	v_lshrrev_b16 v66, 8, v21
	v_bfe_u32 v19, v18, 24, 2
	v_and_b32_e32 v18, 0x3030303, v18
	v_lshrrev_b32_e32 v65, 16, v21
	s_delay_alu instid0(VALU_DEP_3) | instskip(NEXT) | instid1(VALU_DEP_3)
	v_sub_nc_u16 v71, v19, v64
	v_lshrrev_b32_e32 v20, 16, v18
	v_lshrrev_b16 v63, 8, v18
	v_sub_nc_u16 v22, v18, v21
	v_add_nc_u32_e32 v18, 0x1098, v162
	s_delay_alu instid0(VALU_DEP_4) | instskip(NEXT) | instid1(VALU_DEP_4)
	v_sub_nc_u16 v253, v20, v65
	v_sub_nc_u16 v70, v63, v66
	ds_load_2addr_b32 v[63:64], v47 offset0:6 offset1:7
	ds_load_2addr_b32 v[18:19], v18 offset1:1
	s_wait_dscnt 0x1
	v_ashrrev_i32_e32 v20, s18, v63
	s_wait_dscnt 0x0
	v_ashrrev_i32_e32 v18, s19, v18
	v_ashrrev_i32_e32 v64, s18, v64
	s_delay_alu instid0(VALU_DEP_3) | instskip(NEXT) | instid1(VALU_DEP_3)
	v_lshlrev_b32_e32 v20, 2, v20
	v_bfe_u32 v65, v18, 24, 2
	v_and_b32_e32 v18, 0x3030303, v18
	s_delay_alu instid0(VALU_DEP_4) | instskip(NEXT) | instid1(VALU_DEP_4)
	v_lshlrev_b32_e32 v64, 2, v64
	v_and_b32_e32 v20, 0x4040404, v20
	s_delay_alu instid0(VALU_DEP_3) | instskip(SKIP_1) | instid1(VALU_DEP_4)
	v_lshrrev_b32_e32 v21, 16, v18
	v_lshrrev_b16 v66, 8, v18
	v_and_b32_e32 v64, 0x4040404, v64
	s_delay_alu instid0(VALU_DEP_4)
	v_lshrrev_b32_e32 v47, 24, v20
	v_lshrrev_b32_e32 v63, 16, v20
	v_lshrrev_b16 v67, 8, v20
	v_sub_nc_u16 v20, v18, v20
	v_ashrrev_i32_e32 v18, s19, v19
	v_lshrrev_b32_e32 v68, 16, v64
	v_sub_nc_u16 v21, v21, v63
	v_sub_nc_u16 v66, v66, v67
	;; [unrolled: 1-line block ×3, first 2 shown]
	v_bfe_u32 v47, v18, 24, 2
	v_lshrrev_b32_e32 v65, 24, v64
	v_lshrrev_b16 v75, 8, v64
	s_delay_alu instid0(VALU_DEP_2)
	v_sub_nc_u16 v65, v47, v65
	v_add3_u32 v47, s21, v153, v126
	ds_load_b32 v175, v47
	v_add_nc_u32_e32 v47, 0x2100, v162
	v_and_b32_e32 v18, 0x3030303, v18
	ds_load_2addr_b32 v[132:133], v47 offset1:1
	v_lshrrev_b32_e32 v19, 16, v18
	v_lshrrev_b16 v63, 8, v18
	v_sub_nc_u16 v18, v18, v64
	s_delay_alu instid0(VALU_DEP_3) | instskip(NEXT) | instid1(VALU_DEP_3)
	v_sub_nc_u16 v19, v19, v68
	v_sub_nc_u16 v64, v63, v75
	s_wait_dscnt 0x1
	v_mul_f32_e32 v63, v131, v175
	s_wait_dscnt 0x0
	v_ashrrev_i32_e32 v47, s19, v132
	v_lshrrev_b32_e32 v132, 24, v96
	s_delay_alu instid0(VALU_DEP_2) | instskip(SKIP_1) | instid1(VALU_DEP_2)
	v_and_b32_e32 v68, 0x3030303, v47
	v_bfe_u32 v47, v47, 24, 2
	v_lshrrev_b32_e32 v94, 16, v68
	s_delay_alu instid0(VALU_DEP_2) | instskip(SKIP_2) | instid1(VALU_DEP_4)
	v_sub_nc_u16 v47, v47, v132
	v_lshrrev_b16 v75, 8, v68
	v_sub_nc_u16 v68, v68, v96
	v_sub_nc_u16 v179, v94, v103
	s_delay_alu instid0(VALU_DEP_4)
	v_lshlrev_b16 v47, 8, v47
	v_ashrrev_i32_e32 v103, s18, v164
	ds_load_2addr_b32 v[163:164], v95 offset0:2 offset1:3
	v_bfe_i32 v177, v68, 0, 8
	v_and_b32_e32 v94, 0xff, v179
	v_lshlrev_b32_e32 v103, 2, v103
	s_delay_alu instid0(VALU_DEP_3) | instskip(NEXT) | instid1(VALU_DEP_3)
	v_mul_i32_i24_e32 v68, v8, v177
	v_or_b32_e32 v181, v94, v47
	v_sub_nc_u16 v47, v75, v102
	v_ashrrev_i32_e32 v75, s19, v133
	v_and_b32_e32 v103, 0x4040404, v103
	s_delay_alu instid0(VALU_DEP_4) | instskip(NEXT) | instid1(VALU_DEP_4)
	v_perm_b32 v221, v181, v179, 0xc0c0500
	v_lshlrev_b16 v47, 8, v47
	s_delay_alu instid0(VALU_DEP_4)
	v_and_b32_e32 v94, 0x3030303, v75
	v_bfe_u32 v75, v75, 24, 2
	v_lshrrev_b32_e32 v133, 16, v103
	v_lshrrev_b32_e32 v134, 24, v103
	v_lshrrev_b16 v132, 8, v103
	v_lshrrev_b32_e32 v102, 16, v94
	v_lshrrev_b16 v96, 8, v94
	v_sub_nc_u16 v219, v94, v103
	v_sub_nc_u16 v75, v75, v134
	s_wait_dscnt 0x0
	v_ashrrev_i32_e32 v103, s18, v163
	v_sub_nc_u16 v180, v102, v133
	v_bfe_i32 v178, v47, 8, 8
	v_perm_b32 v47, v4, v4, 0xc0c0302
	v_lshlrev_b16 v75, 8, v75
	v_lshlrev_b32_e32 v103, 2, v103
	v_and_b32_e32 v102, 0xff, v180
	v_mad_i32_i24 v223, v49, v178, v68
	s_delay_alu instid0(VALU_DEP_3) | instskip(NEXT) | instid1(VALU_DEP_3)
	v_and_b32_e32 v103, 0x4040404, v103
	v_or_b32_e32 v182, v102, v75
	v_sub_nc_u16 v75, v96, v132
	s_delay_alu instid0(VALU_DEP_4)
	v_dot4_i32_iu8 v4, v47, v221, v223 neg_lo:[1,1,0]
	v_bfe_i32 v223, v219, 0, 8
	v_lshrrev_b32_e32 v134, 16, v103
	v_lshrrev_b32_e32 v135, 24, v103
	v_lshlrev_b16 v183, 8, v75
	v_add_nc_u32_e32 v75, 0x2108, v162
	v_perm_b32 v68, v182, v180, 0xc05000c
	v_mad_i32_i24 v4, v53, v223, v4
	ds_load_2addr_b32 v[132:133], v75 offset1:1
	s_wait_dscnt 0x0
	v_ashrrev_i32_e32 v75, s19, v132
	v_lshrrev_b16 v132, 8, v103
	s_delay_alu instid0(VALU_DEP_2) | instskip(SKIP_1) | instid1(VALU_DEP_2)
	v_and_b32_e32 v94, 0x3030303, v75
	v_bfe_u32 v75, v75, 24, 2
	v_lshrrev_b32_e32 v102, 16, v94
	s_delay_alu instid0(VALU_DEP_2)
	v_sub_nc_u16 v75, v75, v135
	v_lshrrev_b16 v96, 8, v94
	v_sub_nc_u16 v220, v94, v103
	v_ashrrev_i32_e32 v103, s18, v164
	v_sub_nc_u16 v224, v102, v134
	v_lshlrev_b16 v75, 8, v75
	ds_load_2addr_b32 v[163:164], v95 offset0:4 offset1:5
	v_ashrrev_i32_e32 v95, s18, v170
	v_lshlrev_b32_e32 v103, 2, v103
	v_and_b32_e32 v102, 0xff, v224
	v_bfe_i32 v220, v220, 0, 8
	s_delay_alu instid0(VALU_DEP_4) | instskip(NEXT) | instid1(VALU_DEP_4)
	v_lshlrev_b32_e32 v95, 2, v95
	v_and_b32_e32 v103, 0x4040404, v103
	s_delay_alu instid0(VALU_DEP_4) | instskip(SKIP_1) | instid1(VALU_DEP_4)
	v_or_b32_e32 v225, v102, v75
	v_sub_nc_u16 v75, v96, v132
	v_and_b32_e32 v95, 0x4040404, v95
	s_delay_alu instid0(VALU_DEP_4) | instskip(SKIP_1) | instid1(VALU_DEP_4)
	v_lshrrev_b32_e32 v134, 24, v103
	v_lshrrev_b16 v132, 8, v103
	v_lshlrev_b16 v226, 8, v75
	v_ashrrev_i32_e32 v75, s19, v133
	v_lshrrev_b32_e32 v133, 16, v103
	s_delay_alu instid0(VALU_DEP_2) | instskip(SKIP_1) | instid1(VALU_DEP_2)
	v_and_b32_e32 v94, 0x3030303, v75
	v_bfe_u32 v75, v75, 24, 2
	v_lshrrev_b32_e32 v102, 16, v94
	s_delay_alu instid0(VALU_DEP_2)
	v_sub_nc_u16 v75, v75, v134
	v_lshrrev_b16 v96, 8, v94
	v_sub_nc_u16 v230, v94, v103
	s_wait_dscnt 0x0
	v_ashrrev_i32_e32 v103, s18, v163
	v_sub_nc_u16 v227, v102, v133
	v_lshlrev_b16 v75, 8, v75
	v_bfe_i32 v219, v230, 0, 8
	s_delay_alu instid0(VALU_DEP_4) | instskip(NEXT) | instid1(VALU_DEP_4)
	v_lshlrev_b32_e32 v103, 2, v103
	v_and_b32_e32 v102, 0xff, v227
	s_delay_alu instid0(VALU_DEP_2) | instskip(NEXT) | instid1(VALU_DEP_2)
	v_and_b32_e32 v103, 0x4040404, v103
	v_or_b32_e32 v228, v102, v75
	v_sub_nc_u16 v75, v96, v132
	s_delay_alu instid0(VALU_DEP_3) | instskip(SKIP_1) | instid1(VALU_DEP_3)
	v_lshrrev_b32_e32 v134, 16, v103
	v_lshrrev_b32_e32 v135, 24, v103
	v_lshlrev_b16 v229, 8, v75
	v_add_nc_u32_e32 v75, 0x2110, v162
	ds_load_2addr_b32 v[132:133], v75 offset1:1
	s_wait_dscnt 0x0
	v_ashrrev_i32_e32 v75, s19, v132
	v_lshrrev_b16 v132, 8, v103
	s_delay_alu instid0(VALU_DEP_2) | instskip(SKIP_1) | instid1(VALU_DEP_2)
	v_and_b32_e32 v94, 0x3030303, v75
	v_bfe_u32 v75, v75, 24, 2
	v_lshrrev_b32_e32 v102, 16, v94
	s_delay_alu instid0(VALU_DEP_2)
	v_sub_nc_u16 v75, v75, v135
	v_lshrrev_b16 v96, 8, v94
	v_sub_nc_u16 v234, v94, v103
	v_ashrrev_i32_e32 v103, s18, v164
	v_sub_nc_u16 v163, v102, v134
	v_lshlrev_b16 v75, 8, v75
	s_delay_alu instid0(VALU_DEP_4) | instskip(NEXT) | instid1(VALU_DEP_4)
	v_bfe_i32 v238, v234, 0, 8
	v_lshlrev_b32_e32 v103, 2, v103
	s_delay_alu instid0(VALU_DEP_4) | instskip(NEXT) | instid1(VALU_DEP_2)
	v_and_b32_e32 v102, 0xff, v163
	v_and_b32_e32 v103, 0x4040404, v103
	s_delay_alu instid0(VALU_DEP_2) | instskip(SKIP_1) | instid1(VALU_DEP_3)
	v_or_b32_e32 v165, v102, v75
	v_sub_nc_u16 v75, v96, v132
	v_lshrrev_b32_e32 v134, 24, v103
	v_lshrrev_b16 v132, 8, v103
	s_delay_alu instid0(VALU_DEP_3) | instskip(SKIP_3) | instid1(VALU_DEP_4)
	v_lshlrev_b16 v233, 8, v75
	v_ashrrev_i32_e32 v75, s19, v133
	v_lshrrev_b32_e32 v133, 16, v103
	v_perm_b32 v180, v165, v163, 0xc0c0500
	v_bfe_i32 v239, v233, 8, 8
	s_delay_alu instid0(VALU_DEP_4) | instskip(SKIP_1) | instid1(VALU_DEP_2)
	v_and_b32_e32 v94, 0x3030303, v75
	v_bfe_u32 v75, v75, 24, 2
	v_lshrrev_b32_e32 v102, 16, v94
	s_delay_alu instid0(VALU_DEP_2)
	v_sub_nc_u16 v75, v75, v134
	v_lshrrev_b16 v96, 8, v94
	v_sub_nc_u16 v176, v94, v103
	v_lshrrev_b32_e32 v134, 24, v95
	v_sub_nc_u16 v164, v102, v133
	v_lshlrev_b16 v75, 8, v75
	v_lshrrev_b16 v103, 8, v95
	v_bfe_i32 v181, v176, 0, 8
	s_delay_alu instid0(VALU_DEP_4) | instskip(NEXT) | instid1(VALU_DEP_1)
	v_and_b32_e32 v102, 0xff, v164
	v_or_b32_e32 v166, v102, v75
	v_sub_nc_u16 v75, v96, v132
	s_delay_alu instid0(VALU_DEP_1)
	v_lshlrev_b16 v167, 8, v75
	v_add_nc_u32_e32 v75, 0x2118, v162
	ds_load_2addr_b32 v[132:133], v75 offset1:1
	s_wait_dscnt 0x0
	v_ashrrev_i32_e32 v75, s19, v132
	v_lshrrev_b32_e32 v132, 16, v95
	s_delay_alu instid0(VALU_DEP_2) | instskip(SKIP_1) | instid1(VALU_DEP_2)
	v_and_b32_e32 v94, 0x3030303, v75
	v_bfe_u32 v75, v75, 24, 2
	v_lshrrev_b32_e32 v102, 16, v94
	s_delay_alu instid0(VALU_DEP_2) | instskip(SKIP_2) | instid1(VALU_DEP_4)
	v_sub_nc_u16 v75, v75, v134
	v_lshrrev_b16 v96, 8, v94
	v_sub_nc_u16 v185, v94, v95
	v_sub_nc_u16 v168, v102, v132
	s_delay_alu instid0(VALU_DEP_4) | instskip(NEXT) | instid1(VALU_DEP_3)
	v_lshlrev_b16 v75, 8, v75
	v_bfe_i32 v179, v185, 0, 8
	s_delay_alu instid0(VALU_DEP_3) | instskip(NEXT) | instid1(VALU_DEP_1)
	v_and_b32_e32 v102, 0xff, v168
	v_or_b32_e32 v169, v102, v75
	v_sub_nc_u16 v75, v96, v103
	v_ashrrev_i32_e32 v102, s18, v171
	s_delay_alu instid0(VALU_DEP_2) | instskip(SKIP_1) | instid1(VALU_DEP_3)
	v_lshlrev_b16 v170, 8, v75
	v_ashrrev_i32_e32 v75, s19, v133
	v_lshlrev_b32_e32 v102, 2, v102
	s_delay_alu instid0(VALU_DEP_2) | instskip(NEXT) | instid1(VALU_DEP_2)
	v_and_b32_e32 v94, 0x3030303, v75
	v_and_b32_e32 v102, 0x4040404, v102
	v_bfe_u32 v75, v75, 24, 2
	s_delay_alu instid0(VALU_DEP_3) | instskip(NEXT) | instid1(VALU_DEP_3)
	v_lshrrev_b32_e32 v96, 16, v94
	v_lshrrev_b32_e32 v132, 16, v102
	;; [unrolled: 1-line block ×3, first 2 shown]
	v_lshrrev_b16 v95, 8, v94
	v_lshrrev_b16 v103, 8, v102
	v_sub_nc_u16 v231, v94, v102
	v_sub_nc_u16 v172, v96, v132
	;; [unrolled: 1-line block ×3, first 2 shown]
	v_perm_b32 v94, v0, v0, 0xc0c0302
	s_delay_alu instid0(VALU_DEP_4) | instskip(NEXT) | instid1(VALU_DEP_4)
	v_bfe_i32 v176, v231, 0, 8
	v_and_b32_e32 v96, 0xff, v172
	s_delay_alu instid0(VALU_DEP_4) | instskip(NEXT) | instid1(VALU_DEP_1)
	v_lshlrev_b16 v75, 8, v75
	v_or_b32_e32 v173, v96, v75
	v_sub_nc_u16 v75, v95, v103
	v_perm_b32 v95, v167, v167, 0xc0c0c01
	v_perm_b32 v96, v3, v3, 0xc030201
	v_add3_u32 v103, s22, v156, v129
	s_delay_alu instid0(VALU_DEP_4) | instskip(SKIP_3) | instid1(VALU_DEP_1)
	v_lshlrev_b16 v184, 8, v75
	v_add3_u32 v75, s21, v155, v128
	ds_load_b32 v171, v75
	v_perm_b32 v75, v183, v183, 0xc0c0c01
	v_or_b32_e32 v230, v68, v75
	v_perm_b32 v68, v225, v224, 0xc05000c
	v_perm_b32 v75, v226, v226, 0xc0c0c01
	s_delay_alu instid0(VALU_DEP_3) | instskip(NEXT) | instid1(VALU_DEP_2)
	v_dot4_i32_iu8 v4, v5, v230, v4 neg_lo:[1,1,0]
	v_or_b32_e32 v232, v68, v75
	v_perm_b32 v68, v228, v227, 0xc05000c
	v_perm_b32 v75, v229, v229, 0xc0c0c01
	s_delay_alu instid0(VALU_DEP_4) | instskip(NEXT) | instid1(VALU_DEP_2)
	v_mad_i32_i24 v4, v56, v220, v4
	v_or_b32_e32 v235, v68, v75
	ds_load_u16 v68, v236
	v_dot4_i32_iu8 v4, v6, v232, v4 neg_lo:[1,1,0]
	s_delay_alu instid0(VALU_DEP_1) | instskip(NEXT) | instid1(VALU_DEP_1)
	v_mad_i32_i24 v4, v60, v219, v4
	v_dot4_i32_iu8 v4, v7, v235, v4 neg_lo:[1,1,0]
	s_wait_dscnt 0x0
	v_lshrrev_b16 v75, 8, v68
	v_bfe_i32 v237, v68, 0, 8
	v_mul_i32_i24_e32 v68, v241, v238
	s_delay_alu instid0(VALU_DEP_3) | instskip(NEXT) | instid1(VALU_DEP_3)
	v_bfe_i32 v185, v75, 0, 8
	v_mul_lo_u32 v4, v4, v237
	s_delay_alu instid0(VALU_DEP_3) | instskip(NEXT) | instid1(VALU_DEP_1)
	v_mad_i32_i24 v68, v251, v239, v68
	v_dot4_i32_iu8 v0, v94, v180, v68 neg_lo:[1,1,0]
	v_perm_b32 v68, v1, v1, 0xc030201
	v_perm_b32 v1, v166, v164, 0xc05000c
	s_delay_alu instid0(VALU_DEP_3) | instskip(NEXT) | instid1(VALU_DEP_2)
	v_mad_i32_i24 v0, v248, v181, v0
	v_or_b32_e32 v182, v1, v95
	v_perm_b32 v95, v2, v2, 0xc030201
	v_perm_b32 v1, v169, v168, 0xc05000c
	;; [unrolled: 1-line block ×3, first 2 shown]
	s_delay_alu instid0(VALU_DEP_4) | instskip(NEXT) | instid1(VALU_DEP_2)
	v_dot4_i32_iu8 v0, v68, v182, v0 neg_lo:[1,1,0]
	v_or_b32_e32 v183, v1, v2
	v_perm_b32 v1, v173, v172, 0xc05000c
	s_delay_alu instid0(VALU_DEP_3) | instskip(SKIP_1) | instid1(VALU_DEP_2)
	v_mad_i32_i24 v0, v252, v179, v0
	v_perm_b32 v2, v184, v184, 0xc0c0c01
	v_dot4_i32_iu8 v0, v95, v183, v0 neg_lo:[1,1,0]
	s_delay_alu instid0(VALU_DEP_2) | instskip(SKIP_2) | instid1(VALU_DEP_1)
	v_or_b32_e32 v184, v1, v2
	ds_load_2addr_b32 v[2:3], v103 offset1:1
	v_mad_i32_i24 v0, v240, v176, v0
	v_dot4_i32_iu8 v0, v96, v184, v0 neg_lo:[1,1,0]
	s_delay_alu instid0(VALU_DEP_1) | instskip(SKIP_3) | instid1(VALU_DEP_3)
	v_mad_co_u64_u32 v[0:1], null, v0, v185, v[4:5]
	v_mul_f32_e32 v1, v131, v171
	s_wait_dscnt 0x0
	v_ashrrev_i32_e32 v2, s18, v2
	v_cvt_f32_i32_e32 v0, v0
	v_ashrrev_i32_e32 v3, s18, v3
	s_delay_alu instid0(VALU_DEP_2) | instskip(SKIP_1) | instid1(VALU_DEP_3)
	v_dual_fmac_f32 v91, v1, v0 :: v_dual_lshlrev_b32 v2, 2, v2
	v_add_nc_u32_e32 v0, 0x3180, v162
	v_lshlrev_b32_e32 v3, 2, v3
	s_delay_alu instid0(VALU_DEP_3)
	v_and_b32_e32 v2, 0x4040404, v2
	ds_load_2addr_b32 v[0:1], v0 offset1:1
	v_and_b32_e32 v3, 0x4040404, v3
	v_lshrrev_b32_e32 v133, 16, v2
	v_lshrrev_b32_e32 v134, 24, v2
	v_lshrrev_b16 v132, 8, v2
	s_delay_alu instid0(VALU_DEP_4) | instskip(SKIP_3) | instid1(VALU_DEP_1)
	v_lshrrev_b32_e32 v135, 16, v3
	v_lshrrev_b32_e32 v136, 24, v3
	s_wait_dscnt 0x0
	v_ashrrev_i32_e32 v0, s19, v0
	v_and_b32_e32 v4, 0x3030303, v0
	v_bfe_u32 v0, v0, 24, 2
	s_delay_alu instid0(VALU_DEP_2) | instskip(NEXT) | instid1(VALU_DEP_2)
	v_lshrrev_b32_e32 v102, 16, v4
	v_sub_nc_u16 v0, v0, v134
	v_lshrrev_b16 v75, 8, v4
	v_sub_nc_u16 v4, v4, v2
	v_lshrrev_b16 v134, 8, v3
	v_sub_nc_u16 v102, v102, v133
	v_lshlrev_b16 v0, 8, v0
	s_delay_alu instid0(VALU_DEP_4) | instskip(NEXT) | instid1(VALU_DEP_3)
	v_bfe_i32 v224, v4, 0, 8
	v_and_b32_e32 v133, 0xff, v102
	s_delay_alu instid0(VALU_DEP_1) | instskip(SKIP_1) | instid1(VALU_DEP_2)
	v_or_b32_e32 v133, v133, v0
	v_sub_nc_u16 v0, v75, v132
	v_perm_b32 v227, v133, v102, 0xc0c0500
	s_delay_alu instid0(VALU_DEP_2) | instskip(SKIP_1) | instid1(VALU_DEP_2)
	v_lshlrev_b16 v75, 8, v0
	v_ashrrev_i32_e32 v0, s19, v1
	v_bfe_i32 v225, v75, 8, 8
	s_delay_alu instid0(VALU_DEP_2) | instskip(SKIP_1) | instid1(VALU_DEP_2)
	v_and_b32_e32 v1, 0x3030303, v0
	v_bfe_u32 v0, v0, 24, 2
	v_lshrrev_b32_e32 v132, 16, v1
	s_delay_alu instid0(VALU_DEP_2) | instskip(SKIP_2) | instid1(VALU_DEP_4)
	v_sub_nc_u16 v0, v0, v136
	v_lshrrev_b16 v2, 8, v1
	v_sub_nc_u16 v136, v1, v3
	v_sub_nc_u16 v132, v132, v135
	s_delay_alu instid0(VALU_DEP_4) | instskip(NEXT) | instid1(VALU_DEP_3)
	v_lshlrev_b16 v0, 8, v0
	v_bfe_i32 v229, v136, 0, 8
	s_delay_alu instid0(VALU_DEP_3) | instskip(NEXT) | instid1(VALU_DEP_1)
	v_and_b32_e32 v135, 0xff, v132
	v_or_b32_e32 v135, v135, v0
	v_sub_nc_u16 v0, v2, v134
	ds_load_2addr_b32 v[2:3], v103 offset0:2 offset1:3
	v_perm_b32 v4, v135, v132, 0xc05000c
	v_lshlrev_b16 v134, 8, v0
	v_add_nc_u32_e32 v0, 0x3188, v162
	ds_load_2addr_b32 v[0:1], v0 offset1:1
	s_wait_dscnt 0x1
	v_ashrrev_i32_e32 v2, s18, v2
	v_ashrrev_i32_e32 v3, s18, v3
	s_delay_alu instid0(VALU_DEP_2) | instskip(NEXT) | instid1(VALU_DEP_2)
	v_lshlrev_b32_e32 v2, 2, v2
	v_lshlrev_b32_e32 v3, 2, v3
	s_wait_dscnt 0x0
	v_ashrrev_i32_e32 v0, s19, v0
	s_delay_alu instid0(VALU_DEP_3) | instskip(NEXT) | instid1(VALU_DEP_3)
	v_and_b32_e32 v2, 0x4040404, v2
	v_and_b32_e32 v3, 0x4040404, v3
	s_delay_alu instid0(VALU_DEP_3) | instskip(SKIP_1) | instid1(VALU_DEP_4)
	v_and_b32_e32 v137, 0x3030303, v0
	v_bfe_u32 v0, v0, 24, 2
	v_lshrrev_b32_e32 v141, 16, v2
	v_lshrrev_b32_e32 v142, 24, v2
	v_lshrrev_b16 v140, 8, v2
	v_lshrrev_b32_e32 v139, 16, v137
	v_lshrrev_b16 v138, 8, v137
	v_lshrrev_b32_e32 v143, 16, v3
	v_sub_nc_u16 v0, v0, v142
	v_lshrrev_b32_e32 v163, 24, v3
	v_sub_nc_u16 v139, v139, v141
	v_sub_nc_u16 v137, v137, v2
	v_lshrrev_b16 v142, 8, v3
	v_lshlrev_b16 v0, 8, v0
	s_delay_alu instid0(VALU_DEP_4) | instskip(NEXT) | instid1(VALU_DEP_4)
	v_and_b32_e32 v141, 0xff, v139
	v_bfe_i32 v228, v137, 0, 8
	s_delay_alu instid0(VALU_DEP_2) | instskip(SKIP_1) | instid1(VALU_DEP_1)
	v_or_b32_e32 v141, v141, v0
	v_sub_nc_u16 v0, v138, v140
	v_lshlrev_b16 v138, 8, v0
	v_ashrrev_i32_e32 v0, s19, v1
	s_delay_alu instid0(VALU_DEP_1) | instskip(SKIP_1) | instid1(VALU_DEP_2)
	v_and_b32_e32 v1, 0x3030303, v0
	v_bfe_u32 v0, v0, 24, 2
	v_lshrrev_b32_e32 v140, 16, v1
	s_delay_alu instid0(VALU_DEP_2) | instskip(SKIP_2) | instid1(VALU_DEP_4)
	v_sub_nc_u16 v0, v0, v163
	v_lshrrev_b16 v2, 8, v1
	v_sub_nc_u16 v163, v1, v3
	v_sub_nc_u16 v140, v140, v143
	s_delay_alu instid0(VALU_DEP_4) | instskip(NEXT) | instid1(VALU_DEP_3)
	v_lshlrev_b16 v0, 8, v0
	v_bfe_i32 v226, v163, 0, 8
	s_delay_alu instid0(VALU_DEP_3) | instskip(NEXT) | instid1(VALU_DEP_1)
	v_and_b32_e32 v143, 0xff, v140
	v_or_b32_e32 v143, v143, v0
	v_sub_nc_u16 v0, v2, v142
	ds_load_2addr_b32 v[2:3], v103 offset0:4 offset1:5
	v_lshlrev_b16 v142, 8, v0
	v_add_nc_u32_e32 v0, 0x3190, v162
	ds_load_2addr_b32 v[0:1], v0 offset1:1
	s_wait_dscnt 0x1
	v_ashrrev_i32_e32 v2, s18, v2
	v_ashrrev_i32_e32 v3, s18, v3
	s_delay_alu instid0(VALU_DEP_2) | instskip(NEXT) | instid1(VALU_DEP_2)
	v_lshlrev_b32_e32 v2, 2, v2
	v_lshlrev_b32_e32 v3, 2, v3
	s_wait_dscnt 0x0
	v_ashrrev_i32_e32 v0, s19, v0
	s_delay_alu instid0(VALU_DEP_3) | instskip(NEXT) | instid1(VALU_DEP_3)
	v_and_b32_e32 v2, 0x4040404, v2
	v_and_b32_e32 v3, 0x4040404, v3
	s_delay_alu instid0(VALU_DEP_3) | instskip(SKIP_1) | instid1(VALU_DEP_4)
	v_and_b32_e32 v164, 0x3030303, v0
	v_bfe_u32 v0, v0, 24, 2
	v_lshrrev_b32_e32 v168, 16, v2
	v_lshrrev_b32_e32 v169, 24, v2
	v_lshrrev_b16 v167, 8, v2
	v_lshrrev_b32_e32 v166, 16, v164
	v_lshrrev_b16 v165, 8, v164
	v_lshrrev_b32_e32 v170, 16, v3
	v_sub_nc_u16 v0, v0, v169
	v_lshrrev_b32_e32 v172, 24, v3
	v_sub_nc_u16 v166, v166, v168
	v_sub_nc_u16 v164, v164, v2
	v_lshrrev_b16 v169, 8, v3
	v_lshlrev_b16 v0, 8, v0
	s_delay_alu instid0(VALU_DEP_4) | instskip(NEXT) | instid1(VALU_DEP_1)
	v_and_b32_e32 v168, 0xff, v166
	v_or_b32_e32 v168, v168, v0
	v_sub_nc_u16 v0, v165, v167
	s_delay_alu instid0(VALU_DEP_1) | instskip(SKIP_1) | instid1(VALU_DEP_1)
	v_lshlrev_b16 v165, 8, v0
	v_ashrrev_i32_e32 v0, s19, v1
	v_and_b32_e32 v1, 0x3030303, v0
	v_bfe_u32 v0, v0, 24, 2
	s_delay_alu instid0(VALU_DEP_2) | instskip(NEXT) | instid1(VALU_DEP_2)
	v_lshrrev_b32_e32 v167, 16, v1
	v_sub_nc_u16 v0, v0, v172
	v_lshrrev_b16 v2, 8, v1
	s_delay_alu instid0(VALU_DEP_3) | instskip(NEXT) | instid1(VALU_DEP_3)
	v_sub_nc_u16 v104, v167, v170
	v_lshlrev_b16 v0, 8, v0
	s_delay_alu instid0(VALU_DEP_2) | instskip(NEXT) | instid1(VALU_DEP_1)
	v_and_b32_e32 v167, 0xff, v104
	v_or_b32_e32 v105, v167, v0
	v_sub_nc_u16 v0, v2, v169
	v_sub_nc_u16 v167, v1, v3
	ds_load_2addr_b32 v[2:3], v103 offset0:6 offset1:7
	v_lshlrev_b16 v106, 8, v0
	v_add_nc_u32_e32 v0, 0x3198, v162
	ds_load_2addr_b32 v[0:1], v0 offset1:1
	s_wait_dscnt 0x1
	v_ashrrev_i32_e32 v2, s18, v2
	v_ashrrev_i32_e32 v3, s18, v3
	s_delay_alu instid0(VALU_DEP_2) | instskip(NEXT) | instid1(VALU_DEP_2)
	v_lshlrev_b32_e32 v2, 2, v2
	v_lshlrev_b32_e32 v3, 2, v3
	s_wait_dscnt 0x0
	v_ashrrev_i32_e32 v0, s19, v0
	s_delay_alu instid0(VALU_DEP_3) | instskip(NEXT) | instid1(VALU_DEP_3)
	v_and_b32_e32 v2, 0x4040404, v2
	v_and_b32_e32 v3, 0x4040404, v3
	s_delay_alu instid0(VALU_DEP_3) | instskip(SKIP_1) | instid1(VALU_DEP_4)
	v_and_b32_e32 v162, 0x3030303, v0
	v_bfe_u32 v0, v0, 24, 2
	v_lshrrev_b32_e32 v172, 16, v2
	v_lshrrev_b32_e32 v173, 24, v2
	v_lshrrev_b16 v103, 8, v2
	v_lshrrev_b32_e32 v170, 16, v162
	v_lshrrev_b16 v169, 8, v162
	v_sub_nc_u16 v2, v162, v2
	v_sub_nc_u16 v0, v0, v173
	v_lshrrev_b32_e32 v173, 24, v3
	v_sub_nc_u16 v107, v170, v172
	v_lshrrev_b32_e32 v172, 16, v3
	s_delay_alu instid0(VALU_DEP_4) | instskip(NEXT) | instid1(VALU_DEP_3)
	v_lshlrev_b16 v0, 8, v0
	v_and_b32_e32 v170, 0xff, v107
	s_delay_alu instid0(VALU_DEP_1) | instskip(SKIP_2) | instid1(VALU_DEP_2)
	v_or_b32_e32 v108, v170, v0
	v_sub_nc_u16 v0, v169, v103
	v_lshrrev_b16 v170, 8, v3
	v_lshlrev_b16 v103, 8, v0
	v_ashrrev_i32_e32 v0, s19, v1
	s_delay_alu instid0(VALU_DEP_1) | instskip(SKIP_1) | instid1(VALU_DEP_2)
	v_and_b32_e32 v1, 0x3030303, v0
	v_bfe_u32 v0, v0, 24, 2
	v_lshrrev_b32_e32 v169, 16, v1
	s_delay_alu instid0(VALU_DEP_2)
	v_sub_nc_u16 v0, v0, v173
	v_lshrrev_b16 v162, 8, v1
	v_sub_nc_u16 v1, v1, v3
	v_add3_u32 v3, s21, v157, v130
	v_sub_nc_u16 v39, v169, v172
	v_lshlrev_b16 v0, 8, v0
	v_bfe_i32 v173, v164, 0, 8
	v_bfe_i32 v172, v165, 8, 8
	;; [unrolled: 1-line block ×3, first 2 shown]
	v_and_b32_e32 v169, 0xff, v39
	s_delay_alu instid0(VALU_DEP_1)
	v_or_b32_e32 v109, v169, v0
	v_sub_nc_u16 v0, v162, v170
	ds_load_b32 v162, v3
	v_perm_b32 v170, v168, v166, 0xc0c0500
	v_bfe_i32 v169, v167, 0, 8
	v_bfe_i32 v167, v2, 0, 8
	v_lshlrev_b16 v110, 8, v0
	v_add_nc_u32_e32 v0, s20, v115
	v_perm_b32 v2, v105, v104, 0xc05000c
	ds_load_u16 v0, v0
	v_mul_i32_i24_e32 v3, v8, v224
	s_delay_alu instid0(VALU_DEP_1) | instskip(NEXT) | instid1(VALU_DEP_1)
	v_mad_i32_i24 v3, v49, v225, v3
	v_dot4_i32_iu8 v3, v47, v227, v3 neg_lo:[1,1,0]
	v_perm_b32 v47, v134, v134, 0xc0c0c01
	s_delay_alu instid0(VALU_DEP_2) | instskip(NEXT) | instid1(VALU_DEP_2)
	v_mad_i32_i24 v3, v53, v229, v3
	v_or_b32_e32 v231, v4, v47
	v_perm_b32 v4, v141, v139, 0xc05000c
	v_mul_i32_i24_e32 v53, v51, v53
	s_wait_dscnt 0x0
	v_bfe_i32 v236, v0, 0, 8
	v_dot4_i32_iu8 v3, v5, v231, v3 neg_lo:[1,1,0]
	v_perm_b32 v5, v138, v138, 0xc0c0c01
	s_delay_alu instid0(VALU_DEP_2) | instskip(NEXT) | instid1(VALU_DEP_2)
	v_mad_i32_i24 v3, v56, v228, v3
	v_or_b32_e32 v233, v4, v5
	v_perm_b32 v4, v143, v140, 0xc05000c
	v_perm_b32 v5, v142, v142, 0xc0c0c01
	s_delay_alu instid0(VALU_DEP_3) | instskip(NEXT) | instid1(VALU_DEP_2)
	v_dot4_i32_iu8 v3, v6, v233, v3 neg_lo:[1,1,0]
	v_or_b32_e32 v234, v4, v5
	v_lshrrev_b16 v4, 8, v0
	s_delay_alu instid0(VALU_DEP_3) | instskip(NEXT) | instid1(VALU_DEP_2)
	v_mad_i32_i24 v3, v60, v226, v3
	v_bfe_i32 v163, v4, 0, 8
	s_delay_alu instid0(VALU_DEP_2) | instskip(NEXT) | instid1(VALU_DEP_1)
	v_dot4_i32_iu8 v3, v7, v234, v3 neg_lo:[1,1,0]
	v_mul_lo_u32 v0, v3, v236
	v_mul_i32_i24_e32 v3, v241, v173
	s_delay_alu instid0(VALU_DEP_1) | instskip(NEXT) | instid1(VALU_DEP_1)
	v_mad_i32_i24 v3, v251, v172, v3
	v_dot4_i32_iu8 v3, v94, v170, v3 neg_lo:[1,1,0]
	s_delay_alu instid0(VALU_DEP_1) | instskip(SKIP_1) | instid1(VALU_DEP_1)
	v_mad_i32_i24 v1, v248, v169, v3
	v_perm_b32 v3, v106, v106, 0xc0c0c01
	v_or_b32_e32 v168, v2, v3
	v_perm_b32 v2, v108, v107, 0xc05000c
	v_perm_b32 v3, v103, v103, 0xc0c0c01
	s_delay_alu instid0(VALU_DEP_3) | instskip(NEXT) | instid1(VALU_DEP_2)
	v_dot4_i32_iu8 v1, v68, v168, v1 neg_lo:[1,1,0]
	v_or_b32_e32 v166, v2, v3
	v_perm_b32 v2, v109, v39, 0xc05000c
	v_perm_b32 v3, v110, v110, 0xc0c0c01
	s_delay_alu instid0(VALU_DEP_4) | instskip(NEXT) | instid1(VALU_DEP_2)
	v_mad_i32_i24 v1, v252, v167, v1
	v_or_b32_e32 v164, v2, v3
	s_delay_alu instid0(VALU_DEP_2) | instskip(SKIP_2) | instid1(VALU_DEP_3)
	v_dot4_i32_iu8 v1, v95, v166, v1 neg_lo:[1,1,0]
	v_mul_i32_i24_e32 v2, v38, v9
	v_mul_i32_i24_e32 v3, v72, v23
	v_mad_i32_i24 v1, v240, v165, v1
	s_delay_alu instid0(VALU_DEP_1) | instskip(NEXT) | instid1(VALU_DEP_1)
	v_dot4_i32_iu8 v1, v96, v164, v1 neg_lo:[1,1,0]
	v_mad_co_u64_u32 v[0:1], null, v1, v163, v[0:1]
	v_mul_f32_e32 v1, v131, v162
	s_delay_alu instid0(VALU_DEP_2) | instskip(NEXT) | instid1(VALU_DEP_1)
	v_cvt_f32_i32_e32 v0, v0
	v_fmac_f32_e32 v86, v1, v0
	v_or_b32_e32 v0, s17, v116
	s_delay_alu instid0(VALU_DEP_1) | instskip(SKIP_3) | instid1(VALU_DEP_1)
	v_lshlrev_b32_e32 v1, 2, v0
	v_lshrrev_b32_e32 v0, 1, v0
	ds_load_b32 v131, v0 offset:38816
	v_mul_i32_i24_e32 v0, v48, v8
	v_mad_i32_i24 v0, v255, v49, v0
	s_delay_alu instid0(VALU_DEP_1)
	v_add3_u32 v47, v0, v2, v3
	ds_load_b128 v[4:7], v1 offset:25344
	ds_load_b128 v[0:3], v1 offset:25360
	s_wait_dscnt 0x2
	v_mul_f32_e32 v39, v174, v131
	s_wait_dscnt 0x1
	v_lshrrev_b16 v8, 8, v4
	v_bfe_i32 v132, v4, 0, 8
	v_ashrrev_i32_e32 v95, 24, v4
	v_bfe_i32 v96, v4, 16, 8
	v_lshrrev_b16 v68, 8, v5
	v_bfe_i32 v23, v8, 0, 8
	v_mul_i32_i24_e32 v8, v132, v186
	v_mul_i32_i24_e32 v49, v95, v188
	;; [unrolled: 1-line block ×3, first 2 shown]
	v_bfe_i32 v68, v68, 0, 8
	v_lshrrev_b16 v75, 8, v6
	v_mad_i32_i24 v8, v23, v189, v8
	v_lshrrev_b16 v94, 8, v7
	v_mul_i32_i24_e32 v103, v23, v255
	v_mul_i32_i24_e32 v105, v68, v192
	v_bfe_i32 v75, v75, 0, 8
	v_add3_u32 v102, v8, v9, v49
	v_bfe_i32 v9, v100, 0, 16
	v_bfe_i32 v8, v101, 0, 16
	;; [unrolled: 1-line block ×4, first 2 shown]
	v_ashrrev_i32_e32 v100, 24, v5
	v_mul_i32_i24_e32 v52, v9, v52
	v_mul_i32_i24_e32 v10, v8, v10
	;; [unrolled: 1-line block ×3, first 2 shown]
	v_bfe_i32 v101, v5, 16, 8
	v_mul_i32_i24_e32 v104, v24, v193
	v_add3_u32 v47, v47, v53, v52
	v_mul_i32_i24_e32 v107, v100, v190
	v_bfe_i32 v53, v90, 0, 8
	v_mul_i32_i24_e32 v106, v101, v191
	v_bfe_i32 v52, v97, 0, 8
	v_add3_u32 v47, v47, v11, v10
	v_add3_u32 v10, v102, v104, v105
	v_bfe_i32 v11, v93, 0, 16
	v_mul_i32_i24_e32 v56, v53, v56
	v_bfe_i32 v90, v6, 0, 8
	v_mul_i32_i24_e32 v13, v52, v13
	v_add3_u32 v102, v10, v106, v107
	v_bfe_i32 v10, v99, 0, 16
	v_mul_i32_i24_e32 v54, v11, v54
	v_ashrrev_i32_e32 v93, 24, v6
	v_bfe_i32 v97, v6, 16, 8
	v_mul_i32_i24_e32 v99, v90, v197
	v_mul_i32_i24_e32 v12, v10, v12
	;; [unrolled: 1-line block ×3, first 2 shown]
	v_add3_u32 v47, v47, v56, v54
	v_mul_i32_i24_e32 v106, v97, v195
	v_mul_i32_i24_e32 v107, v93, v194
	v_bfe_i32 v56, v81, 0, 8
	v_bfe_i32 v54, v88, 0, 8
	v_add3_u32 v47, v47, v13, v12
	v_add3_u32 v12, v102, v99, v105
	v_bfe_i32 v13, v87, 0, 16
	v_mul_i32_i24_e32 v60, v56, v60
	v_bfe_i32 v94, v94, 0, 8
	v_bfe_i32 v81, v7, 0, 8
	v_add3_u32 v99, v12, v106, v107
	v_bfe_i32 v12, v89, 0, 16
	v_mul_i32_i24_e32 v57, v13, v57
	v_mul_i32_i24_e32 v15, v54, v15
	v_ashrrev_i32_e32 v88, 24, v7
	v_bfe_i32 v89, v7, 16, 8
	v_mul_i32_i24_e32 v14, v12, v14
	v_mul_i32_i24_e32 v87, v81, v201
	v_mul_i32_i24_e32 v105, v94, v200
	v_add3_u32 v47, v47, v60, v57
	v_mul_i32_i24_e32 v100, v100, v8
	v_mul_i32_i24_e32 v106, v89, v199
	;; [unrolled: 1-line block ×4, first 2 shown]
	v_add3_u32 v47, v47, v15, v14
	v_add3_u32 v14, v99, v87, v105
	v_mul_i32_i24_e32 v68, v68, v9
	v_mul_i32_i24_e32 v101, v101, v49
	v_mul_i32_i24_e32 v75, v75, v11
	v_mul_i32_i24_e32 v93, v93, v10
	v_add3_u32 v14, v14, v106, v107
	v_mul_i32_i24_e32 v60, v88, v12
	v_mad_i32_i24 v88, v95, v72, v100
	v_mul_i32_i24_e32 v102, v90, v53
	v_mul_i32_i24_e32 v97, v97, v52
	v_mul_lo_u32 v87, v14, v222
	v_mul_i32_i24_e32 v14, v81, v56
	v_mul_i32_i24_e32 v15, v94, v13
	;; [unrolled: 1-line block ×3, first 2 shown]
	v_mad_i32_i24 v89, v96, v38, v101
	v_mad_i32_i24 v94, v132, v48, v104
	v_add3_u32 v68, v103, v68, v75
	v_add3_u32 v60, v88, v93, v60
	s_wait_dscnt 0x0
	v_bfe_i32 v93, v0, 0, 8
	v_add3_u32 v57, v89, v97, v57
	v_add3_u32 v14, v94, v102, v14
	v_ashrrev_i32_e32 v88, 24, v0
	v_add3_u32 v15, v68, v15, v60
	v_bfe_i32 v60, v74, 0, 8
	v_bfe_i32 v89, v0, 16, 8
	v_mul_i32_i24_e32 v94, v93, v202
	v_mul_i32_i24_e32 v96, v88, v204
	v_add3_u32 v68, v14, v57, v15
	v_bfe_i32 v14, v79, 0, 16
	v_bfe_i32 v57, v78, 0, 16
	;; [unrolled: 1-line block ×3, first 2 shown]
	v_mul_i32_i24_e32 v74, v60, v241
	v_mul_i32_i24_e32 v95, v89, v203
	v_bfe_i32 v241, v71, 0, 16
	v_mul_i32_i24_e32 v76, v57, v243
	v_mul_i32_i24_e32 v75, v15, v242
	v_mad_i32_i24 v74, v14, v251, v74
	v_bfe_i32 v243, v70, 0, 16
	v_bfe_i32 v251, v22, 0, 8
	;; [unrolled: 1-line block ×4, first 2 shown]
	v_add3_u32 v75, v74, v75, v76
	v_lshrrev_b16 v74, 8, v0
	v_lshrrev_b16 v76, 8, v1
	v_mul_i32_i24_e32 v22, v251, v248
	v_mul_i32_i24_e32 v70, v243, v247
	v_lshrrev_b16 v78, 8, v2
	v_bfe_i32 v74, v74, 0, 8
	v_bfe_i32 v76, v76, 0, 8
	v_mul_i32_i24_e32 v71, v242, v246
	v_ashrrev_i32_e32 v97, 24, v1
	v_bfe_i32 v99, v1, 16, 8
	v_mad_i32_i24 v94, v74, v205, v94
	v_mul_i32_i24_e32 v101, v100, v209
	v_mul_i32_i24_e32 v102, v76, v208
	v_add3_u32 v22, v75, v22, v70
	v_bfe_i32 v247, v66, 0, 16
	v_add3_u32 v94, v94, v95, v96
	v_mul_i32_i24_e32 v96, v241, v245
	v_bfe_i32 v248, v20, 0, 8
	v_mul_i32_i24_e32 v103, v99, v207
	v_mul_i32_i24_e32 v104, v97, v206
	v_add3_u32 v70, v94, v101, v102
	v_add3_u32 v22, v22, v71, v96
	v_mul_i32_i24_e32 v75, v76, v243
	v_mul_i32_i24_e32 v76, v99, v242
	v_bfe_i32 v245, v67, 0, 16
	v_bfe_i32 v246, v21, 0, 8
	v_mul_i32_i24_e32 v20, v248, v252
	v_mul_i32_i24_e32 v21, v247, v250
	v_bfe_i32 v78, v78, 0, 8
	v_bfe_i32 v99, v2, 0, 8
	v_lshrrev_b16 v79, 8, v3
	v_add3_u32 v70, v70, v103, v104
	v_mul_i32_i24_e32 v94, v97, v241
	v_mul_i32_i24_e32 v66, v246, v249
	;; [unrolled: 1-line block ×3, first 2 shown]
	v_ashrrev_i32_e32 v96, 24, v2
	v_bfe_i32 v97, v2, 16, 8
	v_mul_i32_i24_e32 v101, v99, v213
	v_mul_i32_i24_e32 v102, v78, v212
	v_add3_u32 v20, v22, v20, v21
	v_bfe_i32 v252, v64, 0, 16
	v_bfe_i32 v253, v18, 0, 8
	v_mul_i32_i24_e32 v103, v97, v211
	v_mul_i32_i24_e32 v104, v96, v210
	v_add3_u32 v20, v20, v66, v67
	v_add3_u32 v21, v70, v101, v102
	v_mul_i32_i24_e32 v66, v78, v247
	v_bfe_i32 v249, v65, 0, 16
	v_bfe_i32 v250, v19, 0, 8
	v_mul_i32_i24_e32 v18, v253, v240
	v_mul_i32_i24_e32 v19, v252, v61
	v_bfe_i32 v65, v79, 0, 8
	v_bfe_i32 v78, v3, 0, 8
	v_add3_u32 v21, v21, v103, v104
	v_mul_i32_i24_e32 v70, v96, v245
	v_mul_i32_i24_e32 v17, v250, v17
	;; [unrolled: 1-line block ×3, first 2 shown]
	v_ashrrev_i32_e32 v61, 24, v3
	v_bfe_i32 v64, v3, 16, 8
	v_mul_i32_i24_e32 v79, v78, v217
	v_mul_i32_i24_e32 v96, v65, v216
	v_add3_u32 v18, v20, v18, v19
	v_mul_i32_i24_e32 v67, v97, v246
	v_mul_i32_i24_e32 v97, v64, v215
	;; [unrolled: 1-line block ×4, first 2 shown]
	v_add3_u32 v18, v18, v17, v16
	v_add3_u32 v16, v21, v79, v96
	v_mul_i32_i24_e32 v71, v100, v251
	v_mul_i32_i24_e32 v20, v61, v249
	v_mad_i32_i24 v21, v88, v57, v94
	v_mul_i32_i24_e32 v22, v99, v248
	v_add3_u32 v16, v16, v97, v101
	v_mul_i32_i24_e32 v19, v64, v250
	v_mad_i32_i24 v61, v93, v60, v71
	v_add3_u32 v64, v95, v75, v66
	v_add3_u32 v20, v21, v70, v20
	v_mad_co_u64_u32 v[16:17], null, v16, v218, v[87:88]
	v_mul_i32_i24_e32 v17, v65, v252
	v_perm_b32 v5, v5, v5, 0xc030201
	v_perm_b32 v6, v6, v6, 0xc030201
	;; [unrolled: 1-line block ×4, first 2 shown]
	v_add3_u32 v17, v64, v17, v20
	v_cvt_f32_i32_e32 v16, v16
	v_perm_b32 v3, v3, v3, 0xc030201
	s_delay_alu instid0(VALU_DEP_2) | instskip(SKIP_2) | instid1(VALU_DEP_2)
	v_fmac_f32_e32 v85, v39, v16
	v_mul_i32_i24_e32 v16, v78, v253
	v_mad_i32_i24 v39, v89, v15, v76
	v_add3_u32 v16, v61, v22, v16
	s_delay_alu instid0(VALU_DEP_2) | instskip(NEXT) | instid1(VALU_DEP_1)
	v_add3_u32 v19, v39, v67, v19
	v_add3_u32 v19, v16, v19, v17
	ds_load_u16 v16, v254
	s_wait_dscnt 0x0
	v_lshrrev_b16 v17, 8, v16
	v_bfe_i32 v16, v16, 0, 8
	s_delay_alu instid0(VALU_DEP_2) | instskip(NEXT) | instid1(VALU_DEP_2)
	v_bfe_i32 v254, v17, 0, 8
	v_mul_lo_u32 v17, v47, v16
	s_delay_alu instid0(VALU_DEP_1) | instskip(NEXT) | instid1(VALU_DEP_1)
	v_mad_co_u64_u32 v[17:18], null, v18, v254, v[17:18]
                                        ; kill: def $vgpr18 killed $sgpr0 killed $exec
	v_cvt_f32_i32_e32 v17, v17
	s_delay_alu instid0(VALU_DEP_1) | instskip(SKIP_1) | instid1(VALU_DEP_1)
	v_fmac_f32_e32 v98, v63, v17
	v_mul_lo_u32 v17, v68, v16
	v_mad_co_u64_u32 v[17:18], null, v19, v254, v[17:18]
	v_mul_f32_e32 v18, v175, v131
	v_perm_b32 v19, v0, v0, 0xc0c0302
	s_delay_alu instid0(VALU_DEP_3) | instskip(NEXT) | instid1(VALU_DEP_1)
	v_cvt_f32_i32_e32 v17, v17
	v_fmac_f32_e32 v84, v18, v17
	v_mul_i32_i24_e32 v17, v132, v177
	v_perm_b32 v18, v4, v4, 0xc0c0302
	s_delay_alu instid0(VALU_DEP_2) | instskip(NEXT) | instid1(VALU_DEP_1)
	v_mad_i32_i24 v17, v23, v178, v17
	v_dot4_i32_iu8 v4, v18, v221, v17 neg_lo:[1,1,0]
	v_mul_i32_i24_e32 v17, v93, v238
	s_delay_alu instid0(VALU_DEP_2) | instskip(NEXT) | instid1(VALU_DEP_2)
	v_mad_i32_i24 v4, v24, v223, v4
	v_mad_i32_i24 v17, v74, v239, v17
	s_delay_alu instid0(VALU_DEP_2) | instskip(NEXT) | instid1(VALU_DEP_2)
	v_dot4_i32_iu8 v4, v5, v230, v4 neg_lo:[1,1,0]
	v_dot4_i32_iu8 v0, v19, v180, v17 neg_lo:[1,1,0]
	v_perm_b32 v17, v1, v1, 0xc030201
	s_delay_alu instid0(VALU_DEP_3) | instskip(NEXT) | instid1(VALU_DEP_3)
	v_mad_i32_i24 v4, v90, v220, v4
	v_mad_i32_i24 v0, v100, v181, v0
	s_delay_alu instid0(VALU_DEP_2) | instskip(NEXT) | instid1(VALU_DEP_2)
	v_dot4_i32_iu8 v4, v6, v232, v4 neg_lo:[1,1,0]
	v_dot4_i32_iu8 v0, v17, v182, v0 neg_lo:[1,1,0]
	s_delay_alu instid0(VALU_DEP_2) | instskip(NEXT) | instid1(VALU_DEP_2)
	v_mad_i32_i24 v4, v81, v219, v4
	v_mad_i32_i24 v0, v99, v179, v0
	s_delay_alu instid0(VALU_DEP_2) | instskip(NEXT) | instid1(VALU_DEP_2)
	v_dot4_i32_iu8 v4, v7, v235, v4 neg_lo:[1,1,0]
	v_dot4_i32_iu8 v0, v2, v183, v0 neg_lo:[1,1,0]
	s_delay_alu instid0(VALU_DEP_2) | instskip(NEXT) | instid1(VALU_DEP_2)
	v_mul_lo_u32 v4, v4, v237
	v_mad_i32_i24 v0, v78, v176, v0
	s_delay_alu instid0(VALU_DEP_1) | instskip(NEXT) | instid1(VALU_DEP_1)
	v_dot4_i32_iu8 v0, v3, v184, v0 neg_lo:[1,1,0]
	v_mad_co_u64_u32 v[0:1], null, v0, v185, v[4:5]
	v_mul_f32_e32 v1, v171, v131
	s_delay_alu instid0(VALU_DEP_2) | instskip(NEXT) | instid1(VALU_DEP_1)
	v_cvt_f32_i32_e32 v0, v0
	v_fmac_f32_e32 v83, v1, v0
	v_mul_i32_i24_e32 v0, v132, v224
	v_mul_i32_i24_e32 v1, v93, v173
	s_delay_alu instid0(VALU_DEP_2) | instskip(NEXT) | instid1(VALU_DEP_2)
	v_mad_i32_i24 v0, v23, v225, v0
	v_mad_i32_i24 v1, v74, v172, v1
	s_delay_alu instid0(VALU_DEP_2) | instskip(NEXT) | instid1(VALU_DEP_2)
	v_dot4_i32_iu8 v0, v18, v227, v0 neg_lo:[1,1,0]
	v_dot4_i32_iu8 v1, v19, v170, v1 neg_lo:[1,1,0]
	s_delay_alu instid0(VALU_DEP_2) | instskip(NEXT) | instid1(VALU_DEP_2)
	v_mad_i32_i24 v0, v24, v229, v0
	v_mad_i32_i24 v1, v100, v169, v1
	s_delay_alu instid0(VALU_DEP_2) | instskip(NEXT) | instid1(VALU_DEP_2)
	v_dot4_i32_iu8 v0, v5, v231, v0 neg_lo:[1,1,0]
	v_dot4_i32_iu8 v1, v17, v168, v1 neg_lo:[1,1,0]
	s_delay_alu instid0(VALU_DEP_2) | instskip(NEXT) | instid1(VALU_DEP_2)
	v_mad_i32_i24 v0, v90, v228, v0
	v_mad_i32_i24 v1, v99, v167, v1
	s_delay_alu instid0(VALU_DEP_2) | instskip(NEXT) | instid1(VALU_DEP_2)
	v_dot4_i32_iu8 v0, v6, v233, v0 neg_lo:[1,1,0]
	v_dot4_i32_iu8 v1, v2, v166, v1 neg_lo:[1,1,0]
	s_delay_alu instid0(VALU_DEP_2) | instskip(NEXT) | instid1(VALU_DEP_2)
	v_mad_i32_i24 v0, v81, v226, v0
	v_mad_i32_i24 v1, v78, v165, v1
	s_delay_alu instid0(VALU_DEP_2) | instskip(NEXT) | instid1(VALU_DEP_2)
	v_dot4_i32_iu8 v0, v7, v234, v0 neg_lo:[1,1,0]
	v_dot4_i32_iu8 v1, v3, v164, v1 neg_lo:[1,1,0]
	s_delay_alu instid0(VALU_DEP_2) | instskip(NEXT) | instid1(VALU_DEP_1)
	v_mul_lo_u32 v0, v0, v236
	v_mad_co_u64_u32 v[0:1], null, v1, v163, v[0:1]
	v_mul_f32_e32 v1, v162, v131
	s_delay_alu instid0(VALU_DEP_2) | instskip(NEXT) | instid1(VALU_DEP_1)
	v_cvt_f32_i32_e32 v0, v0
	v_fmac_f32_e32 v82, v1, v0
	v_or_b32_e32 v0, s17, v117
	s_delay_alu instid0(VALU_DEP_1)
	v_lshlrev_b32_e32 v4, 2, v0
	v_lshrrev_b32_e32 v0, 1, v0
	ds_load_b32 v19, v0 offset:38816
	ds_load_b128 v[0:3], v4 offset:25344
	ds_load_b128 v[4:7], v4 offset:25360
	s_wait_dscnt 0x1
	v_bfe_i32 v20, v0, 0, 8
	v_bfe_i32 v21, v0, 8, 8
	;; [unrolled: 1-line block ×3, first 2 shown]
	v_ashrrev_i32_e32 v23, 24, v0
	v_bfe_i32 v24, v1, 0, 8
	v_mul_i32_i24_e32 v17, v186, v20
	v_bfe_i32 v39, v1, 8, 8
	v_mul_i32_i24_e32 v18, v187, v22
	v_mul_i32_i24_e32 v100, v188, v23
	v_bfe_i32 v47, v1, 16, 8
	v_mad_i32_i24 v17, v189, v21, v17
	v_ashrrev_i32_e32 v61, 24, v1
	s_wait_dscnt 0x0
	v_bfe_i32 v74, v4, 0, 8
	v_bfe_i32 v75, v4, 8, 8
	;; [unrolled: 1-line block ×3, first 2 shown]
	v_add3_u32 v17, v17, v18, v100
	v_mul_i32_i24_e32 v18, v193, v24
	v_mul_i32_i24_e32 v100, v192, v39
	v_ashrrev_i32_e32 v78, 24, v4
	v_mul_i32_i24_e32 v101, v191, v47
	v_mul_i32_i24_e32 v102, v190, v61
	v_bfe_i32 v63, v2, 0, 8
	v_add3_u32 v17, v17, v18, v100
	v_mul_i32_i24_e32 v18, v202, v74
	v_bfe_i32 v64, v2, 8, 8
	v_bfe_i32 v79, v5, 0, 8
	;; [unrolled: 1-line block ×3, first 2 shown]
	v_add3_u32 v17, v17, v101, v102
	v_mul_i32_i24_e32 v100, v203, v76
	v_mul_i32_i24_e32 v101, v204, v78
	v_mad_i32_i24 v18, v205, v75, v18
	v_bfe_i32 v65, v2, 16, 8
	v_ashrrev_i32_e32 v66, 24, v2
	v_bfe_i32 v87, v5, 16, 8
	v_ashrrev_i32_e32 v88, 24, v5
	v_mul_i32_i24_e32 v103, v197, v63
	v_mul_i32_i24_e32 v104, v196, v64
	v_add3_u32 v18, v18, v100, v101
	v_mul_i32_i24_e32 v100, v209, v79
	v_mul_i32_i24_e32 v101, v208, v81
	v_bfe_i32 v67, v3, 0, 8
	v_bfe_i32 v68, v3, 8, 8
	;; [unrolled: 1-line block ×4, first 2 shown]
	v_mul_i32_i24_e32 v105, v195, v65
	v_mul_i32_i24_e32 v106, v194, v66
	v_add3_u32 v17, v17, v103, v104
	v_mul_i32_i24_e32 v102, v207, v87
	v_mul_i32_i24_e32 v103, v206, v88
	v_add3_u32 v18, v18, v100, v101
	v_bfe_i32 v70, v3, 16, 8
	v_ashrrev_i32_e32 v71, 24, v3
	v_bfe_i32 v93, v6, 16, 8
	v_ashrrev_i32_e32 v94, 24, v6
	v_mul_i32_i24_e32 v107, v201, v67
	v_mul_i32_i24_e32 v108, v200, v68
	v_add3_u32 v17, v17, v105, v106
	v_mul_i32_i24_e32 v104, v213, v89
	v_mul_i32_i24_e32 v105, v212, v90
	v_add3_u32 v18, v18, v102, v103
	v_bfe_i32 v95, v7, 0, 8
	v_bfe_i32 v96, v7, 8, 8
	v_mul_i32_i24_e32 v109, v199, v70
	v_mul_i32_i24_e32 v110, v198, v71
	v_add3_u32 v17, v17, v107, v108
	v_mul_i32_i24_e32 v106, v211, v93
	v_mul_i32_i24_e32 v107, v210, v94
	v_add3_u32 v18, v18, v104, v105
	v_bfe_i32 v97, v7, 16, 8
	v_ashrrev_i32_e32 v99, 24, v7
	v_add3_u32 v17, v17, v109, v110
	v_mul_i32_i24_e32 v108, v217, v95
	v_mul_i32_i24_e32 v109, v216, v96
	v_add3_u32 v18, v18, v106, v107
	v_mul_i32_i24_e32 v110, v215, v97
	v_mul_i32_i24_e32 v131, v214, v99
	v_mul_lo_u32 v17, v17, v222
	v_mul_i32_i24_e32 v68, v13, v68
	v_add3_u32 v18, v18, v108, v109
	v_mul_i32_i24_e32 v70, v54, v70
	v_mul_i32_i24_e32 v71, v12, v71
	v_perm_b32 v4, v4, v4, 0xc0c0302
	v_perm_b32 v5, v5, v5, 0xc030201
	v_add3_u32 v18, v18, v110, v131
	v_perm_b32 v2, v2, v2, 0xc030201
	v_perm_b32 v6, v6, v6, 0xc030201
	;; [unrolled: 1-line block ×4, first 2 shown]
	v_mad_co_u64_u32 v[17:18], null, v18, v218, v[17:18]
	v_mul_f32_e32 v18, v174, v19
	s_delay_alu instid0(VALU_DEP_2) | instskip(NEXT) | instid1(VALU_DEP_1)
	v_cvt_f32_i32_e32 v17, v17
	v_fmac_f32_e32 v80, v18, v17
	v_mul_i32_i24_e32 v17, v48, v20
	v_mul_i32_i24_e32 v18, v38, v22
	;; [unrolled: 1-line block ×5, first 2 shown]
	v_mad_i32_i24 v17, v255, v21, v17
	s_delay_alu instid0(VALU_DEP_1)
	v_add3_u32 v17, v17, v18, v22
	v_mul_i32_i24_e32 v18, v51, v24
	v_mul_i32_i24_e32 v22, v9, v39
	;; [unrolled: 1-line block ×6, first 2 shown]
	v_add3_u32 v17, v17, v18, v22
	v_mul_i32_i24_e32 v18, v60, v74
	v_mul_i32_i24_e32 v22, v15, v76
	;; [unrolled: 1-line block ×4, first 2 shown]
	v_add3_u32 v17, v17, v23, v39
	v_mul_i32_i24_e32 v23, v57, v78
	v_mad_i32_i24 v18, v14, v75, v18
	v_mul_i32_i24_e32 v39, v242, v87
	s_delay_alu instid0(VALU_DEP_4) | instskip(SKIP_1) | instid1(VALU_DEP_4)
	v_add3_u32 v17, v17, v47, v61
	v_mul_i32_i24_e32 v47, v241, v88
	v_add3_u32 v18, v18, v22, v23
	v_mul_i32_i24_e32 v22, v251, v79
	v_mul_i32_i24_e32 v23, v243, v81
	v_add3_u32 v17, v17, v64, v65
	v_mul_i32_i24_e32 v61, v248, v89
	v_mul_i32_i24_e32 v64, v247, v90
	;; [unrolled: 1-line block ×3, first 2 shown]
	v_add3_u32 v18, v18, v22, v23
	v_add3_u32 v17, v17, v66, v68
	v_mul_i32_i24_e32 v66, v245, v94
	v_mul_i32_i24_e32 v68, v253, v95
	s_delay_alu instid0(VALU_DEP_4) | instskip(NEXT) | instid1(VALU_DEP_4)
	v_add3_u32 v18, v18, v39, v47
	v_add3_u32 v17, v17, v70, v71
	v_mul_i32_i24_e32 v70, v252, v96
	v_mul_i32_i24_e32 v71, v250, v97
	s_delay_alu instid0(VALU_DEP_4) | instskip(NEXT) | instid1(VALU_DEP_4)
	v_add3_u32 v18, v18, v61, v64
	v_mul_lo_u32 v17, v17, v16
	s_delay_alu instid0(VALU_DEP_2) | instskip(NEXT) | instid1(VALU_DEP_1)
	v_add3_u32 v18, v18, v65, v66
	v_add3_u32 v18, v18, v68, v70
	s_delay_alu instid0(VALU_DEP_1) | instskip(NEXT) | instid1(VALU_DEP_1)
	v_add3_u32 v18, v18, v71, v76
	v_mad_co_u64_u32 v[17:18], null, v18, v254, v[17:18]
	v_mul_f32_e32 v18, v175, v19
	s_delay_alu instid0(VALU_DEP_2) | instskip(NEXT) | instid1(VALU_DEP_1)
	v_cvt_f32_i32_e32 v17, v17
	v_fmac_f32_e32 v77, v18, v17
	v_mul_i32_i24_e32 v17, v20, v177
	v_perm_b32 v18, v0, v0, 0xc0c0302
	s_delay_alu instid0(VALU_DEP_2) | instskip(NEXT) | instid1(VALU_DEP_1)
	v_mad_i32_i24 v17, v21, v178, v17
	v_dot4_i32_iu8 v0, v18, v221, v17 neg_lo:[1,1,0]
	v_perm_b32 v17, v1, v1, 0xc030201
	v_mul_i32_i24_e32 v1, v74, v238
	s_delay_alu instid0(VALU_DEP_3) | instskip(NEXT) | instid1(VALU_DEP_2)
	v_mad_i32_i24 v0, v24, v223, v0
	v_mad_i32_i24 v1, v75, v239, v1
	s_delay_alu instid0(VALU_DEP_2) | instskip(NEXT) | instid1(VALU_DEP_2)
	v_dot4_i32_iu8 v0, v17, v230, v0 neg_lo:[1,1,0]
	v_dot4_i32_iu8 v1, v4, v180, v1 neg_lo:[1,1,0]
	s_delay_alu instid0(VALU_DEP_2) | instskip(NEXT) | instid1(VALU_DEP_2)
	v_mad_i32_i24 v0, v63, v220, v0
	v_mad_i32_i24 v1, v79, v181, v1
	s_delay_alu instid0(VALU_DEP_2) | instskip(NEXT) | instid1(VALU_DEP_2)
	v_dot4_i32_iu8 v0, v2, v232, v0 neg_lo:[1,1,0]
	v_dot4_i32_iu8 v1, v5, v182, v1 neg_lo:[1,1,0]
	s_delay_alu instid0(VALU_DEP_2) | instskip(NEXT) | instid1(VALU_DEP_2)
	;; [unrolled: 6-line block ×3, first 2 shown]
	v_mul_lo_u32 v0, v0, v237
	v_mad_i32_i24 v1, v95, v176, v1
	s_delay_alu instid0(VALU_DEP_1) | instskip(NEXT) | instid1(VALU_DEP_1)
	v_dot4_i32_iu8 v1, v7, v184, v1 neg_lo:[1,1,0]
	v_mad_co_u64_u32 v[0:1], null, v1, v185, v[0:1]
	v_mul_f32_e32 v1, v171, v19
	s_delay_alu instid0(VALU_DEP_2) | instskip(NEXT) | instid1(VALU_DEP_1)
	v_cvt_f32_i32_e32 v0, v0
	v_fmac_f32_e32 v73, v1, v0
	v_mul_i32_i24_e32 v0, v20, v224
	v_mul_i32_i24_e32 v1, v74, v173
	s_delay_alu instid0(VALU_DEP_2) | instskip(NEXT) | instid1(VALU_DEP_2)
	v_mad_i32_i24 v0, v21, v225, v0
	v_mad_i32_i24 v1, v75, v172, v1
	s_delay_alu instid0(VALU_DEP_2) | instskip(NEXT) | instid1(VALU_DEP_2)
	v_dot4_i32_iu8 v0, v18, v227, v0 neg_lo:[1,1,0]
	v_dot4_i32_iu8 v1, v4, v170, v1 neg_lo:[1,1,0]
	s_delay_alu instid0(VALU_DEP_2) | instskip(NEXT) | instid1(VALU_DEP_2)
	v_mad_i32_i24 v0, v24, v229, v0
	v_mad_i32_i24 v1, v79, v169, v1
	s_delay_alu instid0(VALU_DEP_2) | instskip(NEXT) | instid1(VALU_DEP_2)
	v_dot4_i32_iu8 v0, v17, v231, v0 neg_lo:[1,1,0]
	v_dot4_i32_iu8 v1, v5, v168, v1 neg_lo:[1,1,0]
	s_delay_alu instid0(VALU_DEP_2) | instskip(NEXT) | instid1(VALU_DEP_2)
	v_mad_i32_i24 v0, v63, v228, v0
	v_mad_i32_i24 v1, v89, v167, v1
	s_delay_alu instid0(VALU_DEP_2) | instskip(NEXT) | instid1(VALU_DEP_2)
	v_dot4_i32_iu8 v0, v2, v233, v0 neg_lo:[1,1,0]
	v_dot4_i32_iu8 v1, v6, v166, v1 neg_lo:[1,1,0]
	s_delay_alu instid0(VALU_DEP_2) | instskip(NEXT) | instid1(VALU_DEP_2)
	v_mad_i32_i24 v0, v67, v226, v0
	v_mad_i32_i24 v1, v95, v165, v1
	s_delay_alu instid0(VALU_DEP_2) | instskip(NEXT) | instid1(VALU_DEP_2)
	v_dot4_i32_iu8 v0, v3, v234, v0 neg_lo:[1,1,0]
	v_dot4_i32_iu8 v1, v7, v164, v1 neg_lo:[1,1,0]
	s_delay_alu instid0(VALU_DEP_2) | instskip(NEXT) | instid1(VALU_DEP_1)
	v_mul_lo_u32 v0, v0, v236
	v_mad_co_u64_u32 v[0:1], null, v1, v163, v[0:1]
	v_mul_f32_e32 v1, v162, v19
	s_delay_alu instid0(VALU_DEP_2) | instskip(NEXT) | instid1(VALU_DEP_1)
	v_cvt_f32_i32_e32 v0, v0
	v_fmac_f32_e32 v69, v1, v0
	v_or_b32_e32 v0, s17, v118
	s_delay_alu instid0(VALU_DEP_1)
	v_lshlrev_b32_e32 v4, 2, v0
	v_lshrrev_b32_e32 v0, 1, v0
	ds_load_b32 v19, v0 offset:38816
	ds_load_b128 v[0:3], v4 offset:25344
	ds_load_b128 v[4:7], v4 offset:25360
	s_wait_dscnt 0x1
	v_bfe_i32 v20, v0, 0, 8
	v_bfe_i32 v21, v0, 8, 8
	;; [unrolled: 1-line block ×3, first 2 shown]
	v_ashrrev_i32_e32 v23, 24, v0
	v_bfe_i32 v24, v1, 0, 8
	v_mul_i32_i24_e32 v17, v186, v20
	v_bfe_i32 v39, v1, 8, 8
	v_mul_i32_i24_e32 v18, v187, v22
	v_mul_i32_i24_e32 v100, v188, v23
	v_bfe_i32 v47, v1, 16, 8
	v_mad_i32_i24 v17, v189, v21, v17
	v_ashrrev_i32_e32 v61, 24, v1
	s_wait_dscnt 0x0
	v_bfe_i32 v74, v4, 0, 8
	v_bfe_i32 v75, v4, 8, 8
	;; [unrolled: 1-line block ×3, first 2 shown]
	v_add3_u32 v17, v17, v18, v100
	v_mul_i32_i24_e32 v18, v193, v24
	v_mul_i32_i24_e32 v100, v192, v39
	v_ashrrev_i32_e32 v78, 24, v4
	v_mul_i32_i24_e32 v101, v191, v47
	v_mul_i32_i24_e32 v102, v190, v61
	v_bfe_i32 v63, v2, 0, 8
	v_add3_u32 v17, v17, v18, v100
	v_mul_i32_i24_e32 v18, v202, v74
	v_bfe_i32 v64, v2, 8, 8
	v_bfe_i32 v79, v5, 0, 8
	;; [unrolled: 1-line block ×3, first 2 shown]
	v_add3_u32 v17, v17, v101, v102
	v_mul_i32_i24_e32 v100, v203, v76
	v_mul_i32_i24_e32 v101, v204, v78
	v_mad_i32_i24 v18, v205, v75, v18
	v_bfe_i32 v65, v2, 16, 8
	v_ashrrev_i32_e32 v66, 24, v2
	v_bfe_i32 v87, v5, 16, 8
	v_ashrrev_i32_e32 v88, 24, v5
	v_mul_i32_i24_e32 v103, v197, v63
	v_mul_i32_i24_e32 v104, v196, v64
	v_add3_u32 v18, v18, v100, v101
	v_mul_i32_i24_e32 v100, v209, v79
	v_mul_i32_i24_e32 v101, v208, v81
	v_bfe_i32 v67, v3, 0, 8
	v_bfe_i32 v68, v3, 8, 8
	;; [unrolled: 1-line block ×4, first 2 shown]
	v_mul_i32_i24_e32 v105, v195, v65
	v_mul_i32_i24_e32 v106, v194, v66
	v_add3_u32 v17, v17, v103, v104
	v_mul_i32_i24_e32 v102, v207, v87
	v_mul_i32_i24_e32 v103, v206, v88
	v_add3_u32 v18, v18, v100, v101
	v_bfe_i32 v70, v3, 16, 8
	v_ashrrev_i32_e32 v71, 24, v3
	v_bfe_i32 v93, v6, 16, 8
	v_ashrrev_i32_e32 v94, 24, v6
	v_mul_i32_i24_e32 v107, v201, v67
	v_mul_i32_i24_e32 v108, v200, v68
	v_add3_u32 v17, v17, v105, v106
	v_mul_i32_i24_e32 v104, v213, v89
	v_mul_i32_i24_e32 v105, v212, v90
	v_add3_u32 v18, v18, v102, v103
	v_bfe_i32 v95, v7, 0, 8
	v_bfe_i32 v96, v7, 8, 8
	v_mul_i32_i24_e32 v109, v199, v70
	v_mul_i32_i24_e32 v110, v198, v71
	v_add3_u32 v17, v17, v107, v108
	v_mul_i32_i24_e32 v106, v211, v93
	v_mul_i32_i24_e32 v107, v210, v94
	v_add3_u32 v18, v18, v104, v105
	v_bfe_i32 v97, v7, 16, 8
	v_ashrrev_i32_e32 v99, 24, v7
	v_add3_u32 v17, v17, v109, v110
	v_mul_i32_i24_e32 v108, v217, v95
	v_mul_i32_i24_e32 v109, v216, v96
	v_add3_u32 v18, v18, v106, v107
	v_mul_i32_i24_e32 v110, v215, v97
	v_mul_i32_i24_e32 v131, v214, v99
	v_mul_lo_u32 v17, v17, v222
	v_mul_i32_i24_e32 v68, v13, v68
	v_add3_u32 v18, v18, v108, v109
	v_mul_i32_i24_e32 v70, v54, v70
	v_mul_i32_i24_e32 v71, v12, v71
	v_perm_b32 v4, v4, v4, 0xc0c0302
	v_perm_b32 v5, v5, v5, 0xc030201
	v_add3_u32 v18, v18, v110, v131
	v_perm_b32 v2, v2, v2, 0xc030201
	v_perm_b32 v6, v6, v6, 0xc030201
	;; [unrolled: 1-line block ×4, first 2 shown]
	v_mad_co_u64_u32 v[17:18], null, v18, v218, v[17:18]
	v_mul_f32_e32 v18, v174, v19
	s_delay_alu instid0(VALU_DEP_2) | instskip(NEXT) | instid1(VALU_DEP_1)
	v_cvt_f32_i32_e32 v17, v17
	v_fmac_f32_e32 v62, v18, v17
	v_mul_i32_i24_e32 v17, v48, v20
	v_mul_i32_i24_e32 v18, v38, v22
	;; [unrolled: 1-line block ×5, first 2 shown]
	v_mad_i32_i24 v17, v255, v21, v17
	s_delay_alu instid0(VALU_DEP_1)
	v_add3_u32 v17, v17, v18, v22
	v_mul_i32_i24_e32 v18, v51, v24
	v_mul_i32_i24_e32 v22, v9, v39
	;; [unrolled: 1-line block ×6, first 2 shown]
	v_add3_u32 v17, v17, v18, v22
	v_mul_i32_i24_e32 v18, v60, v74
	v_mul_i32_i24_e32 v22, v15, v76
	v_mul_i32_i24_e32 v66, v56, v67
	v_mul_i32_i24_e32 v76, v249, v99
	v_add3_u32 v17, v17, v23, v39
	v_mul_i32_i24_e32 v23, v57, v78
	v_mad_i32_i24 v18, v14, v75, v18
	v_mul_i32_i24_e32 v39, v242, v87
	s_delay_alu instid0(VALU_DEP_4) | instskip(SKIP_1) | instid1(VALU_DEP_4)
	v_add3_u32 v17, v17, v47, v61
	v_mul_i32_i24_e32 v47, v241, v88
	v_add3_u32 v18, v18, v22, v23
	v_mul_i32_i24_e32 v22, v251, v79
	v_mul_i32_i24_e32 v23, v243, v81
	v_add3_u32 v17, v17, v64, v65
	v_mul_i32_i24_e32 v61, v248, v89
	v_mul_i32_i24_e32 v64, v247, v90
	;; [unrolled: 1-line block ×3, first 2 shown]
	v_add3_u32 v18, v18, v22, v23
	v_add3_u32 v17, v17, v66, v68
	v_mul_i32_i24_e32 v66, v245, v94
	v_mul_i32_i24_e32 v68, v253, v95
	s_delay_alu instid0(VALU_DEP_4) | instskip(NEXT) | instid1(VALU_DEP_4)
	v_add3_u32 v18, v18, v39, v47
	v_add3_u32 v17, v17, v70, v71
	v_mul_i32_i24_e32 v70, v252, v96
	v_mul_i32_i24_e32 v71, v250, v97
	s_delay_alu instid0(VALU_DEP_4) | instskip(NEXT) | instid1(VALU_DEP_4)
	v_add3_u32 v18, v18, v61, v64
	v_mul_lo_u32 v17, v17, v16
	s_delay_alu instid0(VALU_DEP_2) | instskip(NEXT) | instid1(VALU_DEP_1)
	v_add3_u32 v18, v18, v65, v66
	v_add3_u32 v18, v18, v68, v70
	s_delay_alu instid0(VALU_DEP_1) | instskip(NEXT) | instid1(VALU_DEP_1)
	v_add3_u32 v18, v18, v71, v76
	v_mad_co_u64_u32 v[17:18], null, v18, v254, v[17:18]
	v_mul_f32_e32 v18, v175, v19
	s_delay_alu instid0(VALU_DEP_2) | instskip(NEXT) | instid1(VALU_DEP_1)
	v_cvt_f32_i32_e32 v17, v17
	v_fmac_f32_e32 v58, v18, v17
	v_mul_i32_i24_e32 v17, v20, v177
	v_perm_b32 v18, v0, v0, 0xc0c0302
	s_delay_alu instid0(VALU_DEP_2) | instskip(NEXT) | instid1(VALU_DEP_1)
	v_mad_i32_i24 v17, v21, v178, v17
	v_dot4_i32_iu8 v0, v18, v221, v17 neg_lo:[1,1,0]
	v_perm_b32 v17, v1, v1, 0xc030201
	v_mul_i32_i24_e32 v1, v74, v238
	s_delay_alu instid0(VALU_DEP_3) | instskip(NEXT) | instid1(VALU_DEP_2)
	v_mad_i32_i24 v0, v24, v223, v0
	v_mad_i32_i24 v1, v75, v239, v1
	s_delay_alu instid0(VALU_DEP_2) | instskip(NEXT) | instid1(VALU_DEP_2)
	v_dot4_i32_iu8 v0, v17, v230, v0 neg_lo:[1,1,0]
	v_dot4_i32_iu8 v1, v4, v180, v1 neg_lo:[1,1,0]
	s_delay_alu instid0(VALU_DEP_2) | instskip(NEXT) | instid1(VALU_DEP_2)
	v_mad_i32_i24 v0, v63, v220, v0
	v_mad_i32_i24 v1, v79, v181, v1
	s_delay_alu instid0(VALU_DEP_2) | instskip(NEXT) | instid1(VALU_DEP_2)
	v_dot4_i32_iu8 v0, v2, v232, v0 neg_lo:[1,1,0]
	v_dot4_i32_iu8 v1, v5, v182, v1 neg_lo:[1,1,0]
	s_delay_alu instid0(VALU_DEP_2) | instskip(NEXT) | instid1(VALU_DEP_2)
	;; [unrolled: 6-line block ×3, first 2 shown]
	v_mul_lo_u32 v0, v0, v237
	v_mad_i32_i24 v1, v95, v176, v1
	s_delay_alu instid0(VALU_DEP_1) | instskip(NEXT) | instid1(VALU_DEP_1)
	v_dot4_i32_iu8 v1, v7, v184, v1 neg_lo:[1,1,0]
	v_mad_co_u64_u32 v[0:1], null, v1, v185, v[0:1]
	v_mul_f32_e32 v1, v171, v19
	s_delay_alu instid0(VALU_DEP_2) | instskip(NEXT) | instid1(VALU_DEP_1)
	v_cvt_f32_i32_e32 v0, v0
	v_fmac_f32_e32 v55, v1, v0
	v_mul_i32_i24_e32 v0, v20, v224
	v_mul_i32_i24_e32 v1, v74, v173
	s_delay_alu instid0(VALU_DEP_2) | instskip(NEXT) | instid1(VALU_DEP_2)
	v_mad_i32_i24 v0, v21, v225, v0
	v_mad_i32_i24 v1, v75, v172, v1
	s_delay_alu instid0(VALU_DEP_2) | instskip(NEXT) | instid1(VALU_DEP_2)
	v_dot4_i32_iu8 v0, v18, v227, v0 neg_lo:[1,1,0]
	v_dot4_i32_iu8 v1, v4, v170, v1 neg_lo:[1,1,0]
	s_delay_alu instid0(VALU_DEP_2) | instskip(NEXT) | instid1(VALU_DEP_2)
	v_mad_i32_i24 v0, v24, v229, v0
	v_mad_i32_i24 v1, v79, v169, v1
	s_delay_alu instid0(VALU_DEP_2) | instskip(NEXT) | instid1(VALU_DEP_2)
	v_dot4_i32_iu8 v0, v17, v231, v0 neg_lo:[1,1,0]
	v_dot4_i32_iu8 v1, v5, v168, v1 neg_lo:[1,1,0]
	;; [unrolled: 6-line block ×4, first 2 shown]
	s_delay_alu instid0(VALU_DEP_2) | instskip(NEXT) | instid1(VALU_DEP_1)
	v_mul_lo_u32 v0, v0, v236
	v_mad_co_u64_u32 v[0:1], null, v1, v163, v[0:1]
	v_mul_f32_e32 v1, v162, v19
	s_delay_alu instid0(VALU_DEP_2) | instskip(NEXT) | instid1(VALU_DEP_1)
	v_cvt_f32_i32_e32 v0, v0
	v_fmac_f32_e32 v50, v1, v0
	v_or_b32_e32 v0, s17, v119
	s_delay_alu instid0(VALU_DEP_1)
	v_lshlrev_b32_e32 v1, 2, v0
	v_lshrrev_b32_e32 v0, 1, v0
	ds_load_b32 v17, v0 offset:38816
	ds_load_b128 v[4:7], v1 offset:25344
	ds_load_b128 v[0:3], v1 offset:25360
	s_wait_dscnt 0x1
	v_bfe_i32 v18, v4, 0, 8
	v_bfe_i32 v19, v4, 8, 8
	;; [unrolled: 1-line block ×3, first 2 shown]
	v_ashrrev_i32_e32 v47, 24, v4
	v_bfe_i32 v20, v5, 0, 8
	v_mul_i32_i24_e32 v65, v186, v18
	v_bfe_i32 v67, v5, 8, 8
	v_mul_i32_i24_e32 v66, v187, v39
	v_mul_i32_i24_e32 v100, v188, v47
	v_bfe_i32 v68, v5, 16, 8
	v_mad_i32_i24 v65, v189, v19, v65
	v_ashrrev_i32_e32 v70, 24, v5
	s_wait_dscnt 0x0
	v_bfe_i32 v23, v0, 0, 8
	v_bfe_i32 v24, v0, 8, 8
	v_bfe_i32 v81, v0, 16, 8
	v_add3_u32 v65, v65, v66, v100
	v_mul_i32_i24_e32 v66, v193, v20
	v_mul_i32_i24_e32 v100, v192, v67
	v_ashrrev_i32_e32 v87, 24, v0
	v_mul_i32_i24_e32 v101, v191, v68
	v_mul_i32_i24_e32 v102, v190, v70
	v_bfe_i32 v21, v6, 0, 8
	v_add3_u32 v65, v65, v66, v100
	v_mul_i32_i24_e32 v66, v202, v23
	v_bfe_i32 v71, v6, 8, 8
	v_bfe_i32 v61, v1, 0, 8
	v_bfe_i32 v88, v1, 8, 8
	v_add3_u32 v65, v65, v101, v102
	v_mul_i32_i24_e32 v100, v203, v81
	v_mul_i32_i24_e32 v101, v204, v87
	v_mad_i32_i24 v66, v205, v24, v66
	v_bfe_i32 v74, v6, 16, 8
	v_ashrrev_i32_e32 v75, 24, v6
	v_bfe_i32 v89, v1, 16, 8
	v_ashrrev_i32_e32 v90, 24, v1
	v_mul_i32_i24_e32 v103, v197, v21
	v_mul_i32_i24_e32 v104, v196, v71
	v_add3_u32 v66, v66, v100, v101
	v_mul_i32_i24_e32 v100, v209, v61
	v_mul_i32_i24_e32 v101, v208, v88
	v_bfe_i32 v22, v7, 0, 8
	v_bfe_i32 v76, v7, 8, 8
	v_bfe_i32 v63, v2, 0, 8
	v_bfe_i32 v93, v2, 8, 8
	v_mul_i32_i24_e32 v105, v195, v74
	v_mul_i32_i24_e32 v106, v194, v75
	v_add3_u32 v65, v65, v103, v104
	v_mul_i32_i24_e32 v102, v207, v89
	v_mul_i32_i24_e32 v103, v206, v90
	v_add3_u32 v66, v66, v100, v101
	v_bfe_i32 v78, v7, 16, 8
	v_ashrrev_i32_e32 v79, 24, v7
	v_bfe_i32 v94, v2, 16, 8
	v_ashrrev_i32_e32 v95, 24, v2
	v_mul_i32_i24_e32 v107, v201, v22
	v_mul_i32_i24_e32 v108, v200, v76
	v_add3_u32 v65, v65, v105, v106
	v_mul_i32_i24_e32 v104, v213, v63
	v_mul_i32_i24_e32 v105, v212, v93
	v_add3_u32 v66, v66, v102, v103
	v_bfe_i32 v64, v3, 0, 8
	v_bfe_i32 v96, v3, 8, 8
	v_mul_i32_i24_e32 v109, v199, v78
	v_mul_i32_i24_e32 v110, v198, v79
	v_add3_u32 v65, v65, v107, v108
	v_mul_i32_i24_e32 v106, v211, v94
	v_mul_i32_i24_e32 v107, v210, v95
	v_add3_u32 v66, v66, v104, v105
	v_bfe_i32 v97, v3, 16, 8
	v_ashrrev_i32_e32 v99, 24, v3
	v_add3_u32 v65, v65, v109, v110
	v_mul_i32_i24_e32 v108, v217, v64
	v_mul_i32_i24_e32 v109, v216, v96
	v_add3_u32 v66, v66, v106, v107
	v_mul_i32_i24_e32 v110, v215, v97
	v_mul_i32_i24_e32 v131, v214, v99
	v_mul_lo_u32 v65, v65, v222
	v_mul_i32_i24_e32 v39, v38, v39
	v_add3_u32 v66, v66, v108, v109
	v_mul_i32_i24_e32 v47, v72, v47
	v_mul_i32_i24_e32 v76, v13, v76
	;; [unrolled: 1-line block ×4, first 2 shown]
	v_add3_u32 v66, v66, v110, v131
	v_perm_b32 v5, v5, v5, 0xc030201
	v_perm_b32 v6, v6, v6, 0xc030201
	;; [unrolled: 1-line block ×4, first 2 shown]
	v_mad_co_u64_u32 v[65:66], null, v66, v218, v[65:66]
	v_mul_f32_e32 v66, v174, v17
	v_perm_b32 v3, v3, v3, 0xc030201
	s_delay_alu instid0(VALU_DEP_3) | instskip(NEXT) | instid1(VALU_DEP_1)
	v_cvt_f32_i32_e32 v65, v65
	v_fmac_f32_e32 v45, v66, v65
	v_mul_i32_i24_e32 v65, v48, v18
	v_mul_i32_i24_e32 v66, v49, v68
	v_mul_i32_i24_e32 v68, v53, v21
	s_delay_alu instid0(VALU_DEP_3) | instskip(NEXT) | instid1(VALU_DEP_1)
	v_mad_i32_i24 v65, v255, v19, v65
	v_add3_u32 v39, v65, v39, v47
	v_mul_i32_i24_e32 v47, v51, v20
	v_mul_i32_i24_e32 v65, v9, v67
	;; [unrolled: 1-line block ×6, first 2 shown]
	v_add3_u32 v39, v39, v47, v65
	v_mul_i32_i24_e32 v75, v56, v22
	v_mul_i32_i24_e32 v47, v15, v81
	;; [unrolled: 1-line block ×3, first 2 shown]
	s_delay_alu instid0(VALU_DEP_4) | instskip(SKIP_2) | instid1(VALU_DEP_3)
	v_add3_u32 v39, v39, v66, v67
	v_mul_i32_i24_e32 v66, v57, v87
	v_mul_i32_i24_e32 v67, v242, v89
	v_add3_u32 v39, v39, v68, v70
	v_mul_i32_i24_e32 v68, v241, v90
	v_mul_i32_i24_e32 v70, v248, v63
	s_delay_alu instid0(VALU_DEP_3) | instskip(SKIP_2) | instid1(VALU_DEP_3)
	v_add3_u32 v39, v39, v71, v74
	v_mul_i32_i24_e32 v71, v247, v93
	v_mul_i32_i24_e32 v74, v246, v94
	v_add3_u32 v39, v39, v75, v76
	v_mul_i32_i24_e32 v75, v245, v95
	v_mul_i32_i24_e32 v76, v253, v64
	s_delay_alu instid0(VALU_DEP_3) | instskip(SKIP_2) | instid1(VALU_DEP_3)
	v_add3_u32 v39, v39, v78, v79
	v_mul_i32_i24_e32 v78, v252, v96
	v_mul_i32_i24_e32 v79, v250, v97
	v_mul_lo_u32 v65, v39, v16
	v_mul_i32_i24_e32 v39, v60, v23
	s_delay_alu instid0(VALU_DEP_1) | instskip(NEXT) | instid1(VALU_DEP_1)
	v_mad_i32_i24 v39, v14, v24, v39
	v_add3_u32 v39, v39, v47, v66
	v_mul_i32_i24_e32 v47, v251, v61
	v_mul_i32_i24_e32 v66, v243, v88
	s_delay_alu instid0(VALU_DEP_1) | instskip(NEXT) | instid1(VALU_DEP_1)
	v_add3_u32 v39, v39, v47, v66
	v_add3_u32 v39, v39, v67, v68
	s_delay_alu instid0(VALU_DEP_1) | instskip(NEXT) | instid1(VALU_DEP_1)
	v_add3_u32 v39, v39, v70, v71
	v_add3_u32 v39, v39, v74, v75
	;; [unrolled: 3-line block ×3, first 2 shown]
	s_delay_alu instid0(VALU_DEP_1) | instskip(SKIP_1) | instid1(VALU_DEP_2)
	v_mad_co_u64_u32 v[65:66], null, v39, v254, v[65:66]
	v_mul_f32_e32 v39, v175, v17
	v_cvt_f32_i32_e32 v47, v65
	v_perm_b32 v65, v0, v0, 0xc0c0302
	s_delay_alu instid0(VALU_DEP_2) | instskip(SKIP_2) | instid1(VALU_DEP_2)
	v_fmac_f32_e32 v44, v39, v47
	v_mul_i32_i24_e32 v39, v18, v177
	v_perm_b32 v47, v4, v4, 0xc0c0302
	v_mad_i32_i24 v39, v19, v178, v39
	s_delay_alu instid0(VALU_DEP_1) | instskip(SKIP_1) | instid1(VALU_DEP_2)
	v_dot4_i32_iu8 v4, v47, v221, v39 neg_lo:[1,1,0]
	v_mul_i32_i24_e32 v39, v23, v238
	v_mad_i32_i24 v4, v20, v223, v4
	s_delay_alu instid0(VALU_DEP_2) | instskip(NEXT) | instid1(VALU_DEP_2)
	v_mad_i32_i24 v39, v24, v239, v39
	v_dot4_i32_iu8 v4, v5, v230, v4 neg_lo:[1,1,0]
	s_delay_alu instid0(VALU_DEP_2) | instskip(SKIP_1) | instid1(VALU_DEP_3)
	v_dot4_i32_iu8 v0, v65, v180, v39 neg_lo:[1,1,0]
	v_perm_b32 v39, v1, v1, 0xc030201
	v_mad_i32_i24 v4, v21, v220, v4
	s_delay_alu instid0(VALU_DEP_3) | instskip(NEXT) | instid1(VALU_DEP_2)
	v_mad_i32_i24 v0, v61, v181, v0
	v_dot4_i32_iu8 v4, v6, v232, v4 neg_lo:[1,1,0]
	s_delay_alu instid0(VALU_DEP_2) | instskip(NEXT) | instid1(VALU_DEP_2)
	v_dot4_i32_iu8 v0, v39, v182, v0 neg_lo:[1,1,0]
	v_mad_i32_i24 v4, v22, v219, v4
	s_delay_alu instid0(VALU_DEP_2) | instskip(NEXT) | instid1(VALU_DEP_2)
	v_mad_i32_i24 v0, v63, v179, v0
	v_dot4_i32_iu8 v4, v7, v235, v4 neg_lo:[1,1,0]
	s_delay_alu instid0(VALU_DEP_2) | instskip(NEXT) | instid1(VALU_DEP_2)
	v_dot4_i32_iu8 v0, v2, v183, v0 neg_lo:[1,1,0]
	v_mul_lo_u32 v4, v4, v237
	s_delay_alu instid0(VALU_DEP_2) | instskip(NEXT) | instid1(VALU_DEP_1)
	v_mad_i32_i24 v0, v64, v176, v0
	v_dot4_i32_iu8 v0, v3, v184, v0 neg_lo:[1,1,0]
	s_delay_alu instid0(VALU_DEP_1) | instskip(SKIP_1) | instid1(VALU_DEP_2)
	v_mad_co_u64_u32 v[0:1], null, v0, v185, v[4:5]
	v_mul_f32_e32 v1, v171, v17
	v_cvt_f32_i32_e32 v0, v0
	s_delay_alu instid0(VALU_DEP_1) | instskip(SKIP_2) | instid1(VALU_DEP_2)
	v_fmac_f32_e32 v43, v1, v0
	v_mul_i32_i24_e32 v0, v18, v224
	v_mul_i32_i24_e32 v1, v23, v173
	v_mad_i32_i24 v0, v19, v225, v0
	s_delay_alu instid0(VALU_DEP_2) | instskip(NEXT) | instid1(VALU_DEP_2)
	v_mad_i32_i24 v1, v24, v172, v1
	v_dot4_i32_iu8 v0, v47, v227, v0 neg_lo:[1,1,0]
	s_delay_alu instid0(VALU_DEP_2) | instskip(NEXT) | instid1(VALU_DEP_2)
	v_dot4_i32_iu8 v1, v65, v170, v1 neg_lo:[1,1,0]
	v_mad_i32_i24 v0, v20, v229, v0
	s_delay_alu instid0(VALU_DEP_2) | instskip(NEXT) | instid1(VALU_DEP_2)
	v_mad_i32_i24 v1, v61, v169, v1
	v_dot4_i32_iu8 v0, v5, v231, v0 neg_lo:[1,1,0]
	s_delay_alu instid0(VALU_DEP_2) | instskip(NEXT) | instid1(VALU_DEP_2)
	v_dot4_i32_iu8 v1, v39, v168, v1 neg_lo:[1,1,0]
	;; [unrolled: 6-line block ×4, first 2 shown]
	v_mul_lo_u32 v0, v0, v236
	s_delay_alu instid0(VALU_DEP_1) | instskip(SKIP_1) | instid1(VALU_DEP_2)
	v_mad_co_u64_u32 v[0:1], null, v1, v163, v[0:1]
	v_mul_f32_e32 v1, v162, v17
	v_cvt_f32_i32_e32 v0, v0
	s_delay_alu instid0(VALU_DEP_1) | instskip(SKIP_1) | instid1(VALU_DEP_1)
	v_fmac_f32_e32 v42, v1, v0
	v_or_b32_e32 v0, s17, v120
	v_lshlrev_b32_e32 v1, 2, v0
	v_lshrrev_b32_e32 v0, 1, v0
	ds_load_b32 v17, v0 offset:38816
	ds_load_b128 v[4:7], v1 offset:25344
	ds_load_b128 v[0:3], v1 offset:25360
	s_wait_dscnt 0x1
	v_bfe_i32 v18, v4, 0, 8
	v_bfe_i32 v19, v4, 8, 8
	;; [unrolled: 1-line block ×3, first 2 shown]
	v_ashrrev_i32_e32 v47, 24, v4
	v_bfe_i32 v20, v5, 0, 8
	v_mul_i32_i24_e32 v65, v186, v18
	v_bfe_i32 v67, v5, 8, 8
	v_mul_i32_i24_e32 v66, v187, v39
	v_mul_i32_i24_e32 v100, v188, v47
	v_bfe_i32 v68, v5, 16, 8
	v_mad_i32_i24 v65, v189, v19, v65
	v_ashrrev_i32_e32 v70, 24, v5
	s_wait_dscnt 0x0
	v_bfe_i32 v23, v0, 0, 8
	v_bfe_i32 v24, v0, 8, 8
	v_bfe_i32 v81, v0, 16, 8
	v_add3_u32 v65, v65, v66, v100
	v_mul_i32_i24_e32 v66, v193, v20
	v_mul_i32_i24_e32 v100, v192, v67
	v_ashrrev_i32_e32 v87, 24, v0
	v_mul_i32_i24_e32 v101, v191, v68
	v_mul_i32_i24_e32 v102, v190, v70
	v_bfe_i32 v21, v6, 0, 8
	v_add3_u32 v65, v65, v66, v100
	v_mul_i32_i24_e32 v66, v202, v23
	v_bfe_i32 v71, v6, 8, 8
	v_bfe_i32 v61, v1, 0, 8
	;; [unrolled: 1-line block ×3, first 2 shown]
	v_add3_u32 v65, v65, v101, v102
	v_mul_i32_i24_e32 v100, v203, v81
	v_mul_i32_i24_e32 v101, v204, v87
	v_mad_i32_i24 v66, v205, v24, v66
	v_bfe_i32 v74, v6, 16, 8
	v_ashrrev_i32_e32 v75, 24, v6
	v_bfe_i32 v89, v1, 16, 8
	v_ashrrev_i32_e32 v90, 24, v1
	v_mul_i32_i24_e32 v103, v197, v21
	v_mul_i32_i24_e32 v104, v196, v71
	v_add3_u32 v66, v66, v100, v101
	v_mul_i32_i24_e32 v100, v209, v61
	v_mul_i32_i24_e32 v101, v208, v88
	v_bfe_i32 v22, v7, 0, 8
	v_bfe_i32 v76, v7, 8, 8
	;; [unrolled: 1-line block ×4, first 2 shown]
	v_mul_i32_i24_e32 v105, v195, v74
	v_mul_i32_i24_e32 v106, v194, v75
	v_add3_u32 v65, v65, v103, v104
	v_mul_i32_i24_e32 v102, v207, v89
	v_mul_i32_i24_e32 v103, v206, v90
	v_add3_u32 v66, v66, v100, v101
	v_bfe_i32 v78, v7, 16, 8
	v_ashrrev_i32_e32 v79, 24, v7
	v_bfe_i32 v94, v2, 16, 8
	v_ashrrev_i32_e32 v95, 24, v2
	v_mul_i32_i24_e32 v107, v201, v22
	v_mul_i32_i24_e32 v108, v200, v76
	v_add3_u32 v65, v65, v105, v106
	v_mul_i32_i24_e32 v104, v213, v63
	v_mul_i32_i24_e32 v105, v212, v93
	v_add3_u32 v66, v66, v102, v103
	v_bfe_i32 v64, v3, 0, 8
	v_bfe_i32 v96, v3, 8, 8
	v_mul_i32_i24_e32 v109, v199, v78
	v_mul_i32_i24_e32 v110, v198, v79
	v_add3_u32 v65, v65, v107, v108
	v_mul_i32_i24_e32 v106, v211, v94
	v_mul_i32_i24_e32 v107, v210, v95
	v_add3_u32 v66, v66, v104, v105
	v_bfe_i32 v97, v3, 16, 8
	v_ashrrev_i32_e32 v99, 24, v3
	v_add3_u32 v65, v65, v109, v110
	v_mul_i32_i24_e32 v108, v217, v64
	v_mul_i32_i24_e32 v109, v216, v96
	v_add3_u32 v66, v66, v106, v107
	v_mul_i32_i24_e32 v110, v215, v97
	v_mul_i32_i24_e32 v131, v214, v99
	v_mul_lo_u32 v65, v65, v222
	v_mul_i32_i24_e32 v39, v38, v39
	v_add3_u32 v66, v66, v108, v109
	v_mul_i32_i24_e32 v47, v72, v47
	v_mul_i32_i24_e32 v76, v13, v76
	;; [unrolled: 1-line block ×4, first 2 shown]
	v_add3_u32 v66, v66, v110, v131
	v_perm_b32 v5, v5, v5, 0xc030201
	v_perm_b32 v6, v6, v6, 0xc030201
	;; [unrolled: 1-line block ×4, first 2 shown]
	v_mad_co_u64_u32 v[65:66], null, v66, v218, v[65:66]
	v_mul_f32_e32 v66, v174, v17
	v_perm_b32 v3, v3, v3, 0xc030201
	s_delay_alu instid0(VALU_DEP_3) | instskip(NEXT) | instid1(VALU_DEP_1)
	v_cvt_f32_i32_e32 v65, v65
	v_fmac_f32_e32 v40, v66, v65
	v_mul_i32_i24_e32 v65, v48, v18
	v_mul_i32_i24_e32 v66, v49, v68
	;; [unrolled: 1-line block ×3, first 2 shown]
	s_delay_alu instid0(VALU_DEP_3) | instskip(NEXT) | instid1(VALU_DEP_1)
	v_mad_i32_i24 v65, v255, v19, v65
	v_add3_u32 v39, v65, v39, v47
	v_mul_i32_i24_e32 v47, v51, v20
	v_mul_i32_i24_e32 v65, v9, v67
	;; [unrolled: 1-line block ×6, first 2 shown]
	v_add3_u32 v39, v39, v47, v65
	v_mul_i32_i24_e32 v75, v56, v22
	v_mul_i32_i24_e32 v47, v15, v81
	;; [unrolled: 1-line block ×3, first 2 shown]
	s_delay_alu instid0(VALU_DEP_4) | instskip(SKIP_2) | instid1(VALU_DEP_3)
	v_add3_u32 v39, v39, v66, v67
	v_mul_i32_i24_e32 v66, v57, v87
	v_mul_i32_i24_e32 v67, v242, v89
	v_add3_u32 v39, v39, v68, v70
	v_mul_i32_i24_e32 v68, v241, v90
	v_mul_i32_i24_e32 v70, v248, v63
	s_delay_alu instid0(VALU_DEP_3) | instskip(SKIP_2) | instid1(VALU_DEP_3)
	v_add3_u32 v39, v39, v71, v74
	v_mul_i32_i24_e32 v71, v247, v93
	v_mul_i32_i24_e32 v74, v246, v94
	v_add3_u32 v39, v39, v75, v76
	v_mul_i32_i24_e32 v75, v245, v95
	v_mul_i32_i24_e32 v76, v253, v64
	s_delay_alu instid0(VALU_DEP_3) | instskip(SKIP_2) | instid1(VALU_DEP_3)
	v_add3_u32 v39, v39, v78, v79
	v_mul_i32_i24_e32 v78, v252, v96
	v_mul_i32_i24_e32 v79, v250, v97
	v_mul_lo_u32 v65, v39, v16
	v_mul_i32_i24_e32 v39, v60, v23
	s_delay_alu instid0(VALU_DEP_1) | instskip(NEXT) | instid1(VALU_DEP_1)
	v_mad_i32_i24 v39, v14, v24, v39
	v_add3_u32 v39, v39, v47, v66
	v_mul_i32_i24_e32 v47, v251, v61
	v_mul_i32_i24_e32 v66, v243, v88
	s_delay_alu instid0(VALU_DEP_1) | instskip(NEXT) | instid1(VALU_DEP_1)
	v_add3_u32 v39, v39, v47, v66
	v_add3_u32 v39, v39, v67, v68
	s_delay_alu instid0(VALU_DEP_1) | instskip(NEXT) | instid1(VALU_DEP_1)
	v_add3_u32 v39, v39, v70, v71
	v_add3_u32 v39, v39, v74, v75
	;; [unrolled: 3-line block ×3, first 2 shown]
	s_delay_alu instid0(VALU_DEP_1) | instskip(SKIP_1) | instid1(VALU_DEP_2)
	v_mad_co_u64_u32 v[65:66], null, v39, v254, v[65:66]
	v_mul_f32_e32 v39, v175, v17
	v_cvt_f32_i32_e32 v47, v65
	v_perm_b32 v65, v0, v0, 0xc0c0302
	s_delay_alu instid0(VALU_DEP_2) | instskip(SKIP_2) | instid1(VALU_DEP_2)
	v_fmac_f32_e32 v37, v39, v47
	v_mul_i32_i24_e32 v39, v18, v177
	v_perm_b32 v47, v4, v4, 0xc0c0302
	v_mad_i32_i24 v39, v19, v178, v39
	s_delay_alu instid0(VALU_DEP_1) | instskip(SKIP_1) | instid1(VALU_DEP_2)
	v_dot4_i32_iu8 v4, v47, v221, v39 neg_lo:[1,1,0]
	v_mul_i32_i24_e32 v39, v23, v238
	v_mad_i32_i24 v4, v20, v223, v4
	s_delay_alu instid0(VALU_DEP_2) | instskip(NEXT) | instid1(VALU_DEP_2)
	v_mad_i32_i24 v39, v24, v239, v39
	v_dot4_i32_iu8 v4, v5, v230, v4 neg_lo:[1,1,0]
	s_delay_alu instid0(VALU_DEP_2) | instskip(SKIP_1) | instid1(VALU_DEP_3)
	v_dot4_i32_iu8 v0, v65, v180, v39 neg_lo:[1,1,0]
	v_perm_b32 v39, v1, v1, 0xc030201
	v_mad_i32_i24 v4, v21, v220, v4
	s_delay_alu instid0(VALU_DEP_3) | instskip(NEXT) | instid1(VALU_DEP_2)
	v_mad_i32_i24 v0, v61, v181, v0
	v_dot4_i32_iu8 v4, v6, v232, v4 neg_lo:[1,1,0]
	s_delay_alu instid0(VALU_DEP_2) | instskip(NEXT) | instid1(VALU_DEP_2)
	v_dot4_i32_iu8 v0, v39, v182, v0 neg_lo:[1,1,0]
	v_mad_i32_i24 v4, v22, v219, v4
	s_delay_alu instid0(VALU_DEP_2) | instskip(NEXT) | instid1(VALU_DEP_2)
	v_mad_i32_i24 v0, v63, v179, v0
	v_dot4_i32_iu8 v4, v7, v235, v4 neg_lo:[1,1,0]
	s_delay_alu instid0(VALU_DEP_2) | instskip(NEXT) | instid1(VALU_DEP_2)
	v_dot4_i32_iu8 v0, v2, v183, v0 neg_lo:[1,1,0]
	v_mul_lo_u32 v4, v4, v237
	s_delay_alu instid0(VALU_DEP_2) | instskip(NEXT) | instid1(VALU_DEP_1)
	v_mad_i32_i24 v0, v64, v176, v0
	v_dot4_i32_iu8 v0, v3, v184, v0 neg_lo:[1,1,0]
	s_delay_alu instid0(VALU_DEP_1) | instskip(SKIP_1) | instid1(VALU_DEP_2)
	v_mad_co_u64_u32 v[0:1], null, v0, v185, v[4:5]
	v_mul_f32_e32 v1, v171, v17
	v_cvt_f32_i32_e32 v0, v0
	s_delay_alu instid0(VALU_DEP_1) | instskip(SKIP_2) | instid1(VALU_DEP_2)
	v_fmac_f32_e32 v36, v1, v0
	v_mul_i32_i24_e32 v0, v18, v224
	v_mul_i32_i24_e32 v1, v23, v173
	v_mad_i32_i24 v0, v19, v225, v0
	s_delay_alu instid0(VALU_DEP_2) | instskip(NEXT) | instid1(VALU_DEP_2)
	v_mad_i32_i24 v1, v24, v172, v1
	v_dot4_i32_iu8 v0, v47, v227, v0 neg_lo:[1,1,0]
	s_delay_alu instid0(VALU_DEP_2) | instskip(NEXT) | instid1(VALU_DEP_2)
	v_dot4_i32_iu8 v1, v65, v170, v1 neg_lo:[1,1,0]
	v_mad_i32_i24 v0, v20, v229, v0
	s_delay_alu instid0(VALU_DEP_2) | instskip(NEXT) | instid1(VALU_DEP_2)
	v_mad_i32_i24 v1, v61, v169, v1
	v_dot4_i32_iu8 v0, v5, v231, v0 neg_lo:[1,1,0]
	s_delay_alu instid0(VALU_DEP_2) | instskip(NEXT) | instid1(VALU_DEP_2)
	v_dot4_i32_iu8 v1, v39, v168, v1 neg_lo:[1,1,0]
	;; [unrolled: 6-line block ×4, first 2 shown]
	v_mul_lo_u32 v0, v0, v236
	s_delay_alu instid0(VALU_DEP_1) | instskip(SKIP_1) | instid1(VALU_DEP_2)
	v_mad_co_u64_u32 v[0:1], null, v1, v163, v[0:1]
	v_mul_f32_e32 v1, v162, v17
	v_cvt_f32_i32_e32 v0, v0
	s_delay_alu instid0(VALU_DEP_1) | instskip(SKIP_1) | instid1(VALU_DEP_1)
	v_fmac_f32_e32 v35, v1, v0
	v_or_b32_e32 v0, s17, v121
	v_lshlrev_b32_e32 v4, 2, v0
	v_lshrrev_b32_e32 v0, 1, v0
	ds_load_b32 v19, v0 offset:38816
	ds_load_b128 v[0:3], v4 offset:25344
	ds_load_b128 v[4:7], v4 offset:25360
	s_wait_dscnt 0x1
	v_bfe_i32 v20, v0, 0, 8
	v_bfe_i32 v21, v0, 8, 8
	;; [unrolled: 1-line block ×3, first 2 shown]
	v_ashrrev_i32_e32 v23, 24, v0
	v_bfe_i32 v24, v1, 0, 8
	v_mul_i32_i24_e32 v17, v186, v20
	v_bfe_i32 v39, v1, 8, 8
	v_mul_i32_i24_e32 v18, v187, v22
	v_mul_i32_i24_e32 v100, v188, v23
	v_bfe_i32 v47, v1, 16, 8
	v_mad_i32_i24 v17, v189, v21, v17
	v_ashrrev_i32_e32 v61, 24, v1
	s_wait_dscnt 0x0
	v_bfe_i32 v74, v4, 0, 8
	v_bfe_i32 v75, v4, 8, 8
	;; [unrolled: 1-line block ×3, first 2 shown]
	v_add3_u32 v17, v17, v18, v100
	v_mul_i32_i24_e32 v18, v193, v24
	v_mul_i32_i24_e32 v100, v192, v39
	v_ashrrev_i32_e32 v78, 24, v4
	v_mul_i32_i24_e32 v101, v191, v47
	v_mul_i32_i24_e32 v102, v190, v61
	v_bfe_i32 v63, v2, 0, 8
	v_add3_u32 v17, v17, v18, v100
	v_mul_i32_i24_e32 v18, v202, v74
	v_bfe_i32 v64, v2, 8, 8
	v_bfe_i32 v79, v5, 0, 8
	v_bfe_i32 v81, v5, 8, 8
	v_add3_u32 v17, v17, v101, v102
	v_mul_i32_i24_e32 v100, v203, v76
	v_mul_i32_i24_e32 v101, v204, v78
	v_mad_i32_i24 v18, v205, v75, v18
	v_bfe_i32 v65, v2, 16, 8
	v_ashrrev_i32_e32 v66, 24, v2
	v_bfe_i32 v87, v5, 16, 8
	v_ashrrev_i32_e32 v88, 24, v5
	v_mul_i32_i24_e32 v103, v197, v63
	v_mul_i32_i24_e32 v104, v196, v64
	v_add3_u32 v18, v18, v100, v101
	v_mul_i32_i24_e32 v100, v209, v79
	v_mul_i32_i24_e32 v101, v208, v81
	v_bfe_i32 v67, v3, 0, 8
	v_bfe_i32 v68, v3, 8, 8
	;; [unrolled: 1-line block ×4, first 2 shown]
	v_mul_i32_i24_e32 v105, v195, v65
	v_mul_i32_i24_e32 v106, v194, v66
	v_add3_u32 v17, v17, v103, v104
	v_mul_i32_i24_e32 v102, v207, v87
	v_mul_i32_i24_e32 v103, v206, v88
	v_add3_u32 v18, v18, v100, v101
	v_bfe_i32 v70, v3, 16, 8
	v_ashrrev_i32_e32 v71, 24, v3
	v_bfe_i32 v93, v6, 16, 8
	v_ashrrev_i32_e32 v94, 24, v6
	v_mul_i32_i24_e32 v107, v201, v67
	v_mul_i32_i24_e32 v108, v200, v68
	v_add3_u32 v17, v17, v105, v106
	v_mul_i32_i24_e32 v104, v213, v89
	v_mul_i32_i24_e32 v105, v212, v90
	v_add3_u32 v18, v18, v102, v103
	v_bfe_i32 v95, v7, 0, 8
	v_bfe_i32 v96, v7, 8, 8
	v_mul_i32_i24_e32 v109, v199, v70
	v_mul_i32_i24_e32 v110, v198, v71
	v_add3_u32 v17, v17, v107, v108
	v_mul_i32_i24_e32 v106, v211, v93
	v_mul_i32_i24_e32 v107, v210, v94
	v_add3_u32 v18, v18, v104, v105
	v_bfe_i32 v97, v7, 16, 8
	v_ashrrev_i32_e32 v99, 24, v7
	v_add3_u32 v17, v17, v109, v110
	v_mul_i32_i24_e32 v108, v217, v95
	v_mul_i32_i24_e32 v109, v216, v96
	v_add3_u32 v18, v18, v106, v107
	v_mul_i32_i24_e32 v110, v215, v97
	v_mul_i32_i24_e32 v131, v214, v99
	v_mul_lo_u32 v17, v17, v222
	v_mul_i32_i24_e32 v68, v13, v68
	v_add3_u32 v18, v18, v108, v109
	v_mul_i32_i24_e32 v70, v54, v70
	v_mul_i32_i24_e32 v71, v12, v71
	v_perm_b32 v4, v4, v4, 0xc0c0302
	v_perm_b32 v5, v5, v5, 0xc030201
	v_add3_u32 v18, v18, v110, v131
	v_perm_b32 v2, v2, v2, 0xc030201
	v_perm_b32 v6, v6, v6, 0xc030201
	;; [unrolled: 1-line block ×4, first 2 shown]
	v_mad_co_u64_u32 v[17:18], null, v18, v218, v[17:18]
	v_mul_f32_e32 v18, v174, v19
	s_delay_alu instid0(VALU_DEP_2) | instskip(NEXT) | instid1(VALU_DEP_1)
	v_cvt_f32_i32_e32 v17, v17
	v_fmac_f32_e32 v34, v18, v17
	v_mul_i32_i24_e32 v17, v48, v20
	v_mul_i32_i24_e32 v18, v38, v22
	;; [unrolled: 1-line block ×5, first 2 shown]
	v_mad_i32_i24 v17, v255, v21, v17
	s_delay_alu instid0(VALU_DEP_1)
	v_add3_u32 v17, v17, v18, v22
	v_mul_i32_i24_e32 v18, v51, v24
	v_mul_i32_i24_e32 v22, v9, v39
	;; [unrolled: 1-line block ×6, first 2 shown]
	v_add3_u32 v17, v17, v18, v22
	v_mul_i32_i24_e32 v18, v60, v74
	v_mul_i32_i24_e32 v22, v15, v76
	;; [unrolled: 1-line block ×4, first 2 shown]
	v_add3_u32 v17, v17, v23, v39
	v_mul_i32_i24_e32 v23, v57, v78
	v_mad_i32_i24 v18, v14, v75, v18
	v_mul_i32_i24_e32 v39, v242, v87
	s_delay_alu instid0(VALU_DEP_4) | instskip(SKIP_1) | instid1(VALU_DEP_4)
	v_add3_u32 v17, v17, v47, v61
	v_mul_i32_i24_e32 v47, v241, v88
	v_add3_u32 v18, v18, v22, v23
	v_mul_i32_i24_e32 v22, v251, v79
	v_mul_i32_i24_e32 v23, v243, v81
	v_add3_u32 v17, v17, v64, v65
	v_mul_i32_i24_e32 v61, v248, v89
	v_mul_i32_i24_e32 v64, v247, v90
	;; [unrolled: 1-line block ×3, first 2 shown]
	v_add3_u32 v18, v18, v22, v23
	v_add3_u32 v17, v17, v66, v68
	v_mul_i32_i24_e32 v66, v245, v94
	v_mul_i32_i24_e32 v68, v253, v95
	s_delay_alu instid0(VALU_DEP_4) | instskip(NEXT) | instid1(VALU_DEP_4)
	v_add3_u32 v18, v18, v39, v47
	v_add3_u32 v17, v17, v70, v71
	v_mul_i32_i24_e32 v70, v252, v96
	v_mul_i32_i24_e32 v71, v250, v97
	s_delay_alu instid0(VALU_DEP_4) | instskip(NEXT) | instid1(VALU_DEP_4)
	v_add3_u32 v18, v18, v61, v64
	v_mul_lo_u32 v17, v17, v16
	s_delay_alu instid0(VALU_DEP_2) | instskip(NEXT) | instid1(VALU_DEP_1)
	v_add3_u32 v18, v18, v65, v66
	v_add3_u32 v18, v18, v68, v70
	s_delay_alu instid0(VALU_DEP_1) | instskip(NEXT) | instid1(VALU_DEP_1)
	v_add3_u32 v18, v18, v71, v76
	v_mad_co_u64_u32 v[17:18], null, v18, v254, v[17:18]
	v_mul_f32_e32 v18, v175, v19
	s_delay_alu instid0(VALU_DEP_2) | instskip(NEXT) | instid1(VALU_DEP_1)
	v_cvt_f32_i32_e32 v17, v17
	v_fmac_f32_e32 v33, v18, v17
	v_mul_i32_i24_e32 v17, v20, v177
	v_perm_b32 v18, v0, v0, 0xc0c0302
	s_delay_alu instid0(VALU_DEP_2) | instskip(NEXT) | instid1(VALU_DEP_1)
	v_mad_i32_i24 v17, v21, v178, v17
	v_dot4_i32_iu8 v0, v18, v221, v17 neg_lo:[1,1,0]
	v_perm_b32 v17, v1, v1, 0xc030201
	v_mul_i32_i24_e32 v1, v74, v238
	s_delay_alu instid0(VALU_DEP_3) | instskip(NEXT) | instid1(VALU_DEP_2)
	v_mad_i32_i24 v0, v24, v223, v0
	v_mad_i32_i24 v1, v75, v239, v1
	s_delay_alu instid0(VALU_DEP_2) | instskip(NEXT) | instid1(VALU_DEP_2)
	v_dot4_i32_iu8 v0, v17, v230, v0 neg_lo:[1,1,0]
	v_dot4_i32_iu8 v1, v4, v180, v1 neg_lo:[1,1,0]
	s_delay_alu instid0(VALU_DEP_2) | instskip(NEXT) | instid1(VALU_DEP_2)
	v_mad_i32_i24 v0, v63, v220, v0
	v_mad_i32_i24 v1, v79, v181, v1
	s_delay_alu instid0(VALU_DEP_2) | instskip(NEXT) | instid1(VALU_DEP_2)
	v_dot4_i32_iu8 v0, v2, v232, v0 neg_lo:[1,1,0]
	v_dot4_i32_iu8 v1, v5, v182, v1 neg_lo:[1,1,0]
	s_delay_alu instid0(VALU_DEP_2) | instskip(NEXT) | instid1(VALU_DEP_2)
	;; [unrolled: 6-line block ×3, first 2 shown]
	v_mul_lo_u32 v0, v0, v237
	v_mad_i32_i24 v1, v95, v176, v1
	s_delay_alu instid0(VALU_DEP_1) | instskip(NEXT) | instid1(VALU_DEP_1)
	v_dot4_i32_iu8 v1, v7, v184, v1 neg_lo:[1,1,0]
	v_mad_co_u64_u32 v[0:1], null, v1, v185, v[0:1]
	v_mul_f32_e32 v1, v171, v19
	s_delay_alu instid0(VALU_DEP_2) | instskip(NEXT) | instid1(VALU_DEP_1)
	v_cvt_f32_i32_e32 v0, v0
	v_fmac_f32_e32 v32, v1, v0
	v_mul_i32_i24_e32 v0, v20, v224
	v_mul_i32_i24_e32 v1, v74, v173
	s_delay_alu instid0(VALU_DEP_2) | instskip(NEXT) | instid1(VALU_DEP_2)
	v_mad_i32_i24 v0, v21, v225, v0
	v_mad_i32_i24 v1, v75, v172, v1
	s_delay_alu instid0(VALU_DEP_2) | instskip(NEXT) | instid1(VALU_DEP_2)
	v_dot4_i32_iu8 v0, v18, v227, v0 neg_lo:[1,1,0]
	v_dot4_i32_iu8 v1, v4, v170, v1 neg_lo:[1,1,0]
	s_delay_alu instid0(VALU_DEP_2) | instskip(NEXT) | instid1(VALU_DEP_2)
	v_mad_i32_i24 v0, v24, v229, v0
	v_mad_i32_i24 v1, v79, v169, v1
	s_delay_alu instid0(VALU_DEP_2) | instskip(NEXT) | instid1(VALU_DEP_2)
	v_dot4_i32_iu8 v0, v17, v231, v0 neg_lo:[1,1,0]
	v_dot4_i32_iu8 v1, v5, v168, v1 neg_lo:[1,1,0]
	;; [unrolled: 6-line block ×4, first 2 shown]
	s_delay_alu instid0(VALU_DEP_2) | instskip(NEXT) | instid1(VALU_DEP_1)
	v_mul_lo_u32 v0, v0, v236
	v_mad_co_u64_u32 v[0:1], null, v1, v163, v[0:1]
	v_mul_f32_e32 v1, v162, v19
	s_delay_alu instid0(VALU_DEP_2) | instskip(NEXT) | instid1(VALU_DEP_1)
	v_cvt_f32_i32_e32 v0, v0
	v_fmac_f32_e32 v31, v1, v0
	v_or_b32_e32 v0, s17, v122
	s_delay_alu instid0(VALU_DEP_1)
	v_lshlrev_b32_e32 v1, 2, v0
	v_lshrrev_b32_e32 v0, 1, v0
	ds_load_b32 v240, v0 offset:38816
	ds_load_b128 v[4:7], v1 offset:25344
	ds_load_b128 v[0:3], v1 offset:25360
	s_wait_dscnt 0x1
	v_bfe_i32 v20, v4, 0, 8
	v_bfe_i32 v21, v4, 8, 8
	;; [unrolled: 1-line block ×3, first 2 shown]
	v_ashrrev_i32_e32 v47, 24, v4
	v_bfe_i32 v22, v5, 0, 8
	v_mul_i32_i24_e32 v48, v48, v20
	v_bfe_i32 v68, v5, 8, 8
	v_mul_i32_i24_e32 v79, v187, v39
	v_mul_i32_i24_e32 v97, v188, v47
	v_mul_i32_i24_e32 v38, v38, v39
	v_mul_i32_i24_e32 v39, v72, v47
	v_mad_i32_i24 v47, v255, v21, v48
	v_bfe_i32 v75, v5, 16, 8
	v_ashrrev_i32_e32 v81, 24, v5
	v_mul_i32_i24_e32 v9, v9, v68
	v_bfe_i32 v23, v6, 0, 8
	v_add3_u32 v38, v47, v38, v39
	v_mul_i32_i24_e32 v39, v51, v22
	v_bfe_i32 v87, v6, 8, 8
	v_mul_i32_i24_e32 v47, v49, v75
	v_mul_i32_i24_e32 v8, v8, v81
	v_bfe_i32 v88, v6, 16, 8
	v_add3_u32 v9, v38, v39, v9
	v_ashrrev_i32_e32 v89, 24, v6
	s_wait_dscnt 0x0
	v_bfe_i32 v19, v0, 0, 8
	v_mul_i32_i24_e32 v48, v53, v23
	v_mul_i32_i24_e32 v11, v11, v87
	v_add3_u32 v8, v9, v47, v8
	v_bfe_i32 v24, v7, 0, 8
	v_bfe_i32 v90, v7, 8, 8
	;; [unrolled: 1-line block ×4, first 2 shown]
	v_ashrrev_i32_e32 v96, 24, v0
	v_mul_i32_i24_e32 v49, v52, v88
	v_mul_i32_i24_e32 v10, v10, v89
	v_add3_u32 v8, v8, v48, v11
	v_mul_i32_i24_e32 v9, v60, v19
	v_bfe_i32 v93, v7, 16, 8
	v_ashrrev_i32_e32 v94, 24, v7
	v_bfe_i32 v17, v1, 0, 8
	v_bfe_i32 v63, v1, 8, 8
	v_mul_i32_i24_e32 v51, v56, v24
	v_mul_i32_i24_e32 v13, v13, v90
	v_add3_u32 v8, v8, v49, v10
	v_mul_i32_i24_e32 v10, v15, v95
	v_mul_i32_i24_e32 v11, v57, v96
	v_mad_i32_i24 v9, v14, v18, v9
	v_bfe_i32 v64, v1, 16, 8
	v_ashrrev_i32_e32 v65, 24, v1
	v_mul_i32_i24_e32 v52, v54, v93
	v_mul_i32_i24_e32 v12, v12, v94
	v_add3_u32 v8, v8, v51, v13
	v_add3_u32 v9, v9, v10, v11
	v_mul_i32_i24_e32 v10, v251, v17
	v_mul_i32_i24_e32 v11, v243, v63
	v_bfe_i32 v61, v2, 0, 8
	v_bfe_i32 v66, v2, 8, 8
	v_add3_u32 v8, v8, v52, v12
	v_mul_i32_i24_e32 v12, v242, v64
	v_mul_i32_i24_e32 v13, v241, v65
	v_add3_u32 v9, v9, v10, v11
	v_bfe_i32 v67, v2, 16, 8
	v_ashrrev_i32_e32 v70, 24, v2
	v_mul_i32_i24_e32 v14, v248, v61
	v_mul_i32_i24_e32 v15, v247, v66
	v_add3_u32 v9, v9, v12, v13
	v_bfe_i32 v244, v3, 0, 8
	v_bfe_i32 v71, v3, 8, 8
	v_mul_lo_u32 v8, v8, v16
	v_mul_i32_i24_e32 v16, v246, v67
	v_mul_i32_i24_e32 v38, v245, v70
	v_add3_u32 v9, v9, v14, v15
	v_bfe_i32 v74, v3, 16, 8
	v_ashrrev_i32_e32 v76, 24, v3
	v_mul_i32_i24_e32 v39, v253, v244
	v_mul_i32_i24_e32 v47, v252, v71
	v_add3_u32 v9, v9, v16, v38
	v_mul_i32_i24_e32 v48, v250, v74
	v_mul_i32_i24_e32 v49, v249, v76
	v_perm_b32 v10, v6, v6, 0xc030201
	v_perm_b32 v11, v7, v7, 0xc030201
	v_add3_u32 v9, v9, v39, v47
	v_perm_b32 v2, v2, v2, 0xc030201
	v_mul_i32_i24_e32 v78, v186, v20
	v_mul_i32_i24_e32 v99, v191, v75
	;; [unrolled: 1-line block ×3, first 2 shown]
	v_add3_u32 v9, v9, v48, v49
	v_mul_i32_i24_e32 v101, v197, v23
	v_mad_i32_i24 v78, v189, v21, v78
	v_mul_i32_i24_e32 v102, v196, v87
	v_mul_i32_i24_e32 v103, v195, v88
	v_mad_co_u64_u32 v[8:9], null, v9, v254, v[8:9]
	v_mul_f32_e32 v9, v175, v240
	v_add3_u32 v78, v78, v79, v97
	v_mul_i32_i24_e32 v79, v193, v22
	v_mul_i32_i24_e32 v97, v192, v68
	;; [unrolled: 1-line block ×4, first 2 shown]
	v_cvt_f32_i32_e32 v8, v8
	v_mul_i32_i24_e32 v106, v200, v90
	v_add3_u32 v78, v78, v79, v97
	v_mul_i32_i24_e32 v79, v202, v19
	v_mul_i32_i24_e32 v97, v203, v95
	v_fmac_f32_e32 v29, v9, v8
	v_mul_i32_i24_e32 v8, v20, v177
	v_perm_b32 v9, v4, v4, 0xc0c0302
	v_add3_u32 v78, v78, v99, v100
	v_mul_i32_i24_e32 v99, v204, v96
	v_mad_i32_i24 v79, v205, v18, v79
	v_mad_i32_i24 v8, v21, v178, v8
	v_mul_i32_i24_e32 v100, v207, v64
	v_add3_u32 v78, v78, v101, v102
	v_mul_i32_i24_e32 v101, v206, v65
	v_add3_u32 v79, v79, v97, v99
	v_dot4_i32_iu8 v4, v9, v221, v8 neg_lo:[1,1,0]
	v_perm_b32 v8, v5, v5, 0xc030201
	v_perm_b32 v5, v0, v0, 0xc0c0302
	v_mul_i32_i24_e32 v97, v209, v17
	v_mul_i32_i24_e32 v99, v208, v63
	v_mad_i32_i24 v4, v22, v223, v4
	v_add3_u32 v78, v78, v103, v104
	v_mul_i32_i24_e32 v102, v213, v61
	v_mul_i32_i24_e32 v103, v212, v66
	v_add3_u32 v79, v79, v97, v99
	v_dot4_i32_iu8 v4, v8, v230, v4 neg_lo:[1,1,0]
	v_mul_i32_i24_e32 v107, v199, v93
	v_mul_i32_i24_e32 v108, v198, v94
	v_add3_u32 v78, v78, v105, v106
	v_add3_u32 v79, v79, v100, v101
	v_mad_i32_i24 v4, v23, v220, v4
	v_mul_i32_i24_e32 v104, v211, v67
	v_mul_i32_i24_e32 v105, v210, v70
	v_add3_u32 v78, v78, v107, v108
	v_add3_u32 v79, v79, v102, v103
	v_dot4_i32_iu8 v4, v10, v232, v4 neg_lo:[1,1,0]
	v_mul_i32_i24_e32 v106, v217, v244
	v_mul_i32_i24_e32 v107, v216, v71
	;; [unrolled: 1-line block ×3, first 2 shown]
	v_add3_u32 v79, v79, v104, v105
	v_mad_i32_i24 v4, v24, v219, v4
	v_mul_i32_i24_e32 v109, v214, v76
	v_mul_lo_u32 v78, v78, v222
	s_delay_alu instid0(VALU_DEP_4) | instskip(NEXT) | instid1(VALU_DEP_4)
	v_add3_u32 v79, v79, v106, v107
	v_dot4_i32_iu8 v4, v11, v235, v4 neg_lo:[1,1,0]
	s_delay_alu instid0(VALU_DEP_2) | instskip(NEXT) | instid1(VALU_DEP_2)
	v_add3_u32 v79, v79, v108, v109
	v_mul_lo_u32 v6, v4, v237
	v_mul_i32_i24_e32 v4, v19, v238
	s_delay_alu instid0(VALU_DEP_3) | instskip(NEXT) | instid1(VALU_DEP_2)
	v_mad_co_u64_u32 v[78:79], null, v79, v218, v[78:79]
	v_mad_i32_i24 v4, v18, v239, v4
	v_mul_f32_e32 v79, v174, v240
	s_delay_alu instid0(VALU_DEP_2) | instskip(SKIP_3) | instid1(VALU_DEP_4)
	v_dot4_i32_iu8 v0, v5, v180, v4 neg_lo:[1,1,0]
	v_perm_b32 v4, v1, v1, 0xc030201
	v_perm_b32 v1, v3, v3, 0xc030201
	v_cvt_f32_i32_e32 v78, v78
	v_mad_i32_i24 v0, v17, v181, v0
	s_delay_alu instid0(VALU_DEP_2) | instskip(NEXT) | instid1(VALU_DEP_2)
	v_fmac_f32_e32 v30, v79, v78
	v_dot4_i32_iu8 v0, v4, v182, v0 neg_lo:[1,1,0]
	s_delay_alu instid0(VALU_DEP_1) | instskip(NEXT) | instid1(VALU_DEP_1)
	v_mad_i32_i24 v0, v61, v179, v0
	v_dot4_i32_iu8 v0, v2, v183, v0 neg_lo:[1,1,0]
	s_delay_alu instid0(VALU_DEP_1) | instskip(NEXT) | instid1(VALU_DEP_1)
	v_mad_i32_i24 v0, v244, v176, v0
	v_dot4_i32_iu8 v0, v1, v184, v0 neg_lo:[1,1,0]
	s_delay_alu instid0(VALU_DEP_1) | instskip(SKIP_1) | instid1(VALU_DEP_2)
	v_mad_co_u64_u32 v[6:7], null, v0, v185, v[6:7]
	v_mul_f32_e32 v0, v171, v240
	v_cvt_f32_i32_e32 v3, v6
	s_delay_alu instid0(VALU_DEP_1) | instskip(SKIP_2) | instid1(VALU_DEP_2)
	v_fmac_f32_e32 v28, v0, v3
	v_mul_i32_i24_e32 v0, v20, v224
	v_mul_i32_i24_e32 v3, v19, v173
	v_mad_i32_i24 v0, v21, v225, v0
	s_delay_alu instid0(VALU_DEP_2) | instskip(NEXT) | instid1(VALU_DEP_2)
	v_mad_i32_i24 v3, v18, v172, v3
	v_dot4_i32_iu8 v0, v9, v227, v0 neg_lo:[1,1,0]
	s_delay_alu instid0(VALU_DEP_2) | instskip(NEXT) | instid1(VALU_DEP_2)
	v_dot4_i32_iu8 v3, v5, v170, v3 neg_lo:[1,1,0]
	v_mad_i32_i24 v0, v22, v229, v0
	s_delay_alu instid0(VALU_DEP_2) | instskip(NEXT) | instid1(VALU_DEP_2)
	v_mad_i32_i24 v3, v17, v169, v3
	v_dot4_i32_iu8 v0, v8, v231, v0 neg_lo:[1,1,0]
	s_delay_alu instid0(VALU_DEP_2) | instskip(NEXT) | instid1(VALU_DEP_2)
	v_dot4_i32_iu8 v3, v4, v168, v3 neg_lo:[1,1,0]
	;; [unrolled: 6-line block ×4, first 2 shown]
	v_mul_lo_u32 v0, v0, v236
	s_delay_alu instid0(VALU_DEP_1) | instskip(SKIP_1) | instid1(VALU_DEP_2)
	v_mad_co_u64_u32 v[0:1], null, v1, v163, v[0:1]
	v_mul_f32_e32 v1, v162, v240
	v_cvt_f32_i32_e32 v0, v0
	s_delay_alu instid0(VALU_DEP_1)
	v_fmac_f32_e32 v27, v1, v0
	s_cbranch_scc1 .LBB170_12
; %bb.13:                               ;   in Loop: Header=BB170_8 Depth=2
	s_wait_loadcnt 0x0
	s_barrier_signal -1
	s_barrier_wait -1
	global_inv scope:SCOPE_SE
	scratch_load_b32 v104, off, off offset:36 ; 4-byte Folded Reload
	v_dual_mov_b32 v105, v145 :: v_dual_mov_b32 v106, v146
	v_mov_b32_e32 v145, v151
	v_dual_mov_b32 v39, v158 :: v_dual_mov_b32 v158, v144
	scratch_load_b32 v144, off, off offset:32 ; 4-byte Folded Reload
	s_cmp_eq_u32 s10, 4
	v_dual_mov_b32 v107, v147 :: v_dual_mov_b32 v108, v148
	s_cselect_b32 s11, -1, 0
	v_dual_mov_b32 v109, v149 :: v_dual_mov_b32 v110, v150
	s_wait_alu 0xfffe
	s_and_b32 vcc_lo, exec_lo, s11
	s_wait_alu 0xfffe
	s_cbranch_vccz .LBB170_8
	s_branch .LBB170_5
.LBB170_14:
	s_clause 0x1
	scratch_load_b32 v1, off, off offset:372 th:TH_LOAD_LU
	scratch_load_b32 v3, off, off offset:376
	s_wait_loadcnt 0x3
	v_mov_b32_e32 v2, v104
.LBB170_15:
	s_mov_b32 s0, exec_lo
	s_wait_loadcnt 0x0
	v_cmpx_gt_u32_e64 s6, v3
	s_cbranch_execz .LBB170_66
; %bb.16:
	v_add_nc_u32_e32 v0, s14, v2
	v_mul_lo_u32 v5, v3, s12
	s_delay_alu instid0(VALU_DEP_2)
	v_cmp_gt_u32_e32 vcc_lo, s12, v0
	s_and_saveexec_b32 s1, vcc_lo
	s_cbranch_execz .LBB170_18
; %bb.17:
	v_bfe_u32 v3, v41, 16, 1
	s_delay_alu instid0(VALU_DEP_3) | instskip(SKIP_1) | instid1(VALU_DEP_3)
	v_add_nc_u32_e32 v2, v0, v5
	v_cmp_o_f32_e64 s0, v41, v41
	v_add3_u32 v4, v41, v3, 0x7fff
	v_mov_b32_e32 v3, 0
	s_delay_alu instid0(VALU_DEP_2) | instskip(NEXT) | instid1(VALU_DEP_2)
	v_lshrrev_b32_e32 v4, 16, v4
	v_lshlrev_b64_e32 v[2:3], 1, v[2:3]
	s_delay_alu instid0(VALU_DEP_2) | instskip(SKIP_1) | instid1(VALU_DEP_2)
	v_cndmask_b32_e64 v4, 0x7fc0, v4, s0
	s_wait_kmcnt 0x0
	v_add_co_u32 v2, s0, s8, v2
	s_wait_alu 0xf1ff
	s_delay_alu instid0(VALU_DEP_3)
	v_add_co_ci_u32_e64 v3, null, s9, v3, s0
	global_store_b16 v[2:3], v4, off
.LBB170_18:
	s_or_b32 exec_lo, exec_lo, s1
	v_add_nc_u32_e32 v2, 32, v0
	s_delay_alu instid0(VALU_DEP_1)
	v_cmp_gt_u32_e64 s0, s12, v2
	s_and_saveexec_b32 s2, s0
	s_cbranch_execz .LBB170_20
; %bb.19:
	v_bfe_u32 v4, v98, 16, 1
	v_add_nc_u32_e32 v3, v2, v5
	v_cmp_o_f32_e64 s1, v98, v98
	s_delay_alu instid0(VALU_DEP_3) | instskip(SKIP_1) | instid1(VALU_DEP_2)
	v_add3_u32 v6, v98, v4, 0x7fff
	v_mov_b32_e32 v4, 0
	v_lshrrev_b32_e32 v6, 16, v6
	s_delay_alu instid0(VALU_DEP_2) | instskip(SKIP_1) | instid1(VALU_DEP_2)
	v_lshlrev_b64_e32 v[3:4], 1, v[3:4]
	s_wait_alu 0xf1ff
	v_cndmask_b32_e64 v6, 0x7fc0, v6, s1
	s_wait_kmcnt 0x0
	s_delay_alu instid0(VALU_DEP_2)
	v_add_co_u32 v3, s1, s8, v3
	s_wait_alu 0xf1ff
	v_add_co_ci_u32_e64 v4, null, s9, v4, s1
	global_store_b16 v[3:4], v6, off
.LBB170_20:
	s_wait_alu 0xfffe
	s_or_b32 exec_lo, exec_lo, s2
	v_add_nc_u32_e32 v3, 64, v0
	s_delay_alu instid0(VALU_DEP_1)
	v_cmp_gt_u32_e64 s1, s12, v3
	s_and_saveexec_b32 s3, s1
	s_cbranch_execz .LBB170_22
; %bb.21:
	v_bfe_u32 v4, v91, 16, 1
	v_dual_mov_b32 v7, 0 :: v_dual_add_nc_u32 v6, v3, v5
	v_cmp_o_f32_e64 s2, v91, v91
	s_delay_alu instid0(VALU_DEP_3) | instskip(NEXT) | instid1(VALU_DEP_3)
	v_add3_u32 v4, v91, v4, 0x7fff
	v_lshlrev_b64_e32 v[6:7], 1, v[6:7]
	s_delay_alu instid0(VALU_DEP_2) | instskip(SKIP_1) | instid1(VALU_DEP_1)
	v_lshrrev_b32_e32 v4, 16, v4
	s_wait_alu 0xf1ff
	v_cndmask_b32_e64 v4, 0x7fc0, v4, s2
	s_wait_kmcnt 0x0
	s_delay_alu instid0(VALU_DEP_3)
	v_add_co_u32 v6, s2, s8, v6
	s_wait_alu 0xf1ff
	v_add_co_ci_u32_e64 v7, null, s9, v7, s2
	global_store_b16 v[6:7], v4, off
.LBB170_22:
	s_wait_alu 0xfffe
	s_or_b32 exec_lo, exec_lo, s3
	v_add_nc_u32_e32 v4, 0x60, v0
	s_delay_alu instid0(VALU_DEP_1)
	v_cmp_gt_u32_e64 s2, s12, v4
	s_and_saveexec_b32 s4, s2
	s_cbranch_execz .LBB170_24
; %bb.23:
	v_bfe_u32 v6, v86, 16, 1
	v_add_nc_u32_e32 v5, v4, v5
	v_cmp_o_f32_e64 s3, v86, v86
	s_delay_alu instid0(VALU_DEP_3) | instskip(SKIP_1) | instid1(VALU_DEP_2)
	v_add3_u32 v7, v86, v6, 0x7fff
	v_mov_b32_e32 v6, 0
	v_lshrrev_b32_e32 v7, 16, v7
	s_delay_alu instid0(VALU_DEP_2) | instskip(SKIP_1) | instid1(VALU_DEP_2)
	v_lshlrev_b64_e32 v[5:6], 1, v[5:6]
	s_wait_alu 0xf1ff
	v_cndmask_b32_e64 v7, 0x7fc0, v7, s3
	s_wait_kmcnt 0x0
	s_delay_alu instid0(VALU_DEP_2)
	v_add_co_u32 v5, s3, s8, v5
	s_wait_alu 0xf1ff
	v_add_co_ci_u32_e64 v6, null, s9, v6, s3
	global_store_b16 v[5:6], v7, off
.LBB170_24:
	s_wait_alu 0xfffe
	s_or_b32 exec_lo, exec_lo, s4
	v_add3_u32 v5, v1, s13, 8
	s_delay_alu instid0(VALU_DEP_1)
	v_cmp_gt_u32_e64 s3, s6, v5
	s_and_b32 exec_lo, exec_lo, s3
	s_cbranch_execz .LBB170_66
; %bb.25:
	v_mul_lo_u32 v5, v5, s12
	s_and_saveexec_b32 s4, vcc_lo
	s_cbranch_execnz .LBB170_67
; %bb.26:
	s_wait_alu 0xfffe
	s_or_b32 exec_lo, exec_lo, s4
	s_and_saveexec_b32 s4, s0
	s_cbranch_execnz .LBB170_68
.LBB170_27:
	s_wait_alu 0xfffe
	s_or_b32 exec_lo, exec_lo, s4
	s_and_saveexec_b32 s4, s1
	s_cbranch_execnz .LBB170_69
.LBB170_28:
	s_wait_alu 0xfffe
	s_or_b32 exec_lo, exec_lo, s4
	s_and_saveexec_b32 s4, s2
	s_cbranch_execz .LBB170_30
.LBB170_29:
	v_bfe_u32 v6, v82, 16, 1
	v_add_nc_u32_e32 v5, v5, v4
	v_cmp_o_f32_e64 s3, v82, v82
	s_delay_alu instid0(VALU_DEP_3) | instskip(SKIP_1) | instid1(VALU_DEP_2)
	v_add3_u32 v7, v82, v6, 0x7fff
	v_mov_b32_e32 v6, 0
	v_lshrrev_b32_e32 v7, 16, v7
	s_delay_alu instid0(VALU_DEP_2) | instskip(SKIP_1) | instid1(VALU_DEP_2)
	v_lshlrev_b64_e32 v[5:6], 1, v[5:6]
	s_wait_alu 0xf1ff
	v_cndmask_b32_e64 v7, 0x7fc0, v7, s3
	s_wait_kmcnt 0x0
	s_delay_alu instid0(VALU_DEP_2)
	v_add_co_u32 v5, s3, s8, v5
	s_wait_alu 0xf1ff
	v_add_co_ci_u32_e64 v6, null, s9, v6, s3
	global_store_b16 v[5:6], v7, off
.LBB170_30:
	s_wait_alu 0xfffe
	s_or_b32 exec_lo, exec_lo, s4
	v_add3_u32 v5, v1, s13, 16
	s_delay_alu instid0(VALU_DEP_1)
	v_cmp_gt_u32_e64 s3, s6, v5
	s_and_b32 exec_lo, exec_lo, s3
	s_cbranch_execz .LBB170_66
; %bb.31:
	v_mul_lo_u32 v5, v5, s12
	s_and_saveexec_b32 s4, vcc_lo
	s_cbranch_execnz .LBB170_70
; %bb.32:
	s_wait_alu 0xfffe
	s_or_b32 exec_lo, exec_lo, s4
	s_and_saveexec_b32 s4, s0
	s_cbranch_execnz .LBB170_71
.LBB170_33:
	s_wait_alu 0xfffe
	s_or_b32 exec_lo, exec_lo, s4
	s_and_saveexec_b32 s4, s1
	s_cbranch_execnz .LBB170_72
.LBB170_34:
	s_wait_alu 0xfffe
	s_or_b32 exec_lo, exec_lo, s4
	s_and_saveexec_b32 s4, s2
	s_cbranch_execz .LBB170_36
.LBB170_35:
	v_bfe_u32 v6, v69, 16, 1
	v_add_nc_u32_e32 v5, v5, v4
	v_cmp_o_f32_e64 s3, v69, v69
	s_delay_alu instid0(VALU_DEP_3) | instskip(SKIP_1) | instid1(VALU_DEP_2)
	v_add3_u32 v7, v69, v6, 0x7fff
	v_mov_b32_e32 v6, 0
	v_lshrrev_b32_e32 v7, 16, v7
	s_delay_alu instid0(VALU_DEP_2) | instskip(SKIP_1) | instid1(VALU_DEP_2)
	v_lshlrev_b64_e32 v[5:6], 1, v[5:6]
	s_wait_alu 0xf1ff
	v_cndmask_b32_e64 v7, 0x7fc0, v7, s3
	s_wait_kmcnt 0x0
	s_delay_alu instid0(VALU_DEP_2)
	v_add_co_u32 v5, s3, s8, v5
	s_wait_alu 0xf1ff
	v_add_co_ci_u32_e64 v6, null, s9, v6, s3
	global_store_b16 v[5:6], v7, off
.LBB170_36:
	s_wait_alu 0xfffe
	s_or_b32 exec_lo, exec_lo, s4
	v_add3_u32 v5, v1, s13, 24
	s_delay_alu instid0(VALU_DEP_1)
	v_cmp_gt_u32_e64 s3, s6, v5
	s_and_b32 exec_lo, exec_lo, s3
	s_cbranch_execz .LBB170_66
; %bb.37:
	v_mul_lo_u32 v5, v5, s12
	s_and_saveexec_b32 s4, vcc_lo
	s_cbranch_execnz .LBB170_73
; %bb.38:
	s_wait_alu 0xfffe
	s_or_b32 exec_lo, exec_lo, s4
	s_and_saveexec_b32 s4, s0
	s_cbranch_execnz .LBB170_74
.LBB170_39:
	s_wait_alu 0xfffe
	s_or_b32 exec_lo, exec_lo, s4
	s_and_saveexec_b32 s4, s1
	s_cbranch_execnz .LBB170_75
.LBB170_40:
	s_wait_alu 0xfffe
	s_or_b32 exec_lo, exec_lo, s4
	s_and_saveexec_b32 s4, s2
	s_cbranch_execz .LBB170_42
.LBB170_41:
	v_bfe_u32 v6, v50, 16, 1
	v_add_nc_u32_e32 v5, v5, v4
	v_cmp_o_f32_e64 s3, v50, v50
	s_delay_alu instid0(VALU_DEP_3) | instskip(SKIP_1) | instid1(VALU_DEP_2)
	v_add3_u32 v7, v50, v6, 0x7fff
	v_mov_b32_e32 v6, 0
	v_lshrrev_b32_e32 v7, 16, v7
	s_delay_alu instid0(VALU_DEP_2) | instskip(SKIP_1) | instid1(VALU_DEP_2)
	v_lshlrev_b64_e32 v[5:6], 1, v[5:6]
	s_wait_alu 0xf1ff
	v_cndmask_b32_e64 v7, 0x7fc0, v7, s3
	s_wait_kmcnt 0x0
	s_delay_alu instid0(VALU_DEP_2)
	v_add_co_u32 v5, s3, s8, v5
	s_wait_alu 0xf1ff
	v_add_co_ci_u32_e64 v6, null, s9, v6, s3
	global_store_b16 v[5:6], v7, off
.LBB170_42:
	s_wait_alu 0xfffe
	s_or_b32 exec_lo, exec_lo, s4
	v_add3_u32 v5, v1, s13, 32
	s_delay_alu instid0(VALU_DEP_1)
	v_cmp_gt_u32_e64 s3, s6, v5
	s_and_b32 exec_lo, exec_lo, s3
	s_cbranch_execz .LBB170_66
; %bb.43:
	v_mul_lo_u32 v5, v5, s12
	s_and_saveexec_b32 s4, vcc_lo
	s_cbranch_execnz .LBB170_76
; %bb.44:
	s_wait_alu 0xfffe
	s_or_b32 exec_lo, exec_lo, s4
	s_and_saveexec_b32 s4, s0
	s_cbranch_execnz .LBB170_77
.LBB170_45:
	s_wait_alu 0xfffe
	s_or_b32 exec_lo, exec_lo, s4
	s_and_saveexec_b32 s4, s1
	s_cbranch_execnz .LBB170_78
.LBB170_46:
	s_wait_alu 0xfffe
	s_or_b32 exec_lo, exec_lo, s4
	s_and_saveexec_b32 s4, s2
	s_cbranch_execz .LBB170_48
.LBB170_47:
	v_bfe_u32 v6, v42, 16, 1
	v_add_nc_u32_e32 v5, v5, v4
	v_cmp_o_f32_e64 s3, v42, v42
	s_delay_alu instid0(VALU_DEP_3) | instskip(SKIP_1) | instid1(VALU_DEP_2)
	v_add3_u32 v7, v42, v6, 0x7fff
	v_mov_b32_e32 v6, 0
	v_lshrrev_b32_e32 v7, 16, v7
	s_delay_alu instid0(VALU_DEP_2) | instskip(SKIP_1) | instid1(VALU_DEP_2)
	v_lshlrev_b64_e32 v[5:6], 1, v[5:6]
	s_wait_alu 0xf1ff
	v_cndmask_b32_e64 v7, 0x7fc0, v7, s3
	s_wait_kmcnt 0x0
	s_delay_alu instid0(VALU_DEP_2)
	v_add_co_u32 v5, s3, s8, v5
	s_wait_alu 0xf1ff
	v_add_co_ci_u32_e64 v6, null, s9, v6, s3
	global_store_b16 v[5:6], v7, off
.LBB170_48:
	s_wait_alu 0xfffe
	s_or_b32 exec_lo, exec_lo, s4
	v_add3_u32 v5, v1, s13, 40
	s_delay_alu instid0(VALU_DEP_1)
	v_cmp_gt_u32_e64 s3, s6, v5
	s_and_b32 exec_lo, exec_lo, s3
	s_cbranch_execz .LBB170_66
; %bb.49:
	v_mul_lo_u32 v5, v5, s12
	s_and_saveexec_b32 s4, vcc_lo
	s_cbranch_execnz .LBB170_79
; %bb.50:
	s_wait_alu 0xfffe
	s_or_b32 exec_lo, exec_lo, s4
	s_and_saveexec_b32 s4, s0
	s_cbranch_execnz .LBB170_80
.LBB170_51:
	s_wait_alu 0xfffe
	s_or_b32 exec_lo, exec_lo, s4
	s_and_saveexec_b32 s4, s1
	s_cbranch_execnz .LBB170_81
.LBB170_52:
	s_wait_alu 0xfffe
	s_or_b32 exec_lo, exec_lo, s4
	s_and_saveexec_b32 s4, s2
	s_cbranch_execz .LBB170_54
.LBB170_53:
	v_bfe_u32 v6, v35, 16, 1
	v_add_nc_u32_e32 v5, v5, v4
	v_cmp_o_f32_e64 s3, v35, v35
	s_delay_alu instid0(VALU_DEP_3) | instskip(SKIP_1) | instid1(VALU_DEP_2)
	v_add3_u32 v7, v35, v6, 0x7fff
	v_mov_b32_e32 v6, 0
	v_lshrrev_b32_e32 v7, 16, v7
	s_delay_alu instid0(VALU_DEP_2) | instskip(SKIP_1) | instid1(VALU_DEP_2)
	v_lshlrev_b64_e32 v[5:6], 1, v[5:6]
	s_wait_alu 0xf1ff
	v_cndmask_b32_e64 v7, 0x7fc0, v7, s3
	s_wait_kmcnt 0x0
	s_delay_alu instid0(VALU_DEP_2)
	v_add_co_u32 v5, s3, s8, v5
	s_wait_alu 0xf1ff
	v_add_co_ci_u32_e64 v6, null, s9, v6, s3
	global_store_b16 v[5:6], v7, off
.LBB170_54:
	s_wait_alu 0xfffe
	s_or_b32 exec_lo, exec_lo, s4
	v_add3_u32 v5, v1, s13, 48
	s_delay_alu instid0(VALU_DEP_1)
	v_cmp_gt_u32_e64 s3, s6, v5
	s_and_b32 exec_lo, exec_lo, s3
	s_cbranch_execz .LBB170_66
; %bb.55:
	v_mul_lo_u32 v5, v5, s12
	s_and_saveexec_b32 s4, vcc_lo
	s_cbranch_execnz .LBB170_82
; %bb.56:
	s_wait_alu 0xfffe
	s_or_b32 exec_lo, exec_lo, s4
	s_and_saveexec_b32 s4, s0
	s_cbranch_execnz .LBB170_83
.LBB170_57:
	s_wait_alu 0xfffe
	s_or_b32 exec_lo, exec_lo, s4
	s_and_saveexec_b32 s4, s1
	s_cbranch_execnz .LBB170_84
.LBB170_58:
	s_wait_alu 0xfffe
	s_or_b32 exec_lo, exec_lo, s4
	s_and_saveexec_b32 s4, s2
	s_cbranch_execz .LBB170_60
.LBB170_59:
	v_bfe_u32 v6, v31, 16, 1
	v_add_nc_u32_e32 v5, v5, v4
	v_cmp_o_f32_e64 s3, v31, v31
	s_delay_alu instid0(VALU_DEP_3) | instskip(SKIP_1) | instid1(VALU_DEP_2)
	v_add3_u32 v7, v31, v6, 0x7fff
	v_mov_b32_e32 v6, 0
	v_lshrrev_b32_e32 v7, 16, v7
	s_delay_alu instid0(VALU_DEP_2) | instskip(SKIP_1) | instid1(VALU_DEP_2)
	v_lshlrev_b64_e32 v[5:6], 1, v[5:6]
	s_wait_alu 0xf1ff
	v_cndmask_b32_e64 v7, 0x7fc0, v7, s3
	s_wait_kmcnt 0x0
	s_delay_alu instid0(VALU_DEP_2)
	v_add_co_u32 v5, s3, s8, v5
	s_wait_alu 0xf1ff
	v_add_co_ci_u32_e64 v6, null, s9, v6, s3
	global_store_b16 v[5:6], v7, off
.LBB170_60:
	s_wait_alu 0xfffe
	s_or_b32 exec_lo, exec_lo, s4
	v_add3_u32 v1, v1, s13, 56
	s_delay_alu instid0(VALU_DEP_1)
	v_cmp_gt_u32_e64 s3, s6, v1
	s_and_b32 exec_lo, exec_lo, s3
	s_cbranch_execz .LBB170_66
; %bb.61:
	v_mul_lo_u32 v1, v1, s12
	s_and_saveexec_b32 s3, vcc_lo
	s_cbranch_execnz .LBB170_85
; %bb.62:
	s_wait_alu 0xfffe
	s_or_b32 exec_lo, exec_lo, s3
	s_and_saveexec_b32 s3, s0
	s_cbranch_execnz .LBB170_86
.LBB170_63:
	s_wait_alu 0xfffe
	s_or_b32 exec_lo, exec_lo, s3
	s_and_saveexec_b32 s0, s1
	s_cbranch_execnz .LBB170_87
.LBB170_64:
	s_wait_alu 0xfffe
	s_or_b32 exec_lo, exec_lo, s0
	s_delay_alu instid0(SALU_CYCLE_1)
	s_and_b32 exec_lo, exec_lo, s2
	s_cbranch_execz .LBB170_66
.LBB170_65:
	v_bfe_u32 v2, v27, 16, 1
	v_dual_mov_b32 v1, 0 :: v_dual_add_nc_u32 v0, v1, v4
	v_cmp_o_f32_e32 vcc_lo, v27, v27
	s_delay_alu instid0(VALU_DEP_3) | instskip(NEXT) | instid1(VALU_DEP_3)
	v_add3_u32 v2, v27, v2, 0x7fff
	v_lshlrev_b64_e32 v[0:1], 1, v[0:1]
	s_delay_alu instid0(VALU_DEP_2) | instskip(SKIP_1) | instid1(VALU_DEP_1)
	v_lshrrev_b32_e32 v2, 16, v2
	s_wait_alu 0xfffd
	v_cndmask_b32_e32 v2, 0x7fc0, v2, vcc_lo
	s_wait_kmcnt 0x0
	s_delay_alu instid0(VALU_DEP_3)
	v_add_co_u32 v0, vcc_lo, s8, v0
	s_wait_alu 0xfffd
	v_add_co_ci_u32_e64 v1, null, s9, v1, vcc_lo
	global_store_b16 v[0:1], v2, off
.LBB170_66:
	s_nop 0
	s_sendmsg sendmsg(MSG_DEALLOC_VGPRS)
	s_endpgm
.LBB170_67:
	v_bfe_u32 v7, v85, 16, 1
	s_delay_alu instid0(VALU_DEP_2) | instskip(SKIP_1) | instid1(VALU_DEP_3)
	v_add_nc_u32_e32 v6, v5, v0
	v_cmp_o_f32_e64 s3, v85, v85
	v_add3_u32 v8, v85, v7, 0x7fff
	v_mov_b32_e32 v7, 0
	s_delay_alu instid0(VALU_DEP_2) | instskip(NEXT) | instid1(VALU_DEP_2)
	v_lshrrev_b32_e32 v8, 16, v8
	v_lshlrev_b64_e32 v[6:7], 1, v[6:7]
	s_wait_alu 0xf1ff
	s_delay_alu instid0(VALU_DEP_2) | instskip(SKIP_1) | instid1(VALU_DEP_2)
	v_cndmask_b32_e64 v8, 0x7fc0, v8, s3
	s_wait_kmcnt 0x0
	v_add_co_u32 v6, s3, s8, v6
	s_wait_alu 0xf1ff
	v_add_co_ci_u32_e64 v7, null, s9, v7, s3
	global_store_b16 v[6:7], v8, off
	s_wait_alu 0xfffe
	s_or_b32 exec_lo, exec_lo, s4
	s_and_saveexec_b32 s4, s0
	s_cbranch_execz .LBB170_27
.LBB170_68:
	v_bfe_u32 v7, v84, 16, 1
	v_add_nc_u32_e32 v6, v5, v2
	v_cmp_o_f32_e64 s3, v84, v84
	s_delay_alu instid0(VALU_DEP_3) | instskip(SKIP_1) | instid1(VALU_DEP_2)
	v_add3_u32 v8, v84, v7, 0x7fff
	v_mov_b32_e32 v7, 0
	v_lshrrev_b32_e32 v8, 16, v8
	s_delay_alu instid0(VALU_DEP_2) | instskip(SKIP_1) | instid1(VALU_DEP_2)
	v_lshlrev_b64_e32 v[6:7], 1, v[6:7]
	s_wait_alu 0xf1ff
	v_cndmask_b32_e64 v8, 0x7fc0, v8, s3
	s_wait_kmcnt 0x0
	s_delay_alu instid0(VALU_DEP_2)
	v_add_co_u32 v6, s3, s8, v6
	s_wait_alu 0xf1ff
	v_add_co_ci_u32_e64 v7, null, s9, v7, s3
	global_store_b16 v[6:7], v8, off
	s_wait_alu 0xfffe
	s_or_b32 exec_lo, exec_lo, s4
	s_and_saveexec_b32 s4, s1
	s_cbranch_execz .LBB170_28
.LBB170_69:
	v_bfe_u32 v7, v83, 16, 1
	v_add_nc_u32_e32 v6, v5, v3
	v_cmp_o_f32_e64 s3, v83, v83
	s_delay_alu instid0(VALU_DEP_3) | instskip(SKIP_1) | instid1(VALU_DEP_2)
	v_add3_u32 v8, v83, v7, 0x7fff
	v_mov_b32_e32 v7, 0
	v_lshrrev_b32_e32 v8, 16, v8
	s_delay_alu instid0(VALU_DEP_2) | instskip(SKIP_1) | instid1(VALU_DEP_2)
	v_lshlrev_b64_e32 v[6:7], 1, v[6:7]
	s_wait_alu 0xf1ff
	v_cndmask_b32_e64 v8, 0x7fc0, v8, s3
	s_wait_kmcnt 0x0
	s_delay_alu instid0(VALU_DEP_2)
	v_add_co_u32 v6, s3, s8, v6
	s_wait_alu 0xf1ff
	v_add_co_ci_u32_e64 v7, null, s9, v7, s3
	global_store_b16 v[6:7], v8, off
	s_wait_alu 0xfffe
	s_or_b32 exec_lo, exec_lo, s4
	s_and_saveexec_b32 s4, s2
	s_cbranch_execnz .LBB170_29
	s_branch .LBB170_30
.LBB170_70:
	v_bfe_u32 v7, v80, 16, 1
	s_delay_alu instid0(VALU_DEP_2) | instskip(SKIP_1) | instid1(VALU_DEP_3)
	v_add_nc_u32_e32 v6, v5, v0
	v_cmp_o_f32_e64 s3, v80, v80
	v_add3_u32 v8, v80, v7, 0x7fff
	v_mov_b32_e32 v7, 0
	s_delay_alu instid0(VALU_DEP_2) | instskip(NEXT) | instid1(VALU_DEP_2)
	v_lshrrev_b32_e32 v8, 16, v8
	v_lshlrev_b64_e32 v[6:7], 1, v[6:7]
	s_wait_alu 0xf1ff
	s_delay_alu instid0(VALU_DEP_2) | instskip(SKIP_1) | instid1(VALU_DEP_2)
	v_cndmask_b32_e64 v8, 0x7fc0, v8, s3
	s_wait_kmcnt 0x0
	v_add_co_u32 v6, s3, s8, v6
	s_wait_alu 0xf1ff
	v_add_co_ci_u32_e64 v7, null, s9, v7, s3
	global_store_b16 v[6:7], v8, off
	s_wait_alu 0xfffe
	s_or_b32 exec_lo, exec_lo, s4
	s_and_saveexec_b32 s4, s0
	s_cbranch_execz .LBB170_33
.LBB170_71:
	v_bfe_u32 v7, v77, 16, 1
	v_add_nc_u32_e32 v6, v5, v2
	v_cmp_o_f32_e64 s3, v77, v77
	s_delay_alu instid0(VALU_DEP_3) | instskip(SKIP_1) | instid1(VALU_DEP_2)
	v_add3_u32 v8, v77, v7, 0x7fff
	v_mov_b32_e32 v7, 0
	v_lshrrev_b32_e32 v8, 16, v8
	s_delay_alu instid0(VALU_DEP_2) | instskip(SKIP_1) | instid1(VALU_DEP_2)
	v_lshlrev_b64_e32 v[6:7], 1, v[6:7]
	s_wait_alu 0xf1ff
	v_cndmask_b32_e64 v8, 0x7fc0, v8, s3
	s_wait_kmcnt 0x0
	s_delay_alu instid0(VALU_DEP_2)
	v_add_co_u32 v6, s3, s8, v6
	s_wait_alu 0xf1ff
	v_add_co_ci_u32_e64 v7, null, s9, v7, s3
	global_store_b16 v[6:7], v8, off
	s_wait_alu 0xfffe
	s_or_b32 exec_lo, exec_lo, s4
	s_and_saveexec_b32 s4, s1
	s_cbranch_execz .LBB170_34
.LBB170_72:
	v_bfe_u32 v7, v73, 16, 1
	v_add_nc_u32_e32 v6, v5, v3
	v_cmp_o_f32_e64 s3, v73, v73
	s_delay_alu instid0(VALU_DEP_3) | instskip(SKIP_1) | instid1(VALU_DEP_2)
	v_add3_u32 v8, v73, v7, 0x7fff
	v_mov_b32_e32 v7, 0
	v_lshrrev_b32_e32 v8, 16, v8
	s_delay_alu instid0(VALU_DEP_2) | instskip(SKIP_1) | instid1(VALU_DEP_2)
	v_lshlrev_b64_e32 v[6:7], 1, v[6:7]
	s_wait_alu 0xf1ff
	v_cndmask_b32_e64 v8, 0x7fc0, v8, s3
	s_wait_kmcnt 0x0
	s_delay_alu instid0(VALU_DEP_2)
	v_add_co_u32 v6, s3, s8, v6
	s_wait_alu 0xf1ff
	v_add_co_ci_u32_e64 v7, null, s9, v7, s3
	global_store_b16 v[6:7], v8, off
	s_wait_alu 0xfffe
	s_or_b32 exec_lo, exec_lo, s4
	s_and_saveexec_b32 s4, s2
	s_cbranch_execnz .LBB170_35
	s_branch .LBB170_36
.LBB170_73:
	v_bfe_u32 v7, v62, 16, 1
	s_delay_alu instid0(VALU_DEP_2) | instskip(SKIP_1) | instid1(VALU_DEP_3)
	v_add_nc_u32_e32 v6, v5, v0
	v_cmp_o_f32_e64 s3, v62, v62
	v_add3_u32 v8, v62, v7, 0x7fff
	v_mov_b32_e32 v7, 0
	s_delay_alu instid0(VALU_DEP_2) | instskip(NEXT) | instid1(VALU_DEP_2)
	v_lshrrev_b32_e32 v8, 16, v8
	v_lshlrev_b64_e32 v[6:7], 1, v[6:7]
	s_wait_alu 0xf1ff
	s_delay_alu instid0(VALU_DEP_2) | instskip(SKIP_1) | instid1(VALU_DEP_2)
	v_cndmask_b32_e64 v8, 0x7fc0, v8, s3
	s_wait_kmcnt 0x0
	v_add_co_u32 v6, s3, s8, v6
	s_wait_alu 0xf1ff
	v_add_co_ci_u32_e64 v7, null, s9, v7, s3
	global_store_b16 v[6:7], v8, off
	s_wait_alu 0xfffe
	s_or_b32 exec_lo, exec_lo, s4
	s_and_saveexec_b32 s4, s0
	s_cbranch_execz .LBB170_39
.LBB170_74:
	v_bfe_u32 v7, v58, 16, 1
	v_add_nc_u32_e32 v6, v5, v2
	v_cmp_o_f32_e64 s3, v58, v58
	s_delay_alu instid0(VALU_DEP_3) | instskip(SKIP_1) | instid1(VALU_DEP_2)
	v_add3_u32 v8, v58, v7, 0x7fff
	v_mov_b32_e32 v7, 0
	v_lshrrev_b32_e32 v8, 16, v8
	s_delay_alu instid0(VALU_DEP_2) | instskip(SKIP_1) | instid1(VALU_DEP_2)
	v_lshlrev_b64_e32 v[6:7], 1, v[6:7]
	s_wait_alu 0xf1ff
	v_cndmask_b32_e64 v8, 0x7fc0, v8, s3
	s_wait_kmcnt 0x0
	s_delay_alu instid0(VALU_DEP_2)
	v_add_co_u32 v6, s3, s8, v6
	s_wait_alu 0xf1ff
	v_add_co_ci_u32_e64 v7, null, s9, v7, s3
	global_store_b16 v[6:7], v8, off
	s_wait_alu 0xfffe
	s_or_b32 exec_lo, exec_lo, s4
	s_and_saveexec_b32 s4, s1
	s_cbranch_execz .LBB170_40
.LBB170_75:
	v_bfe_u32 v7, v55, 16, 1
	v_add_nc_u32_e32 v6, v5, v3
	v_cmp_o_f32_e64 s3, v55, v55
	s_delay_alu instid0(VALU_DEP_3) | instskip(SKIP_1) | instid1(VALU_DEP_2)
	v_add3_u32 v8, v55, v7, 0x7fff
	v_mov_b32_e32 v7, 0
	v_lshrrev_b32_e32 v8, 16, v8
	s_delay_alu instid0(VALU_DEP_2) | instskip(SKIP_1) | instid1(VALU_DEP_2)
	v_lshlrev_b64_e32 v[6:7], 1, v[6:7]
	s_wait_alu 0xf1ff
	v_cndmask_b32_e64 v8, 0x7fc0, v8, s3
	s_wait_kmcnt 0x0
	s_delay_alu instid0(VALU_DEP_2)
	v_add_co_u32 v6, s3, s8, v6
	s_wait_alu 0xf1ff
	v_add_co_ci_u32_e64 v7, null, s9, v7, s3
	global_store_b16 v[6:7], v8, off
	s_wait_alu 0xfffe
	s_or_b32 exec_lo, exec_lo, s4
	s_and_saveexec_b32 s4, s2
	s_cbranch_execnz .LBB170_41
	s_branch .LBB170_42
.LBB170_76:
	v_bfe_u32 v7, v45, 16, 1
	s_delay_alu instid0(VALU_DEP_2) | instskip(SKIP_1) | instid1(VALU_DEP_3)
	v_add_nc_u32_e32 v6, v5, v0
	v_cmp_o_f32_e64 s3, v45, v45
	v_add3_u32 v8, v45, v7, 0x7fff
	v_mov_b32_e32 v7, 0
	s_delay_alu instid0(VALU_DEP_2) | instskip(NEXT) | instid1(VALU_DEP_2)
	v_lshrrev_b32_e32 v8, 16, v8
	v_lshlrev_b64_e32 v[6:7], 1, v[6:7]
	s_wait_alu 0xf1ff
	s_delay_alu instid0(VALU_DEP_2) | instskip(SKIP_1) | instid1(VALU_DEP_2)
	v_cndmask_b32_e64 v8, 0x7fc0, v8, s3
	s_wait_kmcnt 0x0
	v_add_co_u32 v6, s3, s8, v6
	s_wait_alu 0xf1ff
	v_add_co_ci_u32_e64 v7, null, s9, v7, s3
	global_store_b16 v[6:7], v8, off
	s_wait_alu 0xfffe
	s_or_b32 exec_lo, exec_lo, s4
	s_and_saveexec_b32 s4, s0
	s_cbranch_execz .LBB170_45
.LBB170_77:
	v_bfe_u32 v7, v44, 16, 1
	v_add_nc_u32_e32 v6, v5, v2
	v_cmp_o_f32_e64 s3, v44, v44
	s_delay_alu instid0(VALU_DEP_3) | instskip(SKIP_1) | instid1(VALU_DEP_2)
	v_add3_u32 v8, v44, v7, 0x7fff
	v_mov_b32_e32 v7, 0
	v_lshrrev_b32_e32 v8, 16, v8
	s_delay_alu instid0(VALU_DEP_2) | instskip(SKIP_1) | instid1(VALU_DEP_2)
	v_lshlrev_b64_e32 v[6:7], 1, v[6:7]
	s_wait_alu 0xf1ff
	v_cndmask_b32_e64 v8, 0x7fc0, v8, s3
	s_wait_kmcnt 0x0
	s_delay_alu instid0(VALU_DEP_2)
	v_add_co_u32 v6, s3, s8, v6
	s_wait_alu 0xf1ff
	v_add_co_ci_u32_e64 v7, null, s9, v7, s3
	global_store_b16 v[6:7], v8, off
	s_wait_alu 0xfffe
	s_or_b32 exec_lo, exec_lo, s4
	s_and_saveexec_b32 s4, s1
	s_cbranch_execz .LBB170_46
.LBB170_78:
	v_bfe_u32 v7, v43, 16, 1
	v_add_nc_u32_e32 v6, v5, v3
	v_cmp_o_f32_e64 s3, v43, v43
	s_delay_alu instid0(VALU_DEP_3) | instskip(SKIP_1) | instid1(VALU_DEP_2)
	v_add3_u32 v8, v43, v7, 0x7fff
	v_mov_b32_e32 v7, 0
	v_lshrrev_b32_e32 v8, 16, v8
	s_delay_alu instid0(VALU_DEP_2) | instskip(SKIP_1) | instid1(VALU_DEP_2)
	v_lshlrev_b64_e32 v[6:7], 1, v[6:7]
	s_wait_alu 0xf1ff
	v_cndmask_b32_e64 v8, 0x7fc0, v8, s3
	s_wait_kmcnt 0x0
	s_delay_alu instid0(VALU_DEP_2)
	v_add_co_u32 v6, s3, s8, v6
	s_wait_alu 0xf1ff
	v_add_co_ci_u32_e64 v7, null, s9, v7, s3
	global_store_b16 v[6:7], v8, off
	s_wait_alu 0xfffe
	s_or_b32 exec_lo, exec_lo, s4
	s_and_saveexec_b32 s4, s2
	s_cbranch_execnz .LBB170_47
	s_branch .LBB170_48
.LBB170_79:
	v_bfe_u32 v7, v40, 16, 1
	s_delay_alu instid0(VALU_DEP_2) | instskip(SKIP_1) | instid1(VALU_DEP_3)
	v_add_nc_u32_e32 v6, v5, v0
	v_cmp_o_f32_e64 s3, v40, v40
	v_add3_u32 v8, v40, v7, 0x7fff
	v_mov_b32_e32 v7, 0
	s_delay_alu instid0(VALU_DEP_2) | instskip(NEXT) | instid1(VALU_DEP_2)
	v_lshrrev_b32_e32 v8, 16, v8
	v_lshlrev_b64_e32 v[6:7], 1, v[6:7]
	s_wait_alu 0xf1ff
	s_delay_alu instid0(VALU_DEP_2) | instskip(SKIP_1) | instid1(VALU_DEP_2)
	v_cndmask_b32_e64 v8, 0x7fc0, v8, s3
	s_wait_kmcnt 0x0
	v_add_co_u32 v6, s3, s8, v6
	s_wait_alu 0xf1ff
	v_add_co_ci_u32_e64 v7, null, s9, v7, s3
	global_store_b16 v[6:7], v8, off
	s_wait_alu 0xfffe
	s_or_b32 exec_lo, exec_lo, s4
	s_and_saveexec_b32 s4, s0
	s_cbranch_execz .LBB170_51
.LBB170_80:
	v_bfe_u32 v7, v37, 16, 1
	v_add_nc_u32_e32 v6, v5, v2
	v_cmp_o_f32_e64 s3, v37, v37
	s_delay_alu instid0(VALU_DEP_3) | instskip(SKIP_1) | instid1(VALU_DEP_2)
	v_add3_u32 v8, v37, v7, 0x7fff
	v_mov_b32_e32 v7, 0
	v_lshrrev_b32_e32 v8, 16, v8
	s_delay_alu instid0(VALU_DEP_2) | instskip(SKIP_1) | instid1(VALU_DEP_2)
	v_lshlrev_b64_e32 v[6:7], 1, v[6:7]
	s_wait_alu 0xf1ff
	v_cndmask_b32_e64 v8, 0x7fc0, v8, s3
	s_wait_kmcnt 0x0
	s_delay_alu instid0(VALU_DEP_2)
	v_add_co_u32 v6, s3, s8, v6
	s_wait_alu 0xf1ff
	v_add_co_ci_u32_e64 v7, null, s9, v7, s3
	global_store_b16 v[6:7], v8, off
	s_wait_alu 0xfffe
	s_or_b32 exec_lo, exec_lo, s4
	s_and_saveexec_b32 s4, s1
	s_cbranch_execz .LBB170_52
.LBB170_81:
	v_bfe_u32 v7, v36, 16, 1
	v_add_nc_u32_e32 v6, v5, v3
	v_cmp_o_f32_e64 s3, v36, v36
	s_delay_alu instid0(VALU_DEP_3) | instskip(SKIP_1) | instid1(VALU_DEP_2)
	v_add3_u32 v8, v36, v7, 0x7fff
	v_mov_b32_e32 v7, 0
	v_lshrrev_b32_e32 v8, 16, v8
	s_delay_alu instid0(VALU_DEP_2) | instskip(SKIP_1) | instid1(VALU_DEP_2)
	v_lshlrev_b64_e32 v[6:7], 1, v[6:7]
	s_wait_alu 0xf1ff
	v_cndmask_b32_e64 v8, 0x7fc0, v8, s3
	s_wait_kmcnt 0x0
	s_delay_alu instid0(VALU_DEP_2)
	v_add_co_u32 v6, s3, s8, v6
	s_wait_alu 0xf1ff
	v_add_co_ci_u32_e64 v7, null, s9, v7, s3
	global_store_b16 v[6:7], v8, off
	s_wait_alu 0xfffe
	s_or_b32 exec_lo, exec_lo, s4
	s_and_saveexec_b32 s4, s2
	s_cbranch_execnz .LBB170_53
	s_branch .LBB170_54
.LBB170_82:
	v_bfe_u32 v7, v34, 16, 1
	s_delay_alu instid0(VALU_DEP_2) | instskip(SKIP_1) | instid1(VALU_DEP_3)
	v_add_nc_u32_e32 v6, v5, v0
	v_cmp_o_f32_e64 s3, v34, v34
	v_add3_u32 v8, v34, v7, 0x7fff
	v_mov_b32_e32 v7, 0
	s_delay_alu instid0(VALU_DEP_2) | instskip(NEXT) | instid1(VALU_DEP_2)
	v_lshrrev_b32_e32 v8, 16, v8
	v_lshlrev_b64_e32 v[6:7], 1, v[6:7]
	s_wait_alu 0xf1ff
	s_delay_alu instid0(VALU_DEP_2) | instskip(SKIP_1) | instid1(VALU_DEP_2)
	v_cndmask_b32_e64 v8, 0x7fc0, v8, s3
	s_wait_kmcnt 0x0
	v_add_co_u32 v6, s3, s8, v6
	s_wait_alu 0xf1ff
	v_add_co_ci_u32_e64 v7, null, s9, v7, s3
	global_store_b16 v[6:7], v8, off
	s_wait_alu 0xfffe
	s_or_b32 exec_lo, exec_lo, s4
	s_and_saveexec_b32 s4, s0
	s_cbranch_execz .LBB170_57
.LBB170_83:
	v_bfe_u32 v7, v33, 16, 1
	v_add_nc_u32_e32 v6, v5, v2
	v_cmp_o_f32_e64 s3, v33, v33
	s_delay_alu instid0(VALU_DEP_3) | instskip(SKIP_1) | instid1(VALU_DEP_2)
	v_add3_u32 v8, v33, v7, 0x7fff
	v_mov_b32_e32 v7, 0
	v_lshrrev_b32_e32 v8, 16, v8
	s_delay_alu instid0(VALU_DEP_2) | instskip(SKIP_1) | instid1(VALU_DEP_2)
	v_lshlrev_b64_e32 v[6:7], 1, v[6:7]
	s_wait_alu 0xf1ff
	v_cndmask_b32_e64 v8, 0x7fc0, v8, s3
	s_wait_kmcnt 0x0
	s_delay_alu instid0(VALU_DEP_2)
	v_add_co_u32 v6, s3, s8, v6
	s_wait_alu 0xf1ff
	v_add_co_ci_u32_e64 v7, null, s9, v7, s3
	global_store_b16 v[6:7], v8, off
	s_wait_alu 0xfffe
	s_or_b32 exec_lo, exec_lo, s4
	s_and_saveexec_b32 s4, s1
	s_cbranch_execz .LBB170_58
.LBB170_84:
	v_bfe_u32 v7, v32, 16, 1
	v_add_nc_u32_e32 v6, v5, v3
	v_cmp_o_f32_e64 s3, v32, v32
	s_delay_alu instid0(VALU_DEP_3) | instskip(SKIP_1) | instid1(VALU_DEP_2)
	v_add3_u32 v8, v32, v7, 0x7fff
	v_mov_b32_e32 v7, 0
	v_lshrrev_b32_e32 v8, 16, v8
	s_delay_alu instid0(VALU_DEP_2) | instskip(SKIP_1) | instid1(VALU_DEP_2)
	v_lshlrev_b64_e32 v[6:7], 1, v[6:7]
	s_wait_alu 0xf1ff
	v_cndmask_b32_e64 v8, 0x7fc0, v8, s3
	s_wait_kmcnt 0x0
	s_delay_alu instid0(VALU_DEP_2)
	v_add_co_u32 v6, s3, s8, v6
	s_wait_alu 0xf1ff
	v_add_co_ci_u32_e64 v7, null, s9, v7, s3
	global_store_b16 v[6:7], v8, off
	s_wait_alu 0xfffe
	s_or_b32 exec_lo, exec_lo, s4
	s_and_saveexec_b32 s4, s2
	s_cbranch_execnz .LBB170_59
	s_branch .LBB170_60
.LBB170_85:
	v_bfe_u32 v6, v30, 16, 1
	s_delay_alu instid0(VALU_DEP_2) | instskip(SKIP_1) | instid1(VALU_DEP_3)
	v_add_nc_u32_e32 v5, v1, v0
	v_cmp_o_f32_e32 vcc_lo, v30, v30
	v_add3_u32 v0, v30, v6, 0x7fff
	v_mov_b32_e32 v6, 0
	s_delay_alu instid0(VALU_DEP_2) | instskip(NEXT) | instid1(VALU_DEP_2)
	v_lshrrev_b32_e32 v0, 16, v0
	v_lshlrev_b64_e32 v[5:6], 1, v[5:6]
	s_wait_alu 0xfffd
	s_delay_alu instid0(VALU_DEP_2) | instskip(SKIP_1) | instid1(VALU_DEP_2)
	v_cndmask_b32_e32 v0, 0x7fc0, v0, vcc_lo
	s_wait_kmcnt 0x0
	v_add_co_u32 v5, vcc_lo, s8, v5
	s_wait_alu 0xfffd
	v_add_co_ci_u32_e64 v6, null, s9, v6, vcc_lo
	global_store_b16 v[5:6], v0, off
	s_wait_alu 0xfffe
	s_or_b32 exec_lo, exec_lo, s3
	s_and_saveexec_b32 s3, s0
	s_cbranch_execz .LBB170_63
.LBB170_86:
	v_bfe_u32 v0, v29, 16, 1
	v_dual_mov_b32 v6, 0 :: v_dual_add_nc_u32 v5, v1, v2
	v_cmp_o_f32_e32 vcc_lo, v29, v29
	s_delay_alu instid0(VALU_DEP_3) | instskip(NEXT) | instid1(VALU_DEP_3)
	v_add3_u32 v0, v29, v0, 0x7fff
	v_lshlrev_b64_e32 v[5:6], 1, v[5:6]
	s_delay_alu instid0(VALU_DEP_2) | instskip(SKIP_1) | instid1(VALU_DEP_1)
	v_lshrrev_b32_e32 v0, 16, v0
	s_wait_alu 0xfffd
	v_cndmask_b32_e32 v0, 0x7fc0, v0, vcc_lo
	s_wait_kmcnt 0x0
	s_delay_alu instid0(VALU_DEP_3)
	v_add_co_u32 v5, vcc_lo, s8, v5
	s_wait_alu 0xfffd
	v_add_co_ci_u32_e64 v6, null, s9, v6, vcc_lo
	global_store_b16 v[5:6], v0, off
	s_wait_alu 0xfffe
	s_or_b32 exec_lo, exec_lo, s3
	s_and_saveexec_b32 s0, s1
	s_cbranch_execz .LBB170_64
.LBB170_87:
	v_bfe_u32 v0, v28, 16, 1
	v_dual_mov_b32 v3, 0 :: v_dual_add_nc_u32 v2, v1, v3
	v_cmp_o_f32_e32 vcc_lo, v28, v28
	s_delay_alu instid0(VALU_DEP_3) | instskip(NEXT) | instid1(VALU_DEP_3)
	v_add3_u32 v0, v28, v0, 0x7fff
	v_lshlrev_b64_e32 v[2:3], 1, v[2:3]
	s_delay_alu instid0(VALU_DEP_2) | instskip(SKIP_1) | instid1(VALU_DEP_1)
	v_lshrrev_b32_e32 v0, 16, v0
	s_wait_alu 0xfffd
	v_cndmask_b32_e32 v0, 0x7fc0, v0, vcc_lo
	s_wait_kmcnt 0x0
	s_delay_alu instid0(VALU_DEP_3)
	v_add_co_u32 v2, vcc_lo, s8, v2
	s_wait_alu 0xfffd
	v_add_co_ci_u32_e64 v3, null, s9, v3, vcc_lo
	global_store_b16 v[2:3], v0, off
	s_wait_alu 0xfffe
	s_or_b32 exec_lo, exec_lo, s0
	s_delay_alu instid0(SALU_CYCLE_1)
	s_and_b32 exec_lo, exec_lo, s2
	s_cbranch_execnz .LBB170_65
	s_branch .LBB170_66
	.section	.rodata,"a",@progbits
	.p2align	6, 0x0
	.amdhsa_kernel _ZL12mul_mat_q3_KIN3c108BFloat16ELb1EEvPKvS3_PT_iiiii
		.amdhsa_group_segment_fixed_size 39840
		.amdhsa_private_segment_fixed_size 384
		.amdhsa_kernarg_size 44
		.amdhsa_user_sgpr_count 2
		.amdhsa_user_sgpr_dispatch_ptr 0
		.amdhsa_user_sgpr_queue_ptr 0
		.amdhsa_user_sgpr_kernarg_segment_ptr 1
		.amdhsa_user_sgpr_dispatch_id 0
		.amdhsa_user_sgpr_private_segment_size 0
		.amdhsa_wavefront_size32 1
		.amdhsa_uses_dynamic_stack 0
		.amdhsa_enable_private_segment 1
		.amdhsa_system_sgpr_workgroup_id_x 1
		.amdhsa_system_sgpr_workgroup_id_y 1
		.amdhsa_system_sgpr_workgroup_id_z 0
		.amdhsa_system_sgpr_workgroup_info 0
		.amdhsa_system_vgpr_workitem_id 1
		.amdhsa_next_free_vgpr 256
		.amdhsa_next_free_sgpr 25
		.amdhsa_reserve_vcc 1
		.amdhsa_float_round_mode_32 0
		.amdhsa_float_round_mode_16_64 0
		.amdhsa_float_denorm_mode_32 3
		.amdhsa_float_denorm_mode_16_64 3
		.amdhsa_fp16_overflow 0
		.amdhsa_workgroup_processor_mode 1
		.amdhsa_memory_ordered 1
		.amdhsa_forward_progress 1
		.amdhsa_inst_pref_size 255
		.amdhsa_round_robin_scheduling 0
		.amdhsa_exception_fp_ieee_invalid_op 0
		.amdhsa_exception_fp_denorm_src 0
		.amdhsa_exception_fp_ieee_div_zero 0
		.amdhsa_exception_fp_ieee_overflow 0
		.amdhsa_exception_fp_ieee_underflow 0
		.amdhsa_exception_fp_ieee_inexact 0
		.amdhsa_exception_int_div_zero 0
	.end_amdhsa_kernel
	.section	.text._ZL12mul_mat_q3_KIN3c108BFloat16ELb1EEvPKvS3_PT_iiiii,"axG",@progbits,_ZL12mul_mat_q3_KIN3c108BFloat16ELb1EEvPKvS3_PT_iiiii,comdat
.Lfunc_end170:
	.size	_ZL12mul_mat_q3_KIN3c108BFloat16ELb1EEvPKvS3_PT_iiiii, .Lfunc_end170-_ZL12mul_mat_q3_KIN3c108BFloat16ELb1EEvPKvS3_PT_iiiii
                                        ; -- End function
	.set _ZL12mul_mat_q3_KIN3c108BFloat16ELb1EEvPKvS3_PT_iiiii.num_vgpr, 256
	.set _ZL12mul_mat_q3_KIN3c108BFloat16ELb1EEvPKvS3_PT_iiiii.num_agpr, 0
	.set _ZL12mul_mat_q3_KIN3c108BFloat16ELb1EEvPKvS3_PT_iiiii.numbered_sgpr, 25
	.set _ZL12mul_mat_q3_KIN3c108BFloat16ELb1EEvPKvS3_PT_iiiii.num_named_barrier, 0
	.set _ZL12mul_mat_q3_KIN3c108BFloat16ELb1EEvPKvS3_PT_iiiii.private_seg_size, 384
	.set _ZL12mul_mat_q3_KIN3c108BFloat16ELb1EEvPKvS3_PT_iiiii.uses_vcc, 1
	.set _ZL12mul_mat_q3_KIN3c108BFloat16ELb1EEvPKvS3_PT_iiiii.uses_flat_scratch, 1
	.set _ZL12mul_mat_q3_KIN3c108BFloat16ELb1EEvPKvS3_PT_iiiii.has_dyn_sized_stack, 0
	.set _ZL12mul_mat_q3_KIN3c108BFloat16ELb1EEvPKvS3_PT_iiiii.has_recursion, 0
	.set _ZL12mul_mat_q3_KIN3c108BFloat16ELb1EEvPKvS3_PT_iiiii.has_indirect_call, 0
	.section	.AMDGPU.csdata,"",@progbits
; Kernel info:
; codeLenInByte = 46284
; TotalNumSgprs: 27
; NumVgprs: 256
; ScratchSize: 384
; MemoryBound: 0
; FloatMode: 240
; IeeeMode: 1
; LDSByteSize: 39840 bytes/workgroup (compile time only)
; SGPRBlocks: 0
; VGPRBlocks: 31
; NumSGPRsForWavesPerEU: 27
; NumVGPRsForWavesPerEU: 256
; Occupancy: 5
; WaveLimiterHint : 0
; COMPUTE_PGM_RSRC2:SCRATCH_EN: 1
; COMPUTE_PGM_RSRC2:USER_SGPR: 2
; COMPUTE_PGM_RSRC2:TRAP_HANDLER: 0
; COMPUTE_PGM_RSRC2:TGID_X_EN: 1
; COMPUTE_PGM_RSRC2:TGID_Y_EN: 1
; COMPUTE_PGM_RSRC2:TGID_Z_EN: 0
; COMPUTE_PGM_RSRC2:TIDIG_COMP_CNT: 1
	.section	.text._ZL12mul_mat_q4_KIN3c108BFloat16ELb0EEvPKvS3_PT_iiiii,"axG",@progbits,_ZL12mul_mat_q4_KIN3c108BFloat16ELb0EEvPKvS3_PT_iiiii,comdat
	.globl	_ZL12mul_mat_q4_KIN3c108BFloat16ELb0EEvPKvS3_PT_iiiii ; -- Begin function _ZL12mul_mat_q4_KIN3c108BFloat16ELb0EEvPKvS3_PT_iiiii
	.p2align	8
	.type	_ZL12mul_mat_q4_KIN3c108BFloat16ELb0EEvPKvS3_PT_iiiii,@function
_ZL12mul_mat_q4_KIN3c108BFloat16ELb0EEvPKvS3_PT_iiiii: ; @_ZL12mul_mat_q4_KIN3c108BFloat16ELb0EEvPKvS3_PT_iiiii
; %bb.0:
	s_clause 0x1
	s_load_b32 s2, s[0:1], 0x18
	s_load_b96 s[4:6], s[0:1], 0x20
	v_bfe_u32 v1, v0, 10, 10
	v_and_b32_e32 v33, 0x3ff, v0
	s_lshl_b32 s7, ttmp7, 6
	scratch_store_b32 off, v1, off offset:1424 ; 4-byte Folded Spill
	s_wait_kmcnt 0x0
	s_cmp_gt_i32 s2, 0xff
	s_cbranch_scc1 .LBB171_2
; %bb.1:
	v_bfe_u32 v1, v0, 10, 10
	v_and_b32_e32 v2, 0x3ff, v0
	s_mov_b32 s3, 0
	s_delay_alu instid0(VALU_DEP_2)
	v_add_nc_u32_e32 v3, s7, v1
	s_branch .LBB171_3
.LBB171_2:
	s_mov_b32 s3, -1
                                        ; implicit-def: $vgpr1
                                        ; implicit-def: $vgpr2
                                        ; implicit-def: $vgpr3
.LBB171_3:
	s_load_b64 s[8:9], s[0:1], 0x10
	v_dual_mov_b32 v45, 0 :: v_dual_mov_b32 v58, 0
	v_dual_mov_b32 v9, 0 :: v_dual_mov_b32 v62, 0
	;; [unrolled: 1-line block ×14, first 2 shown]
	v_mov_b32_e32 v57, 0
	v_mov_b32_e32 v61, 0
	;; [unrolled: 1-line block ×4, first 2 shown]
	s_and_not1_b32 vcc_lo, exec_lo, s3
	s_lshl_b32 s14, ttmp9, 7
	s_cbranch_vccnz .LBB171_11
; %bb.4:
	s_ashr_i32 s3, s2, 31
	v_bfe_u32 v32, v0, 10, 10
	s_lshr_b32 s3, s3, 24
	v_dual_mov_b32 v61, 0 :: v_dual_lshlrev_b32 v20, 2, v33
	s_add_co_i32 s2, s2, s3
	s_delay_alu instid0(VALU_DEP_2)
	v_dual_mov_b32 v127, 0 :: v_dual_add_nc_u32 v16, s7, v32
	s_ashr_i32 s15, s2, 8
	s_add_co_i32 s16, s4, -1
	s_lshl_b32 s17, s15, 3
	v_cvt_f64_i32_e32 v[1:2], s16
	v_mad_i32_i24 v8, s15, v32, s17
	v_dual_mov_b32 v70, 0 :: v_dual_add_nc_u32 v7, 16, v16
	v_cvt_f64_u32_e32 v[3:4], v16
	v_add_nc_u32_e32 v9, 24, v16
	s_delay_alu instid0(VALU_DEP_4)
	v_add_nc_u32_e32 v12, s17, v8
	scratch_store_b32 off, v8, off offset:1428 ; 4-byte Folded Spill
	v_add_nc_u32_e32 v11, 32, v16
	v_mov_b32_e32 v65, 0
	v_cvt_f64_u32_e32 v[7:8], v7
	v_add_nc_u32_e32 v18, s17, v12
	scratch_store_b32 off, v12, off offset:1432 ; 4-byte Folded Spill
	v_dual_mov_b32 v130, 0 :: v_dual_add_nc_u32 v13, 40, v16
	v_dual_mov_b32 v60, 0 :: v_dual_add_nc_u32 v19, s17, v18
	s_clause 0x1
	scratch_store_b32 off, v18, off offset:1436
	scratch_store_b32 off, v16, off offset:1560
	v_dual_mov_b32 v68, 0 :: v_dual_add_nc_u32 v15, 48, v16
	v_mov_b32_e32 v240, 0
	scratch_store_b32 off, v19, off offset:1440 ; 4-byte Folded Spill
	v_add_nc_u32_e32 v19, s17, v19
	v_dual_mov_b32 v64, 0 :: v_dual_add_nc_u32 v17, 56, v16
	v_cvt_f64_u32_e32 v[9:10], v9
	v_cvt_f64_u32_e32 v[11:12], v11
	scratch_store_b32 off, v19, off offset:1444 ; 4-byte Folded Spill
	v_dual_mov_b32 v62, 0 :: v_dual_add_nc_u32 v19, s17, v19
	v_cvt_f64_u32_e32 v[13:14], v13
	v_cvt_f64_u32_e32 v[17:18], v17
	v_lshlrev_b32_e32 v72, 5, v32
	scratch_store_b32 off, v19, off offset:1452 ; 4-byte Folded Spill
	v_add_nc_u32_e32 v19, s17, v19
	v_lshlrev_b32_e32 v28, 3, v32
	s_ashr_i32 s10, s5, 31
	v_bfe_u32 v34, v0, 5, 5
	v_mov_b32_e32 v97, 0
	v_add_nc_u32_e32 v29, s17, v19
	scratch_store_b32 off, v19, off offset:1456 ; 4-byte Folded Spill
	v_and_b32_e32 v19, 3, v0
	v_min_num_f64_e32 v[3:4], v[3:4], v[1:2]
	v_dual_mov_b32 v73, 0 :: v_dual_add_nc_u32 v30, s17, v29
	scratch_store_b32 off, v29, off offset:1460 ; 4-byte Folded Spill
	v_cmp_gt_u32_e32 vcc_lo, 2, v19
	v_min_num_f64_e32 v[7:8], v[7:8], v[1:2]
	v_mov_b32_e32 v63, 0
	scratch_store_b32 off, v30, off offset:1464 ; 4-byte Folded Spill
	v_add_nc_u32_e32 v30, s17, v30
	v_bfe_u32 v29, v0, 2, 8
	s_lshr_b32 s10, s10, 27
	v_add_nc_u32_e32 v21, 8, v32
	s_add_co_i32 s5, s5, s10
	v_add_nc_u32_e32 v31, s17, v30
	scratch_store_b32 off, v30, off offset:1468 ; 4-byte Folded Spill
	v_dual_mov_b32 v59, 0 :: v_dual_and_b32 v30, 0x7c, v20
	s_ashr_i32 s5, s5, 5
	scratch_store_b32 off, v31, off offset:1472 ; 4-byte Folded Spill
	v_add_nc_u32_e32 v35, s17, v31
	scratch_store_b32 off, v30, off offset:1476 ; 4-byte Folded Spill
	v_add_nc_u32_e32 v31, 0xfe, v19
	v_mad_u32_u24 v30, 0x84, v32, v20
	v_min_num_f64_e32 v[9:10], v[9:10], v[1:2]
	v_min_num_f64_e32 v[11:12], v[11:12], v[1:2]
	scratch_store_b32 off, v35, off offset:1484 ; 4-byte Folded Spill
	v_and_b32_e32 v31, 0xff, v31
	v_add_nc_u32_e32 v5, 8, v16
	v_cvt_f64_u32_e32 v[15:16], v15
	v_min_num_f64_e32 v[13:14], v[13:14], v[1:2]
	v_add_nc_u32_e32 v35, s17, v35
	scratch_store_b32 off, v30, off offset:1480 ; 4-byte Folded Spill
	v_cvt_f64_u32_e32 v[5:6], v5
	v_add_nc_u32_e32 v30, v72, v33
	v_dual_mov_b32 v57, 0 :: v_dual_add_nc_u32 v22, 16, v32
	scratch_store_b32 off, v35, off offset:1488 ; 4-byte Folded Spill
	v_add_nc_u32_e32 v35, s17, v35
	v_cvt_i32_f64_e32 v3, v[3:4]
	v_add_nc_u32_e32 v23, 24, v32
	v_dual_mov_b32 v69, 0 :: v_dual_add_nc_u32 v24, 32, v32
	s_load_b128 s[0:3], s[0:1], 0x0
	v_dual_mov_b32 v66, 0 :: v_dual_add_nc_u32 v25, 40, v32
	v_add_nc_u32_e32 v26, 48, v32
	v_dual_mov_b32 v58, 0 :: v_dual_add_nc_u32 v27, 56, v32
	s_movk_i32 s20, 0x3180
	s_mul_i32 s10, s15, s14
	s_movk_i32 s18, 0x1080
	s_movk_i32 s19, 0x2100
	s_ashr_i32 s11, s10, 31
	v_mul_u32_u24_e32 v76, 0x84, v33
	v_mad_u32_u24 v185, 0x84, v33, s18
	v_mad_u32_u24 v245, 0x84, v33, s19
	v_lshlrev_b32_e32 v78, 2, v20
	s_mul_u64 s[12:13], s[10:11], 0x90
	s_mov_b32 s11, 0
	v_mov_b32_e32 v71, 0
	s_mov_b32 s10, s11
	v_mov_b32_e32 v67, 0
	s_wait_kmcnt 0x0
	s_add_nc_u64 s[0:1], s[0:1], s[12:13]
	v_mov_b32_e32 v45, 0
	v_min_num_f64_e32 v[15:16], v[15:16], v[1:2]
	v_min_num_f64_e32 v[5:6], v[5:6], v[1:2]
	;; [unrolled: 1-line block ×3, first 2 shown]
	v_and_b32_e32 v18, 0x7f, v30
	v_lshrrev_b32_e32 v17, 3, v30
	s_delay_alu instid0(VALU_DEP_2) | instskip(SKIP_1) | instid1(VALU_DEP_3)
	v_lshlrev_b32_e32 v30, 2, v18
	v_mul_i32_i24_e32 v18, s15, v18
	v_and_b32_e32 v17, 12, v17
	s_clause 0x1
	scratch_store_b32 off, v18, off offset:1496
	scratch_store_b32 off, v35, off offset:1492
	v_add_nc_u32_e32 v18, s17, v35
	v_add3_u32 v17, v30, v17, 0x6e40
	v_and_b32_e32 v30, 4, v20
	scratch_store_b32 off, v18, off offset:1500 ; 4-byte Folded Spill
	v_cndmask_b32_e32 v18, v31, v19, vcc_lo
	v_cmp_ne_u32_e32 vcc_lo, 0, v19
	s_wait_alu 0xfffd
	s_delay_alu instid0(VALU_DEP_2) | instskip(SKIP_1) | instid1(VALU_DEP_2)
	v_add_co_ci_u32_e64 v4, null, 0, v18, vcc_lo
	v_cmp_lt_u32_e32 vcc_lo, 1, v19
	v_lshlrev_b32_e32 v4, 2, v4
	v_cvt_i32_f64_e32 v5, v[5:6]
	v_cvt_i32_f64_e32 v6, v[7:8]
	s_wait_alu 0xfffd
	v_cndmask_b32_e32 v7, 0, v30, vcc_lo
	scratch_store_b32 off, v17, off offset:1504 ; 4-byte Folded Spill
	v_cvt_i32_f64_e32 v1, v[1:2]
	v_add_nc_u32_e32 v17, v29, v28
	scratch_store_b32 off, v7, off offset:1508 ; 4-byte Folded Spill
	v_cvt_i32_f64_e32 v7, v[9:10]
	v_cvt_i32_f64_e32 v9, v[11:12]
	;; [unrolled: 1-line block ×4, first 2 shown]
	v_add_nc_u16 v10, v29, v28
	v_and_b32_e32 v8, 0x7f, v17
	v_lshlrev_b32_e32 v14, 2, v19
	v_lshlrev_b32_e32 v16, 1, v18
	v_and_b32_e32 v17, 63, v17
	v_lshrrev_b16 v10, 1, v10
	v_xor_b32_e32 v15, 64, v8
	v_lshl_or_b32 v2, v8, 4, v14
	v_mul_i32_i24_e32 v8, s15, v8
	scratch_store_b32 off, v16, off offset:1512 ; 4-byte Folded Spill
	v_and_b32_e32 v10, 60, v10
	v_lshrrev_b32_e32 v16, 1, v15
	v_lshlrev_b32_e32 v18, 2, v34
	v_cndmask_b32_e64 v12, 0, 1, vcc_lo
	s_delay_alu instid0(VALU_DEP_4)
	v_add3_u32 v2, v2, v10, 0x6200
	scratch_store_b32 off, v8, off offset:1516 ; 4-byte Folded Spill
	v_lshl_or_b32 v8, v15, 4, v14
	v_and_b32_e32 v16, 60, v16
	v_lshl_or_b32 v14, v17, 4, v14
	scratch_store_b32 off, v2, off offset:1520 ; 4-byte Folded Spill
	v_or_b32_e32 v2, s7, v17
	v_mul_i32_i24_e32 v10, s15, v15
	v_add3_u32 v8, v8, v16, 0x6200
	v_add3_u32 v18, v18, v20, 0x6e40
	v_lshlrev_b32_e32 v17, 7, v27
	v_min_i32_e32 v2, s16, v2
	scratch_store_b32 off, v18, off offset:1364 ; 4-byte Folded Spill
	v_mul_lo_u32 v1, s5, v1
	v_mad_co_u64_u32 v[15:16], null, v2, s5, v[19:20]
	v_add_nc_u32_e32 v2, 0x6a40, v14
	v_add_nc_u32_e32 v14, 0x60, v33
	scratch_store_b32 off, v2, off offset:1328 ; 4-byte Folded Spill
	v_mul_lo_u32 v2, s5, v3
	v_mul_lo_u32 v3, s5, v5
	;; [unrolled: 1-line block ×7, first 2 shown]
	v_add_nc_u32_e32 v13, 64, v33
	s_delay_alu instid0(VALU_DEP_1)
	v_lshlrev_b32_e32 v180, 4, v13
	s_clause 0x1
	scratch_store_b32 off, v11, off offset:1356
	scratch_store_b64 off, v[15:16], off offset:1532
	v_add_nc_u32_e32 v11, 32, v33
	v_lshrrev_b32_e32 v16, 3, v14
	s_delay_alu instid0(VALU_DEP_2) | instskip(NEXT) | instid1(VALU_DEP_2)
	v_lshrrev_b32_e32 v30, 3, v11
	v_and_b32_e32 v29, 60, v16
	v_lshlrev_b32_e32 v128, 4, v11
	v_lshlrev_b32_e32 v11, 4, v14
	s_delay_alu instid0(VALU_DEP_4) | instskip(SKIP_1) | instid1(VALU_DEP_2)
	v_and_b32_e32 v19, 60, v30
	v_lshlrev_b32_e32 v186, 2, v30
	v_add3_u32 v18, v20, v19, 0x6e40
	scratch_store_b32 off, v1, off offset:1360 ; 4-byte Folded Spill
	v_lshrrev_b32_e32 v1, 3, v13
	v_mov_b32_e32 v19, 0
	v_lshlrev_b32_e32 v15, 7, v26
	scratch_store_b32 off, v18, off offset:1368 ; 4-byte Folded Spill
	v_and_b32_e32 v28, 60, v1
	v_lshlrev_b32_e32 v253, 2, v1
	s_delay_alu instid0(VALU_DEP_2)
	v_add3_u32 v18, v20, v28, 0x6e40
	scratch_store_b32 off, v18, off offset:1372 ; 4-byte Folded Spill
	v_add3_u32 v18, v20, v29, 0x6e40
	scratch_store_b32 off, v18, off offset:1376 ; 4-byte Folded Spill
	v_lshlrev_b32_e32 v18, 5, v21
	s_clause 0x1
	scratch_store_b32 off, v10, off offset:1524
	scratch_store_b32 off, v2, off offset:1332
	v_and_b32_e32 v10, 31, v0
	v_lshlrev_b32_e32 v2, 7, v32
	scratch_store_b32 off, v18, off offset:1252 ; 4-byte Folded Spill
	v_lshlrev_b32_e32 v18, 5, v22
	s_clause 0x1
	scratch_store_b32 off, v8, off offset:1528
	scratch_store_b32 off, v3, off offset:1336
	v_and_b32_e32 v8, 28, v20
	v_lshl_or_b32 v10, v10, 2, 0x4200
	scratch_store_b32 off, v18, off offset:1256 ; 4-byte Folded Spill
	v_lshlrev_b32_e32 v18, 5, v23
	scratch_store_b32 off, v5, off offset:1340 ; 4-byte Folded Spill
	v_add_co_u32 v13, s5, s2, v8
	s_wait_alu 0xf1ff
	v_add_co_ci_u32_e64 v14, null, s3, 0, s5
	scratch_store_b32 off, v18, off offset:1260 ; 4-byte Folded Spill
	v_lshlrev_b32_e32 v18, 5, v24
	scratch_store_b32 off, v6, off offset:1344 ; 4-byte Folded Spill
	v_add_nc_u32_e32 v2, v10, v2
	v_lshlrev_b32_e32 v5, 7, v22
	v_lshlrev_b32_e32 v6, 7, v23
	scratch_store_b32 off, v18, off offset:1264 ; 4-byte Folded Spill
	v_lshlrev_b32_e32 v18, 5, v25
	scratch_store_b32 off, v7, off offset:1348 ; 4-byte Folded Spill
	v_lshlrev_b32_e32 v7, 7, v24
	v_bfe_u32 v0, v0, 3, 7
	scratch_store_b32 off, v18, off offset:1268 ; 4-byte Folded Spill
	v_lshlrev_b32_e32 v18, 5, v26
	scratch_store_b32 off, v9, off offset:1352 ; 4-byte Folded Spill
	v_lshlrev_b32_e32 v9, 7, v25
	v_lshlrev_b32_e32 v77, 2, v0
	scratch_store_b32 off, v18, off offset:1272 ; 4-byte Folded Spill
	v_lshlrev_b32_e32 v18, 5, v27
	s_clause 0x3
	scratch_store_b32 off, v34, off offset:1448
	scratch_store_b32 off, v18, off offset:1276
	;; [unrolled: 1-line block ×4, first 2 shown]
	v_mad_u32_u24 v11, 0x84, v33, s20
	v_dual_mov_b32 v18, 0 :: v_dual_lshlrev_b32 v3, 7, v21
	s_clause 0x3
	scratch_store_b64 off, v[13:14], off offset:1380
	scratch_store_b32 off, v4, off offset:1548
	scratch_store_b32 off, v11, off offset:1304
	;; [unrolled: 1-line block ×3, first 2 shown]
	v_lshlrev_b32_e32 v4, 2, v12
	v_add_nc_u32_e32 v2, v10, v3
	v_dual_mov_b32 v12, 0 :: v_dual_mov_b32 v11, 0
	v_mov_b32_e32 v14, 0
	s_clause 0x1
	scratch_store_b32 off, v4, off offset:1552
	scratch_store_b32 off, v2, off offset:1392
	v_dual_mov_b32 v13, 0 :: v_dual_add_nc_u32 v2, v10, v5
	scratch_store_b32 off, v2, off offset:1396 ; 4-byte Folded Spill
	v_add_nc_u32_e32 v2, v10, v6
	scratch_store_b32 off, v2, off offset:1400 ; 4-byte Folded Spill
	v_add_nc_u32_e32 v2, v10, v7
	scratch_store_b32 off, v2, off offset:1404 ; 4-byte Folded Spill
	v_dual_mov_b32 v9, 0 :: v_dual_add_nc_u32 v2, v10, v9
	scratch_store_b32 off, v2, off offset:1408 ; 4-byte Folded Spill
	v_dual_mov_b32 v15, 0 :: v_dual_add_nc_u32 v2, v10, v15
	scratch_store_b32 off, v2, off offset:1412 ; 4-byte Folded Spill
	v_add_nc_u32_e32 v2, v10, v17
	s_clause 0x1
	scratch_store_b32 off, v2, off offset:1416
	scratch_store_b32 off, v0, off offset:1544
	v_lshlrev_b32_e32 v0, 2, v16
	v_mov_b32_e32 v16, 0
	v_dual_mov_b32 v10, 0 :: v_dual_mov_b32 v17, 0
	s_clause 0xb
	scratch_store_b32 off, v30, off offset:1540
	scratch_store_b32 off, v0, off offset:1324
	;; [unrolled: 1-line block ×12, first 2 shown]
.LBB171_5:                              ; =>This Loop Header: Depth=1
                                        ;     Child Loop BB171_6 Depth 2
                                        ;     Child Loop BB171_8 Depth 2
	s_clause 0x19
	scratch_store_b32 off, v73, off offset:800
	scratch_store_b32 off, v71, off offset:796
	;; [unrolled: 1-line block ×26, first 2 shown]
	s_clause 0xa
	scratch_load_b32 v0, off, off offset:1448
	scratch_load_b32 v2, off, off offset:1424
	;; [unrolled: 1-line block ×11, first 2 shown]
	s_mul_u64 s[12:13], s[10:11], 0x90
	s_lshl_b32 s5, s10, 3
	s_wait_alu 0xfffe
	s_add_nc_u64 s[12:13], s[0:1], s[12:13]
	s_mov_b32 s17, 0
	s_wait_loadcnt 0xa
	s_wait_alu 0xfffe
	v_mad_co_u64_u32 v[0:1], null, 0x90, v0, s[12:13]
	s_wait_loadcnt 0x9
	v_mul_i32_i24_e32 v2, s15, v2
	s_delay_alu instid0(VALU_DEP_1)
	v_mad_co_u64_u32 v[2:3], null, 0x90, v2, v[0:1]
	s_wait_loadcnt 0x8
	v_mad_co_u64_u32 v[4:5], null, 0x90, v4, v[0:1]
	s_wait_loadcnt 0x7
	;; [unrolled: 2-line block ×4, first 2 shown]
	v_add_co_u32 v2, vcc_lo, v2, v28
	v_mad_co_u64_u32 v[10:11], null, 0x90, v10, v[0:1]
	s_wait_alu 0xfffd
	v_add_co_ci_u32_e64 v3, null, 0, v3, vcc_lo
	v_add_co_u32 v4, vcc_lo, v4, v28
	v_mad_co_u64_u32 v[12:13], null, 0x90, v12, v[0:1]
	s_wait_alu 0xfffd
	v_add_co_ci_u32_e64 v5, null, 0, v5, vcc_lo
	;; [unrolled: 4-line block ×3, first 2 shown]
	v_add_co_u32 v8, vcc_lo, v8, v28
	s_wait_loadcnt 0x1
	v_mad_co_u64_u32 v[16:17], null, 0x90, v16, v[0:1]
	s_wait_alu 0xfffd
	v_add_co_ci_u32_e64 v9, null, 0, v9, vcc_lo
	v_add_co_u32 v10, vcc_lo, v10, v28
	s_wait_alu 0xfffd
	v_add_co_ci_u32_e64 v11, null, 0, v11, vcc_lo
	v_add_co_u32 v12, vcc_lo, v12, v28
	;; [unrolled: 3-line block ×4, first 2 shown]
	s_wait_alu 0xfffd
	v_add_co_ci_u32_e64 v17, null, 0, v17, vcc_lo
	s_clause 0x7
	global_load_b32 v20, v[2:3], off offset:16
	global_load_b32 v21, v[4:5], off offset:16
	;; [unrolled: 1-line block ×8, first 2 shown]
	s_clause 0x6
	scratch_load_b32 v2, off, off offset:1464
	scratch_load_b32 v6, off, off offset:1468
	;; [unrolled: 1-line block ×7, first 2 shown]
	s_wait_loadcnt 0xf
	v_mad_co_u64_u32 v[18:19], null, 0x90, v18, v[0:1]
	s_delay_alu instid0(VALU_DEP_1) | instskip(SKIP_1) | instid1(VALU_DEP_2)
	v_add_co_u32 v4, vcc_lo, v18, v28
	s_wait_alu 0xfffd
	v_add_co_ci_u32_e64 v5, null, 0, v19, vcc_lo
	s_wait_loadcnt 0x6
	v_mad_co_u64_u32 v[2:3], null, 0x90, v2, v[0:1]
	s_wait_loadcnt 0x5
	v_mad_co_u64_u32 v[6:7], null, 0x90, v6, v[0:1]
	s_wait_loadcnt 0x4
	v_mad_co_u64_u32 v[8:9], null, 0x90, v8, v[0:1]
	s_wait_loadcnt 0x3
	v_mad_co_u64_u32 v[10:11], null, 0x90, v10, v[0:1]
	s_delay_alu instid0(VALU_DEP_4)
	v_add_co_u32 v2, vcc_lo, v2, v28
	s_wait_loadcnt 0x2
	v_mad_co_u64_u32 v[12:13], null, 0x90, v12, v[0:1]
	s_wait_alu 0xfffd
	v_add_co_ci_u32_e64 v3, null, 0, v3, vcc_lo
	v_add_co_u32 v6, vcc_lo, v6, v28
	s_wait_loadcnt 0x1
	v_mad_co_u64_u32 v[14:15], null, 0x90, v14, v[0:1]
	s_wait_alu 0xfffd
	v_add_co_ci_u32_e64 v7, null, 0, v7, vcc_lo
	;; [unrolled: 5-line block ×3, first 2 shown]
	v_add_co_u32 v10, vcc_lo, v10, v28
	s_wait_alu 0xfffd
	v_add_co_ci_u32_e64 v11, null, 0, v11, vcc_lo
	v_add_co_u32 v12, vcc_lo, v12, v28
	s_wait_alu 0xfffd
	v_add_co_ci_u32_e64 v13, null, 0, v13, vcc_lo
	v_add_co_u32 v14, vcc_lo, v14, v28
	scratch_load_b32 v16, off, off offset:1516 ; 4-byte Folded Reload
	s_wait_alu 0xfffd
	v_add_co_ci_u32_e64 v15, null, 0, v15, vcc_lo
	v_add_co_u32 v0, vcc_lo, v0, v28
	s_wait_alu 0xfffd
	v_add_co_ci_u32_e64 v1, null, 0, v1, vcc_lo
	s_clause 0x7
	global_load_b32 v28, v[4:5], off offset:16
	global_load_b32 v29, v[2:3], off offset:16
	;; [unrolled: 1-line block ×8, first 2 shown]
	s_clause 0x4
	scratch_load_b32 v0, off, off offset:1496
	scratch_load_b32 v2, off, off offset:1524
	scratch_load_b32 v8, off, off offset:1548
	scratch_load_b32 v11, off, off offset:1552
	scratch_load_b32 v10, off, off offset:1544
	s_wait_loadcnt 0xd
	v_mad_co_u64_u32 v[16:17], null, 0x90, v16, s[12:13]
	s_wait_loadcnt 0x4
	v_mad_co_u64_u32 v[0:1], null, 0x90, v0, s[12:13]
	s_wait_loadcnt 0x2
	s_delay_alu instid0(VALU_DEP_2)
	v_add_co_u32 v4, vcc_lo, v16, v8
	s_wait_loadcnt 0x0
	v_add_nc_u32_e32 v14, s5, v10
	scratch_load_b32 v10, off, off offset:1332 ; 4-byte Folded Reload
	v_mad_co_u64_u32 v[2:3], null, 0x90, v2, s[12:13]
	s_wait_alu 0xfffd
	v_add_co_ci_u32_e64 v5, null, 0, v17, vcc_lo
	v_add_co_u32 v6, vcc_lo, v16, v11
	s_wait_alu 0xfffd
	v_add_co_ci_u32_e64 v7, null, 0, v17, vcc_lo
	s_delay_alu instid0(VALU_DEP_4)
	v_add_co_u32 v8, vcc_lo, v2, v8
	s_wait_alu 0xfffd
	v_add_co_ci_u32_e64 v9, null, 0, v3, vcc_lo
	v_add_co_u32 v2, vcc_lo, v2, v11
	s_wait_alu 0xfffd
	v_add_co_ci_u32_e64 v3, null, 0, v3, vcc_lo
	s_clause 0x3
	global_load_b32 v36, v[4:5], off offset:4
	global_load_b32 v37, v[6:7], off offset:4
	global_load_b32 v38, v[8:9], off offset:4
	global_load_b32 v39, v[2:3], off offset:4
	s_clause 0x7
	scratch_load_b64 v[2:3], off, off offset:1532
	scratch_load_b64 v[40:41], off, off offset:1380
	scratch_load_b32 v9, off, off offset:1352
	scratch_load_b32 v12, off, off offset:1356
	;; [unrolled: 1-line block ×6, first 2 shown]
	s_mov_b32 s12, -1
	s_wait_loadcnt 0xc
	v_add_nc_u32_e32 v10, v14, v10
	s_wait_loadcnt 0x7
	v_add_nc_u32_e32 v13, s5, v2
	scratch_load_b32 v2, off, off offset:1336 ; 4-byte Folded Reload
	s_wait_loadcnt 0x5
	v_add_nc_u32_e32 v16, v14, v12
	s_wait_loadcnt 0x4
	v_add_nc_u32_e32 v18, v14, v17
	scratch_store_b32 off, v13, off offset:1420 ; 4-byte Folded Spill
	v_mad_co_u64_u32 v[12:13], null, v13, 36, s[2:3]
	v_mad_co_i64_i32 v[16:17], null, v16, 36, v[40:41]
	v_mad_co_i64_i32 v[18:19], null, v18, 36, v[40:41]
	s_wait_loadcnt 0x3
	v_add_nc_u32_e32 v6, v14, v5
	s_wait_loadcnt 0x2
	v_add_nc_u32_e32 v8, v14, v7
	;; [unrolled: 2-line block ×3, first 2 shown]
	v_mad_co_i64_i32 v[6:7], null, v6, 36, v[40:41]
	s_wait_loadcnt 0x0
	v_add_nc_u32_e32 v4, v14, v2
	v_mad_co_i64_i32 v[2:3], null, v10, 36, v[40:41]
	v_add_nc_u32_e32 v10, v14, v9
	v_mad_co_i64_i32 v[8:9], null, v8, 36, v[40:41]
	s_delay_alu instid0(VALU_DEP_4) | instskip(NEXT) | instid1(VALU_DEP_3)
	v_mad_co_i64_i32 v[4:5], null, v4, 36, v[40:41]
	v_mad_co_i64_i32 v[10:11], null, v10, 36, v[40:41]
	;; [unrolled: 1-line block ×3, first 2 shown]
	s_clause 0x2
	global_load_b32 v6, v[6:7], off offset:4
	global_load_b32 v7, v[10:11], off offset:4
	global_load_b32 v10, v[12:13], off
	global_load_b32 v0, v[0:1], off
	s_clause 0x5
	global_load_b32 v1, v[2:3], off offset:4
	global_load_b32 v2, v[8:9], off offset:4
	;; [unrolled: 1-line block ×6, first 2 shown]
	s_clause 0x2
	scratch_load_b32 v74, off, off offset:1480
	scratch_load_b32 v44, off, off offset:1508
	;; [unrolled: 1-line block ×3, first 2 shown]
	s_wait_loadcnt 0x2
	v_add_nc_u32_e32 v5, 0x420, v74
	v_add_nc_u32_e32 v11, 0x840, v74
	;; [unrolled: 1-line block ×14, first 2 shown]
	s_wait_loadcnt 0x1
	v_ashrrev_i32_e32 v36, v44, v36
	v_ashrrev_i32_e32 v38, v44, v38
	v_add_nc_u32_e32 v44, 0x3de0, v74
	ds_store_b32 v74, v20
	ds_store_b32 v5, v21
	;; [unrolled: 1-line block ×16, first 2 shown]
	scratch_load_b32 v11, off, off offset:1396 ; 4-byte Folded Reload
	s_wait_loadcnt 0x1
	v_ashrrev_i32_e32 v37, v75, v37
	v_and_b32_e32 v36, 0xf0f0f0f, v36
	v_ashrrev_i32_e32 v39, v75, v39
	v_and_b32_e32 v38, 0xf0f0f0f, v38
	s_delay_alu instid0(VALU_DEP_3)
	v_and_or_b32 v5, 0x30303030, v37, v36
	s_wait_loadcnt 0x0
	ds_store_b32 v11, v6
	scratch_load_b32 v6, off, off offset:1408 ; 4-byte Folded Reload
	s_wait_loadcnt 0x0
	ds_store_b32 v6, v7
	s_clause 0x1
	scratch_load_b32 v7, off, off offset:1504
	scratch_load_b32 v6, off, off offset:1328
	s_wait_loadcnt 0x1
	ds_store_b32 v7, v0
	scratch_load_b32 v0, off, off offset:1520 ; 4-byte Folded Reload
	s_wait_loadcnt 0x0
	ds_store_b32 v0, v5
	scratch_load_b32 v0, off, off offset:1388 ; 4-byte Folded Reload
	ds_store_b32 v6, v10
	v_and_or_b32 v6, 0x30303030, v39, v38
	s_wait_loadcnt 0x0
	ds_store_b32 v0, v1
	scratch_load_b32 v0, off, off offset:1400 ; 4-byte Folded Reload
	s_wait_loadcnt 0x0
	ds_store_b32 v0, v2
	scratch_load_b32 v0, off, off offset:1412 ; 4-byte Folded Reload
	;; [unrolled: 3-line block ×6, first 2 shown]
	s_wait_loadcnt 0x0
	ds_store_b32 v0, v8
	s_wait_storecnt_dscnt 0x0
	s_barrier_signal -1
	s_barrier_wait -1
	global_inv scope:SCOPE_SE
	s_clause 0x3
	scratch_load_b32 v0, off, off offset:1364
	scratch_load_b32 v1, off, off offset:1368
	scratch_load_b32 v2, off, off offset:1372
	scratch_load_b32 v3, off, off offset:1376
	s_wait_loadcnt 0x3
	ds_load_b32 v0, v0
	s_wait_loadcnt 0x2
	ds_load_b32 v1, v1 offset:128
	s_wait_loadcnt 0x1
	ds_load_b32 v2, v2 offset:256
	;; [unrolled: 2-line block ×3, first 2 shown]
	s_wait_dscnt 0x3
	v_lshrrev_b32_e32 v4, 16, v0
	v_cvt_f32_f16_e32 v0, v0
	scratch_store_b32 off, v0, off offset:1176 ; 4-byte Folded Spill
	s_wait_dscnt 0x2
	v_cvt_f32_f16_e32 v0, v1
	scratch_store_b32 off, v0, off offset:804 ; 4-byte Folded Spill
	v_lshrrev_b32_e32 v0, 16, v1
	s_wait_dscnt 0x1
	v_cvt_f32_f16_e32 v1, v2
	s_delay_alu instid0(VALU_DEP_2)
	v_cvt_f32_f16_e32 v0, v0
	scratch_store_b32 off, v1, off offset:140 ; 4-byte Folded Spill
	v_lshrrev_b32_e32 v1, 16, v2
	s_wait_dscnt 0x0
	v_lshrrev_b32_e32 v2, 16, v3
	v_cvt_f32_f16_e32 v3, v3
	scratch_store_b32 off, v0, off offset:812 ; 4-byte Folded Spill
	v_cvt_f32_f16_e32 v0, v1
	scratch_store_b32 off, v0, off offset:144 ; 4-byte Folded Spill
	v_cvt_f32_f16_e32 v0, v2
	scratch_store_b32 off, v3, off          ; 4-byte Folded Spill
	v_cvt_f32_f16_e32 v3, v4
	s_clause 0x1
	scratch_store_b32 off, v0, off offset:4
	scratch_store_b32 off, v3, off offset:808
.LBB171_6:                              ;   Parent Loop BB171_5 Depth=1
                                        ; =>  This Inner Loop Header: Depth=2
	s_wait_alu 0xfffe
	s_lshr_b32 s16, s17, 2
	s_lshl_b32 s13, s17, 1
	s_lshl_b32 s17, s17, 2
	s_clause 0x3
	scratch_store_b32 off, v130, off offset:824
	scratch_store_b32 off, v97, off offset:820
	;; [unrolled: 1-line block ×4, first 2 shown]
	s_wait_alu 0xfffe
	v_add_nc_u32_e32 v9, s17, v76
	v_or_b32_e32 v0, s13, v72
	s_addk_co_i32 s16, 0x6200
	s_and_b32 vcc_lo, exec_lo, s12
	s_wait_alu 0xfffe
	v_add3_u32 v8, s16, v77, v78
	ds_load_2addr_b32 v[17:18], v9 offset1:1
	v_lshlrev_b32_e32 v1, 2, v0
	v_lshrrev_b32_e32 v87, 1, v0
	s_mov_b32 s12, 0
	s_wait_dscnt 0x0
	v_and_b32_e32 v0, 0xf0f0f0f, v17
	v_bfe_u32 v19, v17, 24, 4
	v_bfe_u32 v130, v17, 16, 4
	v_lshrrev_b32_e32 v152, 28, v17
	v_bfe_u32 v150, v17, 20, 4
	v_lshrrev_b16 v14, 8, v0
	ds_load_b128 v[10:13], v1 offset:16896
	ds_load_b128 v[44:47], v1 offset:16912
	ds_load_b128 v[4:7], v1 offset:16928
	ds_load_b128 v[0:3], v1 offset:16944
	v_bfe_u32 v151, v17, 4, 4
	v_mov_b32_e32 v248, v19
	s_wait_dscnt 0x3
	v_lshrrev_b16 v15, 8, v10
	v_lshrrev_b16 v16, 8, v11
	v_ashrrev_i32_e32 v123, 24, v11
	v_bfe_i32 v120, v11, 0, 8
	v_bfe_i32 v125, v10, 16, 8
	;; [unrolled: 1-line block ×3, first 2 shown]
	v_bfe_u32 v15, v18, 24, 4
	v_bfe_i32 v121, v16, 0, 8
	v_and_b32_e32 v16, 15, v18
	v_and_b32_e32 v14, 0xffff, v14
	v_bfe_i32 v124, v10, 0, 8
	v_mul_i32_i24_e32 v51, v15, v123
	v_mov_b32_e32 v234, v15
	v_mul_i32_i24_e32 v48, v16, v120
	v_mov_b32_e32 v239, v16
	ds_load_2addr_b32 v[15:16], v9 offset0:2 offset1:3
	v_ashrrev_i32_e32 v126, 24, v10
	v_mul_i32_i24_e32 v10, v14, v129
	v_mov_b32_e32 v233, v14
	v_bfe_i32 v122, v11, 16, 8
	v_bfe_u32 v11, v18, 16, 4
	v_and_b32_e32 v14, 0xf0f0f0f, v18
	v_lshrrev_b16 v26, 8, v12
	v_ashrrev_i32_e32 v119, 24, v12
	v_bfe_i32 v118, v12, 16, 8
	v_mov_b32_e32 v235, v11
	v_lshrrev_b16 v14, 8, v14
	v_mul_i32_i24_e32 v50, v11, v122
	v_bfe_i32 v116, v12, 0, 8
	v_bfe_i32 v117, v26, 0, 8
	v_lshrrev_b16 v30, 8, v13
	v_ashrrev_i32_e32 v104, 24, v13
	v_bfe_i32 v103, v13, 16, 8
	v_bfe_i32 v101, v13, 0, 8
	s_wait_dscnt 0x3
	v_ashrrev_i32_e32 v99, 24, v44
	s_wait_dscnt 0x0
	v_bfe_u32 v12, v15, 16, 4
	v_and_b32_e32 v11, 0xf0f0f0f, v15
	v_and_b32_e32 v22, 15, v15
	;; [unrolled: 1-line block ×3, first 2 shown]
	v_bfe_u32 v13, v16, 16, 4
	v_mul_i32_i24_e32 v54, v12, v118
	v_mov_b32_e32 v232, v12
	v_lshrrev_b16 v11, 8, v11
	v_mov_b32_e32 v247, v22
	v_mul_i32_i24_e32 v49, v14, v121
	v_mov_b32_e32 v236, v14
	v_bfe_u32 v14, v15, 24, 4
	v_bfe_u32 v12, v16, 24, 4
	v_mov_b32_e32 v250, v13
	v_bfe_i32 v102, v30, 0, 8
	v_mul_i32_i24_e32 v58, v13, v103
	v_mul_i32_i24_e32 v55, v14, v119
	v_dual_mov_b32 v211, v14 :: v_dual_and_b32 v14, 15, v16
	v_mov_b32_e32 v249, v12
	v_and_b32_e32 v11, 0xffff, v11
	v_mul_i32_i24_e32 v59, v12, v104
	v_bfe_i32 v93, v44, 16, 8
	v_dual_mov_b32 v252, v14 :: v_dual_and_b32 v21, 15, v17
	s_delay_alu instid0(VALU_DEP_4)
	v_mov_b32_e32 v244, v11
	v_mul_i32_i24_e32 v53, v11, v117
	v_and_b32_e32 v11, 0xf0f0f0f, v16
	v_mul_i32_i24_e32 v56, v14, v101
	v_lshrrev_b16 v14, 8, v44
	v_bfe_i32 v86, v44, 0, 8
	v_lshrrev_b16 v38, 8, v45
	v_lshrrev_b16 v11, 8, v11
	;; [unrolled: 1-line block ×3, first 2 shown]
	v_bfe_i32 v88, v14, 0, 8
	v_ashrrev_i32_e32 v85, 24, v45
	v_bfe_i32 v82, v45, 0, 8
	v_and_b32_e32 v11, 0xffff, v11
	v_mad_i32_i24 v51, v19, v126, v51
	v_mad_i32_i24 v48, v21, v124, v48
	;; [unrolled: 1-line block ×3, first 2 shown]
	v_lshrrev_b16 v60, 8, v47
	v_mul_i32_i24_e32 v57, v11, v102
	v_mov_b32_e32 v251, v11
	ds_load_2addr_b32 v[11:12], v9 offset0:4 offset1:5
	v_mul_i32_i24_e32 v52, v22, v116
	v_bfe_i32 v84, v45, 16, 8
	v_bfe_i32 v83, v38, 0, 8
	v_ashrrev_i32_e32 v81, 24, v46
	v_bfe_i32 v79, v42, 0, 8
	v_bfe_i32 v78, v46, 0, 8
	v_ashrrev_i32_e32 v68, 24, v47
	v_bfe_i32 v67, v47, 16, 8
	v_bfe_i32 v47, v47, 0, 8
	v_add3_u32 v10, v10, v49, v53
	v_add3_u32 v49, v50, v54, v58
	;; [unrolled: 1-line block ×4, first 2 shown]
	v_bfe_i32 v80, v46, 16, 8
	v_bfe_i32 v66, v60, 0, 8
	;; [unrolled: 1-line block ×3, first 2 shown]
	v_ashrrev_i32_e32 v46, 24, v4
	v_ashrrev_i32_e32 v45, 24, v5
	v_bfe_i32 v52, v5, 16, 8
	s_wait_dscnt 0x0
	v_and_b32_e32 v13, 0xf0f0f0f, v11
	v_bfe_u32 v218, v11, 24, 4
	v_and_b32_e32 v225, 15, v11
	v_bfe_u32 v212, v12, 24, 4
	v_bfe_u32 v219, v11, 16, 4
	v_lshrrev_b16 v13, 8, v13
	v_mul_i32_i24_e32 v64, v218, v99
	v_mul_i32_i24_e32 v61, v225, v86
	v_bfe_u32 v131, v12, 16, 4
	v_mul_i32_i24_e32 v71, v212, v85
	v_and_b32_e32 v223, 0xffff, v13
	v_and_b32_e32 v13, 0xf0f0f0f, v12
	v_mul_i32_i24_e32 v63, v219, v93
	v_mul_i32_i24_e32 v70, v131, v84
	v_add3_u32 v50, v50, v64, v71
	v_mul_i32_i24_e32 v62, v223, v88
	v_lshrrev_b16 v13, 8, v13
	v_lshrrev_b16 v55, 8, v6
	v_mov_b32_e32 v173, v21
	v_and_b32_e32 v133, 15, v12
	v_add3_u32 v10, v10, v57, v62
	v_and_b32_e32 v132, 0xffff, v13
	ds_load_2addr_b32 v[13:14], v9 offset0:6 offset1:7
	v_add3_u32 v49, v49, v63, v70
	v_mul_i32_i24_e32 v65, v133, v82
	v_ashrrev_i32_e32 v43, 24, v6
	v_bfe_i32 v54, v6, 16, 8
	v_bfe_i32 v55, v55, 0, 8
	;; [unrolled: 1-line block ×3, first 2 shown]
	v_add3_u32 v48, v48, v61, v65
	v_bfe_u32 v214, v15, 20, 4
	v_bfe_u32 v216, v15, 4, 4
	v_ashrrev_i32_e32 v41, 24, v7
	v_bfe_i32 v56, v7, 16, 8
	v_bfe_i32 v40, v7, 0, 8
	v_bfe_u32 v6, v16, 20, 4
	v_bfe_u32 v153, v16, 4, 4
	v_mul_i32_i24_e32 v97, v216, v42
	v_lshrrev_b32_e32 v154, 28, v11
	v_ashrrev_i32_e32 v39, 24, v0
	v_bfe_u32 v157, v11, 4, 4
	v_lshrrev_b32_e32 v158, 28, v12
	s_wait_dscnt 0x0
	v_and_b32_e32 v9, 0xf0f0f0f, v13
	v_and_b32_e32 v44, 0xf0f0f0f, v14
	;; [unrolled: 1-line block ×3, first 2 shown]
	v_bfe_u32 v135, v13, 24, 4
	v_bfe_u32 v22, v14, 24, 4
	v_lshrrev_b16 v9, 8, v9
	v_lshrrev_b16 v75, 8, v44
	v_and_b32_e32 v25, 15, v14
	v_bfe_u32 v136, v13, 16, 4
	v_mul_i32_i24_e32 v74, v135, v81
	v_and_b32_e32 v137, 0xffff, v9
	v_and_b32_e32 v24, 0xffff, v75
	v_mul_i32_i24_e32 v9, v134, v78
	v_bfe_u32 v23, v14, 16, 4
	v_mul_i32_i24_e32 v60, v25, v47
	v_mul_i32_i24_e32 v72, v137, v79
	v_mov_b32_e32 v183, v24
	v_mul_i32_i24_e32 v69, v132, v83
	v_mul_i32_i24_e32 v77, v22, v68
	v_mul_i32_i24_e32 v73, v136, v80
	v_mul_i32_i24_e32 v75, v24, v66
	v_mul_i32_i24_e32 v76, v23, v67
	v_add3_u32 v10, v10, v69, v72
	v_add3_u32 v9, v48, v9, v60
	;; [unrolled: 1-line block ×3, first 2 shown]
	s_clause 0x2
	scratch_store_b32 off, v23, off offset:188
	scratch_store_b32 off, v22, off offset:196
	;; [unrolled: 1-line block ×3, first 2 shown]
	v_add3_u32 v49, v49, v73, v76
	v_add3_u32 v10, v10, v75, v48
	v_lshrrev_b16 v48, 8, v5
	v_bfe_i32 v44, v5, 0, 8
	v_bfe_u32 v5, v18, 20, 4
	v_mov_b32_e32 v176, v25
	v_add3_u32 v9, v9, v49, v10
	ds_load_u16 v10, v8
	ds_load_u16 v69, v8 offset:8
	v_bfe_i32 v49, v4, 16, 8
	v_bfe_i32 v53, v48, 0, 8
	v_mul_i32_i24_e32 v95, v5, v52
	v_bfe_i32 v60, v0, 0, 8
	v_ashrrev_i32_e32 v38, 24, v1
	v_bfe_i32 v63, v1, 0, 8
	v_bfe_u32 v161, v12, 4, 4
	v_mad_i32_i24 v95, v150, v49, v95
	v_lshrrev_b16 v48, 8, v2
	v_bfe_i32 v58, v0, 16, 8
	v_mul_i32_i24_e32 v107, v154, v39
	v_bfe_i32 v61, v1, 16, 8
	v_mul_i32_i24_e32 v110, v158, v38
	v_lshrrev_b32_e32 v162, 28, v13
	v_ashrrev_i32_e32 v37, 24, v2
	v_bfe_i32 v36, v2, 0, 8
	v_bfe_u32 v165, v13, 4, 4
	v_lshrrev_b32_e32 v166, 28, v14
	s_wait_dscnt 0x1
	v_and_b32_e32 v228, 0xff, v10
	v_lshrrev_b16 v89, 8, v10
	v_lshrrev_b16 v10, 8, v4
	v_ashrrev_i32_e32 v35, 24, v3
	v_bfe_i32 v33, v3, 0, 8
	v_mul_lo_u32 v8, v9, v228
	v_bfe_u32 v9, v18, 4, 4
	v_bfe_i32 v50, v10, 0, 8
	v_bfe_u32 v177, v14, 4, 4
	v_lshrrev_b16 v70, 8, v3
	v_bfe_i32 v64, v2, 16, 8
	v_mul_i32_i24_e32 v92, v9, v44
	v_bfe_i32 v65, v48, 0, 8
	v_cvt_f32_i32_e32 v90, v8
	v_lshrrev_b32_e32 v8, 4, v17
	v_mul_i32_i24_e32 v2, v165, v36
	v_mad_i32_i24 v92, v151, v51, v92
	v_mul_i32_i24_e32 v113, v162, v37
	v_bfe_i32 v48, v3, 16, 8
	v_lshrrev_b16 v8, 8, v8
	v_mul_i32_i24_e32 v3, v177, v33
	v_mul_i32_i24_e32 v115, v166, v35
	s_wait_dscnt 0x0
	v_cvt_f32_ubyte0_e32 v75, v69
	scratch_load_b32 v172, off, off offset:1176 ; 4-byte Folded Reload
	v_and_b32_e32 v8, 15, v8
	scratch_store_b32 off, v9, off offset:88 ; 4-byte Folded Spill
	v_mul_i32_i24_e32 v9, v153, v40
	v_lshrrev_b16 v57, 8, v7
	v_bfe_u32 v155, v11, 20, 4
	v_and_b32_e32 v4, 0xffff, v8
	v_lshrrev_b32_e32 v8, 28, v18
	v_add3_u32 v92, v92, v97, v9
	v_bfe_i32 v57, v57, 0, 8
	v_bfe_u32 v159, v12, 20, 4
	scratch_store_b32 off, v4, off offset:1216 ; 4-byte Folded Spill
	v_mul_i32_i24_e32 v91, v4, v50
	v_lshrrev_b32_e32 v4, 4, v18
	v_mul_i32_i24_e32 v96, v8, v45
	scratch_store_b32 off, v8, off offset:432 ; 4-byte Folded Spill
	v_mul_i32_i24_e32 v8, v214, v54
	v_mul_i32_i24_e32 v106, v155, v58
	v_lshrrev_b16 v4, 8, v4
	v_mad_i32_i24 v96, v152, v46, v96
	v_mul_i32_i24_e32 v109, v159, v61
	v_bfe_u32 v163, v13, 20, 4
	v_bfe_i32 v34, v70, 0, 8
	v_and_b32_e32 v4, 15, v4
	v_bfe_u32 v167, v14, 20, 4
	s_delay_alu instid0(VALU_DEP_4) | instskip(NEXT) | instid1(VALU_DEP_3)
	v_mul_i32_i24_e32 v112, v163, v64
	v_and_b32_e32 v4, 0xffff, v4
	scratch_store_b32 off, v5, off offset:80 ; 4-byte Folded Spill
	v_lshrrev_b32_e32 v5, 28, v15
	v_mul_i32_i24_e32 v114, v167, v48
	scratch_store_b32 off, v4, off offset:84 ; 4-byte Folded Spill
	v_mul_i32_i24_e32 v94, v4, v53
	v_lshrrev_b32_e32 v4, 4, v15
	scratch_store_b32 off, v5, off offset:400 ; 4-byte Folded Spill
	v_mul_i32_i24_e32 v100, v5, v43
	v_lshrrev_b32_e32 v5, 28, v16
	v_mul_i32_i24_e32 v15, v6, v56
	v_lshrrev_b16 v4, 8, v4
	s_delay_alu instid0(VALU_DEP_3) | instskip(SKIP_4) | instid1(VALU_DEP_3)
	v_mul_i32_i24_e32 v10, v5, v41
	scratch_store_b32 off, v5, off offset:404 ; 4-byte Folded Spill
	v_and_b32_e32 v4, 15, v4
	v_lshrrev_b16 v5, 8, v0
	v_mul_i32_i24_e32 v0, v157, v60
	v_and_b32_e32 v215, 0xffff, v4
	v_lshrrev_b32_e32 v4, 4, v16
	s_delay_alu instid0(VALU_DEP_4) | instskip(NEXT) | instid1(VALU_DEP_3)
	v_bfe_i32 v59, v5, 0, 8
	v_mul_i32_i24_e32 v98, v215, v55
	s_delay_alu instid0(VALU_DEP_3) | instskip(NEXT) | instid1(VALU_DEP_2)
	v_lshrrev_b16 v4, 8, v4
	v_add3_u32 v91, v91, v94, v98
	s_delay_alu instid0(VALU_DEP_2) | instskip(SKIP_2) | instid1(VALU_DEP_3)
	v_and_b32_e32 v4, 15, v4
	v_add3_u32 v94, v95, v8, v15
	v_add3_u32 v95, v96, v100, v10
	v_and_b32_e32 v4, 0xffff, v4
	scratch_store_b32 off, v6, off offset:408 ; 4-byte Folded Spill
	v_lshrrev_b16 v6, 8, v1
	v_mul_i32_i24_e32 v1, v161, v63
	v_add3_u32 v95, v95, v107, v110
	scratch_store_b32 off, v4, off offset:412 ; 4-byte Folded Spill
	v_mul_i32_i24_e32 v7, v4, v57
	v_lshrrev_b32_e32 v4, 4, v11
	v_add3_u32 v0, v92, v0, v1
	v_bfe_i32 v62, v6, 0, 8
	v_add3_u32 v1, v94, v106, v109
	s_delay_alu instid0(VALU_DEP_4) | instskip(NEXT) | instid1(VALU_DEP_4)
	v_lshrrev_b16 v4, 8, v4
	v_add3_u32 v0, v0, v2, v3
	v_add3_u32 v2, v95, v113, v115
	v_cvt_f32_ubyte1_e32 v113, v69
	scratch_load_b32 v69, off, off offset:808 ; 4-byte Folded Reload
	v_and_b32_e32 v4, 15, v4
	v_add3_u32 v1, v1, v112, v114
	v_and_b32_e32 v112, 0xffff, v89
	s_delay_alu instid0(VALU_DEP_3) | instskip(SKIP_1) | instid1(VALU_DEP_2)
	v_and_b32_e32 v156, 0xffff, v4
	v_lshrrev_b32_e32 v4, 4, v12
	v_mul_i32_i24_e32 v105, v156, v59
	s_delay_alu instid0(VALU_DEP_2) | instskip(NEXT) | instid1(VALU_DEP_2)
	v_lshrrev_b16 v4, 8, v4
	v_add3_u32 v91, v91, v7, v105
	s_delay_alu instid0(VALU_DEP_2) | instskip(NEXT) | instid1(VALU_DEP_1)
	v_and_b32_e32 v4, 15, v4
	v_and_b32_e32 v160, 0xffff, v4
	v_lshrrev_b32_e32 v4, 4, v13
	s_delay_alu instid0(VALU_DEP_2) | instskip(NEXT) | instid1(VALU_DEP_2)
	v_mul_i32_i24_e32 v108, v160, v62
	v_lshrrev_b16 v4, 8, v4
	s_delay_alu instid0(VALU_DEP_1) | instskip(NEXT) | instid1(VALU_DEP_1)
	v_and_b32_e32 v4, 15, v4
	v_and_b32_e32 v164, 0xffff, v4
	v_lshrrev_b32_e32 v4, 4, v14
	s_delay_alu instid0(VALU_DEP_2) | instskip(NEXT) | instid1(VALU_DEP_2)
	v_mul_i32_i24_e32 v111, v164, v65
	v_lshrrev_b16 v4, 8, v4
	s_delay_alu instid0(VALU_DEP_2) | instskip(NEXT) | instid1(VALU_DEP_2)
	v_add3_u32 v91, v91, v108, v111
	v_and_b32_e32 v71, 15, v4
	s_delay_alu instid0(VALU_DEP_1) | instskip(NEXT) | instid1(VALU_DEP_1)
	v_and_b32_e32 v169, 0xffff, v71
	v_mul_i32_i24_e32 v14, v169, v34
	s_delay_alu instid0(VALU_DEP_1) | instskip(NEXT) | instid1(VALU_DEP_1)
	v_add3_u32 v2, v91, v14, v2
	v_add3_u32 v0, v0, v1, v2
	ds_load_b64 v[2:3], v87 offset:27200
	v_mul_lo_u32 v0, v0, v112
	s_delay_alu instid0(VALU_DEP_1) | instskip(SKIP_3) | instid1(VALU_DEP_2)
	v_cvt_f32_i32_e32 v0, v0
	s_wait_dscnt 0x0
	v_fma_mix_f32 v1, v90, v2, 0 op_sel_hi:[0,1,0]
	v_fma_mix_f32 v14, v75, v2, 0 op_sel:[0,1,0] op_sel_hi:[0,1,0]
	v_fma_mix_f32 v0, v0, v3, v1 op_sel_hi:[0,1,0]
	s_delay_alu instid0(VALU_DEP_2) | instskip(SKIP_1) | instid1(VALU_DEP_1)
	v_fma_mix_f32 v1, v113, v3, v14 op_sel:[0,1,0] op_sel_hi:[0,1,0]
	s_wait_loadcnt 0x0
	v_mul_f32_e32 v1, v1, v69
	s_delay_alu instid0(VALU_DEP_1) | instskip(SKIP_1) | instid1(VALU_DEP_2)
	v_fma_f32 v0, v0, v172, -v1
	v_add_nc_u32_e32 v1, s17, v185
	v_add_f32_e32 v127, v127, v0
	ds_load_2addr_b32 v[89:90], v1 offset1:1
	v_add3_u32 v0, s16, v186, v128
	ds_load_2addr_b32 v[174:175], v1 offset0:6 offset1:7
	scratch_store_b32 off, v127, off offset:828 ; 4-byte Folded Spill
	ds_load_2addr_b32 v[127:128], v1 offset0:4 offset1:5
	s_wait_dscnt 0x2
	v_and_b32_e32 v184, 15, v89
	v_bfe_u32 v209, v89, 8, 4
	v_bfe_u32 v208, v89, 16, 4
	v_bfe_u32 v226, v89, 24, 4
	v_and_b32_e32 v210, 15, v90
	v_mul_i32_i24_e32 v14, v124, v184
	v_bfe_u32 v213, v90, 8, 4
	v_mul_i32_i24_e32 v87, v125, v208
	v_mul_i32_i24_e32 v91, v126, v226
	v_bfe_u32 v220, v90, 16, 4
	v_mad_i32_i24 v14, v129, v209, v14
	v_bfe_u32 v221, v90, 24, 4
	s_wait_dscnt 0x0
	v_and_b32_e32 v76, 15, v128
	v_bfe_u32 v77, v128, 8, 4
	v_mul_i32_i24_e32 v92, v122, v220
	v_add3_u32 v14, v14, v87, v91
	v_mul_i32_i24_e32 v87, v120, v210
	v_mul_i32_i24_e32 v91, v121, v213
	;; [unrolled: 1-line block ×3, first 2 shown]
	v_bfe_u32 v94, v128, 16, 4
	v_bfe_u32 v106, v128, 24, 4
	;; [unrolled: 1-line block ×3, first 2 shown]
	v_add3_u32 v14, v14, v91, v87
	v_bfe_u32 v108, v174, 24, 4
	v_and_b32_e32 v148, 15, v175
	v_bfe_u32 v168, v175, 8, 4
	v_bfe_u32 v5, v89, 4, 4
	v_add3_u32 v14, v14, v92, v95
	ds_load_2addr_b32 v[91:92], v1 offset0:2 offset1:3
	v_mul_i32_i24_e32 v98, v81, v108
	v_bfe_u32 v111, v89, 12, 4
	v_mul_i32_i24_e32 v100, v51, v5
	v_lshrrev_b32_e32 v149, 28, v89
	v_bfe_u32 v170, v90, 12, 4
	v_bfe_u32 v110, v175, 16, 4
	;; [unrolled: 1-line block ×3, first 2 shown]
	v_mad_i32_i24 v100, v50, v111, v100
	s_delay_alu instid0(VALU_DEP_4)
	v_mul_i32_i24_e32 v179, v53, v170
	s_wait_dscnt 0x0
	v_and_b32_e32 v241, 15, v91
	v_bfe_u32 v242, v91, 8, 4
	v_and_b32_e32 v4, 15, v92
	v_bfe_u32 v243, v91, 16, 4
	v_bfe_u32 v231, v91, 24, 4
	v_mul_i32_i24_e32 v87, v116, v241
	v_mul_i32_i24_e32 v95, v117, v242
	scratch_store_b32 off, v4, off offset:384 ; 4-byte Folded Spill
	v_mul_i32_i24_e32 v96, v118, v243
	v_mul_i32_i24_e32 v97, v119, v231
	v_add3_u32 v14, v14, v95, v87
	v_mul_i32_i24_e32 v87, v101, v4
	v_bfe_u32 v4, v92, 8, 4
	s_delay_alu instid0(VALU_DEP_3) | instskip(SKIP_3) | instid1(VALU_DEP_2)
	v_add3_u32 v14, v14, v96, v97
	scratch_store_b32 off, v4, off offset:388 ; 4-byte Folded Spill
	v_mul_i32_i24_e32 v95, v102, v4
	v_bfe_u32 v4, v92, 16, 4
	v_add3_u32 v14, v14, v95, v87
	scratch_store_b32 off, v4, off offset:392 ; 4-byte Folded Spill
	v_mul_i32_i24_e32 v96, v103, v4
	v_bfe_u32 v4, v92, 24, 4
	scratch_store_b32 off, v4, off offset:864 ; 4-byte Folded Spill
	v_mul_i32_i24_e32 v97, v104, v4
	v_and_b32_e32 v4, 15, v127
	s_delay_alu instid0(VALU_DEP_2)
	v_add3_u32 v14, v14, v96, v97
	scratch_store_b32 off, v4, off offset:664 ; 4-byte Folded Spill
	v_mul_i32_i24_e32 v87, v86, v4
	v_bfe_u32 v4, v127, 8, 4
	scratch_store_b32 off, v4, off offset:660 ; 4-byte Folded Spill
	v_mul_i32_i24_e32 v95, v88, v4
	v_bfe_u32 v4, v127, 16, 4
	s_delay_alu instid0(VALU_DEP_2) | instskip(NEXT) | instid1(VALU_DEP_2)
	v_add3_u32 v14, v14, v95, v87
	v_mul_i32_i24_e32 v96, v93, v4
	v_mov_b32_e32 v224, v4
	v_bfe_u32 v4, v127, 24, 4
	v_mul_i32_i24_e32 v87, v82, v76
	v_mul_i32_i24_e32 v95, v83, v77
	s_delay_alu instid0(VALU_DEP_3)
	v_mul_i32_i24_e32 v97, v99, v4
	scratch_store_b32 off, v4, off offset:68 ; 4-byte Folded Spill
	v_bfe_u32 v4, v89, 20, 4
	v_mul_i32_i24_e32 v89, v46, v149
	v_add3_u32 v14, v14, v96, v97
	v_mul_i32_i24_e32 v96, v84, v94
	v_mul_i32_i24_e32 v97, v85, v106
	;; [unrolled: 1-line block ×3, first 2 shown]
	s_delay_alu instid0(VALU_DEP_4) | instskip(SKIP_1) | instid1(VALU_DEP_3)
	v_add3_u32 v14, v14, v95, v87
	v_and_b32_e32 v95, 15, v174
	v_add3_u32 v89, v100, v105, v89
	s_delay_alu instid0(VALU_DEP_3) | instskip(SKIP_1) | instid1(VALU_DEP_4)
	v_add3_u32 v14, v14, v96, v97
	v_bfe_u32 v97, v174, 8, 4
	v_mul_i32_i24_e32 v1, v78, v95
	v_mul_i32_i24_e32 v96, v80, v107
	s_delay_alu instid0(VALU_DEP_3) | instskip(NEXT) | instid1(VALU_DEP_1)
	v_mul_i32_i24_e32 v87, v79, v97
	v_add3_u32 v1, v14, v87, v1
	v_mul_i32_i24_e32 v14, v47, v148
	v_mul_i32_i24_e32 v87, v66, v168
	s_delay_alu instid0(VALU_DEP_3) | instskip(SKIP_2) | instid1(VALU_DEP_3)
	v_add3_u32 v1, v1, v96, v98
	v_mul_i32_i24_e32 v96, v67, v110
	v_mul_i32_i24_e32 v98, v68, v109
	v_add3_u32 v1, v1, v87, v14
	ds_load_u16 v14, v0
	ds_load_u16 v0, v0 offset:8
	s_clause 0x1
	scratch_load_b32 v71, off, off offset:812
	scratch_load_b32 v70, off, off offset:804
	scratch_store_b32 off, v4, off offset:72 ; 4-byte Folded Spill
	v_bfe_u32 v4, v90, 20, 4
	v_add3_u32 v1, v1, v96, v98
	scratch_store_b32 off, v4, off offset:1008 ; 4-byte Folded Spill
	v_mul_i32_i24_e32 v181, v52, v4
	v_lshrrev_b32_e32 v4, 28, v90
	scratch_store_b32 off, v4, off offset:1100 ; 4-byte Folded Spill
	v_mul_i32_i24_e32 v185, v45, v4
	v_bfe_u32 v4, v91, 20, 4
	s_wait_dscnt 0x1
	v_lshrrev_b16 v87, 8, v14
	v_and_b32_e32 v96, 0xff, v14
	s_wait_dscnt 0x0
	v_cvt_f32_ubyte0_e32 v98, v0
	v_cvt_f32_ubyte1_e32 v0, v0
	scratch_store_b32 off, v4, off offset:1104 ; 4-byte Folded Spill
	v_mul_i32_i24_e32 v188, v54, v4
	v_lshrrev_b32_e32 v4, 28, v91
	scratch_store_b32 off, v5, off offset:340 ; 4-byte Folded Spill
	v_bfe_u32 v5, v90, 4, 4
	v_bfe_u32 v90, v128, 4, 4
	v_mul_lo_u32 v1, v1, v96
	v_mul_i32_i24_e32 v189, v43, v4
	v_fma_mix_f32 v14, v2, v98, 0 op_sel:[1,0,0] op_sel_hi:[1,0,0]
	scratch_store_b32 off, v5, off offset:472 ; 4-byte Folded Spill
	v_mul_i32_i24_e32 v178, v44, v5
	v_bfe_u32 v5, v91, 4, 4
	v_mul_i32_i24_e32 v198, v63, v90
	scratch_store_b32 off, v0, off offset:488 ; 4-byte Folded Spill
	v_cvt_f32_i32_e32 v1, v1
	v_add3_u32 v89, v89, v178, v179
	scratch_store_b32 off, v5, off offset:684 ; 4-byte Folded Spill
	v_mul_i32_i24_e32 v186, v42, v5
	v_bfe_u32 v5, v91, 12, 4
	v_bfe_u32 v91, v174, 4, 4
	v_add3_u32 v89, v89, v181, v185
	v_fma_mix_f32 v1, v2, v1, 0 op_sel_hi:[1,0,0]
	v_fma_mix_f32 v0, v3, v0, v14 op_sel:[1,0,0] op_sel_hi:[1,0,0]
	scratch_store_b32 off, v5, off offset:688 ; 4-byte Folded Spill
	v_mul_i32_i24_e32 v187, v55, v5
	v_bfe_u32 v5, v92, 4, 4
	scratch_store_b32 off, v4, off offset:360 ; 4-byte Folded Spill
	v_bfe_u32 v4, v92, 20, 4
	v_mul_i32_i24_e32 v202, v36, v91
	v_add3_u32 v89, v89, v186, v187
	scratch_store_b32 off, v5, off offset:364 ; 4-byte Folded Spill
	v_mul_i32_i24_e32 v190, v40, v5
	scratch_store_b32 off, v4, off offset:368 ; 4-byte Folded Spill
	v_bfe_u32 v5, v92, 12, 4
	v_mul_i32_i24_e32 v192, v56, v4
	v_lshrrev_b32_e32 v4, 28, v92
	v_add3_u32 v89, v89, v188, v189
	v_bfe_u32 v92, v175, 4, 4
	scratch_store_b32 off, v5, off offset:372 ; 4-byte Folded Spill
	v_mul_i32_i24_e32 v191, v57, v5
	v_bfe_u32 v5, v127, 4, 4
	scratch_store_b32 off, v4, off offset:376 ; 4-byte Folded Spill
	v_mul_i32_i24_e32 v193, v41, v4
	v_bfe_u32 v4, v127, 20, 4
	v_add3_u32 v89, v89, v190, v191
	scratch_store_b32 off, v5, off offset:380 ; 4-byte Folded Spill
	v_mul_i32_i24_e32 v194, v60, v5
	v_bfe_u32 v5, v127, 12, 4
	scratch_store_b32 off, v4, off offset:76 ; 4-byte Folded Spill
	v_mul_i32_i24_e32 v196, v58, v4
	v_lshrrev_b32_e32 v4, 28, v127
	v_add3_u32 v89, v89, v192, v193
	v_mul_i32_i24_e32 v195, v59, v5
	scratch_store_b32 off, v5, off offset:448 ; 4-byte Folded Spill
	v_bfe_u32 v5, v128, 12, 4
	scratch_store_b32 off, v4, off offset:452 ; 4-byte Folded Spill
	v_mul_i32_i24_e32 v197, v39, v4
	v_bfe_u32 v4, v128, 20, 4
	v_add3_u32 v89, v89, v194, v195
	v_mul_i32_i24_e32 v199, v62, v5
	scratch_store_b32 off, v5, off offset:292 ; 4-byte Folded Spill
	v_bfe_u32 v5, v174, 12, 4
	scratch_store_b32 off, v4, off offset:456 ; 4-byte Folded Spill
	v_mul_i32_i24_e32 v200, v61, v4
	v_lshrrev_b32_e32 v4, 28, v128
	v_add3_u32 v89, v89, v196, v197
	v_mul_i32_i24_e32 v203, v65, v5
	scratch_store_b32 off, v5, off offset:296 ; 4-byte Folded Spill
	v_bfe_u32 v5, v175, 12, 4
	scratch_store_b32 off, v4, off offset:476 ; 4-byte Folded Spill
	v_mul_i32_i24_e32 v201, v38, v4
	v_bfe_u32 v4, v174, 20, 4
	v_add3_u32 v89, v89, v198, v199
	v_mul_i32_i24_e32 v205, v33, v92
	v_mul_i32_i24_e32 v206, v34, v5
	s_clause 0x1
	scratch_store_b32 off, v5, off offset:300
	scratch_store_b32 off, v4, off offset:460
	v_mul_i32_i24_e32 v204, v64, v4
	v_lshrrev_b32_e32 v4, 28, v174
	v_add3_u32 v89, v89, v200, v201
	s_clause 0x3
	scratch_store_b32 off, v90, off offset:1012
	scratch_store_b32 off, v91, off offset:1016
	;; [unrolled: 1-line block ×4, first 2 shown]
	v_mul_i32_i24_e32 v174, v37, v4
	v_bfe_u32 v4, v175, 20, 4
	v_add3_u32 v89, v89, v202, v203
	v_dual_mov_b32 v198, v152 :: v_dual_mov_b32 v201, v151
	v_mov_b32_e32 v200, v150
	scratch_store_b32 off, v4, off offset:464 ; 4-byte Folded Spill
	v_mul_i32_i24_e32 v207, v48, v4
	v_lshrrev_b32_e32 v4, 28, v175
	v_add3_u32 v89, v89, v204, v174
	v_dual_mov_b32 v202, v75 :: v_dual_mov_b32 v197, v109
	s_delay_alu instid0(VALU_DEP_3) | instskip(NEXT) | instid1(VALU_DEP_3)
	v_mul_i32_i24_e32 v175, v35, v4
	v_add3_u32 v89, v89, v205, v206
	scratch_store_b32 off, v4, off offset:484 ; 4-byte Folded Spill
	v_and_b32_e32 v4, 0xffff, v87
	v_add3_u32 v174, v89, v207, v175
	scratch_store_b32 off, v4, off offset:12 ; 4-byte Folded Spill
	v_mul_lo_u32 v87, v174, v4
	s_delay_alu instid0(VALU_DEP_1) | instskip(NEXT) | instid1(VALU_DEP_1)
	v_cvt_f32_i32_e32 v87, v87
	v_fma_mix_f32 v1, v3, v87, v1 op_sel_hi:[1,0,0]
	s_wait_loadcnt 0x1
	v_mul_f32_e32 v0, v0, v71
	s_wait_loadcnt 0x0
	s_delay_alu instid0(VALU_DEP_1) | instskip(NEXT) | instid1(VALU_DEP_1)
	v_fma_f32 v0, v1, v70, -v0
	v_dual_add_f32 v240, v240, v0 :: v_dual_add_nc_u32 v1, s17, v245
	ds_load_2addr_b32 v[229:230], v1 offset1:1
	ds_load_2addr_b32 v[237:238], v1 offset0:2 offset1:3
	ds_load_2addr_b32 v[245:246], v1 offset0:4 offset1:5
	v_add3_u32 v0, s16, v253, v180
	ds_load_2addr_b32 v[253:254], v1 offset0:6 offset1:7
	v_mov_b32_e32 v180, v173
	scratch_store_b32 off, v240, off offset:832 ; 4-byte Folded Spill
	v_dual_mov_b32 v173, v130 :: v_dual_mov_b32 v130, v212
	s_wait_dscnt 0x3
	v_and_b32_e32 v4, 15, v229
	v_bfe_u32 v5, v229, 16, 4
	s_wait_dscnt 0x2
	v_and_b32_e32 v146, 15, v237
	v_bfe_u32 v188, v230, 16, 4
	v_bfe_u32 v147, v230, 24, 4
	s_clause 0x2
	scratch_store_b32 off, v4, off offset:668
	scratch_store_b32 off, v5, off offset:672
	;; [unrolled: 1-line block ×3, first 2 shown]
	v_mul_i32_i24_e32 v14, v124, v4
	v_bfe_u32 v4, v229, 8, 4
	v_mul_i32_i24_e32 v174, v125, v5
	v_bfe_u32 v5, v229, 24, 4
	v_mul_i32_i24_e32 v178, v122, v188
	v_mul_i32_i24_e32 v179, v123, v147
	scratch_store_b32 off, v4, off offset:104 ; 4-byte Folded Spill
	v_mad_i32_i24 v14, v129, v4, v14
	v_mul_i32_i24_e32 v175, v126, v5
	v_and_b32_e32 v4, 15, v230
	v_bfe_u32 v145, v237, 8, 4
	v_bfe_u32 v144, v237, 16, 4
	;; [unrolled: 1-line block ×3, first 2 shown]
	v_add3_u32 v14, v14, v174, v175
	scratch_store_b32 off, v4, off offset:16 ; 4-byte Folded Spill
	v_mul_i32_i24_e32 v174, v120, v4
	v_bfe_u32 v4, v230, 8, 4
	v_and_b32_e32 v142, 15, v238
	v_bfe_u32 v141, v238, 8, 4
	v_bfe_u32 v140, v238, 16, 4
	;; [unrolled: 1-line block ×3, first 2 shown]
	v_mul_i32_i24_e32 v175, v121, v4
	s_wait_dscnt 0x1
	v_and_b32_e32 v138, 15, v245
	v_bfe_u32 v115, v245, 8, 4
	scratch_store_b32 off, v4, off offset:20 ; 4-byte Folded Spill
	v_and_b32_e32 v4, 15, v246
	v_add3_u32 v14, v14, v175, v174
	v_mul_i32_i24_e32 v174, v116, v146
	v_mul_i32_i24_e32 v175, v117, v145
	v_bfe_u32 v114, v245, 16, 4
	v_bfe_u32 v72, v245, 24, 4
	v_add3_u32 v14, v14, v178, v179
	v_mul_i32_i24_e32 v178, v118, v144
	v_mul_i32_i24_e32 v179, v119, v143
	scratch_store_b32 off, v4, off offset:92 ; 4-byte Folded Spill
	s_wait_dscnt 0x0
	v_and_b32_e32 v1, 15, v253
	v_add3_u32 v14, v14, v175, v174
	v_mul_i32_i24_e32 v174, v101, v142
	v_mul_i32_i24_e32 v175, v102, v141
	s_clause 0x5
	scratch_store_b32 off, v188, off offset:112
	scratch_store_b32 off, v144, off offset:116
	scratch_store_b32 off, v143, off offset:120
	scratch_store_b32 off, v142, off offset:124
	scratch_store_b32 off, v141, off offset:128
	scratch_store_b32 off, v140, off offset:132
	v_add3_u32 v14, v14, v178, v179
	v_mul_i32_i24_e32 v178, v103, v140
	v_mul_i32_i24_e32 v179, v104, v139
	scratch_store_b32 off, v1, off offset:36 ; 4-byte Folded Spill
	v_mul_i32_i24_e32 v1, v78, v1
	v_add3_u32 v14, v14, v175, v174
	v_mul_i32_i24_e32 v174, v86, v138
	v_mul_i32_i24_e32 v175, v88, v115
	s_clause 0x2
	scratch_store_b32 off, v147, off offset:1092
	scratch_store_b32 off, v145, off offset:680
	;; [unrolled: 1-line block ×3, first 2 shown]
	v_add3_u32 v14, v14, v178, v179
	v_mul_i32_i24_e32 v178, v93, v114
	v_mul_i32_i24_e32 v179, v99, v72
	s_clause 0x1
	scratch_store_b32 off, v138, off offset:64
	scratch_store_b32 off, v115, off offset:844
	v_add3_u32 v14, v14, v175, v174
	v_mul_i32_i24_e32 v174, v82, v4
	v_bfe_u32 v4, v246, 8, 4
	scratch_store_b32 off, v114, off offset:1128 ; 4-byte Folded Spill
	v_bfe_u32 v203, v253, 4, 4
	v_add3_u32 v14, v14, v178, v179
	v_bfe_u32 v191, v253, 12, 4
	scratch_store_b32 off, v4, off offset:96 ; 4-byte Folded Spill
	v_mul_i32_i24_e32 v175, v83, v4
	v_bfe_u32 v4, v246, 16, 4
	v_bfe_u32 v192, v253, 20, 4
	v_mul_i32_i24_e32 v10, v36, v203
	v_mul_i32_i24_e32 v9, v65, v191
	v_add3_u32 v14, v14, v175, v174
	scratch_store_b32 off, v4, off offset:32 ; 4-byte Folded Spill
	v_mul_i32_i24_e32 v178, v84, v4
	v_bfe_u32 v4, v246, 24, 4
	v_mov_b32_e32 v175, v248
	scratch_store_b32 off, v139, off offset:136 ; 4-byte Folded Spill
	v_lshrrev_b32_e32 v190, 28, v253
	v_mul_i32_i24_e32 v8, v64, v192
	scratch_store_b32 off, v4, off offset:536 ; 4-byte Folded Spill
	v_mul_i32_i24_e32 v179, v85, v4
	v_bfe_u32 v4, v253, 8, 4
	v_mul_i32_i24_e32 v7, v37, v190
	v_bfe_u32 v171, v254, 4, 4
	v_bfe_u32 v128, v254, 20, 4
	v_add3_u32 v14, v14, v178, v179
	scratch_store_b32 off, v4, off offset:40 ; 4-byte Folded Spill
	v_mul_i32_i24_e32 v174, v79, v4
	v_bfe_u32 v4, v253, 16, 4
	v_mul_i32_i24_e32 v6, v33, v171
	v_dual_mov_b32 v248, v247 :: v_dual_mov_b32 v247, v244
	s_delay_alu instid0(VALU_DEP_4)
	v_add3_u32 v1, v14, v174, v1
	scratch_store_b32 off, v4, off offset:544 ; 4-byte Folded Spill
	v_mul_i32_i24_e32 v179, v80, v4
	v_bfe_u32 v4, v253, 24, 4
	v_mov_b32_e32 v244, v232
	v_dual_mov_b32 v232, v211 :: v_dual_mov_b32 v253, v110
	v_mov_b32_e32 v178, v69
	scratch_store_b32 off, v4, off offset:284 ; 4-byte Folded Spill
	v_mul_i32_i24_e32 v217, v81, v4
	v_and_b32_e32 v4, 15, v254
	s_delay_alu instid0(VALU_DEP_2)
	v_add3_u32 v1, v1, v179, v217
	scratch_store_b32 off, v4, off offset:288 ; 4-byte Folded Spill
	v_mul_i32_i24_e32 v14, v47, v4
	v_bfe_u32 v4, v254, 8, 4
	scratch_store_b32 off, v4, off offset:492 ; 4-byte Folded Spill
	v_mul_i32_i24_e32 v174, v66, v4
	v_bfe_u32 v4, v254, 16, 4
	scratch_store_b32 off, v5, off offset:564 ; 4-byte Folded Spill
	v_add3_u32 v1, v1, v174, v14
	scratch_store_b32 off, v4, off offset:560 ; 4-byte Folded Spill
	v_mul_i32_i24_e32 v179, v67, v4
	v_bfe_u32 v4, v254, 24, 4
	scratch_store_b32 off, v4, off offset:276 ; 4-byte Folded Spill
	ds_load_u16 v14, v0
	ds_load_u16 v0, v0 offset:8
	v_mul_i32_i24_e32 v217, v68, v4
	s_clause 0x5
	scratch_store_b32 off, v203, off offset:1152
	scratch_store_b32 off, v191, off offset:1160
	;; [unrolled: 1-line block ×6, first 2 shown]
	v_add3_u32 v1, v1, v179, v217
	s_wait_dscnt 0x1
	v_and_b32_e32 v4, 0xff, v14
	v_lshrrev_b16 v174, 8, v14
	s_delay_alu instid0(VALU_DEP_2)
	v_mul_lo_u32 v1, v1, v4
	scratch_store_b32 off, v4, off offset:540 ; 4-byte Folded Spill
	v_bfe_u32 v4, v229, 4, 4
	scratch_store_b32 off, v4, off offset:548 ; 4-byte Folded Spill
	v_cvt_f32_i32_e32 v1, v1
	v_mul_i32_i24_e32 v222, v51, v4
	v_bfe_u32 v4, v229, 12, 4
	s_delay_alu instid0(VALU_DEP_3) | instskip(SKIP_2) | instid1(VALU_DEP_3)
	v_fma_mix_f32 v15, v2, v1, 0 op_sel_hi:[1,0,0]
	s_wait_dscnt 0x0
	v_cvt_f32_ubyte0_e32 v1, v0
	v_mad_i32_i24 v222, v50, v4, v222
	v_cvt_f32_ubyte1_e32 v0, v0
	scratch_store_b32 off, v1, off offset:280 ; 4-byte Folded Spill
	v_fma_mix_f32 v32, v2, v1, 0 op_sel:[1,0,0] op_sel_hi:[1,0,0]
	v_bfe_u32 v1, v229, 20, 4
	scratch_store_b32 off, v0, off offset:604 ; 4-byte Folded Spill
	v_fma_mix_f32 v0, v3, v0, v32 op_sel:[1,0,0] op_sel_hi:[1,0,0]
	scratch_store_b32 off, v1, off offset:100 ; 4-byte Folded Spill
	v_mul_i32_i24_e32 v227, v49, v1
	v_lshrrev_b32_e32 v1, 28, v229
	scratch_store_b32 off, v4, off offset:552 ; 4-byte Folded Spill
	v_bfe_u32 v4, v230, 4, 4
	scratch_store_b32 off, v1, off offset:556 ; 4-byte Folded Spill
	v_mul_i32_i24_e32 v229, v46, v1
	v_bfe_u32 v1, v230, 20, 4
	scratch_store_b32 off, v4, off offset:496 ; 4-byte Folded Spill
	v_mul_i32_i24_e32 v31, v44, v4
	v_bfe_u32 v4, v230, 12, 4
	v_add3_u32 v255, v222, v227, v229
	scratch_store_b32 off, v1, off offset:500 ; 4-byte Folded Spill
	v_mul_i32_i24_e32 v29, v52, v1
	v_lshrrev_b32_e32 v1, 28, v230
	scratch_store_b32 off, v4, off offset:504 ; 4-byte Folded Spill
	v_mul_i32_i24_e32 v30, v53, v4
	v_bfe_u32 v4, v237, 4, 4
	v_bfe_u32 v230, v246, 12, 4
	scratch_store_b32 off, v1, off offset:508 ; 4-byte Folded Spill
	v_mul_i32_i24_e32 v28, v45, v1
	v_bfe_u32 v1, v237, 20, 4
	scratch_store_b32 off, v4, off offset:512 ; 4-byte Folded Spill
	v_mul_i32_i24_e32 v27, v42, v4
	v_bfe_u32 v4, v237, 12, 4
	v_add3_u32 v30, v255, v31, v30
	scratch_store_b32 off, v1, off offset:516 ; 4-byte Folded Spill
	v_mul_i32_i24_e32 v25, v54, v1
	v_lshrrev_b32_e32 v1, 28, v237
	scratch_store_b32 off, v4, off offset:520 ; 4-byte Folded Spill
	v_mul_i32_i24_e32 v26, v55, v4
	v_bfe_u32 v4, v238, 4, 4
	v_add3_u32 v28, v30, v29, v28
	scratch_store_b32 off, v1, off offset:524 ; 4-byte Folded Spill
	v_mul_i32_i24_e32 v24, v43, v1
	v_bfe_u32 v1, v238, 20, 4
	scratch_store_b32 off, v4, off offset:528 ; 4-byte Folded Spill
	v_mul_i32_i24_e32 v23, v40, v4
	v_bfe_u32 v4, v238, 12, 4
	v_add3_u32 v26, v28, v27, v26
	scratch_store_b32 off, v1, off offset:568 ; 4-byte Folded Spill
	v_mul_i32_i24_e32 v21, v56, v1
	v_lshrrev_b32_e32 v1, 28, v238
	scratch_store_b32 off, v4, off offset:572 ; 4-byte Folded Spill
	v_mul_i32_i24_e32 v22, v57, v4
	v_bfe_u32 v4, v245, 4, 4
	v_add3_u32 v24, v26, v25, v24
	scratch_store_b32 off, v1, off offset:576 ; 4-byte Folded Spill
	v_mul_i32_i24_e32 v20, v41, v1
	v_bfe_u32 v1, v245, 20, 4
	scratch_store_b32 off, v4, off offset:580 ; 4-byte Folded Spill
	v_mul_i32_i24_e32 v19, v60, v4
	v_bfe_u32 v4, v245, 12, 4
	v_add3_u32 v22, v24, v23, v22
	v_lshrrev_b32_e32 v245, 28, v245
	v_mul_i32_i24_e32 v17, v58, v1
	v_bfe_u32 v238, v246, 4, 4
	v_mul_i32_i24_e32 v18, v59, v4
	v_add3_u32 v20, v22, v21, v20
	v_mul_i32_i24_e32 v16, v39, v245
	v_bfe_u32 v237, v246, 20, 4
	v_mul_i32_i24_e32 v14, v63, v238
	v_mul_i32_i24_e32 v13, v62, v230
	v_add3_u32 v18, v20, v19, v18
	v_lshrrev_b32_e32 v222, 28, v246
	v_mul_i32_i24_e32 v12, v61, v237
	s_clause 0x1
	scratch_store_b32 off, v1, off offset:584
	scratch_store_b32 off, v4, off offset:588
	v_add3_u32 v16, v18, v17, v16
	v_mul_i32_i24_e32 v11, v38, v222
	v_bfe_u32 v4, v254, 12, 4
	v_lshrrev_b32_e32 v1, 28, v254
	s_clause 0x4
	scratch_store_b32 off, v245, off offset:1132
	scratch_store_b32 off, v238, off offset:1136
	;; [unrolled: 1-line block ×5, first 2 shown]
	v_add3_u32 v13, v16, v14, v13
	v_mul_i32_i24_e32 v5, v34, v4
	s_clause 0x1
	scratch_store_b32 off, v4, off offset:592
	scratch_store_b32 off, v1, off offset:596
	v_mul_i32_i24_e32 v4, v48, v128
	v_add3_u32 v11, v13, v12, v11
	v_mul_i32_i24_e32 v1, v35, v1
	s_delay_alu instid0(VALU_DEP_2) | instskip(NEXT) | instid1(VALU_DEP_1)
	v_add3_u32 v9, v11, v10, v9
	v_add3_u32 v7, v9, v8, v7
	s_delay_alu instid0(VALU_DEP_1) | instskip(NEXT) | instid1(VALU_DEP_1)
	v_add3_u32 v5, v7, v6, v5
	v_add3_u32 v1, v5, v4, v1
	v_and_b32_e32 v4, 0xffff, v174
	scratch_store_b32 off, v4, off offset:600 ; 4-byte Folded Spill
	v_mul_lo_u32 v1, v1, v4
	scratch_load_b32 v4, off, off offset:144 ; 4-byte Folded Reload
	v_cvt_f32_i32_e32 v1, v1
	s_delay_alu instid0(VALU_DEP_1)
	v_fma_mix_f32 v1, v3, v1, v15 op_sel_hi:[1,0,0]
	s_wait_loadcnt 0x0
	v_mul_f32_e32 v0, v0, v4
	scratch_load_b32 v4, off, off offset:140 ; 4-byte Folded Reload
	s_wait_loadcnt 0x0
	v_fma_f32 v0, v1, v4, -v0
	scratch_load_b32 v1, off, off offset:800 ; 4-byte Folded Reload
	s_wait_loadcnt 0x0
	v_add_f32_e32 v1, v1, v0
	scratch_store_b32 off, v1, off offset:800 ; 4-byte Folded Spill
	s_clause 0x1
	scratch_load_b32 v0, off, off offset:1300
	scratch_load_b32 v1, off, off offset:1324
	s_wait_loadcnt 0x0
	v_add3_u32 v4, s16, v1, v0
	scratch_load_b32 v0, off, off offset:1304 ; 4-byte Folded Reload
	s_wait_loadcnt 0x0
	v_add_nc_u32_e32 v5, s17, v0
	s_mov_b32 s17, 8
	ds_load_2addr_b32 v[0:1], v5 offset1:1
	ds_load_2addr_b32 v[19:20], v5 offset0:2 offset1:3
	ds_load_2addr_b32 v[21:22], v5 offset0:4 offset1:5
	;; [unrolled: 1-line block ×3, first 2 shown]
	s_wait_dscnt 0x3
	v_and_b32_e32 v73, 15, v0
	v_bfe_u32 v8, v0, 16, 4
	v_bfe_u32 v9, v0, 8, 4
	;; [unrolled: 1-line block ×3, first 2 shown]
	s_wait_dscnt 0x1
	v_bfe_u32 v100, v21, 12, 4
	v_mul_i32_i24_e32 v6, v124, v73
	v_mul_i32_i24_e32 v7, v125, v8
	v_mov_b32_e32 v229, v8
	v_bfe_u32 v8, v0, 24, 4
	scratch_store_b32 off, v9, off offset:840 ; 4-byte Folded Spill
	v_mad_i32_i24 v6, v129, v9, v6
	v_bfe_u32 v9, v1, 16, 4
	s_clause 0x1
	scratch_store_b32 off, v10, off offset:268
	scratch_store_b32 off, v8, off offset:1228
	v_mul_i32_i24_e32 v8, v126, v8
	v_mul_i32_i24_e32 v10, v123, v10
	scratch_store_b32 off, v9, off offset:264 ; 4-byte Folded Spill
	v_mul_i32_i24_e32 v9, v122, v9
	s_wait_dscnt 0x0
	v_and_b32_e32 v5, 15, v23
	v_add3_u32 v6, v6, v7, v8
	v_and_b32_e32 v7, 15, v1
	v_bfe_u32 v8, v1, 8, 4
	v_bfe_u32 v15, v20, 12, 4
	scratch_store_b32 off, v5, off offset:1116 ; 4-byte Folded Spill
	v_mul_i32_i24_e32 v5, v78, v5
	s_clause 0x1
	scratch_store_b32 off, v7, off offset:256
	scratch_store_b32 off, v8, off offset:260
	v_mul_i32_i24_e32 v7, v120, v7
	v_mul_i32_i24_e32 v8, v121, v8
	v_bfe_u32 v28, v23, 4, 4
	v_bfe_u32 v25, v21, 20, 4
	;; [unrolled: 1-line block ×4, first 2 shown]
	v_add3_u32 v6, v6, v8, v7
	v_and_b32_e32 v7, 15, v19
	v_bfe_u32 v8, v19, 8, 4
	v_mul_i32_i24_e32 v30, v64, v31
	v_bfe_u32 v32, v24, 12, 4
	v_add3_u32 v6, v6, v9, v10
	scratch_store_b32 off, v7, off offset:1024 ; 4-byte Folded Spill
	v_mul_i32_i24_e32 v7, v116, v7
	v_bfe_u32 v9, v19, 16, 4
	scratch_store_b32 off, v8, off offset:1028 ; 4-byte Folded Spill
	v_mul_i32_i24_e32 v8, v117, v8
	v_bfe_u32 v10, v19, 24, 4
	v_bfe_u32 v26, v22, 12, 4
	scratch_store_b32 off, v9, off offset:1032 ; 4-byte Folded Spill
	v_mul_i32_i24_e32 v9, v118, v9
	v_add3_u32 v6, v6, v8, v7
	v_and_b32_e32 v7, 15, v20
	scratch_store_b32 off, v10, off offset:1036 ; 4-byte Folded Spill
	v_mul_i32_i24_e32 v10, v119, v10
	v_bfe_u32 v8, v20, 8, 4
	v_bfe_u32 v182, v1, 4, 4
	scratch_store_b32 off, v7, off offset:1040 ; 4-byte Folded Spill
	v_mul_i32_i24_e32 v7, v101, v7
	v_add3_u32 v6, v6, v9, v10
	scratch_store_b32 off, v8, off offset:1044 ; 4-byte Folded Spill
	v_mul_i32_i24_e32 v8, v102, v8
	v_bfe_u32 v9, v20, 16, 4
	v_bfe_u32 v10, v20, 24, 4
	;; [unrolled: 1-line block ×4, first 2 shown]
	v_add3_u32 v6, v6, v8, v7
	scratch_store_b32 off, v9, off offset:272 ; 4-byte Folded Spill
	v_mul_i32_i24_e32 v9, v103, v9
	scratch_store_b32 off, v10, off offset:1096 ; 4-byte Folded Spill
	v_mul_i32_i24_e32 v10, v104, v10
	v_and_b32_e32 v7, 15, v21
	v_bfe_u32 v8, v21, 8, 4
	v_mul_i32_i24_e32 v11, v55, v87
	v_lshrrev_b32_e32 v74, 28, v19
	v_add3_u32 v6, v6, v9, v10
	s_clause 0x1
	scratch_store_b32 off, v7, off offset:1048
	scratch_store_b32 off, v8, off offset:1052
	v_mul_i32_i24_e32 v7, v86, v7
	v_mul_i32_i24_e32 v8, v88, v8
	v_bfe_u32 v9, v21, 16, 4
	v_bfe_u32 v10, v21, 24, 4
	v_mul_i32_i24_e32 v12, v54, v127
	v_mul_i32_i24_e32 v13, v43, v74
	v_add3_u32 v6, v6, v8, v7
	v_and_b32_e32 v7, 15, v22
	scratch_store_b32 off, v9, off offset:1108 ; 4-byte Folded Spill
	v_mul_i32_i24_e32 v9, v93, v9
	v_bfe_u32 v8, v22, 8, 4
	scratch_store_b32 off, v10, off offset:608 ; 4-byte Folded Spill
	v_mul_i32_i24_e32 v10, v99, v10
	scratch_store_b32 off, v7, off offset:1112 ; 4-byte Folded Spill
	v_mul_i32_i24_e32 v7, v82, v7
	scratch_store_b32 off, v8, off offset:612 ; 4-byte Folded Spill
	v_mul_i32_i24_e32 v8, v83, v8
	v_add3_u32 v6, v6, v9, v10
	v_bfe_u32 v9, v22, 16, 4
	v_bfe_u32 v10, v22, 24, 4
	;; [unrolled: 1-line block ×4, first 2 shown]
	v_add3_u32 v6, v6, v8, v7
	scratch_store_b32 off, v9, off offset:108 ; 4-byte Folded Spill
	v_mul_i32_i24_e32 v9, v84, v9
	scratch_store_b32 off, v10, off offset:436 ; 4-byte Folded Spill
	v_mul_i32_i24_e32 v10, v85, v10
	v_bfe_u32 v7, v23, 8, 4
	v_bfe_u32 v8, v23, 16, 4
	v_lshrrev_b32_e32 v17, 28, v20
	v_mul_i32_i24_e32 v16, v56, v89
	v_add3_u32 v6, v6, v9, v10
	scratch_store_b32 off, v7, off offset:60 ; 4-byte Folded Spill
	v_mul_i32_i24_e32 v7, v79, v7
	v_bfe_u32 v9, v23, 24, 4
	scratch_store_b32 off, v8, off offset:1060 ; 4-byte Folded Spill
	v_mul_i32_i24_e32 v8, v80, v8
	v_bfe_u32 v10, v1, 20, 4
	v_add3_u32 v5, v6, v7, v5
	scratch_store_b32 off, v9, off offset:624 ; 4-byte Folded Spill
	v_mul_i32_i24_e32 v9, v81, v9
	v_and_b32_e32 v6, 15, v24
	v_bfe_u32 v7, v24, 8, 4
	v_bfe_u32 v105, v21, 4, 4
	v_lshrrev_b32_e32 v21, 28, v21
	v_add3_u32 v5, v5, v8, v9
	v_bfe_u32 v8, v24, 16, 4
	v_bfe_u32 v9, v24, 24, 4
	scratch_store_b32 off, v6, off offset:532 ; 4-byte Folded Spill
	v_mul_i32_i24_e32 v6, v47, v6
	scratch_store_b32 off, v7, off offset:692 ; 4-byte Folded Spill
	v_mul_i32_i24_e32 v7, v66, v7
	s_clause 0x1
	scratch_store_b32 off, v8, off offset:616
	scratch_store_b32 off, v9, off offset:628
	v_mul_i32_i24_e32 v8, v67, v8
	v_mul_i32_i24_e32 v9, v68, v9
	v_add3_u32 v5, v5, v7, v6
	ds_load_u16 v6, v4
	ds_load_u16 v4, v4 offset:8
	s_clause 0x1
	scratch_store_b32 off, v31, off offset:636
	scratch_store_b32 off, v28, off offset:632
	v_mul_i32_i24_e32 v28, v36, v28
	v_add3_u32 v5, v5, v8, v9
	v_bfe_u32 v8, v0, 20, 4
	v_bfe_u32 v9, v0, 12, 4
	;; [unrolled: 1-line block ×4, first 2 shown]
	v_lshrrev_b32_e32 v24, 28, v24
	s_clause 0x7
	scratch_store_b32 off, v25, off offset:240
	scratch_store_b32 off, v9, off offset:248
	;; [unrolled: 1-line block ×8, first 2 shown]
	v_mul_i32_i24_e32 v14, v40, v14
	s_wait_dscnt 0x1
	v_lshrrev_b16 v7, 8, v6
	v_and_b32_e32 v6, 0xff, v6
	scratch_store_b32 off, v15, off offset:56 ; 4-byte Folded Spill
	v_mul_i32_i24_e32 v15, v57, v15
	v_mul_i32_i24_e32 v17, v41, v17
	;; [unrolled: 1-line block ×3, first 2 shown]
	v_mul_lo_u32 v5, v5, v6
	s_clause 0x1
	scratch_store_b32 off, v6, off offset:1056
	scratch_store_b32 off, v26, off offset:1072
	s_wait_dscnt 0x0
	v_cvt_f32_ubyte0_e32 v6, v4
	v_mul_i32_i24_e32 v20, v58, v25
	v_bfe_u32 v25, v22, 4, 4
	scratch_store_b32 off, v21, off offset:1120 ; 4-byte Folded Spill
	v_mul_i32_i24_e32 v21, v39, v21
	v_cvt_f32_i32_e32 v5, v5
	scratch_store_b32 off, v6, off offset:620 ; 4-byte Folded Spill
	v_bfe_u32 v27, v22, 20, 4
	scratch_store_b32 off, v25, off offset:1124 ; 4-byte Folded Spill
	v_mul_i32_i24_e32 v25, v63, v25
	v_fma_mix_f32 v5, v2, v5, 0 op_sel_hi:[1,0,0]
	v_fma_mix_f32 v2, v2, v6, 0 op_sel:[1,0,0] op_sel_hi:[1,0,0]
	v_bfe_u32 v6, v0, 4, 4
	v_lshrrev_b32_e32 v0, 28, v0
	scratch_store_b32 off, v8, off offset:1064 ; 4-byte Folded Spill
	v_mul_i32_i24_e32 v8, v49, v8
	v_mul_i32_i24_e32 v26, v62, v26
	s_clause 0x1
	scratch_store_b32 off, v6, off offset:252
	scratch_store_b32 off, v24, off offset:244
	v_mul_i32_i24_e32 v6, v51, v6
	scratch_store_b32 off, v0, off offset:1068 ; 4-byte Folded Spill
	v_mul_i32_i24_e32 v0, v46, v0
	v_lshrrev_b32_e32 v22, 28, v22
	scratch_store_b32 off, v27, off offset:444 ; 4-byte Folded Spill
	v_mad_i32_i24 v6, v50, v9, v6
	v_mul_i32_i24_e32 v9, v52, v10
	v_mul_i32_i24_e32 v27, v61, v27
	scratch_store_b32 off, v22, off offset:440 ; 4-byte Folded Spill
	v_mul_i32_i24_e32 v22, v38, v22
	v_add3_u32 v0, v6, v8, v0
	v_bfe_u32 v8, v1, 12, 4
	v_mul_i32_i24_e32 v6, v44, v182
	v_lshrrev_b32_e32 v1, 28, v1
	scratch_store_b32 off, v10, off offset:44 ; 4-byte Folded Spill
	v_bfe_u32 v10, v19, 4, 4
	s_clause 0x1
	scratch_store_b32 off, v8, off offset:208
	scratch_store_b32 off, v87, off offset:216
	v_mul_i32_i24_e32 v8, v53, v8
	s_clause 0x1
	scratch_store_b32 off, v1, off offset:48
	scratch_store_b32 off, v10, off offset:52
	v_mul_i32_i24_e32 v1, v45, v1
	v_mul_i32_i24_e32 v10, v42, v10
	v_add3_u32 v0, v0, v6, v8
	v_mul_i32_i24_e32 v19, v59, v100
	v_lshrrev_b32_e32 v23, 28, v23
	scratch_store_b32 off, v29, off offset:640 ; 4-byte Folded Spill
	v_mul_i32_i24_e32 v29, v65, v29
	v_add3_u32 v0, v0, v9, v1
	s_clause 0x3
	scratch_store_b32 off, v36, off offset:652
	scratch_store_b32 off, v31, off offset:648
	;; [unrolled: 1-line block ×4, first 2 shown]
	v_add3_u32 v0, v0, v10, v11
	v_mul_i32_i24_e32 v23, v37, v23
	v_mul_i32_i24_e32 v31, v33, v31
	;; [unrolled: 1-line block ×4, first 2 shown]
	v_add3_u32 v0, v0, v12, v13
	v_mul_i32_i24_e32 v24, v35, v24
	v_and_b32_e32 v1, 0xffff, v7
	s_clause 0x1
	scratch_store_b32 off, v182, off offset:204
	scratch_store_b32 off, v100, off offset:836
	v_add3_u32 v0, v0, v14, v15
	scratch_store_b32 off, v1, off offset:28 ; 4-byte Folded Spill
	v_add3_u32 v0, v0, v16, v17
	s_delay_alu instid0(VALU_DEP_1) | instskip(NEXT) | instid1(VALU_DEP_1)
	v_add3_u32 v0, v0, v18, v19
	v_add3_u32 v0, v0, v20, v21
	s_delay_alu instid0(VALU_DEP_1) | instskip(NEXT) | instid1(VALU_DEP_1)
	v_add3_u32 v0, v0, v25, v26
	;; [unrolled: 3-line block ×4, first 2 shown]
	v_add3_u32 v0, v0, v33, v24
	s_delay_alu instid0(VALU_DEP_1)
	v_mul_lo_u32 v0, v0, v1
	v_cvt_f32_ubyte1_e32 v1, v4
	scratch_store_b32 off, v1, off offset:24 ; 4-byte Folded Spill
	v_fma_mix_f32 v1, v3, v1, v2 op_sel:[1,0,0] op_sel_hi:[1,0,0]
	scratch_load_b32 v2, off, off offset:4  ; 4-byte Folded Reload
	v_cvt_f32_i32_e32 v0, v0
	s_delay_alu instid0(VALU_DEP_1)
	v_fma_mix_f32 v0, v3, v0, v5 op_sel_hi:[1,0,0]
	s_wait_loadcnt 0x0
	v_mul_f32_e32 v1, v1, v2
	scratch_load_b32 v2, off, off           ; 4-byte Folded Reload
	s_wait_loadcnt 0x0
	v_fma_f32 v0, v0, v2, -v1
	scratch_load_b32 v1, off, off offset:796 ; 4-byte Folded Reload
	s_wait_loadcnt 0x0
	v_add_f32_e32 v1, v1, v0
	scratch_load_b32 v0, off, off offset:1252 ; 4-byte Folded Reload
	scratch_store_b32 off, v1, off offset:796 ; 4-byte Folded Spill
	s_wait_loadcnt 0x0
	v_or_b32_e32 v0, s13, v0
	s_delay_alu instid0(VALU_DEP_1)
	v_lshlrev_b32_e32 v1, 2, v0
	ds_load_b128 v[11:14], v1 offset:16896
	ds_load_b128 v[30:33], v1 offset:16912
	ds_load_b128 v[34:37], v1 offset:16928
	ds_load_b128 v[38:41], v1 offset:16944
	s_clause 0xa
	scratch_load_b32 v254, off, off offset:1216
	scratch_load_b32 v193, off, off offset:188
	;; [unrolled: 1-line block ×11, first 2 shown]
	v_lshrrev_b32_e32 v0, 1, v0
	s_clause 0x3
	scratch_store_b32 off, v180, off offset:180
	scratch_store_b32 off, v173, off offset:176
	;; [unrolled: 1-line block ×4, first 2 shown]
	s_wait_dscnt 0x3
	v_bfe_i32 v15, v11, 0, 8
	v_bfe_i32 v2, v11, 8, 8
	;; [unrolled: 1-line block ×3, first 2 shown]
	v_ashrrev_i32_e32 v17, 24, v11
	v_bfe_i32 v3, v12, 0, 8
	v_mul_i32_i24_e32 v66, v180, v15
	v_bfe_i32 v4, v12, 8, 8
	v_mul_i32_i24_e32 v67, v173, v16
	v_mul_i32_i24_e32 v68, v175, v17
	v_bfe_i32 v5, v12, 16, 8
	v_mad_i32_i24 v66, v233, v2, v66
	v_ashrrev_i32_e32 v6, 24, v12
	s_wait_dscnt 0x1
	v_bfe_i32 v42, v34, 0, 8
	v_bfe_i32 v43, v34, 8, 8
	;; [unrolled: 1-line block ×3, first 2 shown]
	v_add3_u32 v66, v66, v67, v68
	v_mul_i32_i24_e32 v67, v239, v3
	v_mul_i32_i24_e32 v68, v236, v4
	v_ashrrev_i32_e32 v34, 24, v34
	v_mul_i32_i24_e32 v78, v235, v5
	v_mul_i32_i24_e32 v79, v234, v6
	v_bfe_i32 v7, v13, 0, 8
	v_add3_u32 v66, v66, v67, v68
	v_mul_i32_i24_e32 v68, v201, v42
	v_bfe_i32 v8, v13, 8, 8
	v_bfe_i32 v45, v35, 0, 8
	;; [unrolled: 1-line block ×3, first 2 shown]
	v_add3_u32 v66, v66, v78, v79
	v_mul_i32_i24_e32 v78, v200, v44
	v_mul_i32_i24_e32 v79, v198, v34
	v_bfe_i32 v9, v13, 16, 8
	v_ashrrev_i32_e32 v10, 24, v13
	v_bfe_i32 v47, v35, 16, 8
	v_ashrrev_i32_e32 v35, 24, v35
	v_mul_i32_i24_e32 v80, v248, v7
	v_mul_i32_i24_e32 v81, v247, v8
	v_bfe_i32 v11, v14, 0, 8
	v_bfe_i32 v12, v14, 8, 8
	;; [unrolled: 1-line block ×4, first 2 shown]
	v_mul_i32_i24_e32 v82, v244, v9
	v_mul_i32_i24_e32 v83, v232, v10
	v_add3_u32 v66, v66, v80, v81
	v_bfe_i32 v13, v14, 16, 8
	v_ashrrev_i32_e32 v14, 24, v14
	v_bfe_i32 v50, v36, 16, 8
	v_ashrrev_i32_e32 v36, 24, v36
	v_mul_i32_i24_e32 v84, v252, v11
	v_mul_i32_i24_e32 v85, v251, v12
	v_add3_u32 v66, v66, v82, v83
	v_mul_i32_i24_e32 v82, v216, v48
	v_mul_i32_i24_e32 v83, v215, v49
	v_bfe_i32 v18, v30, 0, 8
	v_bfe_i32 v19, v30, 8, 8
	;; [unrolled: 1-line block ×4, first 2 shown]
	v_mul_i32_i24_e32 v86, v250, v13
	v_mul_i32_i24_e32 v88, v249, v14
	v_add3_u32 v66, v66, v84, v85
	v_mul_i32_i24_e32 v84, v214, v50
	v_bfe_i32 v20, v30, 16, 8
	v_ashrrev_i32_e32 v21, 24, v30
	v_bfe_i32 v53, v37, 16, 8
	v_ashrrev_i32_e32 v37, 24, v37
	v_mul_i32_i24_e32 v93, v225, v18
	v_mul_i32_i24_e32 v99, v223, v19
	v_add3_u32 v66, v66, v86, v88
	v_mul_i32_i24_e32 v86, v153, v51
	v_bfe_i32 v22, v31, 0, 8
	v_bfe_i32 v23, v31, 8, 8
	s_wait_dscnt 0x0
	v_bfe_i32 v54, v38, 0, 8
	v_bfe_i32 v55, v38, 8, 8
	v_mul_i32_i24_e32 v101, v219, v20
	v_mul_i32_i24_e32 v102, v218, v21
	v_add3_u32 v66, v66, v93, v99
	v_bfe_i32 v24, v31, 16, 8
	v_ashrrev_i32_e32 v25, 24, v31
	v_bfe_i32 v56, v38, 16, 8
	v_ashrrev_i32_e32 v38, 24, v38
	v_mul_i32_i24_e32 v103, v133, v22
	v_mul_i32_i24_e32 v104, v132, v23
	v_add3_u32 v66, v66, v101, v102
	v_mul_i32_i24_e32 v101, v157, v54
	v_mul_i32_i24_e32 v102, v156, v55
	v_bfe_i32 v26, v32, 0, 8
	v_bfe_i32 v27, v32, 8, 8
	;; [unrolled: 1-line block ×4, first 2 shown]
	v_mul_i32_i24_e32 v116, v131, v24
	v_mul_i32_i24_e32 v117, v130, v25
	v_add3_u32 v66, v66, v103, v104
	v_mul_i32_i24_e32 v103, v155, v56
	v_mul_i32_i24_e32 v104, v154, v38
	v_bfe_i32 v28, v32, 16, 8
	v_ashrrev_i32_e32 v29, 24, v32
	v_bfe_i32 v59, v39, 16, 8
	v_ashrrev_i32_e32 v39, 24, v39
	v_mul_i32_i24_e32 v118, v134, v26
	v_mul_i32_i24_e32 v119, v137, v27
	v_add3_u32 v66, v66, v116, v117
	v_mul_i32_i24_e32 v116, v161, v57
	v_mul_i32_i24_e32 v117, v160, v58
	v_bfe_i32 v30, v33, 0, 8
	v_bfe_i32 v31, v33, 8, 8
	;; [unrolled: 1-line block ×4, first 2 shown]
	v_mul_i32_i24_e32 v120, v136, v28
	v_mul_i32_i24_e32 v121, v135, v29
	v_add3_u32 v66, v66, v118, v119
	v_mul_i32_i24_e32 v118, v159, v59
	v_mul_i32_i24_e32 v119, v158, v39
	v_bfe_i32 v32, v33, 16, 8
	v_ashrrev_i32_e32 v33, 24, v33
	v_bfe_i32 v62, v40, 16, 8
	v_ashrrev_i32_e32 v40, 24, v40
	v_mul_i32_i24_e32 v122, v176, v30
	v_mul_i32_i24_e32 v123, v183, v31
	v_add3_u32 v66, v66, v120, v121
	v_mul_i32_i24_e32 v120, v165, v60
	v_mul_i32_i24_e32 v121, v164, v61
	v_bfe_i32 v63, v41, 0, 8
	v_bfe_i32 v64, v41, 8, 8
	v_add3_u32 v66, v66, v122, v123
	v_mul_i32_i24_e32 v122, v163, v62
	v_mul_i32_i24_e32 v123, v162, v40
	ds_load_b64 v[0:1], v0 offset:27200
	v_bfe_i32 v65, v41, 16, 8
	v_ashrrev_i32_e32 v41, 24, v41
	s_clause 0x6
	scratch_store_b32 off, v175, off offset:148
	scratch_store_b32 off, v239, off offset:152
	scratch_store_b32 off, v247, off offset:160
	scratch_store_b32 off, v244, off offset:156
	scratch_store_b32 off, v252, off offset:168
	scratch_store_b32 off, v251, off offset:164
	scratch_store_b32 off, v225, off offset:172
	v_mul_i32_i24_e32 v126, v167, v65
	v_mul_i32_i24_e32 v129, v166, v41
	s_clause 0xa
	scratch_store_b32 off, v236, off offset:1080
	scratch_store_b32 off, v232, off offset:1076
	;; [unrolled: 1-line block ×11, first 2 shown]
	s_wait_dscnt 0x0
	v_fma_mix_f32 v67, v202, v0, 0 op_sel:[0,1,0] op_sel_hi:[0,1,0]
	s_clause 0x4
	scratch_store_b32 off, v250, off offset:996
	scratch_store_b32 off, v249, off offset:992
	;; [unrolled: 1-line block ×5, first 2 shown]
	v_fma_mix_f32 v67, v113, v1, v67 op_sel:[0,1,0] op_sel_hi:[0,1,0]
	s_clause 0x4
	scratch_store_b32 off, v176, off offset:396
	scratch_store_b32 off, v198, off offset:416
	;; [unrolled: 1-line block ×5, first 2 shown]
	v_mul_f32_e32 v67, v67, v178
	s_clause 0xf
	scratch_store_b32 off, v216, off offset:1088
	scratch_store_b32 off, v153, off offset:900
	scratch_store_b32 off, v157, off offset:916
	scratch_store_b32 off, v156, off offset:912
	scratch_store_b32 off, v155, off offset:908
	scratch_store_b32 off, v154, off offset:904
	scratch_store_b32 off, v159, off offset:924
	scratch_store_b32 off, v158, off offset:920
	scratch_store_b32 off, v161, off offset:932
	scratch_store_b32 off, v160, off offset:928
	scratch_store_b32 off, v165, off offset:948
	scratch_store_b32 off, v164, off offset:944
	scratch_store_b32 off, v163, off offset:940
	scratch_store_b32 off, v162, off offset:936
	scratch_store_b32 off, v167, off offset:956
	scratch_store_b32 off, v166, off offset:952
	s_wait_loadcnt 0xa
	v_mad_i32_i24 v68, v254, v43, v68
	s_wait_loadcnt 0x9
	v_mul_i32_i24_e32 v124, v193, v32
	s_wait_loadcnt 0x8
	v_mul_i32_i24_e32 v125, v194, v33
	;; [unrolled: 2-line block ×3, first 2 shown]
	v_add3_u32 v68, v68, v78, v79
	s_wait_loadcnt 0x4
	v_mul_i32_i24_e32 v78, v206, v45
	v_mul_i32_i24_e32 v79, v205, v46
	s_wait_loadcnt 0x3
	v_mul_i32_i24_e32 v80, v204, v47
	v_mul_i32_i24_e32 v85, v174, v36
	s_wait_loadcnt 0x2
	v_mul_i32_i24_e32 v88, v152, v52
	s_wait_loadcnt 0x1
	v_mul_i32_i24_e32 v93, v151, v53
	v_add3_u32 v68, v68, v78, v79
	s_wait_loadcnt 0x0
	v_mul_i32_i24_e32 v99, v150, v37
	v_add3_u32 v66, v66, v124, v125
	v_mul_i32_i24_e32 v124, v177, v63
	v_mul_i32_i24_e32 v125, v169, v64
	v_add3_u32 v68, v68, v80, v81
	v_mul_i32_i24_e32 v78, v5, v220
	v_mul_lo_u32 v66, v66, v228
	v_mul_i32_i24_e32 v79, v6, v221
	v_mul_i32_i24_e32 v80, v7, v241
	v_add3_u32 v68, v68, v82, v83
	v_mul_i32_i24_e32 v81, v8, v242
	v_mul_i32_i24_e32 v82, v9, v243
	;; [unrolled: 1-line block ×3, first 2 shown]
	s_delay_alu instid0(VALU_DEP_4) | instskip(SKIP_1) | instid1(VALU_DEP_2)
	v_add3_u32 v68, v68, v84, v85
	v_cvt_f32_i32_e32 v66, v66
	v_add3_u32 v68, v68, v86, v88
	s_delay_alu instid0(VALU_DEP_2) | instskip(NEXT) | instid1(VALU_DEP_2)
	v_fma_mix_f32 v66, v0, v66, 0 op_sel_hi:[1,0,0]
	v_add3_u32 v68, v68, v93, v99
	s_delay_alu instid0(VALU_DEP_1) | instskip(SKIP_1) | instid1(VALU_DEP_2)
	v_add3_u32 v68, v68, v101, v102
	v_mul_i32_i24_e32 v101, v20, v224
	v_add3_u32 v68, v68, v103, v104
	v_mul_i32_i24_e32 v103, v22, v76
	v_mul_i32_i24_e32 v104, v23, v77
	s_delay_alu instid0(VALU_DEP_3) | instskip(SKIP_2) | instid1(VALU_DEP_3)
	v_add3_u32 v68, v68, v116, v117
	v_mul_i32_i24_e32 v116, v24, v94
	v_mul_i32_i24_e32 v117, v25, v106
	v_add3_u32 v68, v68, v118, v119
	v_mul_i32_i24_e32 v118, v26, v95
	v_mul_i32_i24_e32 v119, v27, v97
	s_delay_alu instid0(VALU_DEP_3) | instskip(SKIP_2) | instid1(VALU_DEP_3)
	v_add3_u32 v68, v68, v120, v121
	v_mul_i32_i24_e32 v120, v28, v107
	;; [unrolled: 7-line block ×3, first 2 shown]
	v_mul_i32_i24_e32 v125, v33, v197
	v_add3_u32 v68, v68, v126, v129
	s_delay_alu instid0(VALU_DEP_1) | instskip(NEXT) | instid1(VALU_DEP_1)
	v_mul_lo_u32 v68, v68, v112
	v_cvt_f32_i32_e32 v68, v68
	s_delay_alu instid0(VALU_DEP_1) | instskip(SKIP_1) | instid1(VALU_DEP_2)
	v_fma_mix_f32 v66, v1, v68, v66 op_sel_hi:[1,0,0]
	v_mul_i32_i24_e32 v68, v17, v226
	v_fma_f32 v66, v66, v172, -v67
	scratch_load_b32 v67, off, off offset:792 ; 4-byte Folded Reload
	s_wait_loadcnt 0x0
	v_add_f32_e32 v67, v67, v66
	s_clause 0x1
	scratch_store_b32 off, v67, off offset:792
	scratch_store_b32 off, v184, off offset:856
	s_clause 0x16
	scratch_load_b32 v181, off, off offset:384
	scratch_load_b32 v75, off, off offset:68
	;; [unrolled: 1-line block ×23, first 2 shown]
	v_mul_i32_i24_e32 v66, v15, v184
	v_mul_i32_i24_e32 v67, v16, v208
	s_clause 0x3
	scratch_store_b32 off, v221, off offset:1196
	scratch_store_b32 off, v241, off offset:1200
	;; [unrolled: 1-line block ×4, first 2 shown]
	v_mad_i32_i24 v66, v2, v209, v66
	s_clause 0x7
	scratch_store_b32 off, v76, off offset:304
	scratch_store_b32 off, v77, off offset:308
	;; [unrolled: 1-line block ×8, first 2 shown]
	v_add3_u32 v66, v66, v67, v68
	v_mul_i32_i24_e32 v67, v3, v210
	v_mul_i32_i24_e32 v68, v4, v213
	s_clause 0x4
	scratch_store_b32 off, v108, off offset:336
	scratch_store_b32 off, v148, off offset:348
	;; [unrolled: 1-line block ×5, first 2 shown]
	v_add3_u32 v66, v66, v67, v68
	v_fma_mix_f32 v67, v98, v0, 0 op_sel:[0,1,0] op_sel_hi:[0,1,0]
	s_clause 0x1
	scratch_store_b32 off, v213, off offset:1188
	scratch_store_b32 off, v220, off offset:1192
	v_add3_u32 v66, v66, v78, v79
	v_mul_i32_i24_e32 v79, v34, v149
	s_delay_alu instid0(VALU_DEP_2) | instskip(NEXT) | instid1(VALU_DEP_1)
	v_add3_u32 v66, v66, v80, v81
	v_add3_u32 v66, v66, v82, v83
	s_wait_loadcnt 0x16
	v_mul_i32_i24_e32 v84, v11, v181
	s_wait_loadcnt 0x15
	v_mul_i32_i24_e32 v102, v21, v75
	;; [unrolled: 2-line block ×7, first 2 shown]
	v_add3_u32 v66, v66, v84, v85
	v_mul_i32_i24_e32 v85, v36, v212
	s_wait_loadcnt 0x7
	v_mul_i32_i24_e32 v126, v65, v126
	s_wait_loadcnt 0x6
	;; [unrolled: 2-line block ×6, first 2 shown]
	v_mul_i32_i24_e32 v83, v49, v189
	v_add3_u32 v66, v66, v86, v88
	s_wait_loadcnt 0x1
	v_mul_i32_i24_e32 v68, v42, v109
	s_wait_loadcnt 0x0
	v_mul_i32_i24_e32 v78, v44, v110
	v_mul_i32_i24_e32 v86, v51, v199
	;; [unrolled: 1-line block ×3, first 2 shown]
	v_add3_u32 v66, v66, v93, v99
	v_mad_i32_i24 v68, v43, v111, v68
	v_mul_i32_i24_e32 v93, v53, v217
	v_mul_i32_i24_e32 v99, v37, v240
	;; [unrolled: 1-line block ×3, first 2 shown]
	v_add3_u32 v66, v66, v101, v102
	scratch_load_b32 v102, off, off offset:448 ; 4-byte Folded Reload
	v_add3_u32 v68, v68, v78, v79
	v_mul_i32_i24_e32 v78, v45, v195
	v_mul_i32_i24_e32 v79, v46, v170
	v_add3_u32 v66, v66, v103, v104
	s_clause 0x1
	scratch_load_b32 v103, off, off offset:76
	scratch_load_b32 v104, off, off offset:452
	v_mul_i32_i24_e32 v101, v54, v246
	v_add3_u32 v68, v68, v78, v79
	v_add3_u32 v66, v66, v116, v117
	v_mul_i32_i24_e32 v116, v57, v90
	s_clause 0x1
	scratch_load_b32 v90, off, off offset:292
	scratch_load_b32 v78, off, off offset:12
	v_add3_u32 v68, v68, v80, v81
	v_add3_u32 v66, v66, v118, v119
	s_clause 0x1
	scratch_load_b32 v118, off, off offset:456
	scratch_load_b32 v119, off, off offset:476
	v_mul_i32_i24_e32 v79, v6, v147
	v_add3_u32 v68, v68, v82, v83
	v_add3_u32 v66, v66, v120, v121
	v_mul_i32_i24_e32 v120, v60, v91
	scratch_load_b32 v91, off, off offset:296 ; 4-byte Folded Reload
	v_mul_i32_i24_e32 v80, v7, v146
	v_add3_u32 v68, v68, v84, v85
	v_add3_u32 v66, v66, v122, v123
	s_clause 0x1
	scratch_load_b32 v122, off, off offset:460
	scratch_load_b32 v123, off, off offset:480
	v_mul_i32_i24_e32 v81, v8, v145
	v_add3_u32 v68, v68, v86, v88
	v_add3_u32 v66, v66, v124, v125
	v_mul_i32_i24_e32 v124, v63, v92
	scratch_load_b32 v92, off, off offset:300 ; 4-byte Folded Reload
	v_mul_i32_i24_e32 v82, v9, v144
	v_add3_u32 v68, v68, v93, v99
	v_mul_lo_u32 v66, v66, v96
	v_mul_i32_i24_e32 v83, v10, v143
	v_mul_i32_i24_e32 v84, v11, v142
	;; [unrolled: 1-line block ×7, first 2 shown]
	v_cvt_f32_i32_e32 v66, v66
	s_clause 0x3
	scratch_load_b32 v115, off, off offset:492
	scratch_load_b32 v140, off, off offset:276
	;; [unrolled: 1-line block ×4, first 2 shown]
	v_fma_mix_f32 v66, v0, v66, 0 op_sel_hi:[1,0,0]
	s_clause 0x6
	scratch_load_b32 v139, off, off offset:500
	scratch_load_b32 v142, off, off offset:508
	;; [unrolled: 1-line block ×7, first 2 shown]
	s_wait_loadcnt 0x15
	v_mul_i32_i24_e32 v102, v55, v102
	s_delay_alu instid0(VALU_DEP_1)
	v_add3_u32 v68, v68, v101, v102
	v_mul_i32_i24_e32 v102, v21, v72
	scratch_load_b32 v72, off, off offset:92 ; 4-byte Folded Reload
	s_wait_loadcnt 0x15
	v_mul_i32_i24_e32 v103, v56, v103
	s_wait_loadcnt 0x14
	v_mul_i32_i24_e32 v104, v38, v104
	v_mul_i32_i24_e32 v101, v20, v114
	s_wait_loadcnt 0x13
	v_mul_i32_i24_e32 v117, v58, v90
	scratch_load_b32 v114, off, off offset:288 ; 4-byte Folded Reload
	v_add3_u32 v68, v68, v103, v104
	s_wait_loadcnt 0x12
	v_mul_i32_i24_e32 v118, v59, v118
	s_wait_loadcnt 0x11
	v_mul_i32_i24_e32 v119, v39, v119
	v_add3_u32 v68, v68, v116, v117
	s_wait_loadcnt 0x10
	v_mul_i32_i24_e32 v121, v61, v91
	s_delay_alu instid0(VALU_DEP_2)
	v_add3_u32 v68, v68, v118, v119
	s_wait_loadcnt 0xf
	v_mul_i32_i24_e32 v122, v62, v122
	s_wait_loadcnt 0xe
	v_mul_i32_i24_e32 v123, v40, v123
	v_add3_u32 v68, v68, v120, v121
	s_wait_loadcnt 0xd
	v_mul_i32_i24_e32 v125, v64, v92
	s_delay_alu instid0(VALU_DEP_2) | instskip(NEXT) | instid1(VALU_DEP_1)
	v_add3_u32 v68, v68, v122, v123
	v_add3_u32 v68, v68, v124, v125
	s_wait_loadcnt 0xc
	v_mul_i32_i24_e32 v123, v31, v115
	s_delay_alu instid0(VALU_DEP_2)
	v_add3_u32 v68, v68, v126, v129
	s_wait_loadcnt 0xb
	v_mul_i32_i24_e32 v125, v33, v140
	v_mul_i32_i24_e32 v126, v65, v128
	scratch_load_b32 v128, off, off offset:596 ; 4-byte Folded Reload
	v_mul_lo_u32 v68, v68, v78
	scratch_load_b32 v78, off, off offset:104 ; 4-byte Folded Reload
	v_cvt_f32_i32_e32 v68, v68
	s_delay_alu instid0(VALU_DEP_1)
	v_fma_mix_f32 v66, v1, v68, v66 op_sel_hi:[1,0,0]
	scratch_load_b32 v68, off, off offset:488 ; 4-byte Folded Reload
	s_wait_loadcnt 0x4
	v_mul_i32_i24_e32 v103, v22, v72
	scratch_load_b32 v72, off, off offset:96 ; 4-byte Folded Reload
	s_wait_loadcnt 0x4
	v_mul_i32_i24_e32 v122, v30, v114
	s_wait_loadcnt 0x3
	v_mul_i32_i24_e32 v129, v41, v128
	scratch_load_b32 v128, off, off offset:620 ; 4-byte Folded Reload
	s_wait_loadcnt 0x2
	v_fma_mix_f32 v67, v68, v1, v67 op_sel:[0,1,0] op_sel_hi:[0,1,0]
	scratch_load_b32 v68, off, off offset:564 ; 4-byte Folded Reload
	v_mul_f32_e32 v67, v67, v71
	scratch_load_b32 v71, off, off offset:672 ; 4-byte Folded Reload
	v_fma_f32 v66, v66, v70, -v67
	s_clause 0x1
	scratch_load_b32 v67, off, off offset:788
	scratch_load_b32 v70, off, off offset:668
	s_wait_loadcnt 0x5
	v_mul_i32_i24_e32 v104, v23, v72
	scratch_load_b32 v72, off, off offset:32 ; 4-byte Folded Reload
	s_wait_loadcnt 0x4
	v_mul_i32_i24_e32 v68, v17, v68
	s_wait_loadcnt 0x2
	v_add_f32_e32 v67, v67, v66
	s_wait_loadcnt 0x1
	v_mul_i32_i24_e32 v66, v15, v70
	s_clause 0x4
	scratch_store_b32 off, v209, off offset:1180
	scratch_store_b32 off, v231, off offset:860
	;; [unrolled: 1-line block ×5, first 2 shown]
	v_mul_i32_i24_e32 v67, v16, v71
	v_mad_i32_i24 v66, v2, v78, v66
	v_mul_i32_i24_e32 v78, v5, v188
	v_mul_i32_i24_e32 v15, v15, v73
	scratch_load_b32 v188, off, off offset:284 ; 4-byte Folded Reload
	v_mul_i32_i24_e32 v16, v16, v229
	v_add3_u32 v66, v66, v67, v68
	s_clause 0x1
	scratch_load_b32 v67, off, off offset:16
	scratch_load_b32 v68, off, off offset:20
	s_wait_loadcnt 0x3
	v_mul_i32_i24_e32 v116, v24, v72
	scratch_load_b32 v72, off, off offset:536 ; 4-byte Folded Reload
	s_wait_loadcnt 0x3
	v_mul_i32_i24_e32 v121, v29, v188
	s_wait_loadcnt 0x2
	v_mul_i32_i24_e32 v67, v3, v67
	;; [unrolled: 2-line block ×3, first 2 shown]
	s_delay_alu instid0(VALU_DEP_1)
	v_add3_u32 v66, v66, v67, v68
	s_clause 0x1
	scratch_load_b32 v67, off, off offset:540
	scratch_load_b32 v68, off, off offset:548
	v_add3_u32 v66, v66, v78, v79
	s_clause 0x1
	scratch_load_b32 v78, off, off offset:100
	scratch_load_b32 v79, off, off offset:556
	v_add3_u32 v66, v66, v80, v81
	scratch_load_b32 v80, off, off offset:552 ; 4-byte Folded Reload
	v_mul_i32_i24_e32 v81, v35, v142
	v_add3_u32 v66, v66, v82, v83
	v_mul_i32_i24_e32 v82, v48, v143
	v_mul_i32_i24_e32 v83, v49, v145
	s_delay_alu instid0(VALU_DEP_3) | instskip(SKIP_2) | instid1(VALU_DEP_3)
	v_add3_u32 v66, v66, v84, v85
	v_mul_i32_i24_e32 v84, v50, v144
	v_mul_i32_i24_e32 v85, v36, v146
	v_add3_u32 v66, v66, v86, v88
	scratch_load_b32 v88, off, off offset:572 ; 4-byte Folded Reload
	v_mul_i32_i24_e32 v86, v51, v147
	v_add3_u32 v66, v66, v93, v99
	s_clause 0x1
	scratch_load_b32 v93, off, off offset:568
	scratch_load_b32 v99, off, off offset:576
	v_add3_u32 v66, v66, v101, v102
	s_clause 0x1
	scratch_load_b32 v101, off, off offset:580
	scratch_load_b32 v102, off, off offset:588
	v_add3_u32 v66, v66, v103, v104
	v_mul_i32_i24_e32 v104, v38, v245
	s_clause 0x1
	scratch_load_b32 v245, off, off offset:1228
	scratch_load_b32 v103, off, off offset:584
	s_wait_loadcnt 0xc
	v_mul_i32_i24_e32 v117, v25, v72
	scratch_load_b32 v72, off, off offset:36 ; 4-byte Folded Reload
	v_add3_u32 v66, v66, v116, v117
	v_mul_i32_i24_e32 v116, v57, v238
	scratch_load_b32 v238, off, off offset:840 ; 4-byte Folded Reload
	v_mul_i32_i24_e32 v117, v58, v230
	v_mov_b32_e32 v230, v73
	scratch_load_b32 v73, off, off offset:624 ; 4-byte Folded Reload
	scratch_store_b32 off, v226, off offset:1212 ; 4-byte Folded Spill
	s_wait_loadcnt 0xd
	v_mul_i32_i24_e32 v68, v42, v68
	s_wait_loadcnt 0xc
	v_mul_i32_i24_e32 v78, v44, v78
	;; [unrolled: 2-line block ×3, first 2 shown]
	s_wait_loadcnt 0xa
	v_mad_i32_i24 v68, v43, v80, v68
	v_mul_i32_i24_e32 v80, v47, v139
	s_delay_alu instid0(VALU_DEP_2) | instskip(SKIP_2) | instid1(VALU_DEP_1)
	v_add3_u32 v68, v68, v78, v79
	v_mul_i32_i24_e32 v78, v45, v138
	v_mul_i32_i24_e32 v79, v46, v141
	v_add3_u32 v68, v68, v78, v79
	scratch_load_b32 v78, off, off offset:600 ; 4-byte Folded Reload
	s_wait_loadcnt 0xa
	v_mul_i32_i24_e32 v88, v52, v88
	v_add3_u32 v68, v68, v80, v81
	s_wait_loadcnt 0x9
	v_mul_i32_i24_e32 v93, v53, v93
	s_wait_loadcnt 0x8
	v_mul_i32_i24_e32 v99, v37, v99
	v_add3_u32 v68, v68, v82, v83
	s_wait_loadcnt 0x7
	v_mul_i32_i24_e32 v101, v54, v101
	;; [unrolled: 5-line block ×3, first 2 shown]
	s_delay_alu instid0(VALU_DEP_2) | instskip(SKIP_2) | instid1(VALU_DEP_2)
	v_add3_u32 v68, v68, v86, v88
	s_wait_loadcnt 0x4
	v_mul_i32_i24_e32 v103, v56, v103
	v_add3_u32 v68, v68, v93, v99
	s_delay_alu instid0(VALU_DEP_1) | instskip(NEXT) | instid1(VALU_DEP_1)
	v_add3_u32 v68, v68, v101, v102
	v_add3_u32 v68, v68, v103, v104
	s_delay_alu instid0(VALU_DEP_1)
	v_add3_u32 v68, v68, v116, v117
	s_wait_loadcnt 0x3
	v_mul_i32_i24_e32 v118, v26, v72
	scratch_load_b32 v72, off, off offset:40 ; 4-byte Folded Reload
	s_wait_loadcnt 0x3
	v_mad_i32_i24 v2, v2, v238, v15
	scratch_load_b32 v15, off, off offset:256 ; 4-byte Folded Reload
	v_add3_u32 v2, v2, v16, v17
	scratch_load_b32 v16, off, off offset:1052 ; 4-byte Folded Reload
	s_wait_loadcnt 0x2
	v_mul_i32_i24_e32 v119, v27, v72
	scratch_load_b32 v72, off, off offset:544 ; 4-byte Folded Reload
	v_add3_u32 v66, v66, v118, v119
	s_wait_loadcnt 0x2
	v_mul_i32_i24_e32 v3, v3, v15
	scratch_load_b32 v15, off, off offset:260 ; 4-byte Folded Reload
	v_mul_i32_i24_e32 v119, v39, v222
	scratch_load_b32 v222, off, off offset:1112 ; 4-byte Folded Reload
	v_mul_i32_i24_e32 v118, v59, v237
	s_wait_loadcnt 0x3
	v_mul_i32_i24_e32 v16, v19, v16
	v_mov_b32_e32 v237, v229
	scratch_load_b32 v229, off, off offset:1096 ; 4-byte Folded Reload
	scratch_store_b32 off, v210, off offset:1184 ; 4-byte Folded Spill
	v_add3_u32 v68, v68, v118, v119
	s_clause 0x2
	scratch_store_b32 off, v230, off offset:1220
	scratch_store_b32 off, v208, off offset:1244
	;; [unrolled: 1-line block ×3, first 2 shown]
	s_wait_loadcnt 0x3
	v_mul_i32_i24_e32 v120, v28, v72
	scratch_load_b32 v72, off, off offset:560 ; 4-byte Folded Reload
	v_add3_u32 v66, v66, v120, v121
	s_wait_loadcnt 0x3
	v_mul_i32_i24_e32 v4, v4, v15
	scratch_load_b32 v15, off, off offset:264 ; 4-byte Folded Reload
	s_wait_loadcnt 0x3
	v_mul_i32_i24_e32 v19, v22, v222
	scratch_load_b32 v22, off, off offset:436 ; 4-byte Folded Reload
	v_add3_u32 v66, v66, v122, v123
	v_mul_i32_i24_e32 v122, v62, v192
	scratch_load_b32 v192, off, off offset:1108 ; 4-byte Folded Reload
	v_mul_i32_i24_e32 v120, v60, v203
	scratch_load_b32 v203, off, off offset:1116 ; 4-byte Folded Reload
	;; [unrolled: 2-line block ×4, first 2 shown]
	v_add3_u32 v2, v2, v3, v4
	s_clause 0x1
	scratch_load_b32 v3, off, off offset:1056
	scratch_load_b32 v4, off, off offset:1064
	s_wait_loadcnt 0x9
	v_mul_i32_i24_e32 v14, v14, v229
	v_add3_u32 v68, v68, v120, v121
	s_delay_alu instid0(VALU_DEP_1)
	v_add3_u32 v68, v68, v122, v123
	s_wait_loadcnt 0x8
	v_mul_i32_i24_e32 v124, v32, v72
	scratch_load_b32 v72, off, off offset:280 ; 4-byte Folded Reload
	v_add3_u32 v66, v66, v124, v125
	s_wait_loadcnt 0x8
	v_mul_i32_i24_e32 v5, v5, v15
	scratch_load_b32 v15, off, off offset:268 ; 4-byte Folded Reload
	s_wait_loadcnt 0x8
	v_mul_i32_i24_e32 v22, v25, v22
	scratch_load_b32 v25, off, off offset:1060 ; 4-byte Folded Reload
	v_mul_i32_i24_e32 v124, v63, v171
	s_wait_loadcnt 0x8
	v_mul_i32_i24_e32 v17, v20, v192
	s_clause 0x2
	scratch_load_b32 v20, off, off offset:612
	scratch_load_b32 v171, off, off offset:692
	;; [unrolled: 1-line block ×3, first 2 shown]
	v_mul_lo_u32 v66, v66, v67
	s_wait_loadcnt 0x6
	v_mul_i32_i24_e32 v4, v44, v4
	s_delay_alu instid0(VALU_DEP_2) | instskip(NEXT) | instid1(VALU_DEP_1)
	v_cvt_f32_i32_e32 v66, v66
	v_fma_mix_f32 v66, v0, v66, 0 op_sel_hi:[1,0,0]
	s_wait_loadcnt 0x5
	v_fma_mix_f32 v67, v72, v0, 0 op_sel:[0,1,0] op_sel_hi:[0,1,0]
	s_wait_loadcnt 0x4
	v_mul_i32_i24_e32 v6, v6, v15
	scratch_load_b32 v15, off, off offset:1024 ; 4-byte Folded Reload
	s_wait_loadcnt 0x4
	v_mul_i32_i24_e32 v25, v28, v25
	s_wait_loadcnt 0x3
	v_mul_i32_i24_e32 v20, v23, v20
	v_mul_i32_i24_e32 v23, v26, v203
	;; [unrolled: 1-line block ×3, first 2 shown]
	scratch_load_b32 v29, off, off offset:616 ; 4-byte Folded Reload
	v_add3_u32 v2, v2, v5, v6
	s_wait_loadcnt 0x3
	v_mul_i32_i24_e32 v28, v31, v171
	s_clause 0x2
	scratch_load_b32 v5, off, off offset:1068
	scratch_load_b32 v6, off, off offset:248
	;; [unrolled: 1-line block ×3, first 2 shown]
	s_wait_loadcnt 0x5
	v_mul_i32_i24_e32 v125, v64, v125
	s_delay_alu instid0(VALU_DEP_1) | instskip(NEXT) | instid1(VALU_DEP_1)
	v_add3_u32 v68, v68, v124, v125
	v_add3_u32 v68, v68, v126, v129
	s_delay_alu instid0(VALU_DEP_1) | instskip(NEXT) | instid1(VALU_DEP_1)
	v_mul_lo_u32 v68, v68, v78
	v_cvt_f32_i32_e32 v68, v68
	s_delay_alu instid0(VALU_DEP_1)
	v_fma_mix_f32 v66, v1, v68, v66 op_sel_hi:[1,0,0]
	scratch_load_b32 v68, off, off offset:604 ; 4-byte Folded Reload
	s_wait_loadcnt 0x5
	v_mul_i32_i24_e32 v7, v7, v15
	scratch_load_b32 v15, off, off offset:1028 ; 4-byte Folded Reload
	s_wait_loadcnt 0x5
	v_mul_i32_i24_e32 v29, v32, v29
	s_wait_loadcnt 0x4
	v_mul_i32_i24_e32 v5, v34, v5
	;; [unrolled: 2-line block ×3, first 2 shown]
	s_wait_loadcnt 0x1
	v_fma_mix_f32 v67, v68, v1, v67 op_sel:[0,1,0] op_sel_hi:[0,1,0]
	scratch_load_b32 v68, off, off offset:144 ; 4-byte Folded Reload
	s_wait_loadcnt 0x1
	v_mul_i32_i24_e32 v8, v8, v15
	scratch_load_b32 v15, off, off offset:1032 ; 4-byte Folded Reload
	v_add3_u32 v2, v2, v7, v8
	s_clause 0x1
	scratch_load_b32 v7, off, off offset:48
	scratch_load_b32 v8, off, off offset:52
	s_wait_loadcnt 0x3
	v_mul_f32_e32 v67, v67, v68
	scratch_load_b32 v68, off, off offset:140 ; 4-byte Folded Reload
	s_wait_loadcnt 0x3
	v_mul_i32_i24_e32 v9, v9, v15
	scratch_load_b32 v15, off, off offset:1036 ; 4-byte Folded Reload
	s_wait_loadcnt 0x3
	v_mul_i32_i24_e32 v7, v35, v7
	s_wait_loadcnt 0x2
	v_mul_i32_i24_e32 v8, v48, v8
	s_wait_loadcnt 0x1
	v_fma_f32 v66, v66, v68, -v67
	scratch_load_b32 v67, off, off offset:784 ; 4-byte Folded Reload
	s_wait_loadcnt 0x1
	v_mul_i32_i24_e32 v10, v10, v15
	scratch_load_b32 v15, off, off offset:1040 ; 4-byte Folded Reload
	v_add3_u32 v2, v2, v9, v10
	v_mul_i32_i24_e32 v9, v49, v87
	scratch_load_b32 v87, off, off offset:56 ; 4-byte Folded Reload
	v_mul_i32_i24_e32 v10, v50, v127
	scratch_load_b32 v127, off, off offset:1124 ; 4-byte Folded Reload
	s_wait_loadcnt 0x3
	v_add_f32_e32 v67, v67, v66
	s_wait_loadcnt 0x2
	v_mul_i32_i24_e32 v11, v11, v15
	scratch_load_b32 v15, off, off offset:1044 ; 4-byte Folded Reload
	s_wait_loadcnt 0x0
	v_mul_i32_i24_e32 v12, v12, v15
	scratch_load_b32 v15, off, off offset:272 ; 4-byte Folded Reload
	v_add3_u32 v2, v2, v11, v12
	v_mul_i32_i24_e32 v11, v36, v74
	scratch_load_b32 v74, off, off offset:224 ; 4-byte Folded Reload
	s_wait_loadcnt 0x1
	v_mul_i32_i24_e32 v13, v13, v15
	scratch_load_b32 v15, off, off offset:1048 ; 4-byte Folded Reload
	v_add3_u32 v2, v2, v13, v14
	v_mul_i32_i24_e32 v14, v53, v89
	scratch_load_b32 v89, off, off offset:232 ; 4-byte Folded Reload
	s_wait_loadcnt 0x2
	v_mul_i32_i24_e32 v12, v51, v74
	v_mul_i32_i24_e32 v13, v52, v87
	s_wait_loadcnt 0x1
	v_mul_i32_i24_e32 v15, v18, v15
	scratch_load_b32 v18, off, off offset:608 ; 4-byte Folded Reload
	v_add3_u32 v2, v2, v15, v16
	v_mul_i32_i24_e32 v16, v54, v105
	scratch_load_b32 v105, off, off offset:1120 ; 4-byte Folded Reload
	s_wait_loadcnt 0x2
	v_mul_i32_i24_e32 v15, v37, v89
	s_wait_loadcnt 0x1
	v_mul_i32_i24_e32 v18, v21, v18
	scratch_load_b32 v21, off, off offset:108 ; 4-byte Folded Reload
	v_add3_u32 v2, v2, v17, v18
	v_mul_i32_i24_e32 v17, v55, v100
	scratch_load_b32 v100, off, off offset:240 ; 4-byte Folded Reload
	v_add3_u32 v2, v2, v19, v20
	s_wait_loadcnt 0x2
	v_mul_i32_i24_e32 v19, v38, v105
	v_mul_i32_i24_e32 v20, v57, v127
	s_wait_loadcnt 0x1
	v_mul_i32_i24_e32 v21, v24, v21
	scratch_load_b32 v24, off, off offset:60 ; 4-byte Folded Reload
	v_add3_u32 v2, v2, v21, v22
	s_clause 0x1
	scratch_load_b32 v21, off, off offset:1072
	scratch_load_b32 v22, off, off offset:444
	s_wait_loadcnt 0x3
	v_mul_i32_i24_e32 v18, v56, v100
	s_wait_loadcnt 0x2
	v_mul_i32_i24_e32 v24, v27, v24
	v_mul_i32_i24_e32 v27, v30, v190
	;; [unrolled: 1-line block ×3, first 2 shown]
	s_delay_alu instid0(VALU_DEP_3)
	v_add3_u32 v2, v2, v23, v24
	s_clause 0x1
	scratch_load_b32 v23, off, off offset:440
	scratch_load_b32 v24, off, off offset:632
	s_wait_loadcnt 0x3
	v_mul_i32_i24_e32 v21, v58, v21
	s_wait_loadcnt 0x2
	v_mul_i32_i24_e32 v22, v59, v22
	v_add3_u32 v2, v2, v25, v26
	s_clause 0x1
	scratch_load_b32 v25, off, off offset:640
	scratch_load_b32 v26, off, off offset:636
	v_add3_u32 v2, v2, v27, v28
	s_clause 0x1
	scratch_load_b32 v27, off, off offset:644
	scratch_load_b32 v28, off, off offset:648
	;; [unrolled: 4-line block ×3, first 2 shown]
	v_mul_lo_u32 v2, v2, v3
	scratch_load_b32 v3, off, off offset:252 ; 4-byte Folded Reload
	v_cvt_f32_i32_e32 v2, v2
	s_delay_alu instid0(VALU_DEP_1)
	v_fma_mix_f32 v2, v0, v2, 0 op_sel_hi:[1,0,0]
	v_fma_mix_f32 v0, v128, v0, 0 op_sel:[0,1,0] op_sel_hi:[0,1,0]
	s_wait_loadcnt 0x8
	v_mul_i32_i24_e32 v23, v39, v23
	s_wait_loadcnt 0x7
	v_mul_i32_i24_e32 v24, v60, v24
	;; [unrolled: 2-line block ×9, first 2 shown]
	s_delay_alu instid0(VALU_DEP_1)
	v_mad_i32_i24 v3, v43, v6, v3
	scratch_load_b32 v6, off, off offset:44 ; 4-byte Folded Reload
	v_add3_u32 v3, v3, v4, v5
	v_mul_i32_i24_e32 v4, v45, v182
	scratch_load_b32 v182, off, off offset:208 ; 4-byte Folded Reload
	s_wait_loadcnt 0x1
	v_mul_i32_i24_e32 v6, v47, v6
	s_wait_loadcnt 0x0
	v_mul_i32_i24_e32 v5, v46, v182
	s_delay_alu instid0(VALU_DEP_1) | instskip(SKIP_2) | instid1(VALU_DEP_1)
	v_add3_u32 v3, v3, v4, v5
	scratch_load_b32 v4, off, off offset:28 ; 4-byte Folded Reload
	v_add3_u32 v3, v3, v6, v7
	v_add3_u32 v3, v3, v8, v9
	s_delay_alu instid0(VALU_DEP_1) | instskip(NEXT) | instid1(VALU_DEP_1)
	v_add3_u32 v3, v3, v10, v11
	v_add3_u32 v3, v3, v12, v13
	s_delay_alu instid0(VALU_DEP_1) | instskip(NEXT) | instid1(VALU_DEP_1)
	;; [unrolled: 3-line block ×5, first 2 shown]
	v_add3_u32 v3, v3, v26, v27
	v_add3_u32 v3, v3, v28, v29
	s_delay_alu instid0(VALU_DEP_1) | instskip(SKIP_1) | instid1(VALU_DEP_1)
	v_add3_u32 v3, v3, v30, v31
	s_wait_loadcnt 0x0
	v_mul_lo_u32 v3, v3, v4
	s_delay_alu instid0(VALU_DEP_1) | instskip(NEXT) | instid1(VALU_DEP_1)
	v_cvt_f32_i32_e32 v3, v3
	v_fma_mix_f32 v2, v1, v3, v2 op_sel_hi:[1,0,0]
	scratch_load_b32 v3, off, off offset:24 ; 4-byte Folded Reload
	s_wait_loadcnt 0x0
	v_fma_mix_f32 v0, v3, v1, v0 op_sel:[0,1,0] op_sel_hi:[0,1,0]
	scratch_load_b32 v1, off, off offset:4  ; 4-byte Folded Reload
	s_wait_loadcnt 0x0
	v_mul_f32_e32 v0, v0, v1
	scratch_load_b32 v1, off, off           ; 4-byte Folded Reload
	s_wait_loadcnt 0x0
	v_fma_f32 v0, v2, v1, -v0
	scratch_load_b32 v1, off, off offset:780 ; 4-byte Folded Reload
	s_wait_loadcnt 0x0
	v_add_f32_e32 v1, v1, v0
	scratch_load_b32 v0, off, off offset:1256 ; 4-byte Folded Reload
	s_clause 0x2
	scratch_store_b32 off, v98, off offset:468
	scratch_store_b32 off, v67, off offset:784
	;; [unrolled: 1-line block ×3, first 2 shown]
	s_wait_loadcnt 0x0
	v_or_b32_e32 v0, s13, v0
	s_delay_alu instid0(VALU_DEP_1)
	v_lshlrev_b32_e32 v12, 2, v0
	v_lshrrev_b32_e32 v16, 1, v0
	ds_load_b128 v[0:3], v12 offset:16896
	ds_load_b128 v[4:7], v12 offset:16912
	;; [unrolled: 1-line block ×4, first 2 shown]
	s_wait_dscnt 0x3
	v_bfe_i32 v17, v0, 0, 8
	s_wait_dscnt 0x2
	v_bfe_i32 v33, v4, 16, 8
	v_bfe_i32 v18, v0, 8, 8
	;; [unrolled: 1-line block ×3, first 2 shown]
	v_ashrrev_i32_e32 v20, 24, v0
	v_mul_i32_i24_e32 v66, v180, v17
	v_mul_i32_i24_e32 v101, v219, v33
	scratch_load_b32 v219, off, off offset:192 ; 4-byte Folded Reload
	v_bfe_i32 v21, v1, 0, 8
	v_bfe_i32 v22, v1, 8, 8
	v_mul_i32_i24_e32 v67, v173, v19
	v_mul_i32_i24_e32 v68, v175, v20
	v_mad_i32_i24 v66, v233, v18, v66
	v_bfe_i32 v23, v1, 16, 8
	v_ashrrev_i32_e32 v24, 24, v1
	v_bfe_i32 v25, v2, 0, 8
	v_bfe_i32 v26, v2, 8, 8
	v_add3_u32 v66, v66, v67, v68
	v_mul_i32_i24_e32 v67, v239, v21
	v_mul_i32_i24_e32 v68, v236, v22
	;; [unrolled: 1-line block ×4, first 2 shown]
	v_bfe_i32 v27, v2, 16, 8
	v_ashrrev_i32_e32 v2, 24, v2
	v_add3_u32 v66, v66, v67, v68
	v_mul_i32_i24_e32 v80, v248, v25
	v_mul_i32_i24_e32 v81, v247, v26
	v_bfe_i32 v28, v3, 0, 8
	v_bfe_i32 v29, v3, 8, 8
	v_add3_u32 v66, v66, v78, v79
	v_mul_i32_i24_e32 v82, v244, v27
	v_mul_i32_i24_e32 v83, v232, v2
	v_bfe_i32 v30, v3, 16, 8
	v_ashrrev_i32_e32 v3, 24, v3
	v_add3_u32 v66, v66, v80, v81
	v_mul_i32_i24_e32 v84, v252, v28
	v_mul_i32_i24_e32 v85, v251, v29
	v_bfe_i32 v31, v4, 0, 8
	v_bfe_i32 v32, v4, 8, 8
	v_add3_u32 v66, v66, v82, v83
	v_mul_i32_i24_e32 v86, v250, v30
	v_mul_i32_i24_e32 v88, v249, v3
	v_ashrrev_i32_e32 v4, 24, v4
	v_mul_i32_i24_e32 v93, v225, v31
	v_add3_u32 v66, v66, v84, v85
	v_mul_i32_i24_e32 v99, v223, v32
	v_bfe_i32 v34, v5, 0, 8
	v_bfe_i32 v35, v5, 8, 8
	v_mul_i32_i24_e32 v102, v218, v4
	v_add3_u32 v66, v66, v86, v88
	v_bfe_i32 v36, v5, 16, 8
	v_ashrrev_i32_e32 v5, 24, v5
	v_mul_i32_i24_e32 v103, v133, v34
	v_mul_i32_i24_e32 v104, v132, v35
	v_add3_u32 v66, v66, v93, v99
	v_bfe_i32 v37, v6, 0, 8
	v_bfe_i32 v38, v6, 8, 8
	v_mul_i32_i24_e32 v116, v131, v36
	v_mul_i32_i24_e32 v117, v130, v5
	v_add3_u32 v66, v66, v101, v102
	v_bfe_i32 v39, v6, 16, 8
	v_ashrrev_i32_e32 v6, 24, v6
	v_mul_i32_i24_e32 v118, v134, v37
	v_mul_i32_i24_e32 v119, v137, v38
	v_add3_u32 v66, v66, v103, v104
	v_bfe_i32 v40, v7, 0, 8
	v_bfe_i32 v41, v7, 8, 8
	v_mul_i32_i24_e32 v120, v136, v39
	v_mul_i32_i24_e32 v121, v135, v6
	v_add3_u32 v66, v66, v116, v117
	v_bfe_i32 v42, v7, 16, 8
	v_ashrrev_i32_e32 v7, 24, v7
	v_mul_i32_i24_e32 v122, v176, v40
	v_mov_b32_e32 v218, v193
	v_add3_u32 v66, v66, v118, v119
	v_mov_b32_e32 v225, v194
	ds_load_b64 v[0:1], v16 offset:27200
	s_wait_dscnt 0x2
	v_bfe_i32 v16, v8, 0, 8
	v_mul_i32_i24_e32 v124, v218, v42
	v_add3_u32 v66, v66, v120, v121
	v_mul_i32_i24_e32 v125, v225, v7
	v_bfe_i32 v43, v8, 8, 8
	v_bfe_i32 v44, v8, 16, 8
	v_ashrrev_i32_e32 v8, 24, v8
	v_mul_i32_i24_e32 v68, v201, v16
	v_bfe_i32 v45, v9, 0, 8
	v_bfe_i32 v46, v9, 8, 8
	v_mul_i32_i24_e32 v78, v200, v44
	v_mul_i32_i24_e32 v79, v198, v8
	v_bfe_i32 v47, v9, 16, 8
	v_ashrrev_i32_e32 v9, 24, v9
	v_bfe_i32 v48, v10, 0, 8
	v_bfe_i32 v49, v10, 8, 8
	;; [unrolled: 1-line block ×3, first 2 shown]
	v_mul_i32_i24_e32 v80, v204, v47
	v_mul_i32_i24_e32 v81, v179, v9
	v_ashrrev_i32_e32 v10, 24, v10
	v_mul_i32_i24_e32 v82, v216, v48
	v_mul_i32_i24_e32 v83, v215, v49
	v_bfe_i32 v51, v11, 0, 8
	v_bfe_i32 v52, v11, 8, 8
	v_mul_i32_i24_e32 v84, v214, v50
	v_mul_i32_i24_e32 v85, v174, v10
	v_bfe_i32 v53, v11, 16, 8
	v_ashrrev_i32_e32 v11, 24, v11
	v_mul_i32_i24_e32 v86, v153, v51
	v_mul_i32_i24_e32 v88, v152, v52
	s_wait_dscnt 0x1
	v_bfe_i32 v54, v12, 0, 8
	v_bfe_i32 v55, v12, 8, 8
	v_mul_i32_i24_e32 v93, v151, v53
	v_mul_i32_i24_e32 v99, v150, v11
	v_bfe_i32 v56, v12, 16, 8
	v_ashrrev_i32_e32 v12, 24, v12
	v_mul_i32_i24_e32 v101, v157, v54
	v_mul_i32_i24_e32 v102, v156, v55
	v_bfe_i32 v57, v13, 0, 8
	v_bfe_i32 v58, v13, 8, 8
	v_mul_i32_i24_e32 v103, v155, v56
	v_mul_i32_i24_e32 v104, v154, v12
	v_bfe_i32 v59, v13, 16, 8
	v_ashrrev_i32_e32 v13, 24, v13
	v_mul_i32_i24_e32 v116, v161, v57
	v_mul_i32_i24_e32 v117, v160, v58
	;; [unrolled: 8-line block ×3, first 2 shown]
	v_bfe_i32 v63, v15, 0, 8
	v_bfe_i32 v64, v15, 8, 8
	;; [unrolled: 1-line block ×3, first 2 shown]
	v_ashrrev_i32_e32 v15, 24, v15
	s_wait_dscnt 0x0
	v_fma_mix_f32 v67, v202, v0, 0 op_sel:[0,1,0] op_sel_hi:[0,1,0]
	s_clause 0x1
	scratch_load_b32 v198, off, off offset:456
	scratch_load_b32 v200, off, off offset:476
	v_mul_i32_i24_e32 v126, v167, v65
	v_mul_i32_i24_e32 v129, v166, v15
	v_fma_mix_f32 v67, v113, v1, v67 op_sel:[0,1,0] op_sel_hi:[0,1,0]
	s_clause 0x2
	scratch_load_b32 v201, off, off offset:1016
	scratch_load_b32 v202, off, off offset:460
	;; [unrolled: 1-line block ×3, first 2 shown]
	v_mov_b32_e32 v215, v227
	v_mul_f32_e32 v67, v67, v178
	scratch_load_b32 v178, off, off offset:1012 ; 4-byte Folded Reload
	v_dual_mov_b32 v216, v240 :: v_dual_mov_b32 v239, v134
	v_dual_mov_b32 v249, v174 :: v_dual_mov_b32 v232, v172
	v_dual_mov_b32 v174, v246 :: v_dual_mov_b32 v233, v130
	scratch_load_b32 v180, off, off offset:812 ; 4-byte Folded Reload
	v_mov_b32_e32 v247, v136
	s_clause 0x9
	scratch_load_b32 v227, off, off offset:104
	scratch_load_b32 v194, off, off offset:1092
	;; [unrolled: 1-line block ×10, first 2 shown]
	v_mov_b32_e32 v252, v152
	s_clause 0x1
	scratch_load_b32 v152, off, off offset:576
	scratch_load_b32 v160, off, off offset:1148
	v_mov_b32_e32 v251, v151
	scratch_load_b32 v151, off, off offset:572 ; 4-byte Folded Reload
	v_mov_b32_e32 v250, v150
	s_clause 0xc
	scratch_load_b32 v150, off, off offset:568
	scratch_load_b32 v153, off, off offset:580
	;; [unrolled: 1-line block ×13, first 2 shown]
	v_dual_mov_b32 v236, v133 :: v_dual_mov_b32 v235, v132
	v_mov_b32_e32 v234, v131
	v_mov_b32_e32 v248, v137
	;; [unrolled: 1-line block ×3, first 2 shown]
	s_clause 0x7
	scratch_store_b32 off, v236, off offset:880
	scratch_store_b32 off, v235, off offset:876
	;; [unrolled: 1-line block ×8, first 2 shown]
	s_wait_loadcnt 0x21
	v_mul_i32_i24_e32 v123, v219, v41
	s_delay_alu instid0(VALU_DEP_1)
	v_add3_u32 v66, v66, v122, v123
	v_mul_i32_i24_e32 v122, v163, v62
	v_mul_i32_i24_e32 v123, v162, v14
	s_clause 0x1
	scratch_load_b32 v163, off, off offset:596
	scratch_load_b32 v162, off, off offset:1168
	v_add3_u32 v66, v66, v124, v125
	v_mul_i32_i24_e32 v124, v177, v63
	v_mul_i32_i24_e32 v125, v169, v64
	s_clause 0x1
	scratch_load_b32 v177, off, off offset:452
	scratch_load_b32 v169, off, off offset:140
	v_mul_lo_u32 v66, v66, v228
	v_mov_b32_e32 v228, v254
	v_mov_b32_e32 v214, v217
	s_clause 0x1
	scratch_load_b32 v254, off, off offset:264
	scratch_load_b32 v217, off, off offset:552
	v_mad_i32_i24 v68, v228, v43, v68
	v_cvt_f32_i32_e32 v66, v66
	s_delay_alu instid0(VALU_DEP_2) | instskip(SKIP_2) | instid1(VALU_DEP_4)
	v_add3_u32 v68, v68, v78, v79
	v_mul_i32_i24_e32 v78, v206, v45
	v_mul_i32_i24_e32 v79, v205, v46
	v_fma_mix_f32 v66, v0, v66, 0 op_sel_hi:[1,0,0]
	s_clause 0x1
	scratch_load_b32 v205, off, off offset:1020
	scratch_load_b32 v206, off, off offset:464
	v_add3_u32 v68, v68, v78, v79
	v_mul_i32_i24_e32 v79, v24, v221
	scratch_load_b32 v221, off, off offset:448 ; 4-byte Folded Reload
	v_mul_i32_i24_e32 v78, v23, v220
	scratch_load_b32 v220, off, off offset:76 ; 4-byte Folded Reload
	v_add3_u32 v68, v68, v80, v81
	v_mul_i32_i24_e32 v80, v25, v241
	v_mul_i32_i24_e32 v81, v26, v242
	s_clause 0x1
	scratch_load_b32 v242, off, off offset:1040
	scratch_load_b32 v241, off, off offset:1036
	v_add3_u32 v68, v68, v82, v83
	v_mul_i32_i24_e32 v82, v27, v243
	v_mul_i32_i24_e32 v83, v2, v231
	scratch_load_b32 v243, off, off offset:1044 ; 4-byte Folded Reload
	v_add3_u32 v68, v68, v84, v85
	v_mul_i32_i24_e32 v85, v29, v207
	scratch_load_b32 v207, off, off offset:484 ; 4-byte Folded Reload
	v_mul_i32_i24_e32 v84, v28, v181
	scratch_load_b32 v181, off, off offset:144 ; 4-byte Folded Reload
	v_add3_u32 v68, v68, v86, v88
	v_mul_i32_i24_e32 v86, v30, v183
	v_mov_b32_e32 v183, v255
	scratch_load_b32 v255, off, off offset:268 ; 4-byte Folded Reload
	v_add3_u32 v68, v68, v93, v99
	v_mul_i32_i24_e32 v93, v31, v185
	v_mul_i32_i24_e32 v88, v3, v183
	;; [unrolled: 1-line block ×3, first 2 shown]
	scratch_load_b32 v185, off, off offset:1056 ; 4-byte Folded Reload
	v_add3_u32 v68, v68, v101, v102
	v_mul_i32_i24_e32 v101, v33, v224
	v_mul_i32_i24_e32 v102, v4, v75
	s_delay_alu instid0(VALU_DEP_3) | instskip(SKIP_2) | instid1(VALU_DEP_3)
	v_add3_u32 v68, v68, v103, v104
	v_mul_i32_i24_e32 v103, v34, v76
	v_mul_i32_i24_e32 v104, v35, v77
	v_add3_u32 v68, v68, v116, v117
	v_mul_i32_i24_e32 v116, v36, v94
	v_mul_i32_i24_e32 v117, v5, v106
	scratch_load_b32 v106, off, off offset:1048 ; 4-byte Folded Reload
	v_add3_u32 v68, v68, v118, v119
	v_mul_i32_i24_e32 v118, v37, v95
	v_mul_i32_i24_e32 v119, v38, v97
	s_delay_alu instid0(VALU_DEP_3)
	v_add3_u32 v68, v68, v120, v121
	v_mul_i32_i24_e32 v120, v39, v107
	v_mul_i32_i24_e32 v121, v6, v108
	s_clause 0x1
	scratch_load_b32 v107, off, off offset:564
	scratch_load_b32 v108, off, off offset:548
	v_add3_u32 v68, v68, v122, v123
	v_mul_i32_i24_e32 v122, v40, v148
	v_mov_b32_e32 v148, v218
	v_dual_mov_b32 v218, v225 :: v_dual_mov_b32 v225, v228
	s_delay_alu instid0(VALU_DEP_4) | instskip(SKIP_4) | instid1(VALU_DEP_1)
	v_add3_u32 v68, v68, v124, v125
	v_mul_i32_i24_e32 v123, v41, v168
	v_mov_b32_e32 v168, v197
	scratch_load_b32 v197, off, off offset:1128 ; 4-byte Folded Reload
	v_add3_u32 v68, v68, v126, v129
	v_mul_lo_u32 v68, v68, v112
	scratch_load_b32 v112, off, off offset:40 ; 4-byte Folded Reload
	v_cvt_f32_i32_e32 v68, v68
	s_delay_alu instid0(VALU_DEP_1) | instskip(SKIP_1) | instid1(VALU_DEP_2)
	v_fma_mix_f32 v66, v1, v68, v66 op_sel_hi:[1,0,0]
	v_mul_i32_i24_e32 v68, v20, v226
	v_fma_f32 v66, v66, v172, -v67
	s_clause 0x1
	scratch_load_b32 v67, off, off offset:776
	scratch_load_b32 v172, off, off offset:1172
	s_wait_loadcnt 0x10
	v_mul_i32_i24_e32 v126, v65, v206
	s_wait_loadcnt 0xa
	v_mul_i32_i24_e32 v129, v15, v207
	s_wait_loadcnt 0x1
	v_add_f32_e32 v67, v67, v66
	v_mul_i32_i24_e32 v66, v17, v184
	scratch_load_b32 v184, off, off offset:804 ; 4-byte Folded Reload
	scratch_store_b32 off, v67, off offset:776 ; 4-byte Folded Spill
	v_mul_i32_i24_e32 v67, v19, v208
	v_mad_i32_i24 v66, v18, v209, v66
	v_dual_mov_b32 v209, v195 :: v_dual_mov_b32 v208, v253
	s_clause 0x1
	scratch_load_b32 v195, off, off offset:676
	scratch_load_b32 v253, off, off offset:260
	v_add3_u32 v66, v66, v67, v68
	v_mul_i32_i24_e32 v67, v21, v210
	v_mul_i32_i24_e32 v68, v22, v213
	v_dual_mov_b32 v210, v196 :: v_dual_mov_b32 v213, v199
	v_mul_i32_i24_e32 v124, v42, v208
	scratch_load_b32 v199, off, off offset:488 ; 4-byte Folded Reload
	v_add3_u32 v66, v66, v67, v68
	v_mul_i32_i24_e32 v68, v16, v109
	v_fma_mix_f32 v67, v98, v0, 0 op_sel:[0,1,0] op_sel_hi:[0,1,0]
	s_clause 0x1
	scratch_load_b32 v196, off, off offset:844
	scratch_load_b32 v109, off, off offset:32
	v_add3_u32 v66, v66, v78, v79
	v_mul_i32_i24_e32 v78, v44, v110
	v_mul_i32_i24_e32 v79, v8, v149
	v_mad_i32_i24 v68, v43, v111, v68
	v_mov_b32_e32 v149, v219
	v_add3_u32 v66, v66, v80, v81
	v_mul_i32_i24_e32 v80, v47, v210
	v_mul_i32_i24_e32 v81, v9, v211
	v_add3_u32 v68, v68, v78, v79
	v_mul_i32_i24_e32 v78, v45, v209
	v_add3_u32 v66, v66, v82, v83
	v_mul_i32_i24_e32 v79, v46, v170
	v_mul_i32_i24_e32 v82, v48, v187
	;; [unrolled: 1-line block ×4, first 2 shown]
	v_add3_u32 v66, v66, v84, v85
	v_mul_i32_i24_e32 v84, v50, v69
	scratch_load_b32 v69, off, off offset:12 ; 4-byte Folded Reload
	v_add3_u32 v68, v68, v78, v79
	v_mul_i32_i24_e32 v85, v10, v212
	v_add3_u32 v66, v66, v86, v88
	v_mul_i32_i24_e32 v86, v51, v213
	v_mul_i32_i24_e32 v88, v52, v215
	v_add3_u32 v68, v68, v80, v81
	scratch_load_b32 v111, off, off offset:36 ; 4-byte Folded Reload
	v_add3_u32 v66, v66, v93, v99
	v_mul_i32_i24_e32 v93, v53, v214
	v_mul_i32_i24_e32 v99, v11, v216
	v_add3_u32 v68, v68, v82, v83
	v_mul_i32_i24_e32 v79, v24, v194
	v_add3_u32 v66, v66, v101, v102
	v_mul_i32_i24_e32 v101, v54, v174
	v_mul_i32_i24_e32 v102, v55, v221
	v_add3_u32 v68, v68, v84, v85
	scratch_load_b32 v170, off, off offset:612 ; 4-byte Folded Reload
	v_add3_u32 v66, v66, v103, v104
	v_mul_i32_i24_e32 v103, v56, v220
	v_mul_i32_i24_e32 v104, v12, v177
	v_add3_u32 v68, v68, v86, v88
	scratch_load_b32 v110, off, off offset:536 ; 4-byte Folded Reload
	;; [unrolled: 5-line block ×3, first 2 shown]
	v_add3_u32 v66, v66, v118, v119
	v_mul_i32_i24_e32 v118, v59, v198
	v_mul_i32_i24_e32 v119, v13, v200
	v_add3_u32 v68, v68, v101, v102
	v_mul_i32_i24_e32 v101, v33, v197
	v_add3_u32 v66, v66, v120, v121
	v_mul_i32_i24_e32 v120, v60, v201
	v_mul_i32_i24_e32 v121, v61, v91
	v_add3_u32 v68, v68, v103, v104
	scratch_store_b32 off, v208, off offset:1004 ; 4-byte Folded Spill
	v_add3_u32 v66, v66, v122, v123
	v_mul_i32_i24_e32 v122, v62, v202
	v_mul_i32_i24_e32 v123, v14, v204
	v_add3_u32 v68, v68, v116, v117
	scratch_store_b32 off, v168, off offset:1232 ; 4-byte Folded Spill
	v_add3_u32 v66, v66, v124, v125
	v_mul_i32_i24_e32 v124, v63, v205
	v_mul_i32_i24_e32 v125, v64, v92
	v_add3_u32 v68, v68, v118, v119
	v_mul_i32_i24_e32 v119, v38, v112
	v_mul_lo_u32 v66, v66, v96
	s_delay_alu instid0(VALU_DEP_3)
	v_add3_u32 v68, v68, v120, v121
	v_mul_i32_i24_e32 v121, v6, v188
	scratch_load_b32 v188, off, off offset:1060 ; 4-byte Folded Reload
	v_mul_i32_i24_e32 v6, v6, v73
	v_mul_i32_i24_e32 v120, v39, v193
	v_add3_u32 v68, v68, v122, v123
	v_cvt_f32_i32_e32 v66, v66
	v_mul_i32_i24_e32 v122, v40, v114
	scratch_load_b32 v114, off, off offset:556 ; 4-byte Folded Reload
	v_mul_i32_i24_e32 v123, v41, v115
	v_add3_u32 v68, v68, v124, v125
	v_fma_mix_f32 v66, v0, v66, 0 op_sel_hi:[1,0,0]
	v_mul_i32_i24_e32 v125, v7, v140
	v_mul_i32_i24_e32 v7, v7, v191
	scratch_load_b32 v191, off, off offset:248 ; 4-byte Folded Reload
	v_add3_u32 v68, v68, v126, v129
	scratch_load_b32 v115, off, off offset:560 ; 4-byte Folded Reload
	v_mul_i32_i24_e32 v129, v15, v163
	s_wait_loadcnt 0xf
	v_mul_i32_i24_e32 v126, v65, v172
	s_wait_loadcnt 0xd
	;; [unrolled: 2-line block ×3, first 2 shown]
	v_fma_mix_f32 v67, v199, v1, v67 op_sel:[0,1,0] op_sel_hi:[0,1,0]
	s_wait_loadcnt 0xa
	v_mul_i32_i24_e32 v99, v32, v196
	s_delay_alu instid0(VALU_DEP_2)
	v_mul_f32_e32 v67, v67, v180
	s_wait_loadcnt 0x9
	v_mul_i32_i24_e32 v116, v36, v109
	s_wait_loadcnt 0x8
	v_mul_lo_u32 v68, v68, v69
	scratch_load_b32 v69, off, off offset:112 ; 4-byte Folded Reload
	s_wait_loadcnt 0x8
	v_mul_i32_i24_e32 v118, v37, v111
	v_cvt_f32_i32_e32 v68, v68
	s_delay_alu instid0(VALU_DEP_1)
	v_fma_mix_f32 v66, v1, v68, v66 op_sel_hi:[1,0,0]
	v_mul_i32_i24_e32 v68, v20, v107
	v_mul_i32_i24_e32 v20, v20, v245
	scratch_load_b32 v245, off, off offset:272 ; 4-byte Folded Reload
	v_fma_f32 v66, v66, v184, -v67
	scratch_load_b32 v67, off, off offset:772 ; 4-byte Folded Reload
	s_wait_loadcnt 0x8
	v_mul_i32_i24_e32 v117, v5, v110
	v_mul_i32_i24_e32 v5, v5, v176
	s_wait_loadcnt 0x3
	v_mul_i32_i24_e32 v124, v42, v115
	s_wait_loadcnt 0x2
	v_mul_i32_i24_e32 v78, v23, v69
	scratch_load_b32 v69, off, off offset:680 ; 4-byte Folded Reload
	s_wait_loadcnt 0x1
	v_add_f32_e32 v67, v67, v66
	v_mul_i32_i24_e32 v66, v17, v70
	v_mul_i32_i24_e32 v17, v17, v230
	scratch_load_b32 v230, off, off offset:1028 ; 4-byte Folded Reload
	scratch_store_b32 off, v67, off offset:772 ; 4-byte Folded Spill
	v_mul_i32_i24_e32 v67, v19, v71
	v_mad_i32_i24 v66, v18, v227, v66
	v_mad_i32_i24 v17, v18, v238, v17
	scratch_load_b32 v238, off, off offset:1024 ; 4-byte Folded Reload
	v_mul_i32_i24_e32 v19, v19, v237
	scratch_load_b32 v237, off, off offset:1052 ; 4-byte Folded Reload
	v_add3_u32 v66, v66, v67, v68
	s_clause 0x1
	scratch_load_b32 v67, off, off offset:16
	scratch_load_b32 v68, off, off offset:20
	v_mul_i32_i24_e32 v18, v21, v246
	v_add3_u32 v17, v17, v19, v20
	v_mul_i32_i24_e32 v19, v22, v253
	v_mul_i32_i24_e32 v20, v23, v254
	s_delay_alu instid0(VALU_DEP_2)
	v_add3_u32 v17, v17, v18, v19
	scratch_load_b32 v19, off, off offset:228 ; 4-byte Folded Reload
	v_mul_i32_i24_e32 v18, v52, v87
	s_wait_loadcnt 0x6
	v_mul_i32_i24_e32 v81, v26, v69
	scratch_load_b32 v69, off, off offset:116 ; 4-byte Folded Reload
	s_wait_loadcnt 0x6
	v_mul_i32_i24_e32 v23, v26, v230
	v_mul_i32_i24_e32 v26, v29, v243
	s_wait_loadcnt 0x3
	v_mul_i32_i24_e32 v67, v21, v67
	s_wait_loadcnt 0x2
	v_mul_i32_i24_e32 v68, v22, v68
	v_mul_i32_i24_e32 v21, v24, v255
	;; [unrolled: 1-line block ×5, first 2 shown]
	v_add3_u32 v66, v66, v67, v68
	v_add3_u32 v17, v17, v20, v21
	v_mul_i32_i24_e32 v68, v16, v108
	scratch_load_b32 v20, off, off offset:236 ; 4-byte Folded Reload
	v_fma_mix_f32 v67, v72, v0, 0 op_sel:[0,1,0] op_sel_hi:[0,1,0]
	v_add3_u32 v66, v66, v78, v79
	v_add3_u32 v17, v17, v22, v23
	v_mul_i32_i24_e32 v79, v8, v114
	v_mul_i32_i24_e32 v23, v57, v127
	scratch_load_b32 v127, off, off offset:440 ; 4-byte Folded Reload
	v_add3_u32 v66, v66, v80, v81
	v_mul_i32_i24_e32 v81, v9, v142
	s_wait_loadcnt 0x3
	v_mul_i32_i24_e32 v19, v53, v19
	v_mul_i32_i24_e32 v22, v56, v100
	v_mad_i32_i24 v68, v43, v217, v68
	v_mul_i32_i24_e32 v80, v47, v139
	v_fma_mix_f32 v67, v175, v1, v67 op_sel:[0,1,0] op_sel_hi:[0,1,0]
	s_delay_alu instid0(VALU_DEP_1)
	v_mul_f32_e32 v67, v67, v181
	s_wait_loadcnt 0x2
	v_mul_i32_i24_e32 v82, v27, v69
	scratch_load_b32 v69, off, off offset:120 ; 4-byte Folded Reload
	v_mul_i32_i24_e32 v27, v30, v245
	s_wait_loadcnt 0x2
	v_mul_i32_i24_e32 v20, v54, v20
	s_wait_loadcnt 0x0
	v_mul_i32_i24_e32 v83, v2, v69
	scratch_load_b32 v69, off, off offset:124 ; 4-byte Folded Reload
	v_mul_i32_i24_e32 v2, v2, v241
	v_add3_u32 v66, v66, v82, v83
	v_mul_i32_i24_e32 v82, v48, v143
	s_delay_alu instid0(VALU_DEP_3)
	v_add3_u32 v2, v17, v24, v2
	scratch_load_b32 v17, off, off offset:220 ; 4-byte Folded Reload
	v_mul_i32_i24_e32 v83, v49, v145
	v_add3_u32 v2, v2, v25, v26
	scratch_load_b32 v26, off, off offset:632 ; 4-byte Folded Reload
	s_wait_loadcnt 0x2
	v_mul_i32_i24_e32 v84, v28, v69
	scratch_load_b32 v69, off, off offset:128 ; 4-byte Folded Reload
	v_mul_i32_i24_e32 v28, v31, v106
	s_wait_loadcnt 0x1
	v_mul_i32_i24_e32 v26, v60, v26
	s_wait_loadcnt 0x0
	v_mul_i32_i24_e32 v85, v29, v69
	scratch_load_b32 v69, off, off offset:132 ; 4-byte Folded Reload
	v_mul_i32_i24_e32 v29, v32, v237
	v_mul_i32_i24_e32 v32, v35, v170
	v_add3_u32 v66, v66, v84, v85
	v_mul_i32_i24_e32 v85, v10, v146
	v_mul_i32_i24_e32 v10, v10, v17
	;; [unrolled: 1-line block ×4, first 2 shown]
	s_wait_loadcnt 0x0
	v_mul_i32_i24_e32 v86, v30, v69
	scratch_load_b32 v69, off, off offset:136 ; 4-byte Folded Reload
	v_mul_i32_i24_e32 v30, v33, v192
	s_clause 0x1
	scratch_load_b32 v33, off, off offset:108
	scratch_load_b32 v192, off, off offset:1068
	s_wait_loadcnt 0x2
	v_mul_i32_i24_e32 v88, v3, v69
	scratch_load_b32 v69, off, off offset:64 ; 4-byte Folded Reload
	v_mul_i32_i24_e32 v3, v3, v229
	scratch_load_b32 v229, off, off offset:616 ; 4-byte Folded Reload
	s_wait_loadcnt 0x3
	v_mul_i32_i24_e32 v33, v36, v33
	v_add3_u32 v66, v66, v86, v88
	v_mul_i32_i24_e32 v86, v51, v147
	scratch_load_b32 v147, off, off offset:608 ; 4-byte Folded Reload
	v_add3_u32 v2, v2, v27, v3
	v_mul_i32_i24_e32 v36, v39, v188
	v_mul_i32_i24_e32 v3, v16, v189
	s_clause 0x1
	scratch_load_b32 v16, off, off offset:212
	scratch_load_b32 v27, off, off offset:640
	v_add3_u32 v2, v2, v28, v29
	s_clause 0x1
	scratch_load_b32 v28, off, off offset:636
	scratch_load_b32 v29, off, off offset:644
	v_mad_i32_i24 v3, v43, v191, v3
	v_mul_i32_i24_e32 v88, v52, v151
	s_wait_loadcnt 0x6
	v_mul_i32_i24_e32 v93, v31, v69
	scratch_load_b32 v69, off, off offset:696 ; 4-byte Folded Reload
	v_mul_i32_i24_e32 v31, v34, v222
	s_wait_loadcnt 0x6
	v_mul_i32_i24_e32 v39, v42, v229
	scratch_load_b32 v222, off, off offset:44 ; 4-byte Folded Reload
	v_add3_u32 v66, v66, v93, v99
	v_mul_i32_i24_e32 v99, v11, v152
	v_mul_i32_i24_e32 v11, v11, v89
	;; [unrolled: 1-line block ×3, first 2 shown]
	s_wait_loadcnt 0x5
	v_mul_i32_i24_e32 v16, v50, v16
	s_wait_loadcnt 0x4
	v_mul_i32_i24_e32 v27, v61, v27
	s_wait_loadcnt 0x3
	v_mul_i32_i24_e32 v28, v62, v28
	s_wait_loadcnt 0x1
	v_mul_i32_i24_e32 v102, v4, v69
	scratch_load_b32 v69, off, off offset:92 ; 4-byte Folded Reload
	v_mul_i32_i24_e32 v4, v4, v147
	v_add3_u32 v66, v66, v101, v102
	v_mul_i32_i24_e32 v101, v54, v153
	s_delay_alu instid0(VALU_DEP_3)
	v_add3_u32 v2, v2, v30, v4
	scratch_load_b32 v30, off, off offset:656 ; 4-byte Folded Reload
	v_mul_i32_i24_e32 v102, v55, v156
	v_add3_u32 v2, v2, v31, v32
	s_clause 0x1
	scratch_load_b32 v31, off, off offset:652
	scratch_load_b32 v32, off, off offset:244
	v_add3_u32 v2, v2, v33, v5
	v_mul_i32_i24_e32 v5, v8, v192
	scratch_load_b32 v8, off, off offset:52 ; 4-byte Folded Reload
	s_wait_loadcnt 0x4
	v_mul_i32_i24_e32 v103, v34, v69
	scratch_load_b32 v69, off, off offset:96 ; 4-byte Folded Reload
	v_mul_i32_i24_e32 v34, v37, v203
	v_mul_i32_i24_e32 v37, v40, v190
	scratch_load_b32 v190, off, off offset:1064 ; 4-byte Folded Reload
	v_mov_b32_e32 v203, v232
	s_wait_loadcnt 0x5
	v_mul_i32_i24_e32 v30, v64, v30
	s_wait_loadcnt 0x4
	v_mul_i32_i24_e32 v31, v65, v31
	s_wait_loadcnt 0x3
	v_mul_i32_i24_e32 v15, v15, v32
	s_wait_loadcnt 0x2
	v_mul_i32_i24_e32 v8, v48, v8
	s_wait_loadcnt 0x1
	v_mul_i32_i24_e32 v104, v35, v69
	v_mul_i32_i24_e32 v35, v38, v179
	v_mul_i32_i24_e32 v38, v41, v171
	s_wait_loadcnt 0x0
	v_mul_i32_i24_e32 v4, v44, v190
	scratch_load_b32 v171, off, off offset:836 ; 4-byte Folded Reload
	v_add3_u32 v66, v66, v103, v104
	v_add3_u32 v2, v2, v34, v35
	v_mul_i32_i24_e32 v104, v12, v155
	v_add3_u32 v3, v3, v4, v5
	scratch_load_b32 v4, off, off offset:204 ; 4-byte Folded Reload
	v_add3_u32 v66, v66, v116, v117
	v_add3_u32 v2, v2, v36, v6
	v_mul_i32_i24_e32 v12, v12, v105
	scratch_load_b32 v105, off, off offset:1072 ; 4-byte Folded Reload
	v_mul_i32_i24_e32 v5, v46, v182
	v_add3_u32 v66, v66, v118, v119
	v_add3_u32 v2, v2, v37, v38
	scratch_load_b32 v69, off, off offset:100 ; 4-byte Folded Reload
	v_mul_i32_i24_e32 v6, v47, v222
	v_mul_i32_i24_e32 v119, v13, v160
	v_add3_u32 v66, v66, v120, v121
	v_add3_u32 v2, v2, v39, v7
	scratch_load_b32 v7, off, off offset:48 ; 4-byte Folded Reload
	v_mul_i32_i24_e32 v13, v13, v127
	v_mul_i32_i24_e32 v103, v56, v154
	v_add3_u32 v66, v66, v122, v123
	v_mul_lo_u32 v2, v2, v185
	v_mul_i32_i24_e32 v123, v14, v161
	v_mul_i32_i24_e32 v14, v14, v29
	scratch_load_b32 v29, off, off offset:648 ; 4-byte Folded Reload
	v_add3_u32 v66, v66, v124, v125
	v_mul_i32_i24_e32 v116, v57, v157
	v_mul_i32_i24_e32 v117, v58, v159
	v_mul_i32_i24_e32 v118, v59, v158
	v_cvt_f32_i32_e32 v2, v2
	v_mul_lo_u32 v66, v66, v113
	v_mul_i32_i24_e32 v120, v60, v164
	v_mul_i32_i24_e32 v121, v61, v167
	;; [unrolled: 1-line block ×3, first 2 shown]
	v_fma_mix_f32 v2, v0, v2, 0 op_sel_hi:[1,0,0]
	v_mul_i32_i24_e32 v124, v63, v162
	v_mul_i32_i24_e32 v125, v64, v173
	v_cvt_f32_i32_e32 v66, v66
	s_delay_alu instid0(VALU_DEP_1)
	v_fma_mix_f32 v66, v0, v66, 0 op_sel_hi:[1,0,0]
	v_fma_mix_f32 v0, v128, v0, 0 op_sel:[0,1,0] op_sel_hi:[0,1,0]
	scratch_load_b32 v128, off, off offset:444 ; 4-byte Folded Reload
	s_wait_loadcnt 0x6
	v_mul_i32_i24_e32 v21, v55, v171
	s_wait_loadcnt 0x5
	v_mul_i32_i24_e32 v4, v45, v4
	;; [unrolled: 2-line block ×3, first 2 shown]
	s_delay_alu instid0(VALU_DEP_2)
	v_add3_u32 v3, v3, v4, v5
	scratch_load_b32 v4, off, off offset:28 ; 4-byte Folded Reload
	s_wait_loadcnt 0x4
	v_mul_i32_i24_e32 v78, v44, v69
	s_wait_loadcnt 0x3
	v_mul_i32_i24_e32 v7, v9, v7
	scratch_load_b32 v9, off, off offset:216 ; 4-byte Folded Reload
	v_add3_u32 v68, v68, v78, v79
	v_mul_i32_i24_e32 v78, v45, v138
	v_mul_i32_i24_e32 v79, v46, v141
	v_add3_u32 v3, v3, v6, v7
	s_wait_loadcnt 0x3
	v_mul_i32_i24_e32 v29, v63, v29
	s_delay_alu instid0(VALU_DEP_3) | instskip(NEXT) | instid1(VALU_DEP_1)
	v_add3_u32 v68, v68, v78, v79
	v_add3_u32 v68, v68, v80, v81
	s_delay_alu instid0(VALU_DEP_1) | instskip(NEXT) | instid1(VALU_DEP_1)
	v_add3_u32 v68, v68, v82, v83
	v_add3_u32 v68, v68, v84, v85
	s_wait_loadcnt 0x2
	v_mul_i32_i24_e32 v25, v59, v128
	s_delay_alu instid0(VALU_DEP_2) | instskip(NEXT) | instid1(VALU_DEP_1)
	v_add3_u32 v68, v68, v86, v88
	v_add3_u32 v68, v68, v93, v99
	s_delay_alu instid0(VALU_DEP_1) | instskip(NEXT) | instid1(VALU_DEP_1)
	v_add3_u32 v68, v68, v101, v102
	v_add3_u32 v68, v68, v103, v104
	s_delay_alu instid0(VALU_DEP_1) | instskip(NEXT) | instid1(VALU_DEP_1)
	;; [unrolled: 3-line block ×5, first 2 shown]
	v_mul_lo_u32 v68, v68, v166
	v_cvt_f32_i32_e32 v68, v68
	s_delay_alu instid0(VALU_DEP_1) | instskip(NEXT) | instid1(VALU_DEP_1)
	v_fma_mix_f32 v66, v1, v68, v66 op_sel_hi:[1,0,0]
	v_fma_f32 v66, v66, v169, -v67
	scratch_load_b32 v67, off, off offset:768 ; 4-byte Folded Reload
	s_wait_loadcnt 0x1
	v_mul_i32_i24_e32 v9, v49, v9
	s_delay_alu instid0(VALU_DEP_1) | instskip(NEXT) | instid1(VALU_DEP_1)
	v_add3_u32 v3, v3, v8, v9
	v_add3_u32 v3, v3, v16, v10
	s_delay_alu instid0(VALU_DEP_1) | instskip(NEXT) | instid1(VALU_DEP_1)
	v_add3_u32 v3, v3, v17, v18
	v_add3_u32 v3, v3, v19, v11
	s_delay_alu instid0(VALU_DEP_1) | instskip(NEXT) | instid1(VALU_DEP_1)
	v_add3_u32 v3, v3, v20, v21
	v_add3_u32 v3, v3, v22, v12
	s_delay_alu instid0(VALU_DEP_1) | instskip(NEXT) | instid1(VALU_DEP_1)
	v_add3_u32 v3, v3, v23, v24
	v_add3_u32 v3, v3, v25, v13
	s_delay_alu instid0(VALU_DEP_1) | instskip(NEXT) | instid1(VALU_DEP_1)
	v_add3_u32 v3, v3, v26, v27
	v_add3_u32 v3, v3, v28, v14
	s_delay_alu instid0(VALU_DEP_1) | instskip(NEXT) | instid1(VALU_DEP_1)
	v_add3_u32 v3, v3, v29, v30
	v_add3_u32 v3, v3, v31, v15
	s_delay_alu instid0(VALU_DEP_1) | instskip(NEXT) | instid1(VALU_DEP_1)
	v_mul_lo_u32 v3, v3, v4
	v_cvt_f32_i32_e32 v3, v3
	s_delay_alu instid0(VALU_DEP_1)
	v_fma_mix_f32 v2, v1, v3, v2 op_sel_hi:[1,0,0]
	scratch_load_b32 v3, off, off offset:24 ; 4-byte Folded Reload
	s_wait_loadcnt 0x1
	v_add_f32_e32 v67, v67, v66
	s_wait_loadcnt 0x0
	v_fma_mix_f32 v0, v3, v1, v0 op_sel:[0,1,0] op_sel_hi:[0,1,0]
	scratch_load_b32 v1, off, off offset:4  ; 4-byte Folded Reload
	s_wait_loadcnt 0x0
	v_mul_f32_e32 v0, v0, v1
	scratch_load_b32 v1, off, off           ; 4-byte Folded Reload
	s_wait_loadcnt 0x0
	v_fma_f32 v0, v2, v1, -v0
	scratch_load_b32 v1, off, off offset:764 ; 4-byte Folded Reload
	s_wait_loadcnt 0x0
	v_add_f32_e32 v1, v1, v0
	scratch_load_b32 v0, off, off offset:1260 ; 4-byte Folded Reload
	s_clause 0x1
	scratch_store_b32 off, v67, off offset:768
	scratch_store_b32 off, v1, off offset:764
	s_wait_loadcnt 0x0
	v_or_b32_e32 v0, s13, v0
	s_delay_alu instid0(VALU_DEP_1)
	v_lshlrev_b32_e32 v12, 2, v0
	v_lshrrev_b32_e32 v16, 1, v0
	ds_load_b128 v[0:3], v12 offset:16896
	ds_load_b128 v[4:7], v12 offset:16912
	ds_load_b128 v[8:11], v12 offset:16928
	ds_load_b128 v[12:15], v12 offset:16944
	s_clause 0x1f
	scratch_load_b32 v224, off, off offset:180
	scratch_load_b32 v144, off, off offset:184
	;; [unrolled: 1-line block ×32, first 2 shown]
	s_wait_dscnt 0x2
	v_bfe_i32 v40, v7, 0, 8
	v_bfe_i32 v17, v0, 0, 8
	;; [unrolled: 1-line block ×4, first 2 shown]
	v_ashrrev_i32_e32 v20, 24, v0
	v_bfe_i32 v21, v1, 0, 8
	v_bfe_i32 v22, v1, 8, 8
	;; [unrolled: 1-line block ×3, first 2 shown]
	v_ashrrev_i32_e32 v24, 24, v1
	s_wait_dscnt 0x1
	v_bfe_i32 v44, v8, 16, 8
	ds_load_b64 v[0:1], v16 offset:27200
	v_bfe_i32 v16, v8, 0, 8
	v_bfe_i32 v43, v8, 8, 8
	v_ashrrev_i32_e32 v8, 24, v8
	v_bfe_i32 v45, v9, 0, 8
	v_bfe_i32 v46, v9, 8, 8
	;; [unrolled: 1-line block ×5, first 2 shown]
	s_clause 0x3
	scratch_load_b32 v143, off, off offset:1236
	scratch_load_b32 v73, off, off offset:1088
	;; [unrolled: 1-line block ×4, first 2 shown]
	v_bfe_i32 v27, v2, 16, 8
	v_ashrrev_i32_e32 v2, 24, v2
	v_bfe_i32 v28, v3, 0, 8
	v_bfe_i32 v29, v3, 8, 8
	v_ashrrev_i32_e32 v9, 24, v9
	v_bfe_i32 v30, v3, 16, 8
	v_ashrrev_i32_e32 v3, 24, v3
	v_bfe_i32 v31, v4, 0, 8
	v_bfe_i32 v32, v4, 8, 8
	;; [unrolled: 1-line block ×3, first 2 shown]
	v_ashrrev_i32_e32 v4, 24, v4
	s_clause 0x7
	scratch_load_b32 v71, off, off offset:916
	scratch_load_b32 v77, off, off offset:932
	;; [unrolled: 1-line block ×8, first 2 shown]
	v_bfe_i32 v34, v5, 0, 8
	v_bfe_i32 v35, v5, 8, 8
	s_wait_dscnt 0x1
	v_bfe_i32 v54, v12, 0, 8
	v_bfe_i32 v55, v12, 8, 8
	;; [unrolled: 1-line block ×3, first 2 shown]
	v_ashrrev_i32_e32 v12, 24, v12
	v_mul_i32_i24_e32 v103, v236, v34
	v_mul_i32_i24_e32 v104, v235, v35
	scratch_load_b32 v219, off, off offset:200 ; 4-byte Folded Reload
	v_bfe_i32 v48, v10, 0, 8
	v_bfe_i32 v49, v10, 8, 8
	;; [unrolled: 1-line block ×3, first 2 shown]
	v_ashrrev_i32_e32 v10, 24, v10
	v_bfe_i32 v51, v11, 0, 8
	v_bfe_i32 v52, v11, 8, 8
	;; [unrolled: 1-line block ×3, first 2 shown]
	v_ashrrev_i32_e32 v11, 24, v11
	v_bfe_i32 v36, v5, 16, 8
	v_ashrrev_i32_e32 v5, 24, v5
	v_bfe_i32 v37, v6, 0, 8
	v_bfe_i32 v38, v6, 8, 8
	;; [unrolled: 1-line block ×4, first 2 shown]
	v_mul_i32_i24_e32 v116, v234, v36
	v_mul_i32_i24_e32 v117, v233, v5
	v_bfe_i32 v39, v6, 16, 8
	v_ashrrev_i32_e32 v6, 24, v6
	v_bfe_i32 v59, v13, 16, 8
	v_ashrrev_i32_e32 v13, 24, v13
	v_mul_i32_i24_e32 v118, v239, v37
	v_mul_i32_i24_e32 v119, v248, v38
	v_bfe_i32 v41, v7, 8, 8
	v_bfe_i32 v60, v14, 0, 8
	;; [unrolled: 1-line block ×3, first 2 shown]
	v_mul_i32_i24_e32 v120, v247, v39
	v_mul_i32_i24_e32 v121, v244, v6
	v_bfe_i32 v42, v7, 16, 8
	v_ashrrev_i32_e32 v7, 24, v7
	v_bfe_i32 v62, v14, 16, 8
	v_ashrrev_i32_e32 v14, 24, v14
	v_mul_i32_i24_e32 v123, v149, v41
	v_bfe_i32 v63, v15, 0, 8
	v_bfe_i32 v64, v15, 8, 8
	v_mul_i32_i24_e32 v124, v148, v42
	v_mul_i32_i24_e32 v125, v218, v7
	v_bfe_i32 v65, v15, 16, 8
	v_ashrrev_i32_e32 v15, 24, v15
	s_clause 0x8
	scratch_load_b32 v228, off, off offset:1244 th:TH_LOAD_LU
	scratch_load_b32 v233, off, off offset:1188
	scratch_load_b32 v234, off, off offset:1192
	scratch_load_b32 v235, off, off offset:1196
	scratch_load_b32 v236, off, off offset:1200
	scratch_load_b32 v239, off, off offset:1204
	scratch_load_b32 v244, off, off offset:1208
	scratch_load_b32 v247, off, off offset:860
	scratch_load_b32 v248, off, off offset:384
	s_wait_loadcnt 0x35
	v_mul_i32_i24_e32 v66, v224, v17
	s_wait_loadcnt 0x34
	v_mul_i32_i24_e32 v101, v144, v33
	;; [unrolled: 2-line block ×3, first 2 shown]
	scratch_load_b32 v69, off, off offset:420 ; 4-byte Folded Reload
	s_wait_loadcnt 0x2e
	v_mul_i32_i24_e32 v67, v223, v19
	s_wait_loadcnt 0x2d
	v_mul_i32_i24_e32 v68, v182, v20
	;; [unrolled: 2-line block ×7, first 2 shown]
	s_wait_loadcnt 0x26
	v_mad_i32_i24 v66, v130, v18, v66
	s_wait_loadcnt 0x25
	v_mul_i32_i24_e32 v79, v131, v24
	s_delay_alu instid0(VALU_DEP_2)
	v_add3_u32 v66, v66, v67, v68
	v_mul_i32_i24_e32 v67, v134, v21
	s_wait_loadcnt 0x20
	v_mul_i32_i24_e32 v126, v94, v65
	s_wait_loadcnt 0x1e
	;; [unrolled: 2-line block ×3, first 2 shown]
	v_mul_i32_i24_e32 v78, v132, v23
	v_mul_i32_i24_e32 v129, v92, v15
	s_wait_loadcnt 0x1b
	v_mul_i32_i24_e32 v83, v135, v2
	s_wait_loadcnt 0x1a
	v_mul_i32_i24_e32 v80, v138, v25
	v_add3_u32 v66, v66, v67, v68
	s_clause 0x1
	scratch_load_b32 v67, off, off offset:428
	scratch_load_b32 v68, off, off offset:424
	s_wait_loadcnt 0x1b
	v_mul_i32_i24_e32 v86, v140, v30
	s_wait_loadcnt 0x19
	v_mul_i32_i24_e32 v88, v139, v3
	v_add3_u32 v66, v66, v78, v79
	v_mul_i32_i24_e32 v99, v145, v32
	s_delay_alu instid0(VALU_DEP_2) | instskip(NEXT) | instid1(VALU_DEP_1)
	v_add3_u32 v66, v66, v80, v81
	v_add3_u32 v66, v66, v82, v83
	v_mul_i32_i24_e32 v83, v187, v49
	s_delay_alu instid0(VALU_DEP_2)
	v_add3_u32 v66, v66, v84, v85
	v_mul_i32_i24_e32 v85, v249, v10
	s_wait_loadcnt 0x18
	v_mul_i32_i24_e32 v102, v143, v4
	s_wait_loadcnt 0x17
	;; [unrolled: 2-line block ×3, first 2 shown]
	v_mul_i32_i24_e32 v84, v186, v50
	v_add3_u32 v66, v66, v86, v88
	v_mul_i32_i24_e32 v88, v252, v52
	s_clause 0x1
	scratch_load_b32 v249, off, off offset:388
	scratch_load_b32 v252, off, off offset:664
	v_add3_u32 v66, v66, v93, v99
	v_mul_i32_i24_e32 v93, v251, v53
	v_mul_i32_i24_e32 v99, v250, v11
	scratch_load_b32 v250, off, off offset:392 ; 4-byte Folded Reload
	v_mov_b32_e32 v251, v183
	v_add3_u32 v66, v66, v101, v102
	v_mul_i32_i24_e32 v102, v72, v55
	s_wait_loadcnt 0x17
	v_mul_i32_i24_e32 v101, v71, v54
	scratch_load_b32 v183, off, off offset:660 ; 4-byte Folded Reload
	v_add3_u32 v66, v66, v103, v104
	v_mul_i32_i24_e32 v104, v74, v12
	scratch_load_b32 v74, off, off offset:920 ; 4-byte Folded Reload
	v_mul_i32_i24_e32 v103, v70, v56
	v_add3_u32 v66, v66, v116, v117
	s_wait_loadcnt 0x18
	v_mul_i32_i24_e32 v116, v77, v57
	s_wait_loadcnt 0x13
	v_mul_i32_i24_e32 v117, v76, v58
	v_add3_u32 v66, v66, v118, v119
	s_wait_loadcnt 0x12
	v_mul_i32_i24_e32 v118, v75, v59
	s_delay_alu instid0(VALU_DEP_2) | instskip(SKIP_2) | instid1(VALU_DEP_3)
	v_add3_u32 v66, v66, v120, v121
	v_mul_i32_i24_e32 v120, v91, v60
	v_mul_i32_i24_e32 v121, v90, v61
	v_add3_u32 v66, v66, v122, v123
	v_mul_i32_i24_e32 v122, v89, v62
	v_mul_i32_i24_e32 v123, v87, v14
	s_delay_alu instid0(VALU_DEP_3) | instskip(SKIP_3) | instid1(VALU_DEP_3)
	v_add3_u32 v66, v66, v124, v125
	v_mul_i32_i24_e32 v124, v96, v63
	v_mul_i32_i24_e32 v125, v95, v64
	s_wait_loadcnt 0x11
	v_mul_lo_u32 v66, v66, v219
	s_delay_alu instid0(VALU_DEP_1) | instskip(SKIP_1) | instid1(VALU_DEP_1)
	v_cvt_f32_i32_e32 v66, v66
	s_wait_dscnt 0x0
	v_fma_mix_f32 v66, v0, v66, 0 op_sel_hi:[1,0,0]
	s_wait_loadcnt 0x7
	v_mul_i32_i24_e32 v78, v69, v44
	scratch_load_b32 v69, off, off offset:416 ; 4-byte Folded Reload
	s_wait_loadcnt 0x7
	v_fma_mix_f32 v67, v67, v0, 0 op_sel:[0,1,0] op_sel_hi:[0,1,0]
	s_wait_loadcnt 0x6
	v_mul_i32_i24_e32 v68, v68, v16
	s_delay_alu instid0(VALU_DEP_2) | instskip(NEXT) | instid1(VALU_DEP_2)
	v_fma_mix_f32 v67, v98, v1, v67 op_sel:[0,1,0] op_sel_hi:[0,1,0]
	v_mad_i32_i24 v68, v225, v43, v68
	s_delay_alu instid0(VALU_DEP_2)
	v_mul_f32_e32 v67, v67, v100
	s_wait_loadcnt 0x1
	v_mul_i32_i24_e32 v119, v74, v13
	s_wait_loadcnt 0x0
	v_mul_i32_i24_e32 v79, v69, v8
	scratch_load_b32 v69, off, off offset:88 ; 4-byte Folded Reload
	v_add3_u32 v68, v68, v78, v79
	s_wait_loadcnt 0x0
	v_mul_i32_i24_e32 v78, v69, v45
	scratch_load_b32 v69, off, off offset:84 ; 4-byte Folded Reload
	s_wait_loadcnt 0x0
	v_mul_i32_i24_e32 v79, v69, v46
	scratch_load_b32 v69, off, off offset:80 ; 4-byte Folded Reload
	v_add3_u32 v68, v68, v78, v79
	v_mul_i32_i24_e32 v78, v23, v234
	v_mul_i32_i24_e32 v79, v24, v235
	s_wait_loadcnt 0x0
	v_mul_i32_i24_e32 v80, v69, v47
	scratch_load_b32 v69, off, off offset:432 ; 4-byte Folded Reload
	s_wait_loadcnt 0x0
	v_mul_i32_i24_e32 v81, v69, v9
	scratch_load_b32 v69, off, off offset:900 ; 4-byte Folded Reload
	v_add3_u32 v68, v68, v80, v81
	v_mul_i32_i24_e32 v80, v25, v236
	v_mul_i32_i24_e32 v81, v26, v239
	s_delay_alu instid0(VALU_DEP_3) | instskip(SKIP_2) | instid1(VALU_DEP_3)
	v_add3_u32 v68, v68, v82, v83
	v_mul_i32_i24_e32 v82, v27, v244
	v_mul_i32_i24_e32 v83, v2, v247
	v_add3_u32 v68, v68, v84, v85
	v_mul_i32_i24_e32 v84, v28, v248
	v_mul_i32_i24_e32 v85, v29, v249
	s_wait_loadcnt 0x0
	v_mul_i32_i24_e32 v86, v69, v51
	s_delay_alu instid0(VALU_DEP_1) | instskip(SKIP_2) | instid1(VALU_DEP_3)
	v_add3_u32 v68, v68, v86, v88
	v_mul_i32_i24_e32 v86, v30, v250
	v_mul_i32_i24_e32 v88, v3, v251
	v_add3_u32 v68, v68, v93, v99
	v_mul_i32_i24_e32 v93, v31, v252
	v_mul_i32_i24_e32 v99, v32, v183
	s_delay_alu instid0(VALU_DEP_3)
	v_add3_u32 v68, v68, v101, v102
	s_clause 0x1
	scratch_load_b32 v101, off, off offset:852
	scratch_load_b32 v102, off, off offset:68
	v_add3_u32 v68, v68, v103, v104
	s_clause 0x1
	scratch_load_b32 v103, off, off offset:304
	scratch_load_b32 v104, off, off offset:308
	;; [unrolled: 4-line block ×6, first 2 shown]
	v_add3_u32 v68, v68, v124, v125
	v_mul_i32_i24_e32 v124, v42, v208
	scratch_load_b32 v208, off, off offset:848 ; 4-byte Folded Reload
	v_mul_i32_i24_e32 v125, v7, v168
	scratch_load_b32 v168, off, off offset:684 ; 4-byte Folded Reload
	v_add3_u32 v68, v68, v126, v129
	v_mul_i32_i24_e32 v126, v65, v206
	v_mul_i32_i24_e32 v129, v15, v207
	s_delay_alu instid0(VALU_DEP_3) | instskip(NEXT) | instid1(VALU_DEP_1)
	v_mul_lo_u32 v68, v68, v97
	v_cvt_f32_i32_e32 v68, v68
	s_delay_alu instid0(VALU_DEP_1)
	v_fma_mix_f32 v66, v1, v68, v66 op_sel_hi:[1,0,0]
	scratch_load_b32 v68, off, off offset:1212 ; 4-byte Folded Reload
	v_fma_f32 v66, v66, v232, -v67
	s_clause 0x1
	scratch_load_b32 v67, off, off offset:760
	scratch_load_b32 v232, off, off offset:1184
	s_wait_loadcnt 0x10
	v_mul_i32_i24_e32 v101, v33, v101
	s_wait_loadcnt 0xf
	v_mul_i32_i24_e32 v102, v4, v102
	;; [unrolled: 2-line block ×13, first 2 shown]
	s_wait_loadcnt 0x1
	v_add_f32_e32 v67, v67, v66
	v_mul_i32_i24_e32 v66, v17, v226
	scratch_store_b32 off, v67, off offset:760 ; 4-byte Folded Spill
	v_mul_i32_i24_e32 v67, v19, v228
	v_mad_i32_i24 v66, v18, v231, v66
	s_delay_alu instid0(VALU_DEP_1) | instskip(SKIP_3) | instid1(VALU_DEP_1)
	v_add3_u32 v66, v66, v67, v68
	s_wait_loadcnt 0x0
	v_mul_i32_i24_e32 v67, v21, v232
	v_mul_i32_i24_e32 v68, v22, v233
	v_add3_u32 v66, v66, v67, v68
	s_clause 0x1
	scratch_load_b32 v67, off, off offset:328
	scratch_load_b32 v68, off, off offset:340
	v_add3_u32 v66, v66, v78, v79
	s_clause 0x1
	scratch_load_b32 v78, off, off offset:72
	scratch_load_b32 v79, off, off offset:352
	v_add3_u32 v66, v66, v80, v81
	scratch_load_b32 v80, off, off offset:344 ; 4-byte Folded Reload
	v_mul_i32_i24_e32 v81, v9, v211
	scratch_load_b32 v211, off, off offset:688 ; 4-byte Folded Reload
	v_add3_u32 v66, v66, v82, v83
	v_mul_i32_i24_e32 v82, v48, v168
	s_delay_alu instid0(VALU_DEP_2) | instskip(SKIP_1) | instid1(VALU_DEP_2)
	v_add3_u32 v66, v66, v84, v85
	v_mul_i32_i24_e32 v85, v10, v212
	v_add3_u32 v66, v66, v86, v88
	v_mul_i32_i24_e32 v86, v51, v213
	v_mov_b32_e32 v213, v178
	v_mul_i32_i24_e32 v88, v52, v215
	v_mov_b32_e32 v215, v200
	v_add3_u32 v66, v66, v93, v99
	v_mul_i32_i24_e32 v93, v53, v214
	v_mov_b32_e32 v214, v198
	v_mul_i32_i24_e32 v99, v11, v216
	s_delay_alu instid0(VALU_DEP_4)
	v_add3_u32 v66, v66, v101, v102
	v_mul_i32_i24_e32 v101, v54, v174
	scratch_load_b32 v174, off, off offset:292 ; 4-byte Folded Reload
	v_mul_i32_i24_e32 v102, v55, v221
	v_add3_u32 v66, v66, v103, v104
	v_mul_i32_i24_e32 v103, v56, v220
	v_mul_i32_i24_e32 v104, v12, v177
	v_mov_b32_e32 v220, v199
	s_delay_alu instid0(VALU_DEP_4)
	v_add3_u32 v66, v66, v116, v117
	v_mul_i32_i24_e32 v116, v57, v178
	scratch_load_b32 v178, off, off offset:296 ; 4-byte Folded Reload
	v_add3_u32 v66, v66, v118, v119
	v_mul_i32_i24_e32 v118, v59, v198
	scratch_load_b32 v198, off, off offset:300 ; 4-byte Folded Reload
	v_mul_i32_i24_e32 v119, v13, v200
	v_add3_u32 v66, v66, v120, v121
	v_mul_i32_i24_e32 v120, v60, v201
	s_delay_alu instid0(VALU_DEP_2) | instskip(SKIP_2) | instid1(VALU_DEP_3)
	v_add3_u32 v66, v66, v122, v123
	v_mul_i32_i24_e32 v122, v62, v202
	v_mul_i32_i24_e32 v123, v14, v204
	v_add3_u32 v66, v66, v124, v125
	v_mul_i32_i24_e32 v124, v63, v205
	s_wait_loadcnt 0x8
	s_delay_alu instid0(VALU_DEP_2)
	v_mul_lo_u32 v66, v66, v67
	s_wait_loadcnt 0x7
	v_mul_i32_i24_e32 v68, v16, v68
	scratch_load_b32 v67, off, off offset:468 ; 4-byte Folded Reload
	s_wait_loadcnt 0x7
	v_mul_i32_i24_e32 v78, v44, v78
	s_wait_loadcnt 0x6
	v_mul_i32_i24_e32 v79, v8, v79
	v_cvt_f32_i32_e32 v66, v66
	s_wait_loadcnt 0x5
	v_mad_i32_i24 v68, v43, v80, v68
	v_mul_i32_i24_e32 v80, v47, v210
	s_wait_loadcnt 0x4
	v_mul_i32_i24_e32 v83, v49, v211
	v_fma_mix_f32 v66, v0, v66, 0 op_sel_hi:[1,0,0]
	v_add3_u32 v68, v68, v78, v79
	v_mul_i32_i24_e32 v78, v45, v209
	scratch_load_b32 v209, off, off offset:1104 ; 4-byte Folded Reload
	v_mul_i32_i24_e32 v79, v46, v208
	s_delay_alu instid0(VALU_DEP_1)
	v_add3_u32 v68, v68, v78, v79
	scratch_load_b32 v78, off, off offset:12 ; 4-byte Folded Reload
	v_mul_i32_i24_e32 v79, v24, v194
	v_add3_u32 v68, v68, v80, v81
	v_mul_i32_i24_e32 v80, v25, v195
	scratch_load_b32 v195, off, off offset:520 ; 4-byte Folded Reload
	v_add3_u32 v68, v68, v82, v83
	s_clause 0x1
	scratch_load_b32 v82, off, off offset:116
	scratch_load_b32 v83, off, off offset:120
	s_wait_loadcnt 0x8
	v_mul_i32_i24_e32 v117, v58, v174
	s_wait_loadcnt 0x7
	v_mul_i32_i24_e32 v121, v61, v178
	;; [unrolled: 2-line block ×3, first 2 shown]
	s_wait_loadcnt 0x5
	v_fma_mix_f32 v67, v67, v0, 0 op_sel:[0,1,0] op_sel_hi:[0,1,0]
	s_delay_alu instid0(VALU_DEP_1)
	v_fma_mix_f32 v67, v199, v1, v67 op_sel:[0,1,0] op_sel_hi:[0,1,0]
	v_mov_b32_e32 v212, v177
	s_clause 0x1
	scratch_load_b32 v177, off, off offset:668
	scratch_load_b32 v199, off, off offset:680
	v_mul_f32_e32 v67, v67, v180
	scratch_load_b32 v180, off, off offset:672 ; 4-byte Folded Reload
	s_wait_loadcnt 0x7
	v_mul_i32_i24_e32 v84, v50, v209
	s_delay_alu instid0(VALU_DEP_1)
	v_add3_u32 v68, v68, v84, v85
	s_clause 0x1
	scratch_load_b32 v84, off, off offset:124
	scratch_load_b32 v85, off, off offset:128
	v_add3_u32 v68, v68, v86, v88
	s_clause 0x1
	scratch_load_b32 v86, off, off offset:132
	scratch_load_b32 v88, off, off offset:136
	v_add3_u32 v68, v68, v93, v99
	scratch_load_b32 v93, off, off offset:64 ; 4-byte Folded Reload
	s_wait_loadcnt 0x9
	v_mul_i32_i24_e32 v82, v27, v82
	s_wait_loadcnt 0x8
	v_mul_i32_i24_e32 v83, v2, v83
	v_mul_i32_i24_e32 v99, v32, v196
	v_add3_u32 v68, v68, v101, v102
	scratch_load_b32 v102, off, off offset:696 ; 4-byte Folded Reload
	v_mul_i32_i24_e32 v101, v33, v197
	v_mul_i32_i24_e32 v2, v2, v241
	v_mov_b32_e32 v197, v106
	v_add3_u32 v68, v68, v103, v104
	s_clause 0x1
	scratch_load_b32 v103, off, off offset:92
	scratch_load_b32 v104, off, off offset:96
	v_add3_u32 v68, v68, v116, v117
	v_mul_i32_i24_e32 v116, v36, v109
	scratch_load_b32 v109, off, off offset:280 ; 4-byte Folded Reload
	v_mul_i32_i24_e32 v117, v5, v110
	scratch_load_b32 v110, off, off offset:492 ; 4-byte Folded Reload
	v_add3_u32 v68, v68, v118, v119
	v_mul_i32_i24_e32 v5, v5, v176
	scratch_load_b32 v176, off, off offset:1116 ; 4-byte Folded Reload
	v_mul_i32_i24_e32 v118, v37, v111
	v_mul_i32_i24_e32 v119, v38, v112
	v_add3_u32 v68, v68, v120, v121
	v_mul_i32_i24_e32 v120, v39, v193
	s_clause 0x2
	scratch_load_b32 v112, off, off offset:504
	scratch_load_b32 v193, off, off offset:500
	;; [unrolled: 1-line block ×3, first 2 shown]
	v_add3_u32 v68, v68, v122, v123
	s_delay_alu instid0(VALU_DEP_1)
	v_add3_u32 v68, v68, v124, v125
	v_mul_i32_i24_e32 v124, v42, v115
	scratch_load_b32 v115, off, off offset:276 ; 4-byte Folded Reload
	v_add3_u32 v68, v68, v126, v129
	v_mul_i32_i24_e32 v129, v15, v163
	scratch_load_b32 v163, off, off offset:1220 ; 4-byte Folded Reload
	v_mul_i32_i24_e32 v126, v65, v172
	scratch_load_b32 v172, off, off offset:644 ; 4-byte Folded Reload
	v_mul_lo_u32 v68, v68, v78
	scratch_load_b32 v78, off, off offset:112 ; 4-byte Folded Reload
	v_cvt_f32_i32_e32 v68, v68
	s_delay_alu instid0(VALU_DEP_1)
	v_fma_mix_f32 v66, v1, v68, v66 op_sel_hi:[1,0,0]
	v_mul_i32_i24_e32 v68, v20, v107
	scratch_load_b32 v107, off, off offset:284 ; 4-byte Folded Reload
	v_fma_f32 v66, v66, v184, -v67
	scratch_load_b32 v67, off, off offset:756 ; 4-byte Folded Reload
	v_dual_mov_b32 v216, v201 :: v_dual_mov_b32 v201, v184
	scratch_load_b32 v184, off, off offset:288 ; 4-byte Folded Reload
	s_wait_loadcnt 0x16
	v_mul_i32_i24_e32 v81, v26, v199
	s_wait_loadcnt 0x14
	v_mul_i32_i24_e32 v84, v28, v84
	;; [unrolled: 2-line block ×7, first 2 shown]
	v_mul_i32_i24_e32 v4, v4, v147
	scratch_load_b32 v147, off, off offset:1112 ; 4-byte Folded Reload
	s_wait_loadcnt 0xf
	v_mul_i32_i24_e32 v103, v34, v103
	s_wait_loadcnt 0xe
	v_mul_i32_i24_e32 v104, v35, v104
	;; [unrolled: 2-line block ×6, first 2 shown]
	s_wait_loadcnt 0x2
	v_add_f32_e32 v67, v67, v66
	v_mul_i32_i24_e32 v66, v17, v177
	v_mul_i32_i24_e32 v17, v17, v163
	s_wait_loadcnt 0x1
	v_mul_i32_i24_e32 v122, v40, v184
	scratch_store_b32 off, v67, off offset:756 ; 4-byte Folded Spill
	v_mul_i32_i24_e32 v67, v19, v180
	v_mad_i32_i24 v66, v18, v227, v66
	v_mov_b32_e32 v227, v196
	scratch_load_b32 v196, off, off offset:524 ; 4-byte Folded Reload
	v_add3_u32 v66, v66, v67, v68
	s_clause 0x1
	scratch_load_b32 v67, off, off offset:16
	scratch_load_b32 v68, off, off offset:20
	s_wait_loadcnt 0x1
	v_mul_i32_i24_e32 v67, v21, v67
	s_wait_loadcnt 0x0
	v_mul_i32_i24_e32 v68, v22, v68
	s_delay_alu instid0(VALU_DEP_1)
	v_add3_u32 v66, v66, v67, v68
	v_fma_mix_f32 v67, v109, v0, 0 op_sel:[0,1,0] op_sel_hi:[0,1,0]
	v_mul_i32_i24_e32 v68, v16, v108
	scratch_load_b32 v108, off, off offset:1224 ; 4-byte Folded Reload
	v_add3_u32 v66, v66, v78, v79
	v_fma_mix_f32 v67, v175, v1, v67 op_sel:[0,1,0] op_sel_hi:[0,1,0]
	v_mov_b32_e32 v200, v194
	s_clause 0x1
	scratch_load_b32 v175, off, off offset:840
	scratch_load_b32 v78, off, off offset:100
	v_add3_u32 v66, v66, v80, v81
	v_mul_f32_e32 v67, v67, v181
	scratch_load_b32 v181, off, off offset:1228 th:TH_LOAD_LU ; 4-byte Folded Reload
	v_mad_i32_i24 v68, v43, v217, v68
	scratch_load_b32 v217, off, off offset:496 ; 4-byte Folded Reload
	v_add3_u32 v66, v66, v82, v83
	v_mul_i32_i24_e32 v79, v8, v114
	s_clause 0x1
	scratch_load_b32 v114, off, off offset:508
	scratch_load_b32 v194, off, off offset:512
	v_mul_i32_i24_e32 v80, v47, v193
	v_add3_u32 v66, v66, v84, v85
	v_mul_i32_i24_e32 v83, v49, v195
	v_mul_i32_i24_e32 v85, v10, v196
	s_delay_alu instid0(VALU_DEP_3)
	v_add3_u32 v66, v66, v86, v88
	v_mul_i32_i24_e32 v86, v51, v111
	v_mul_i32_i24_e32 v88, v52, v151
	scratch_load_b32 v151, off, off offset:224 ; 4-byte Folded Reload
	v_add3_u32 v66, v66, v93, v99
	v_mul_i32_i24_e32 v93, v53, v150
	v_mul_i32_i24_e32 v99, v11, v152
	s_clause 0x1
	scratch_load_b32 v152, off, off offset:52
	scratch_load_b32 v150, off, off offset:232
	v_add3_u32 v66, v66, v101, v102
	v_mul_i32_i24_e32 v101, v54, v153
	v_mul_i32_i24_e32 v102, v55, v156
	s_clause 0x1
	scratch_load_b32 v153, off, off offset:212
	scratch_load_b32 v156, off, off offset:228
	;; [unrolled: 6-line block ×5, first 2 shown]
	v_add3_u32 v66, v66, v120, v121
	v_mul_i32_i24_e32 v120, v60, v164
	scratch_load_b32 v164, off, off offset:1096 ; 4-byte Folded Reload
	v_mul_i32_i24_e32 v121, v61, v167
	scratch_load_b32 v167, off, off offset:208 ; 4-byte Folded Reload
	v_add3_u32 v66, v66, v122, v123
	v_mul_i32_i24_e32 v122, v62, v165
	v_mov_b32_e32 v165, v237
	v_mul_i32_i24_e32 v123, v14, v161
	scratch_load_b32 v161, off, off offset:692 ; 4-byte Folded Reload
	v_add3_u32 v66, v66, v124, v125
	v_mul_i32_i24_e32 v124, v63, v162
	scratch_load_b32 v162, off, off offset:236 ; 4-byte Folded Reload
	v_mul_i32_i24_e32 v125, v64, v173
	v_mul_i32_i24_e32 v13, v13, v127
	v_mul_lo_u32 v66, v66, v113
	s_clause 0x2
	scratch_load_b32 v113, off, off offset:516
	scratch_load_b32 v127, off, off offset:244
	scratch_load_b32 v173, off, off offset:28
	v_mul_i32_i24_e32 v14, v14, v172
	v_cvt_f32_i32_e32 v66, v66
	s_delay_alu instid0(VALU_DEP_1)
	v_fma_mix_f32 v66, v0, v66, 0 op_sel_hi:[1,0,0]
	s_wait_loadcnt 0x18
	v_mul_i32_i24_e32 v19, v19, v108
	s_wait_loadcnt 0x17
	v_mad_i32_i24 v17, v18, v175, v17
	v_mul_i32_i24_e32 v18, v21, v246
	v_mul_i32_i24_e32 v21, v24, v255
	;; [unrolled: 1-line block ×3, first 2 shown]
	s_wait_loadcnt 0x15
	v_mul_i32_i24_e32 v20, v20, v181
	v_mul_i32_i24_e32 v27, v30, v245
	;; [unrolled: 1-line block ×3, first 2 shown]
	s_delay_alu instid0(VALU_DEP_3)
	v_add3_u32 v17, v17, v19, v20
	v_mul_i32_i24_e32 v20, v23, v254
	v_mul_i32_i24_e32 v23, v26, v230
	;; [unrolled: 1-line block ×4, first 2 shown]
	scratch_load_b32 v237, off, off offset:1108 ; 4-byte Folded Reload
	v_mul_i32_i24_e32 v19, v22, v253
	v_mul_i32_i24_e32 v22, v25, v238
	v_mul_i32_i24_e32 v25, v28, v242
	v_mul_i32_i24_e32 v28, v31, v106
	v_mul_i32_i24_e32 v31, v34, v147
	v_mul_i32_i24_e32 v32, v35, v170
	v_mul_i32_i24_e32 v34, v37, v176
	v_mul_i32_i24_e32 v35, v38, v179
	s_clause 0x1
	scratch_load_b32 v37, off, off offset:624
	scratch_load_b32 v179, off, off offset:532
	v_add3_u32 v17, v17, v18, v19
	v_add3_u32 v68, v68, v78, v79
	s_wait_loadcnt 0x17
	v_mul_i32_i24_e32 v78, v45, v217
	v_mul_i32_i24_e32 v79, v46, v112
	s_wait_loadcnt 0x16
	v_mul_i32_i24_e32 v81, v9, v114
	v_add3_u32 v17, v17, v20, v21
	s_wait_loadcnt 0x15
	v_mul_i32_i24_e32 v82, v48, v194
	scratch_load_b32 v106, off, off offset:48 ; 4-byte Folded Reload
	v_add3_u32 v68, v68, v78, v79
	scratch_load_b32 v18, off, off offset:56 ; 4-byte Folded Reload
	v_add3_u32 v17, v17, v22, v23
	s_clause 0x1
	scratch_load_b32 v22, off, off offset:240
	scratch_load_b32 v170, off, off offset:636
	v_add3_u32 v68, v68, v80, v81
	s_wait_loadcnt 0x12
	v_mul_i32_i24_e32 v10, v10, v155
	v_add3_u32 v2, v17, v24, v2
	v_mul_i32_i24_e32 v24, v58, v105
	scratch_load_b32 v105, off, off offset:640 ; 4-byte Folded Reload
	v_add3_u32 v68, v68, v82, v83
	v_mul_i32_i24_e32 v17, v51, v151
	v_add3_u32 v2, v2, v25, v26
	v_mul_i32_i24_e32 v25, v59, v128
	scratch_load_b32 v128, off, off offset:648 ; 4-byte Folded Reload
	v_mul_i32_i24_e32 v19, v53, v156
	s_wait_loadcnt 0xf
	v_mul_i32_i24_e32 v3, v3, v164
	v_mul_i32_i24_e32 v11, v11, v150
	;; [unrolled: 1-line block ×5, first 2 shown]
	v_add3_u32 v2, v2, v27, v3
	scratch_load_b32 v3, off, off offset:620 ; 4-byte Folded Reload
	s_wait_loadcnt 0xe
	v_mul_i32_i24_e32 v38, v41, v161
	v_add3_u32 v2, v2, v28, v29
	s_wait_loadcnt 0xd
	v_mul_i32_i24_e32 v20, v54, v162
	s_wait_loadcnt 0xc
	v_mul_i32_i24_e32 v84, v50, v113
	;; [unrolled: 2-line block ×3, first 2 shown]
	s_delay_alu instid0(VALU_DEP_2) | instskip(NEXT) | instid1(VALU_DEP_1)
	v_add3_u32 v68, v68, v84, v85
	v_add3_u32 v68, v68, v86, v88
	s_delay_alu instid0(VALU_DEP_1) | instskip(NEXT) | instid1(VALU_DEP_1)
	v_add3_u32 v68, v68, v93, v99
	v_add3_u32 v68, v68, v101, v102
	s_delay_alu instid0(VALU_DEP_1) | instskip(NEXT) | instid1(VALU_DEP_1)
	;; [unrolled: 3-line block ×5, first 2 shown]
	v_add3_u32 v68, v68, v126, v129
	v_mul_lo_u32 v68, v68, v166
	scratch_load_b32 v166, off, off offset:632 ; 4-byte Folded Reload
	v_cvt_f32_i32_e32 v68, v68
	s_delay_alu instid0(VALU_DEP_1) | instskip(NEXT) | instid1(VALU_DEP_1)
	v_fma_mix_f32 v66, v1, v68, v66 op_sel_hi:[1,0,0]
	v_fma_f32 v66, v66, v169, -v67
	s_clause 0x1
	scratch_load_b32 v67, off, off offset:752
	scratch_load_b32 v169, off, off offset:24
	s_wait_loadcnt 0xc
	v_mul_i32_i24_e32 v30, v33, v237
	scratch_load_b32 v33, off, off offset:108 ; 4-byte Folded Reload
	v_add3_u32 v2, v2, v30, v4
	v_mul_i32_i24_e32 v4, v44, v190
	v_mul_i32_i24_e32 v30, v64, v158
	s_wait_loadcnt 0xc
	v_mul_i32_i24_e32 v6, v6, v37
	s_wait_loadcnt 0xb
	v_mul_i32_i24_e32 v37, v40, v179
	scratch_load_b32 v40, off, off offset:628 ; 4-byte Folded Reload
	v_add3_u32 v2, v2, v31, v32
	v_mul_i32_i24_e32 v31, v65, v159
	s_wait_loadcnt 0xa
	v_mul_i32_i24_e32 v18, v52, v18
	s_wait_loadcnt 0x9
	;; [unrolled: 2-line block ×7, first 2 shown]
	v_mul_i32_i24_e32 v33, v36, v33
	v_mul_i32_i24_e32 v36, v39, v188
	;; [unrolled: 1-line block ×3, first 2 shown]
	v_mov_b32_e32 v229, v192
	s_delay_alu instid0(VALU_DEP_4)
	v_add3_u32 v2, v2, v33, v5
	v_mul_i32_i24_e32 v5, v8, v192
	scratch_load_b32 v192, off, off offset:204 ; 4-byte Folded Reload
	v_mul_i32_i24_e32 v8, v48, v152
	v_add3_u32 v2, v2, v34, v35
	s_wait_loadcnt 0x1
	v_mul_i32_i24_e32 v7, v7, v40
	s_delay_alu instid0(VALU_DEP_2) | instskip(SKIP_1) | instid1(VALU_DEP_2)
	v_add3_u32 v2, v2, v36, v6
	v_mul_i32_i24_e32 v6, v47, v222
	v_add3_u32 v2, v2, v37, v38
	s_delay_alu instid0(VALU_DEP_1) | instskip(SKIP_2) | instid1(VALU_DEP_3)
	v_add3_u32 v2, v2, v39, v7
	v_mul_i32_i24_e32 v7, v9, v106
	v_mul_i32_i24_e32 v9, v49, v154
	v_mul_lo_u32 v2, v2, v185
	s_delay_alu instid0(VALU_DEP_1) | instskip(NEXT) | instid1(VALU_DEP_1)
	v_cvt_f32_i32_e32 v2, v2
	v_fma_mix_f32 v2, v0, v2, 0 op_sel_hi:[1,0,0]
	v_fma_mix_f32 v0, v3, v0, 0 op_sel:[0,1,0] op_sel_hi:[0,1,0]
	v_mul_i32_i24_e32 v3, v16, v189
	v_mul_i32_i24_e32 v16, v50, v153
	s_delay_alu instid0(VALU_DEP_3) | instskip(NEXT) | instid1(VALU_DEP_3)
	v_fma_mix_f32 v0, v169, v1, v0 op_sel:[0,1,0] op_sel_hi:[0,1,0]
	v_mad_i32_i24 v3, v43, v191, v3
	s_delay_alu instid0(VALU_DEP_1) | instskip(SKIP_3) | instid1(VALU_DEP_1)
	v_add3_u32 v3, v3, v4, v5
	v_mul_i32_i24_e32 v5, v46, v167
	s_wait_loadcnt 0x0
	v_mul_i32_i24_e32 v4, v45, v192
	v_add3_u32 v3, v3, v4, v5
	s_delay_alu instid0(VALU_DEP_1) | instskip(NEXT) | instid1(VALU_DEP_1)
	v_add3_u32 v3, v3, v6, v7
	v_add3_u32 v3, v3, v8, v9
	s_delay_alu instid0(VALU_DEP_1) | instskip(NEXT) | instid1(VALU_DEP_1)
	v_add3_u32 v3, v3, v16, v10
	;; [unrolled: 3-line block ×7, first 2 shown]
	v_mul_lo_u32 v3, v3, v173
	s_delay_alu instid0(VALU_DEP_1) | instskip(NEXT) | instid1(VALU_DEP_1)
	v_cvt_f32_i32_e32 v3, v3
	v_fma_mix_f32 v2, v1, v3, v2 op_sel_hi:[1,0,0]
	scratch_load_b32 v1, off, off offset:4  ; 4-byte Folded Reload
	s_wait_loadcnt 0x0
	v_dual_add_f32 v67, v67, v66 :: v_dual_mul_f32 v0, v0, v1
	scratch_load_b32 v1, off, off           ; 4-byte Folded Reload
	s_wait_loadcnt 0x0
	v_fma_f32 v0, v2, v1, -v0
	scratch_load_b32 v1, off, off offset:748 ; 4-byte Folded Reload
	s_wait_loadcnt 0x0
	v_add_f32_e32 v1, v1, v0
	scratch_load_b32 v0, off, off offset:1264 ; 4-byte Folded Reload
	s_clause 0x1
	scratch_store_b32 off, v67, off offset:752
	scratch_store_b32 off, v1, off offset:748
	s_wait_loadcnt 0x0
	v_or_b32_e32 v0, s13, v0
	s_delay_alu instid0(VALU_DEP_1)
	v_lshlrev_b32_e32 v12, 2, v0
	v_lshrrev_b32_e32 v16, 1, v0
	ds_load_b128 v[0:3], v12 offset:16896
	ds_load_b128 v[4:7], v12 offset:16912
	;; [unrolled: 1-line block ×4, first 2 shown]
	s_clause 0x9
	scratch_load_b32 v103, off, off offset:880
	scratch_load_b32 v118, off, off offset:884
	;; [unrolled: 1-line block ×10, first 2 shown]
	s_wait_dscnt 0x3
	v_bfe_i32 v63, v0, 0, 8
	v_bfe_i32 v48, v0, 8, 8
	;; [unrolled: 1-line block ×3, first 2 shown]
	v_ashrrev_i32_e32 v65, 24, v0
	v_bfe_i32 v49, v1, 0, 8
	v_mul_i32_i24_e32 v66, v224, v63
	v_bfe_i32 v50, v1, 8, 8
	v_mul_i32_i24_e32 v67, v223, v64
	v_mul_i32_i24_e32 v68, v182, v65
	v_bfe_i32 v51, v1, 16, 8
	v_mad_i32_i24 v66, v130, v48, v66
	v_ashrrev_i32_e32 v52, 24, v1
	v_bfe_i32 v53, v2, 0, 8
	v_bfe_i32 v54, v2, 8, 8
	v_mul_i32_i24_e32 v78, v132, v51
	v_add3_u32 v66, v66, v67, v68
	v_mul_i32_i24_e32 v67, v134, v49
	v_mul_i32_i24_e32 v68, v133, v50
	v_mul_i32_i24_e32 v79, v131, v52
	v_bfe_i32 v55, v2, 16, 8
	v_ashrrev_i32_e32 v56, 24, v2
	v_mul_i32_i24_e32 v80, v138, v53
	v_add3_u32 v66, v66, v67, v68
	v_mul_i32_i24_e32 v81, v137, v54
	v_bfe_i32 v57, v3, 0, 8
	v_bfe_i32 v58, v3, 8, 8
	v_mul_i32_i24_e32 v82, v136, v55
	v_add3_u32 v66, v66, v78, v79
	v_mul_i32_i24_e32 v83, v135, v56
	v_bfe_i32 v59, v3, 16, 8
	v_ashrrev_i32_e32 v60, 24, v3
	v_mul_i32_i24_e32 v84, v142, v57
	v_add3_u32 v66, v66, v80, v81
	v_mul_i32_i24_e32 v85, v141, v58
	s_wait_dscnt 0x1
	v_bfe_i32 v25, v11, 0, 8
	v_mul_i32_i24_e32 v86, v140, v59
	v_mul_i32_i24_e32 v88, v139, v60
	v_add3_u32 v66, v66, v82, v83
	s_clause 0x3
	scratch_load_b32 v67, off, off offset:428
	scratch_load_b32 v68, off, off offset:424
	;; [unrolled: 1-line block ×4, first 2 shown]
	v_add3_u32 v66, v66, v84, v85
	v_bfe_i32 v26, v11, 8, 8
	v_bfe_i32 v31, v8, 0, 8
	ds_load_b64 v[0:1], v16 offset:27200
	v_bfe_i32 v16, v8, 8, 8
	v_add3_u32 v66, v66, v86, v88
	v_mul_i32_i24_e32 v86, v69, v25
	scratch_load_b32 v69, off, off offset:412 ; 4-byte Folded Reload
	v_bfe_i32 v32, v8, 16, 8
	v_ashrrev_i32_e32 v33, 24, v8
	s_clause 0x1
	scratch_load_b32 v80, off, off offset:80
	scratch_load_b32 v81, off, off offset:432
	v_bfe_i32 v21, v10, 0, 8
	v_bfe_i32 v61, v4, 0, 8
	;; [unrolled: 1-line block ×4, first 2 shown]
	v_ashrrev_i32_e32 v34, 24, v4
	v_mul_i32_i24_e32 v82, v73, v21
	scratch_load_b32 v73, off, off offset:400 ; 4-byte Folded Reload
	v_bfe_i32 v27, v11, 16, 8
	v_mul_i32_i24_e32 v93, v146, v61
	v_mul_i32_i24_e32 v99, v145, v62
	v_bfe_i32 v35, v5, 0, 8
	v_bfe_i32 v36, v5, 8, 8
	v_mul_i32_i24_e32 v101, v144, v47
	v_mul_i32_i24_e32 v102, v143, v34
	v_add3_u32 v66, v66, v93, v99
	s_wait_dscnt 0x1
	v_bfe_i32 v2, v12, 16, 8
	v_bfe_i32 v17, v9, 0, 8
	;; [unrolled: 1-line block ×4, first 2 shown]
	v_add3_u32 v66, v66, v101, v102
	v_ashrrev_i32_e32 v20, 24, v9
	v_bfe_i32 v22, v10, 8, 8
	v_bfe_i32 v23, v10, 16, 8
	v_ashrrev_i32_e32 v24, 24, v10
	v_ashrrev_i32_e32 v28, 24, v11
	v_bfe_i32 v29, v12, 0, 8
	v_mul_i32_i24_e32 v83, v187, v22
	v_mul_i32_i24_e32 v84, v186, v23
	v_bfe_i32 v30, v12, 8, 8
	v_ashrrev_i32_e32 v3, 24, v12
	v_mul_i32_i24_e32 v101, v71, v29
	v_bfe_i32 v37, v5, 16, 8
	v_ashrrev_i32_e32 v38, 24, v5
	v_mul_i32_i24_e32 v102, v72, v30
	v_bfe_i32 v4, v13, 0, 8
	v_bfe_i32 v5, v13, 8, 8
	;; [unrolled: 1-line block ×5, first 2 shown]
	v_ashrrev_i32_e32 v42, 24, v6
	v_bfe_i32 v43, v7, 0, 8
	v_bfe_i32 v44, v7, 8, 8
	;; [unrolled: 1-line block ×3, first 2 shown]
	v_ashrrev_i32_e32 v46, 24, v7
	v_bfe_i32 v6, v13, 16, 8
	v_ashrrev_i32_e32 v7, 24, v13
	v_bfe_i32 v8, v14, 0, 8
	v_bfe_i32 v9, v14, 8, 8
	v_bfe_i32 v10, v14, 16, 8
	v_ashrrev_i32_e32 v11, 24, v14
	v_mul_i32_i24_e32 v123, v149, v44
	v_bfe_i32 v12, v15, 0, 8
	v_bfe_i32 v13, v15, 8, 8
	v_mul_i32_i24_e32 v124, v148, v45
	v_mul_i32_i24_e32 v125, v218, v46
	v_bfe_i32 v14, v15, 16, 8
	v_ashrrev_i32_e32 v15, 24, v15
	v_mov_b32_e32 v218, v209
	s_clause 0x1
	scratch_load_b32 v223, off, off offset:852
	scratch_load_b32 v146, off, off offset:1232
	v_mul_i32_i24_e32 v126, v94, v14
	v_mul_i32_i24_e32 v129, v92, v15
	scratch_load_b32 v145, off, off offset:812 ; 4-byte Folded Reload
	v_mov_b32_e32 v148, v175
	s_clause 0x4
	scratch_load_b32 v139, off, off offset:696
	scratch_load_b32 v141, off, off offset:96
	;; [unrolled: 1-line block ×5, first 2 shown]
	v_mov_b32_e32 v182, v143
	s_clause 0xc
	scratch_load_b32 v143, off, off offset:536
	scratch_load_b32 v144, off, off offset:36
	;; [unrolled: 1-line block ×13, first 2 shown]
	v_dual_mov_b32 v149, v181 :: v_dual_mov_b32 v224, v186
	scratch_load_b32 v131, off, off offset:144 ; 4-byte Folded Reload
	s_wait_loadcnt 0x27
	v_mul_i32_i24_e32 v103, v103, v35
	s_wait_loadcnt 0x26
	v_mul_i32_i24_e32 v118, v118, v39
	;; [unrolled: 2-line block ×9, first 2 shown]
	v_add3_u32 v66, v66, v103, v104
	v_mul_i32_i24_e32 v103, v70, v2
	scratch_load_b32 v70, off, off offset:68 ; 4-byte Folded Reload
	v_add3_u32 v66, v66, v116, v117
	v_mul_i32_i24_e32 v116, v77, v4
	v_mul_i32_i24_e32 v117, v76, v5
	s_clause 0x1
	scratch_load_b32 v77, off, off offset:1152
	scratch_load_b32 v76, off, off offset:1160
	v_add3_u32 v66, v66, v118, v119
	v_mul_i32_i24_e32 v118, v75, v6
	v_mul_i32_i24_e32 v119, v74, v7
	s_clause 0x1
	scratch_load_b32 v75, off, off offset:100
	scratch_load_b32 v74, off, off offset:628
	;; [unrolled: 6-line block ×5, first 2 shown]
	v_mul_lo_u32 v66, v66, v219
	scratch_load_b32 v219, off, off offset:340 ; 4-byte Folded Reload
	v_cvt_f32_i32_e32 v66, v66
	s_wait_dscnt 0x0
	s_delay_alu instid0(VALU_DEP_1)
	v_fma_mix_f32 v66, v0, v66, 0 op_sel_hi:[1,0,0]
	s_wait_loadcnt 0x29
	v_fma_mix_f32 v67, v67, v0, 0 op_sel:[0,1,0] op_sel_hi:[0,1,0]
	s_wait_loadcnt 0x28
	v_mul_i32_i24_e32 v68, v68, v31
	s_wait_loadcnt 0x27
	v_mul_i32_i24_e32 v78, v78, v32
	s_wait_loadcnt 0x26
	v_mul_i32_i24_e32 v79, v79, v33
	v_fma_mix_f32 v67, v98, v1, v67 op_sel:[0,1,0] op_sel_hi:[0,1,0]
	v_mad_i32_i24 v68, v225, v16, v68
	scratch_load_b32 v98, off, off offset:588 ; 4-byte Folded Reload
	v_mul_f32_e32 v67, v67, v100
	s_wait_loadcnt 0x26
	v_mul_i32_i24_e32 v88, v69, v26
	scratch_load_b32 v69, off, off offset:408 ; 4-byte Folded Reload
	v_add3_u32 v68, v68, v78, v79
	s_clause 0x1
	scratch_load_b32 v78, off, off offset:88
	scratch_load_b32 v79, off, off offset:84
	s_wait_loadcnt 0x28
	v_mul_i32_i24_e32 v80, v80, v19
	s_wait_loadcnt 0x27
	v_mul_i32_i24_e32 v81, v81, v20
	scratch_load_b32 v100, off, off offset:1136 ; 4-byte Folded Reload
	s_wait_loadcnt 0x27
	v_mul_i32_i24_e32 v85, v73, v24
	scratch_load_b32 v73, off, off offset:616 ; 4-byte Folded Reload
	s_wait_loadcnt 0x4
	v_mul_i32_i24_e32 v93, v69, v27
	scratch_load_b32 v69, off, off offset:404 ; 4-byte Folded Reload
	s_wait_loadcnt 0x4
	v_mul_i32_i24_e32 v78, v78, v17
	s_wait_loadcnt 0x3
	v_mul_i32_i24_e32 v79, v79, v18
	s_delay_alu instid0(VALU_DEP_1) | instskip(SKIP_2) | instid1(VALU_DEP_3)
	v_add3_u32 v68, v68, v78, v79
	v_mul_i32_i24_e32 v78, v51, v234
	v_mul_i32_i24_e32 v79, v52, v235
	v_add3_u32 v68, v68, v80, v81
	v_mul_i32_i24_e32 v80, v53, v236
	v_mul_i32_i24_e32 v81, v54, v239
	s_delay_alu instid0(VALU_DEP_3)
	v_add3_u32 v68, v68, v82, v83
	v_mul_i32_i24_e32 v82, v55, v244
	v_mul_i32_i24_e32 v83, v56, v247
	scratch_load_b32 v247, off, off offset:564 ; 4-byte Folded Reload
	v_add3_u32 v68, v68, v84, v85
	v_mul_i32_i24_e32 v84, v57, v248
	v_mul_i32_i24_e32 v85, v58, v249
	s_delay_alu instid0(VALU_DEP_3)
	v_add3_u32 v68, v68, v86, v88
	v_mul_i32_i24_e32 v86, v59, v250
	v_mul_i32_i24_e32 v88, v60, v251
	s_wait_loadcnt 0x1
	v_mul_i32_i24_e32 v99, v69, v28
	scratch_load_b32 v69, off, off offset:904 ; 4-byte Folded Reload
	v_add3_u32 v68, v68, v93, v99
	v_mul_i32_i24_e32 v93, v61, v252
	v_mul_i32_i24_e32 v99, v62, v183
	s_delay_alu instid0(VALU_DEP_3)
	v_add3_u32 v68, v68, v101, v102
	v_mul_i32_i24_e32 v102, v34, v70
	scratch_load_b32 v70, off, off offset:304 ; 4-byte Folded Reload
	v_mul_i32_i24_e32 v101, v47, v223
	s_wait_loadcnt 0x1
	v_mul_i32_i24_e32 v104, v69, v3
	s_delay_alu instid0(VALU_DEP_1) | instskip(NEXT) | instid1(VALU_DEP_1)
	v_add3_u32 v68, v68, v103, v104
	v_add3_u32 v68, v68, v116, v117
	s_wait_loadcnt 0x0
	v_mul_i32_i24_e32 v103, v35, v70
	scratch_load_b32 v70, off, off offset:308 ; 4-byte Folded Reload
	v_add3_u32 v68, v68, v118, v119
	s_delay_alu instid0(VALU_DEP_1) | instskip(NEXT) | instid1(VALU_DEP_1)
	v_add3_u32 v68, v68, v120, v121
	v_add3_u32 v68, v68, v122, v123
	s_delay_alu instid0(VALU_DEP_1) | instskip(SKIP_1) | instid1(VALU_DEP_2)
	v_add3_u32 v68, v68, v124, v125
	v_mul_i32_i24_e32 v125, v46, v146
	v_add3_u32 v68, v68, v126, v129
	v_mul_i32_i24_e32 v126, v14, v206
	v_mul_i32_i24_e32 v129, v15, v207
	s_delay_alu instid0(VALU_DEP_3) | instskip(SKIP_2) | instid1(VALU_DEP_1)
	v_mul_lo_u32 v68, v68, v97
	scratch_load_b32 v97, off, off offset:1132 ; 4-byte Folded Reload
	v_cvt_f32_i32_e32 v68, v68
	v_fma_mix_f32 v66, v1, v68, v66 op_sel_hi:[1,0,0]
	s_delay_alu instid0(VALU_DEP_1)
	v_fma_f32 v66, v66, v203, -v67
	scratch_load_b32 v67, off, off offset:744 ; 4-byte Folded Reload
	s_wait_loadcnt 0x2
	v_mul_i32_i24_e32 v104, v36, v70
	scratch_load_b32 v70, off, off offset:312 ; 4-byte Folded Reload
	s_wait_loadcnt 0x1
	v_add_f32_e32 v67, v67, v66
	v_mul_i32_i24_e32 v66, v63, v226
	scratch_load_b32 v226, off, off offset:1212 th:TH_LOAD_LU ; 4-byte Folded Reload
	scratch_store_b32 off, v67, off offset:744 ; 4-byte Folded Spill
	v_mul_i32_i24_e32 v67, v64, v228
	v_mad_i32_i24 v66, v48, v231, v66
	s_wait_loadcnt 0x1
	v_mul_i32_i24_e32 v116, v37, v70
	scratch_load_b32 v70, off, off offset:316 ; 4-byte Folded Reload
	s_wait_loadcnt 0x1
	v_mul_i32_i24_e32 v68, v65, v226
	s_delay_alu instid0(VALU_DEP_1) | instskip(SKIP_2) | instid1(VALU_DEP_1)
	v_add3_u32 v66, v66, v67, v68
	v_mul_i32_i24_e32 v67, v49, v232
	v_mul_i32_i24_e32 v68, v50, v233
	v_add3_u32 v66, v66, v67, v68
	v_mul_i32_i24_e32 v68, v31, v219
	scratch_load_b32 v67, off, off offset:328 ; 4-byte Folded Reload
	v_add3_u32 v66, v66, v78, v79
	s_delay_alu instid0(VALU_DEP_1) | instskip(SKIP_2) | instid1(VALU_DEP_3)
	v_add3_u32 v66, v66, v80, v81
	v_mul_i32_i24_e32 v80, v19, v210
	v_mul_i32_i24_e32 v81, v20, v222
	v_add3_u32 v66, v66, v82, v83
	v_mul_i32_i24_e32 v82, v21, v168
	v_mul_i32_i24_e32 v83, v22, v211
	s_delay_alu instid0(VALU_DEP_3) | instskip(SKIP_1) | instid1(VALU_DEP_2)
	v_add3_u32 v66, v66, v84, v85
	v_mul_i32_i24_e32 v84, v23, v209
	v_add3_u32 v66, v66, v86, v88
	s_delay_alu instid0(VALU_DEP_1) | instskip(NEXT) | instid1(VALU_DEP_1)
	v_add3_u32 v66, v66, v93, v99
	v_add3_u32 v66, v66, v101, v102
	v_mul_i32_i24_e32 v102, v30, v221
	s_delay_alu instid0(VALU_DEP_2)
	v_add3_u32 v66, v66, v103, v104
	v_mul_i32_i24_e32 v104, v3, v212
	s_wait_loadcnt 0x1
	v_mul_i32_i24_e32 v117, v38, v70
	scratch_load_b32 v70, off, off offset:320 ; 4-byte Folded Reload
	v_add3_u32 v66, v66, v116, v117
	v_mul_i32_i24_e32 v116, v4, v213
	v_mul_i32_i24_e32 v117, v5, v174
	s_wait_loadcnt 0x0
	v_mul_i32_i24_e32 v118, v39, v70
	scratch_load_b32 v70, off, off offset:324 ; 4-byte Folded Reload
	s_wait_loadcnt 0x0
	v_mul_i32_i24_e32 v119, v40, v70
	scratch_load_b32 v70, off, off offset:332 ; 4-byte Folded Reload
	v_add3_u32 v66, v66, v118, v119
	v_mul_i32_i24_e32 v118, v6, v214
	v_mul_i32_i24_e32 v119, v7, v215
	s_wait_loadcnt 0x0
	v_mul_i32_i24_e32 v120, v41, v70
	scratch_load_b32 v70, off, off offset:336 ; 4-byte Folded Reload
	;; [unrolled: 9-line block ×4, first 2 shown]
	v_add3_u32 v66, v66, v124, v125
	v_mul_i32_i24_e32 v124, v12, v205
	v_mul_i32_i24_e32 v125, v13, v198
	s_delay_alu instid0(VALU_DEP_3) | instskip(SKIP_2) | instid1(VALU_DEP_1)
	v_mul_lo_u32 v66, v66, v67
	scratch_load_b32 v67, off, off offset:468 ; 4-byte Folded Reload
	v_cvt_f32_i32_e32 v66, v66
	v_fma_mix_f32 v66, v0, v66, 0 op_sel_hi:[1,0,0]
	s_wait_loadcnt 0x1
	v_mul_i32_i24_e32 v78, v32, v70
	scratch_load_b32 v70, off, off offset:352 ; 4-byte Folded Reload
	s_wait_loadcnt 0x1
	v_fma_mix_f32 v67, v67, v0, 0 op_sel:[0,1,0] op_sel_hi:[0,1,0]
	s_delay_alu instid0(VALU_DEP_1) | instskip(NEXT) | instid1(VALU_DEP_1)
	v_fma_mix_f32 v67, v220, v1, v67 op_sel:[0,1,0] op_sel_hi:[0,1,0]
	v_mul_f32_e32 v67, v67, v145
	s_wait_loadcnt 0x0
	v_mul_i32_i24_e32 v79, v33, v70
	scratch_load_b32 v70, off, off offset:344 ; 4-byte Folded Reload
	s_wait_loadcnt 0x0
	v_mad_i32_i24 v68, v16, v70, v68
	scratch_load_b32 v70, off, off offset:472 ; 4-byte Folded Reload
	v_add3_u32 v68, v68, v78, v79
	v_mul_i32_i24_e32 v79, v18, v208
	s_wait_loadcnt 0x0
	v_mul_i32_i24_e32 v78, v17, v70
	scratch_load_b32 v70, off, off offset:360 ; 4-byte Folded Reload
	v_add3_u32 v68, v68, v78, v79
	v_mul_i32_i24_e32 v79, v52, v200
	v_mul_i32_i24_e32 v52, v52, v255
	s_delay_alu instid0(VALU_DEP_3) | instskip(SKIP_2) | instid1(VALU_DEP_3)
	v_add3_u32 v68, v68, v80, v81
	v_mul_i32_i24_e32 v81, v54, v199
	v_mul_i32_i24_e32 v54, v54, v230
	v_add3_u32 v68, v68, v82, v83
	s_wait_loadcnt 0x0
	v_mul_i32_i24_e32 v85, v24, v70
	scratch_load_b32 v70, off, off offset:364 ; 4-byte Folded Reload
	v_add3_u32 v68, v68, v84, v85
	s_wait_loadcnt 0x0
	v_mul_i32_i24_e32 v86, v25, v70
	scratch_load_b32 v70, off, off offset:372 ; 4-byte Folded Reload
	s_wait_loadcnt 0x0
	v_mul_i32_i24_e32 v88, v26, v70
	scratch_load_b32 v70, off, off offset:368 ; 4-byte Folded Reload
	v_add3_u32 v68, v68, v86, v88
	s_wait_loadcnt 0x0
	v_mul_i32_i24_e32 v93, v27, v70
	scratch_load_b32 v70, off, off offset:376 ; 4-byte Folded Reload
	s_wait_loadcnt 0x0
	v_mul_i32_i24_e32 v99, v28, v70
	scratch_load_b32 v70, off, off offset:380 ; 4-byte Folded Reload
	v_add3_u32 v68, v68, v93, v99
	v_mul_i32_i24_e32 v99, v62, v227
	v_mul_i32_i24_e32 v62, v62, v165
	v_mov_b32_e32 v227, v233
	v_mov_b32_e32 v233, v244
	s_wait_loadcnt 0x0
	v_mul_i32_i24_e32 v101, v29, v70
	scratch_load_b32 v70, off, off offset:76 ; 4-byte Folded Reload
	v_add3_u32 v68, v68, v101, v102
	v_mul_i32_i24_e32 v102, v34, v139
	v_mul_i32_i24_e32 v101, v47, v72
	;; [unrolled: 1-line block ×3, first 2 shown]
	s_wait_loadcnt 0x0
	v_mul_i32_i24_e32 v103, v2, v70
	scratch_load_b32 v70, off, off offset:12 ; 4-byte Folded Reload
	v_add3_u32 v68, v68, v103, v104
	v_mul_i32_i24_e32 v104, v36, v141
	v_mul_i32_i24_e32 v103, v35, v140
	;; [unrolled: 1-line block ×3, first 2 shown]
	s_delay_alu instid0(VALU_DEP_4) | instskip(SKIP_2) | instid1(VALU_DEP_3)
	v_add3_u32 v68, v68, v116, v117
	v_mul_i32_i24_e32 v116, v37, v142
	v_mul_i32_i24_e32 v117, v38, v143
	v_add3_u32 v68, v68, v118, v119
	v_mul_i32_i24_e32 v118, v39, v144
	v_mul_i32_i24_e32 v119, v40, v87
	v_mul_i32_i24_e32 v39, v39, v176
	s_delay_alu instid0(VALU_DEP_4)
	v_add3_u32 v68, v68, v120, v121
	v_mul_i32_i24_e32 v121, v42, v107
	scratch_load_b32 v107, off, off offset:552 ; 4-byte Folded Reload
	v_mul_i32_i24_e32 v120, v41, v132
	v_mul_i32_i24_e32 v41, v41, v188
	v_add3_u32 v68, v68, v122, v123
	v_mul_i32_i24_e32 v123, v44, v110
	scratch_load_b32 v110, off, off offset:540 ; 4-byte Folded Reload
	v_mul_i32_i24_e32 v122, v43, v184
	v_mul_i32_i24_e32 v42, v42, v130
	;; [unrolled: 5-line block ×3, first 2 shown]
	v_add3_u32 v68, v68, v126, v129
	v_mul_i32_i24_e32 v44, v44, v161
	v_mul_i32_i24_e32 v45, v45, v73
	;; [unrolled: 1-line block ×7, first 2 shown]
	s_wait_loadcnt 0x3
	v_mul_lo_u32 v68, v68, v70
	scratch_load_b32 v70, off, off offset:104 ; 4-byte Folded Reload
	v_cvt_f32_i32_e32 v68, v68
	s_delay_alu instid0(VALU_DEP_1) | instskip(SKIP_2) | instid1(VALU_DEP_3)
	v_fma_mix_f32 v66, v1, v68, v66 op_sel_hi:[1,0,0]
	v_mul_i32_i24_e32 v68, v65, v247
	v_mul_i32_i24_e32 v65, v65, v149
	v_fma_f32 v66, v66, v201, -v67
	scratch_load_b32 v67, off, off offset:740 ; 4-byte Folded Reload
	s_wait_loadcnt 0x0
	v_add_f32_e32 v67, v67, v66
	v_mul_i32_i24_e32 v66, v63, v177
	v_mul_i32_i24_e32 v63, v63, v163
	scratch_store_b32 off, v67, off offset:740 ; 4-byte Folded Spill
	v_mad_i32_i24 v66, v48, v70, v66
	scratch_load_b32 v70, off, off offset:112 ; 4-byte Folded Reload
	v_mul_i32_i24_e32 v67, v64, v180
	v_mad_i32_i24 v48, v48, v148, v63
	scratch_load_b32 v63, off, off offset:608 ; 4-byte Folded Reload
	v_mul_i32_i24_e32 v64, v64, v108
	scratch_load_b32 v108, off, off offset:240 ; 4-byte Folded Reload
	v_add3_u32 v66, v66, v67, v68
	s_clause 0x1
	scratch_load_b32 v67, off, off offset:16
	scratch_load_b32 v68, off, off offset:20
	v_add3_u32 v48, v48, v64, v65
	s_wait_loadcnt 0x4
	v_mul_i32_i24_e32 v78, v51, v70
	scratch_load_b32 v70, off, off offset:676 ; 4-byte Folded Reload
	v_mul_i32_i24_e32 v51, v51, v254
	s_wait_loadcnt 0x4
	v_mul_i32_i24_e32 v34, v34, v63
	scratch_load_b32 v63, off, off offset:612 ; 4-byte Folded Reload
	s_wait_loadcnt 0x3
	v_mul_i32_i24_e32 v67, v49, v67
	s_wait_loadcnt 0x2
	v_mul_i32_i24_e32 v68, v50, v68
	v_mul_i32_i24_e32 v49, v49, v246
	;; [unrolled: 1-line block ×3, first 2 shown]
	s_delay_alu instid0(VALU_DEP_3)
	v_add3_u32 v66, v66, v67, v68
	v_fma_mix_f32 v67, v109, v0, 0 op_sel:[0,1,0] op_sel_hi:[0,1,0]
	scratch_load_b32 v109, off, off offset:548 ; 4-byte Folded Reload
	v_add3_u32 v48, v48, v49, v50
	v_add3_u32 v66, v66, v78, v79
	v_mul_i32_i24_e32 v78, v32, v75
	v_mul_i32_i24_e32 v79, v33, v115
	;; [unrolled: 1-line block ×4, first 2 shown]
	v_add3_u32 v48, v48, v51, v52
	v_fma_mix_f32 v67, v92, v1, v67 op_sel:[0,1,0] op_sel_hi:[0,1,0]
	v_mov_b32_e32 v229, v235
	s_delay_alu instid0(VALU_DEP_2)
	v_mul_f32_e32 v67, v67, v131
	s_wait_loadcnt 0x2
	v_mul_i32_i24_e32 v80, v53, v70
	scratch_load_b32 v70, off, off offset:116 ; 4-byte Folded Reload
	v_mul_i32_i24_e32 v53, v53, v238
	s_wait_loadcnt 0x2
	v_mul_i32_i24_e32 v36, v36, v63
	scratch_load_b32 v63, off, off offset:108 ; 4-byte Folded Reload
	v_add3_u32 v66, v66, v80, v81
	v_mul_i32_i24_e32 v80, v19, v193
	v_mul_i32_i24_e32 v81, v20, v114
	;; [unrolled: 1-line block ×3, first 2 shown]
	s_clause 0x1
	scratch_load_b32 v106, off, off offset:1072 th:TH_LOAD_LU
	scratch_load_b32 v114, off, off offset:1148
	v_add3_u32 v48, v48, v53, v54
	s_wait_loadcnt 0x4
	v_mul_i32_i24_e32 v68, v31, v109
	v_mul_i32_i24_e32 v31, v31, v189
	s_delay_alu instid0(VALU_DEP_2) | instskip(NEXT) | instid1(VALU_DEP_2)
	v_mad_i32_i24 v68, v16, v107, v68
	v_mad_i32_i24 v16, v16, v191, v31
	scratch_load_b32 v31, off, off offset:44 ; 4-byte Folded Reload
	v_add3_u32 v68, v68, v78, v79
	v_mul_i32_i24_e32 v79, v18, v112
	scratch_load_b32 v112, off, off offset:1140 ; 4-byte Folded Reload
	v_mul_i32_i24_e32 v78, v17, v217
	v_add3_u32 v16, v16, v32, v33
	v_mul_i32_i24_e32 v17, v17, v192
	v_mul_i32_i24_e32 v18, v18, v167
	s_delay_alu instid0(VALU_DEP_4) | instskip(NEXT) | instid1(VALU_DEP_2)
	v_add3_u32 v68, v68, v78, v79
	v_add3_u32 v16, v16, v17, v18
	s_delay_alu instid0(VALU_DEP_2)
	v_add3_u32 v68, v68, v80, v81
	s_wait_loadcnt 0x5
	v_mul_i32_i24_e32 v82, v55, v70
	scratch_load_b32 v70, off, off offset:120 ; 4-byte Folded Reload
	v_mul_i32_i24_e32 v55, v55, v240
	s_wait_loadcnt 0x5
	v_mul_i32_i24_e32 v37, v37, v63
	scratch_load_b32 v63, off, off offset:436 ; 4-byte Folded Reload
	s_wait_loadcnt 0x3
	v_mul_i32_i24_e32 v19, v19, v31
	scratch_load_b32 v31, off, off offset:56 ; 4-byte Folded Reload
	v_add3_u32 v16, v16, v19, v20
	s_wait_loadcnt 0x2
	v_mul_i32_i24_e32 v83, v56, v70
	scratch_load_b32 v70, off, off offset:124 ; 4-byte Folded Reload
	v_mul_i32_i24_e32 v56, v56, v241
	s_wait_loadcnt 0x2
	v_mul_i32_i24_e32 v38, v38, v63
	scratch_load_b32 v63, off, off offset:60 ; 4-byte Folded Reload
	v_add3_u32 v66, v66, v82, v83
	v_mul_i32_i24_e32 v82, v21, v194
	v_mul_i32_i24_e32 v83, v22, v195
	;; [unrolled: 1-line block ×4, first 2 shown]
	v_add3_u32 v48, v48, v55, v56
	v_mov_b32_e32 v194, v69
	v_add3_u32 v68, v68, v82, v83
	s_delay_alu instid0(VALU_DEP_4)
	v_add3_u32 v16, v16, v21, v22
	s_wait_loadcnt 0x1
	v_mul_i32_i24_e32 v84, v57, v70
	scratch_load_b32 v70, off, off offset:128 ; 4-byte Folded Reload
	v_mul_i32_i24_e32 v57, v57, v242
	s_wait_loadcnt 0x1
	v_mul_i32_i24_e32 v40, v40, v63
	s_wait_loadcnt 0x0
	v_mul_i32_i24_e32 v85, v58, v70
	scratch_load_b32 v70, off, off offset:132 ; 4-byte Folded Reload
	v_mul_i32_i24_e32 v58, v58, v243
	v_add3_u32 v66, v66, v84, v85
	v_mul_i32_i24_e32 v84, v23, v113
	scratch_load_b32 v113, off, off offset:1144 ; 4-byte Folded Reload
	v_mul_i32_i24_e32 v85, v24, v196
	v_mul_i32_i24_e32 v23, v23, v153
	;; [unrolled: 1-line block ×3, first 2 shown]
	v_add3_u32 v48, v48, v57, v58
	s_delay_alu instid0(VALU_DEP_4) | instskip(NEXT) | instid1(VALU_DEP_3)
	v_add3_u32 v68, v68, v84, v85
	v_add3_u32 v16, v16, v23, v24
	s_wait_loadcnt 0x1
	v_mul_i32_i24_e32 v86, v59, v70
	scratch_load_b32 v70, off, off offset:136 ; 4-byte Folded Reload
	v_mul_i32_i24_e32 v59, v59, v245
	s_wait_loadcnt 0x0
	v_mul_i32_i24_e32 v88, v60, v70
	scratch_load_b32 v70, off, off offset:64 ; 4-byte Folded Reload
	v_mul_i32_i24_e32 v60, v60, v164
	v_add3_u32 v66, v66, v86, v88
	v_mul_i32_i24_e32 v86, v25, v111
	scratch_load_b32 v111, off, off offset:584 ; 4-byte Folded Reload
	v_mul_i32_i24_e32 v25, v25, v151
	v_add3_u32 v48, v48, v59, v60
	s_wait_loadcnt 0x1
	v_mul_i32_i24_e32 v93, v61, v70
	scratch_load_b32 v70, off, off offset:572 ; 4-byte Folded Reload
	v_mul_i32_i24_e32 v61, v61, v197
	v_add3_u32 v66, v66, v93, v99
	v_mul_i32_i24_e32 v93, v27, v95
	v_mul_i32_i24_e32 v99, v28, v90
	;; [unrolled: 1-line block ×4, first 2 shown]
	v_add3_u32 v66, v66, v101, v102
	v_mul_i32_i24_e32 v101, v29, v94
	v_mul_i32_i24_e32 v102, v30, v98
	v_add3_u32 v48, v48, v61, v62
	v_mul_i32_i24_e32 v29, v29, v162
	v_add3_u32 v66, v66, v103, v104
	v_mul_i32_i24_e32 v30, v30, v171
	s_wait_loadcnt 0x1
	v_mul_i32_i24_e32 v103, v2, v111
	v_mul_i32_i24_e32 v104, v3, v97
	v_add3_u32 v34, v48, v47, v34
	v_add3_u32 v66, v66, v116, v117
	v_mul_i32_i24_e32 v2, v2, v108
	v_mul_i32_i24_e32 v3, v3, v160
	;; [unrolled: 1-line block ×4, first 2 shown]
	v_add3_u32 v66, v66, v118, v119
	v_mul_i32_i24_e32 v118, v6, v112
	v_add3_u32 v34, v34, v35, v36
	v_mul_i32_i24_e32 v4, v4, v157
	v_mul_i32_i24_e32 v5, v5, v106
	;; [unrolled: 1-line block ×3, first 2 shown]
	v_add3_u32 v66, v66, v120, v121
	v_add3_u32 v34, v34, v37, v38
	v_mul_i32_i24_e32 v120, v8, v77
	v_mul_i32_i24_e32 v121, v9, v76
	;; [unrolled: 1-line block ×4, first 2 shown]
	v_add3_u32 v34, v34, v39, v40
	v_add3_u32 v66, v66, v122, v123
	v_mul_i32_i24_e32 v122, v10, v133
	v_mul_i32_i24_e32 v123, v11, v96
	;; [unrolled: 1-line block ×3, first 2 shown]
	v_add3_u32 v34, v34, v41, v42
	v_mul_i32_i24_e32 v11, v11, v172
	v_add3_u32 v66, v66, v124, v125
	v_mul_i32_i24_e32 v124, v12, v134
	v_mul_i32_i24_e32 v125, v13, v136
	v_add3_u32 v34, v34, v43, v44
	v_mul_i32_i24_e32 v12, v12, v128
	v_mul_i32_i24_e32 v13, v13, v158
	v_mul_lo_u32 v66, v66, v110
	v_mov_b32_e32 v171, v219
	v_add3_u32 v34, v34, v45, v46
	s_delay_alu instid0(VALU_DEP_1) | instskip(NEXT) | instid1(VALU_DEP_4)
	v_mul_lo_u32 v34, v34, v185
	v_cvt_f32_i32_e32 v66, v66
	v_dual_mov_b32 v185, v226 :: v_dual_mov_b32 v226, v232
	v_mov_b32_e32 v232, v239
	s_delay_alu instid0(VALU_DEP_3) | instskip(SKIP_1) | instid1(VALU_DEP_1)
	v_fma_mix_f32 v66, v0, v66, 0 op_sel_hi:[1,0,0]
	v_cvt_f32_i32_e32 v34, v34
	v_fma_mix_f32 v34, v0, v34, 0 op_sel_hi:[1,0,0]
	v_fma_mix_f32 v0, v71, v0, 0 op_sel:[0,1,0] op_sel_hi:[0,1,0]
	s_delay_alu instid0(VALU_DEP_1)
	v_fma_mix_f32 v0, v169, v1, v0 op_sel:[0,1,0] op_sel_hi:[0,1,0]
	s_wait_loadcnt 0x0
	v_mul_i32_i24_e32 v88, v26, v70
	v_mul_i32_i24_e32 v26, v26, v31
	scratch_load_b32 v31, off, off offset:444 ; 4-byte Folded Reload
	v_add3_u32 v68, v68, v86, v88
	v_add3_u32 v16, v16, v25, v26
	s_delay_alu instid0(VALU_DEP_2) | instskip(NEXT) | instid1(VALU_DEP_2)
	v_add3_u32 v68, v68, v93, v99
	v_add3_u32 v16, v16, v27, v28
	s_delay_alu instid0(VALU_DEP_2) | instskip(NEXT) | instid1(VALU_DEP_2)
	v_add3_u32 v68, v68, v101, v102
	v_add3_u32 v16, v16, v29, v30
	s_delay_alu instid0(VALU_DEP_2) | instskip(NEXT) | instid1(VALU_DEP_2)
	v_add3_u32 v68, v68, v103, v104
	v_add3_u32 v2, v16, v2, v3
	s_delay_alu instid0(VALU_DEP_2) | instskip(NEXT) | instid1(VALU_DEP_2)
	v_add3_u32 v68, v68, v116, v117
	v_add3_u32 v2, v2, v4, v5
	s_delay_alu instid0(VALU_DEP_2) | instskip(NEXT) | instid1(VALU_DEP_1)
	v_add3_u32 v68, v68, v118, v119
	v_add3_u32 v68, v68, v120, v121
	s_delay_alu instid0(VALU_DEP_1) | instskip(NEXT) | instid1(VALU_DEP_1)
	v_add3_u32 v68, v68, v122, v123
	v_add3_u32 v68, v68, v124, v125
	s_delay_alu instid0(VALU_DEP_1) | instskip(NEXT) | instid1(VALU_DEP_1)
	v_add3_u32 v68, v68, v126, v129
	v_mul_lo_u32 v68, v68, v138
	s_delay_alu instid0(VALU_DEP_1) | instskip(NEXT) | instid1(VALU_DEP_1)
	v_cvt_f32_i32_e32 v68, v68
	v_fma_mix_f32 v66, v1, v68, v66 op_sel_hi:[1,0,0]
	s_delay_alu instid0(VALU_DEP_1)
	v_fma_f32 v66, v66, v91, -v67
	scratch_load_b32 v67, off, off offset:736 ; 4-byte Folded Reload
	s_wait_loadcnt 0x1
	v_mul_i32_i24_e32 v6, v6, v31
	scratch_load_b32 v31, off, off offset:440 ; 4-byte Folded Reload
	s_wait_loadcnt 0x1
	v_add_f32_e32 v67, v67, v66
	s_wait_loadcnt 0x0
	v_mul_i32_i24_e32 v7, v7, v31
	s_delay_alu instid0(VALU_DEP_1) | instskip(NEXT) | instid1(VALU_DEP_1)
	v_add3_u32 v2, v2, v6, v7
	v_add3_u32 v2, v2, v8, v9
	s_delay_alu instid0(VALU_DEP_1) | instskip(NEXT) | instid1(VALU_DEP_1)
	v_add3_u32 v2, v2, v10, v11
	v_add3_u32 v2, v2, v12, v13
	s_delay_alu instid0(VALU_DEP_1) | instskip(NEXT) | instid1(VALU_DEP_1)
	v_add3_u32 v2, v2, v14, v15
	v_mul_lo_u32 v2, v2, v173
	s_delay_alu instid0(VALU_DEP_1) | instskip(NEXT) | instid1(VALU_DEP_1)
	v_cvt_f32_i32_e32 v2, v2
	v_fma_mix_f32 v2, v1, v2, v34 op_sel_hi:[1,0,0]
	scratch_load_b32 v1, off, off offset:4  ; 4-byte Folded Reload
	s_wait_loadcnt 0x0
	v_mul_f32_e32 v0, v0, v1
	scratch_load_b32 v1, off, off           ; 4-byte Folded Reload
	s_wait_loadcnt 0x0
	v_fma_f32 v0, v2, v1, -v0
	scratch_load_b32 v1, off, off offset:732 ; 4-byte Folded Reload
	s_wait_loadcnt 0x0
	v_add_f32_e32 v1, v1, v0
	scratch_load_b32 v0, off, off offset:1268 ; 4-byte Folded Reload
	s_clause 0x1
	scratch_store_b32 off, v67, off offset:736
	scratch_store_b32 off, v1, off offset:732
	s_wait_loadcnt 0x0
	v_or_b32_e32 v0, s13, v0
	s_delay_alu instid0(VALU_DEP_1)
	v_lshlrev_b32_e32 v1, 2, v0
	ds_load_b128 v[14:17], v1 offset:16896
	ds_load_b128 v[26:29], v1 offset:16912
	;; [unrolled: 1-line block ×4, first 2 shown]
	s_clause 0x17
	scratch_load_b32 v101, off, off offset:184
	scratch_load_b32 v105, off, off offset:192
	;; [unrolled: 1-line block ×24, first 2 shown]
	s_wait_dscnt 0x2
	v_bfe_i32 v40, v29, 8, 8
	v_bfe_i32 v2, v14, 0, 8
	;; [unrolled: 1-line block ×4, first 2 shown]
	v_ashrrev_i32_e32 v6, 24, v14
	s_clause 0x7
	scratch_load_b32 v83, off, off offset:1076
	scratch_load_b32 v86, off, off offset:996
	;; [unrolled: 1-line block ×3, first 2 shown]
	scratch_load_b32 v150, off, off offset:1048 th:TH_LOAD_LU
	scratch_load_b32 v151, off, off offset:1052 th:TH_LOAD_LU
	;; [unrolled: 1-line block ×5, first 2 shown]
	v_bfe_i32 v41, v29, 16, 8
	v_bfe_i32 v4, v15, 0, 8
	;; [unrolled: 1-line block ×4, first 2 shown]
	v_ashrrev_i32_e32 v9, 24, v15
	s_clause 0x7
	scratch_load_b32 v216, off, off offset:428
	scratch_load_b32 v186, off, off offset:432 th:TH_LOAD_LU
	scratch_load_b32 v153, off, off offset:608 th:TH_LOAD_LU
	;; [unrolled: 1-line block ×4, first 2 shown]
	scratch_load_b32 v215, off, off offset:424
	scratch_load_b32 v214, off, off offset:420
	;; [unrolled: 1-line block ×3, first 2 shown]
	v_bfe_i32 v10, v16, 0, 8
	v_bfe_i32 v11, v16, 8, 8
	;; [unrolled: 1-line block ×3, first 2 shown]
	v_ashrrev_i32_e32 v13, 24, v16
	s_clause 0x1f
	scratch_load_b32 v253, off, off offset:88
	scratch_load_b32 v156, off, off offset:108 th:TH_LOAD_LU
	scratch_load_b32 v164, off, off offset:84
	scratch_load_b32 v187, off, off offset:80
	scratch_load_b32 v147, off, off offset:68
	scratch_load_b32 v172, off, off offset:72
	scratch_load_b32 v242, off, off offset:64
	scratch_load_b32 v159, off, off offset:60
	scratch_load_b32 v179, off, off offset:396
	scratch_load_b32 v189, off, off offset:400
	scratch_load_b32 v192, off, off offset:412
	scratch_load_b32 v191, off, off offset:408
	scratch_load_b32 v190, off, off offset:404
	scratch_load_b32 v241, off, off offset:368
	scratch_load_b32 v220, off, off offset:376
	scratch_load_b32 v221, off, off offset:380
	scratch_load_b32 v188, off, off offset:896
	scratch_load_b32 v193, off, off offset:900
	scratch_load_b32 v197, off, off offset:916
	scratch_load_b32 v200, off, off offset:928
	scratch_load_b32 v199, off, off offset:924
	scratch_load_b32 v198, off, off offset:920
	scratch_load_b32 v196, off, off offset:912
	scratch_load_b32 v195, off, off offset:908
	scratch_load_b32 v181, off, off offset:880
	scratch_load_b32 v184, off, off offset:892
	scratch_load_b32 v183, off, off offset:888
	scratch_load_b32 v180, off, off offset:876
	scratch_load_b32 v178, off, off offset:872
	scratch_load_b32 v177, off, off offset:868
	scratch_load_b32 v212, off, off offset:808
	scratch_load_b32 v237, off, off offset:848
	v_ashrrev_i32_e32 v21, 24, v26
	s_clause 0x7
	scratch_load_b32 v201, off, off offset:932
	scratch_load_b32 v205, off, off offset:948
	;; [unrolled: 1-line block ×8, first 2 shown]
	v_mul_i32_i24_e32 v102, v182, v21
	s_clause 0x2
	scratch_load_b32 v182, off, off offset:884
	scratch_load_b32 v165, off, off offset:1176
	scratch_load_b32 v158, off, off offset:1116 th:TH_LOAD_LU
	v_bfe_i32 v39, v29, 0, 8
	v_ashrrev_i32_e32 v29, 24, v29
	s_wait_dscnt 0x1
	v_bfe_i32 v42, v30, 0, 8
	v_bfe_i32 v43, v30, 8, 8
	;; [unrolled: 1-line block ×3, first 2 shown]
	v_ashrrev_i32_e32 v30, 24, v30
	v_bfe_i32 v45, v31, 0, 8
	v_bfe_i32 v46, v31, 8, 8
	;; [unrolled: 1-line block ×3, first 2 shown]
	v_ashrrev_i32_e32 v31, 24, v31
	v_bfe_i32 v14, v17, 0, 8
	v_bfe_i32 v15, v17, 8, 8
	;; [unrolled: 1-line block ×5, first 2 shown]
	v_ashrrev_i32_e32 v17, 24, v17
	v_bfe_i32 v50, v32, 16, 8
	v_ashrrev_i32_e32 v32, 24, v32
	v_bfe_i32 v18, v26, 0, 8
	v_bfe_i32 v19, v26, 8, 8
	;; [unrolled: 1-line block ×6, first 2 shown]
	v_ashrrev_i32_e32 v33, 24, v33
	v_bfe_i32 v22, v27, 0, 8
	v_bfe_i32 v23, v27, 8, 8
	s_wait_dscnt 0x0
	v_bfe_i32 v54, v34, 0, 8
	v_bfe_i32 v55, v34, 8, 8
	;; [unrolled: 1-line block ×3, first 2 shown]
	v_ashrrev_i32_e32 v25, 24, v27
	v_bfe_i32 v56, v34, 16, 8
	v_ashrrev_i32_e32 v34, 24, v34
	v_bfe_i32 v26, v28, 0, 8
	v_bfe_i32 v27, v28, 8, 8
	;; [unrolled: 1-line block ×5, first 2 shown]
	v_ashrrev_i32_e32 v28, 24, v28
	v_bfe_i32 v59, v35, 16, 8
	v_ashrrev_i32_e32 v35, 24, v35
	v_bfe_i32 v60, v36, 0, 8
	v_bfe_i32 v61, v36, 8, 8
	;; [unrolled: 1-line block ×3, first 2 shown]
	v_ashrrev_i32_e32 v36, 24, v36
	v_lshrrev_b32_e32 v0, 1, v0
	v_bfe_i32 v63, v37, 0, 8
	v_bfe_i32 v64, v37, 8, 8
	;; [unrolled: 1-line block ×3, first 2 shown]
	v_ashrrev_i32_e32 v37, 24, v37
	ds_load_b64 v[0:1], v0 offset:27200
	s_clause 0x14
	scratch_load_b32 v69, off, off offset:856
	scratch_load_b32 v235, off, off offset:384
	;; [unrolled: 1-line block ×21, first 2 shown]
	s_wait_loadcnt 0x3e
	v_mul_i32_i24_e32 v101, v101, v20
	v_mul_i32_i24_e32 v123, v105, v40
	scratch_load_b32 v105, off, off offset:188 ; 4-byte Folded Reload
	v_mul_i32_i24_e32 v66, v66, v2
	v_mul_i32_i24_e32 v67, v67, v5
	;; [unrolled: 1-line block ×8, first 2 shown]
	v_mad_i32_i24 v66, v248, v3, v66
	v_mul_i32_i24_e32 v78, v250, v8
	v_mul_i32_i24_e32 v80, v251, v10
	;; [unrolled: 1-line block ×4, first 2 shown]
	v_add3_u32 v66, v66, v67, v68
	s_clause 0x1
	scratch_load_b32 v67, off, off offset:152
	scratch_load_b32 v68, off, off offset:1080
	v_mul_i32_i24_e32 v83, v83, v13
	v_mul_i32_i24_e32 v86, v86, v16
	v_mul_i32_i24_e32 v99, v99, v19
	s_wait_loadcnt 0x3a
	v_mul_i32_i24_e32 v122, v179, v39
	s_wait_loadcnt 0x32
	v_mul_i32_i24_e32 v119, v188, v27
	;; [unrolled: 2-line block ×12, first 2 shown]
	scratch_load_b32 v105, off, off offset:196 ; 4-byte Folded Reload
	s_wait_loadcnt 0x2
	v_mul_i32_i24_e32 v67, v67, v4
	s_wait_loadcnt 0x1
	v_mul_i32_i24_e32 v68, v68, v7
	s_delay_alu instid0(VALU_DEP_1)
	v_add3_u32 v66, v66, v67, v68
	scratch_load_b32 v67, off, off offset:200 ; 4-byte Folded Reload
	v_mul_i32_i24_e32 v68, v215, v42
	v_add3_u32 v66, v66, v78, v79
	v_mul_i32_i24_e32 v78, v214, v44
	v_mul_i32_i24_e32 v79, v213, v30
	s_delay_alu instid0(VALU_DEP_4)
	v_mad_i32_i24 v68, v225, v43, v68
	v_mov_b32_e32 v225, v231
	v_add3_u32 v66, v66, v80, v81
	v_mul_i32_i24_e32 v80, v187, v47
	v_mul_i32_i24_e32 v81, v186, v31
	v_add3_u32 v68, v68, v78, v79
	v_mul_i32_i24_e32 v78, v253, v45
	v_add3_u32 v66, v66, v82, v83
	s_clause 0x1
	scratch_load_b32 v82, off, off offset:1088
	scratch_load_b32 v83, off, off offset:1084
	v_mul_i32_i24_e32 v79, v164, v46
	v_mov_b32_e32 v231, v236
	v_add3_u32 v66, v66, v84, v85
	v_mul_i32_i24_e32 v84, v224, v50
	v_mul_i32_i24_e32 v85, v189, v32
	v_add3_u32 v68, v68, v78, v79
	v_mov_b32_e32 v224, v228
	v_add3_u32 v66, v66, v86, v88
	v_mul_i32_i24_e32 v86, v193, v51
	v_mul_i32_i24_e32 v88, v192, v52
	v_add3_u32 v68, v68, v80, v81
	v_mov_b32_e32 v228, v234
	v_add3_u32 v66, v66, v93, v99
	v_mul_i32_i24_e32 v93, v191, v53
	v_mul_i32_i24_e32 v99, v190, v33
	s_clause 0x1
	scratch_load_b32 v234, off, off offset:860
	scratch_load_b32 v236, off, off offset:388
	v_add3_u32 v66, v66, v101, v102
	v_mul_i32_i24_e32 v101, v197, v54
	v_mul_i32_i24_e32 v102, v196, v55
	;; [unrolled: 1-line block ×4, first 2 shown]
	v_add3_u32 v66, v66, v103, v104
	v_mul_i32_i24_e32 v103, v195, v56
	v_mul_i32_i24_e32 v104, v194, v34
	;; [unrolled: 1-line block ×4, first 2 shown]
	v_add3_u32 v66, v66, v116, v117
	v_mul_i32_i24_e32 v116, v201, v57
	v_mul_i32_i24_e32 v117, v200, v58
	s_delay_alu instid0(VALU_DEP_3) | instskip(SKIP_2) | instid1(VALU_DEP_3)
	v_add3_u32 v66, v66, v118, v119
	v_mul_i32_i24_e32 v118, v199, v59
	v_mul_i32_i24_e32 v119, v198, v35
	v_add3_u32 v66, v66, v120, v121
	v_mul_i32_i24_e32 v120, v205, v60
	v_mul_i32_i24_e32 v121, v204, v61
	s_delay_alu instid0(VALU_DEP_3)
	v_add3_u32 v66, v66, v122, v123
	v_mul_i32_i24_e32 v122, v203, v62
	v_mul_i32_i24_e32 v123, v202, v36
	s_wait_loadcnt 0x5
	v_mul_i32_i24_e32 v125, v105, v29
	scratch_load_b32 v105, off, off offset:1004 ; 4-byte Folded Reload
	v_add3_u32 v66, v66, v124, v125
	v_mul_i32_i24_e32 v124, v209, v63
	v_mul_i32_i24_e32 v125, v208, v64
	s_wait_loadcnt 0x5
	s_delay_alu instid0(VALU_DEP_3) | instskip(SKIP_2) | instid1(VALU_DEP_1)
	v_mul_lo_u32 v66, v66, v67
	s_wait_dscnt 0x0
	v_fma_mix_f32 v67, v216, v0, 0 op_sel:[0,1,0] op_sel_hi:[0,1,0]
	v_fma_mix_f32 v67, v211, v1, v67 op_sel:[0,1,0] op_sel_hi:[0,1,0]
	s_delay_alu instid0(VALU_DEP_3) | instskip(NEXT) | instid1(VALU_DEP_2)
	v_cvt_f32_i32_e32 v66, v66
	v_mul_f32_e32 v67, v67, v212
	s_delay_alu instid0(VALU_DEP_2) | instskip(SKIP_4) | instid1(VALU_DEP_1)
	v_fma_mix_f32 v66, v0, v66, 0 op_sel_hi:[1,0,0]
	s_wait_loadcnt 0x4
	v_mul_i32_i24_e32 v82, v82, v48
	s_wait_loadcnt 0x3
	v_mul_i32_i24_e32 v83, v83, v49
	v_add3_u32 v68, v68, v82, v83
	v_mul_i32_i24_e32 v82, v12, v233
	s_delay_alu instid0(VALU_DEP_2) | instskip(SKIP_1) | instid1(VALU_DEP_2)
	v_add3_u32 v68, v68, v84, v85
	v_mul_i32_i24_e32 v84, v14, v235
	v_add3_u32 v68, v68, v86, v88
	s_wait_loadcnt 0x2
	v_mul_i32_i24_e32 v83, v13, v234
	s_wait_loadcnt 0x1
	v_mul_i32_i24_e32 v85, v15, v236
	v_mul_i32_i24_e32 v86, v16, v239
	;; [unrolled: 1-line block ×3, first 2 shown]
	v_add3_u32 v68, v68, v93, v99
	s_clause 0x1
	scratch_load_b32 v93, off, off offset:664
	scratch_load_b32 v99, off, off offset:660
	v_add3_u32 v68, v68, v101, v102
	v_mul_i32_i24_e32 v101, v20, v223
	v_mul_i32_i24_e32 v102, v21, v147
	s_delay_alu instid0(VALU_DEP_3) | instskip(SKIP_2) | instid1(VALU_DEP_3)
	v_add3_u32 v68, v68, v103, v104
	v_mul_i32_i24_e32 v103, v22, v161
	v_mul_i32_i24_e32 v104, v23, v162
	v_add3_u32 v68, v68, v116, v117
	v_mul_i32_i24_e32 v116, v24, v255
	v_mul_i32_i24_e32 v117, v25, v163
	s_delay_alu instid0(VALU_DEP_3) | instskip(SKIP_2) | instid1(VALU_DEP_3)
	v_add3_u32 v68, v68, v118, v119
	v_mul_i32_i24_e32 v118, v26, v166
	v_mul_i32_i24_e32 v119, v27, v167
	;; [unrolled: 7-line block ×3, first 2 shown]
	v_add3_u32 v68, v68, v124, v125
	v_mul_i32_i24_e32 v125, v29, v146
	scratch_load_b32 v146, off, off offset:1044 th:TH_LOAD_LU ; 4-byte Folded Reload
	v_add3_u32 v68, v68, v126, v129
	s_delay_alu instid0(VALU_DEP_1) | instskip(NEXT) | instid1(VALU_DEP_1)
	v_mul_lo_u32 v68, v68, v210
	v_cvt_f32_i32_e32 v68, v68
	s_delay_alu instid0(VALU_DEP_1) | instskip(SKIP_1) | instid1(VALU_DEP_2)
	v_fma_mix_f32 v66, v1, v68, v66 op_sel_hi:[1,0,0]
	v_mul_i32_i24_e32 v68, v6, v185
	v_fma_f32 v66, v66, v165, -v67
	scratch_load_b32 v67, off, off offset:728 ; 4-byte Folded Reload
	s_wait_loadcnt 0x4
	v_mul_i32_i24_e32 v124, v41, v105
	scratch_load_b32 v105, off, off offset:1012 ; 4-byte Folded Reload
	s_wait_loadcnt 0x4
	v_mul_i32_i24_e32 v93, v18, v93
	s_wait_loadcnt 0x3
	v_mul_i32_i24_e32 v99, v19, v99
	s_wait_loadcnt 0x1
	v_add_f32_e32 v67, v67, v66
	v_mul_i32_i24_e32 v66, v2, v69
	scratch_store_b32 off, v67, off offset:728 ; 4-byte Folded Spill
	v_mul_i32_i24_e32 v67, v5, v224
	v_mad_i32_i24 v66, v3, v225, v66
	s_delay_alu instid0(VALU_DEP_1) | instskip(SKIP_2) | instid1(VALU_DEP_1)
	v_add3_u32 v66, v66, v67, v68
	v_mul_i32_i24_e32 v67, v4, v226
	v_mul_i32_i24_e32 v68, v7, v227
	v_add3_u32 v66, v66, v67, v68
	v_mul_i32_i24_e32 v68, v42, v171
	scratch_load_b32 v67, off, off offset:468 ; 4-byte Folded Reload
	v_add3_u32 v66, v66, v78, v79
	v_mul_i32_i24_e32 v78, v44, v172
	v_mul_i32_i24_e32 v79, v30, v175
	v_mad_i32_i24 v68, v43, v173, v68
	s_delay_alu instid0(VALU_DEP_4)
	v_add3_u32 v66, v66, v80, v81
	scratch_load_b32 v80, off, off offset:1008 ; 4-byte Folded Reload
	v_mul_i32_i24_e32 v81, v31, v222
	v_add3_u32 v68, v68, v78, v79
	scratch_load_b32 v78, off, off offset:472 ; 4-byte Folded Reload
	v_add3_u32 v66, v66, v82, v83
	s_clause 0x2
	scratch_load_b32 v82, off, off offset:684
	scratch_load_b32 v83, off, off offset:688
	;; [unrolled: 1-line block ×3, first 2 shown]
	v_mul_i32_i24_e32 v79, v46, v237
	v_add3_u32 v66, v66, v84, v85
	v_mul_i32_i24_e32 v84, v50, v218
	scratch_load_b32 v218, off, off offset:360 ; 4-byte Folded Reload
	v_add3_u32 v66, v66, v86, v88
	v_mul_i32_i24_e32 v86, v51, v240
	v_mul_i32_i24_e32 v88, v52, v219
	s_delay_alu instid0(VALU_DEP_3) | instskip(SKIP_2) | instid1(VALU_DEP_3)
	v_add3_u32 v66, v66, v93, v99
	v_mul_i32_i24_e32 v93, v53, v241
	v_mul_i32_i24_e32 v99, v33, v220
	v_add3_u32 v66, v66, v101, v102
	scratch_load_b32 v102, off, off offset:448 ; 4-byte Folded Reload
	v_mul_i32_i24_e32 v101, v54, v221
	v_add3_u32 v66, v66, v103, v104
	scratch_load_b32 v104, off, off offset:452 ; 4-byte Folded Reload
	v_add3_u32 v66, v66, v116, v117
	v_mul_i32_i24_e32 v117, v58, v238
	s_delay_alu instid0(VALU_DEP_2) | instskip(NEXT) | instid1(VALU_DEP_1)
	v_add3_u32 v66, v66, v118, v119
	v_add3_u32 v66, v66, v120, v121
	v_mul_i32_i24_e32 v121, v61, v245
	s_delay_alu instid0(VALU_DEP_2) | instskip(NEXT) | instid1(VALU_DEP_1)
	v_add3_u32 v66, v66, v122, v123
	v_add3_u32 v66, v66, v124, v125
	v_mul_i32_i24_e32 v125, v64, v254
	s_delay_alu instid0(VALU_DEP_2) | instskip(NEXT) | instid1(VALU_DEP_1)
	v_mul_lo_u32 v66, v66, v168
	v_cvt_f32_i32_e32 v66, v66
	s_delay_alu instid0(VALU_DEP_1)
	v_fma_mix_f32 v66, v0, v66, 0 op_sel_hi:[1,0,0]
	s_wait_loadcnt 0x9
	v_mul_i32_i24_e32 v116, v57, v105
	scratch_load_b32 v105, off, off offset:456 ; 4-byte Folded Reload
	s_wait_loadcnt 0x9
	v_fma_mix_f32 v67, v67, v0, 0 op_sel:[0,1,0] op_sel_hi:[0,1,0]
	s_wait_loadcnt 0x8
	v_mul_i32_i24_e32 v80, v47, v80
	s_wait_loadcnt 0x7
	v_mul_i32_i24_e32 v78, v45, v78
	;; [unrolled: 2-line block ×5, first 2 shown]
	v_add3_u32 v68, v68, v78, v79
	s_clause 0x1
	scratch_load_b32 v78, off, off offset:12
	scratch_load_b32 v79, off, off offset:1092
	s_wait_loadcnt 0x5
	v_mul_i32_i24_e32 v85, v32, v218
	v_add3_u32 v68, v68, v80, v81
	s_clause 0x1
	scratch_load_b32 v80, off, off offset:676
	scratch_load_b32 v81, off, off offset:680
	v_add3_u32 v68, v68, v82, v83
	s_clause 0x1
	scratch_load_b32 v82, off, off offset:116
	scratch_load_b32 v83, off, off offset:120
	;; [unrolled: 4-line block ×3, first 2 shown]
	s_wait_loadcnt 0xa
	v_mul_i32_i24_e32 v102, v55, v102
	v_add3_u32 v68, v68, v86, v88
	s_clause 0x1
	scratch_load_b32 v86, off, off offset:132
	scratch_load_b32 v88, off, off offset:136
	s_wait_loadcnt 0xb
	v_mul_i32_i24_e32 v104, v34, v104
	v_add3_u32 v68, v68, v93, v99
	v_mul_i32_i24_e32 v93, v18, v242
	s_delay_alu instid0(VALU_DEP_2)
	v_add3_u32 v68, v68, v101, v102
	v_mul_i32_i24_e32 v101, v20, v72
	scratch_load_b32 v72, off, off offset:492 ; 4-byte Folded Reload
	v_mul_i32_i24_e32 v102, v21, v139
	scratch_load_b32 v139, off, off offset:1028 th:TH_LOAD_LU ; 4-byte Folded Reload
	v_add3_u32 v68, v68, v103, v104
	v_mul_i32_i24_e32 v103, v22, v140
	v_mul_i32_i24_e32 v104, v23, v141
	s_clause 0x1
	scratch_load_b32 v140, off, off offset:1032 th:TH_LOAD_LU
	scratch_load_b32 v141, off, off offset:1036 th:TH_LOAD_LU
	v_add3_u32 v68, v68, v116, v117
	v_mul_i32_i24_e32 v116, v24, v142
	v_mul_i32_i24_e32 v117, v25, v143
	s_clause 0x1
	scratch_load_b32 v142, off, off offset:1220 th:TH_LOAD_LU
	scratch_load_b32 v143, off, off offset:1224 th:TH_LOAD_LU
	s_wait_loadcnt 0x10
	v_mul_i32_i24_e32 v118, v59, v105
	scratch_load_b32 v105, off, off offset:476 ; 4-byte Folded Reload
	s_wait_loadcnt 0xf
	v_mul_i32_i24_e32 v79, v9, v79
	s_wait_loadcnt 0xe
	v_mul_i32_i24_e32 v80, v10, v80
	;; [unrolled: 2-line block ×10, first 2 shown]
	scratch_load_b32 v105, off, off offset:1016 ; 4-byte Folded Reload
	v_add3_u32 v68, v68, v118, v119
	v_mul_i32_i24_e32 v118, v26, v144
	v_mul_i32_i24_e32 v119, v27, v87
	s_clause 0x1
	scratch_load_b32 v144, off, off offset:1040 th:TH_LOAD_LU
	scratch_load_b32 v87, off, off offset:212
	s_wait_loadcnt 0x2
	v_mul_i32_i24_e32 v120, v60, v105
	scratch_load_b32 v105, off, off offset:460 ; 4-byte Folded Reload
	v_add3_u32 v68, v68, v120, v121
	v_mul_i32_i24_e32 v120, v38, v132
	v_mul_i32_i24_e32 v121, v28, v243
	scratch_load_b32 v132, off, off offset:1068 th:TH_LOAD_LU ; 4-byte Folded Reload
	s_wait_loadcnt 0x1
	v_mul_i32_i24_e32 v122, v62, v105
	scratch_load_b32 v105, off, off offset:480 ; 4-byte Folded Reload
	s_wait_loadcnt 0x0
	v_mul_i32_i24_e32 v123, v36, v105
	scratch_load_b32 v105, off, off offset:1020 ; 4-byte Folded Reload
	v_add3_u32 v68, v68, v122, v123
	v_mul_i32_i24_e32 v123, v40, v72
	scratch_load_b32 v72, off, off offset:496 ; 4-byte Folded Reload
	v_mul_i32_i24_e32 v122, v39, v217
	s_wait_loadcnt 0x1
	v_mul_i32_i24_e32 v124, v63, v105
	scratch_load_b32 v105, off, off offset:464 ; 4-byte Folded Reload
	v_add3_u32 v68, v68, v124, v125
	v_mul_i32_i24_e32 v124, v41, v89
	v_mul_i32_i24_e32 v125, v29, v230
	;; [unrolled: 1-line block ×3, first 2 shown]
	s_clause 0x1
	scratch_load_b32 v74, off, off offset:44
	scratch_load_b32 v89, off, off offset:216
	s_wait_loadcnt 0x2
	v_mul_i32_i24_e32 v126, v65, v105
	scratch_load_b32 v105, off, off offset:484 ; 4-byte Folded Reload
	s_wait_loadcnt 0x0
	v_mul_i32_i24_e32 v129, v37, v105
	scratch_load_b32 v105, off, off offset:1124 th:TH_LOAD_LU ; 4-byte Folded Reload
	v_add3_u32 v68, v68, v126, v129
	v_mul_i32_i24_e32 v129, v37, v137
	scratch_load_b32 v137, off, off offset:268 ; 4-byte Folded Reload
	v_mul_i32_i24_e32 v126, v65, v135
	scratch_load_b32 v135, off, off offset:260 ; 4-byte Folded Reload
	v_mul_lo_u32 v68, v68, v78
	scratch_load_b32 v78, off, off offset:104 ; 4-byte Folded Reload
	v_cvt_f32_i32_e32 v68, v68
	s_delay_alu instid0(VALU_DEP_1)
	v_fma_mix_f32 v66, v1, v68, v66 op_sel_hi:[1,0,0]
	scratch_load_b32 v68, off, off offset:488 ; 4-byte Folded Reload
	s_wait_loadcnt 0x0
	v_fma_mix_f32 v67, v68, v1, v67 op_sel:[0,1,0] op_sel_hi:[0,1,0]
	scratch_load_b32 v68, off, off offset:804 ; 4-byte Folded Reload
	v_mul_f32_e32 v67, v67, v145
	v_mov_b32_e32 v145, v149
	scratch_load_b32 v149, off, off offset:1096 th:TH_LOAD_LU ; 4-byte Folded Reload
	s_wait_loadcnt 0x1
	v_fma_f32 v66, v66, v68, -v67
	scratch_load_b32 v67, off, off offset:724 ; 4-byte Folded Reload
	v_mul_i32_i24_e32 v68, v6, v247
	scratch_load_b32 v247, off, off offset:844 ; 4-byte Folded Reload
	v_mul_i32_i24_e32 v6, v6, v145
	s_wait_loadcnt 0x1
	v_add_f32_e32 v67, v67, v66
	scratch_load_b32 v66, off, off offset:668 ; 4-byte Folded Reload
	s_wait_loadcnt 0x1
	v_mul_i32_i24_e32 v99, v19, v247
	scratch_store_b32 off, v67, off offset:724 ; 4-byte Folded Spill
	scratch_load_b32 v67, off, off offset:672 ; 4-byte Folded Reload
	s_wait_loadcnt 0x1
	v_mul_i32_i24_e32 v66, v2, v66
	v_mul_i32_i24_e32 v2, v2, v142
	s_wait_loadcnt 0x0
	v_mul_i32_i24_e32 v67, v5, v67
	s_delay_alu instid0(VALU_DEP_3)
	v_mad_i32_i24 v66, v3, v78, v66
	scratch_load_b32 v78, off, off offset:112 ; 4-byte Folded Reload
	v_mul_i32_i24_e32 v5, v5, v143
	v_add3_u32 v66, v66, v67, v68
	s_clause 0x1
	scratch_load_b32 v67, off, off offset:16
	scratch_load_b32 v68, off, off offset:20
	s_wait_loadcnt 0x2
	v_mul_i32_i24_e32 v78, v8, v78
	s_wait_loadcnt 0x1
	v_mul_i32_i24_e32 v67, v4, v67
	;; [unrolled: 2-line block ×3, first 2 shown]
	s_delay_alu instid0(VALU_DEP_1)
	v_add3_u32 v66, v66, v67, v68
	v_mul_i32_i24_e32 v68, v42, v109
	v_fma_mix_f32 v67, v246, v0, 0 op_sel:[0,1,0] op_sel_hi:[0,1,0]
	scratch_load_b32 v109, off, off offset:632 th:TH_LOAD_LU ; 4-byte Folded Reload
	v_add3_u32 v66, v66, v78, v79
	v_mul_i32_i24_e32 v78, v44, v75
	v_mul_i32_i24_e32 v79, v30, v115
	v_mad_i32_i24 v68, v43, v107, v68
	v_fma_mix_f32 v67, v92, v1, v67 op_sel:[0,1,0] op_sel_hi:[0,1,0]
	v_add3_u32 v66, v66, v80, v81
	s_clause 0x1
	scratch_load_b32 v75, off, off offset:208
	scratch_load_b32 v92, off, off offset:228
	v_add3_u32 v68, v68, v78, v79
	v_mul_i32_i24_e32 v78, v45, v72
	scratch_load_b32 v72, off, off offset:504 ; 4-byte Folded Reload
	v_add3_u32 v66, v66, v82, v83
	v_mul_f32_e32 v67, v67, v131
	scratch_load_b32 v131, off, off offset:1064 th:TH_LOAD_LU ; 4-byte Folded Reload
	v_mov_b32_e32 v107, v106
	scratch_load_b32 v106, off, off offset:444 th:TH_LOAD_LU ; 4-byte Folded Reload
	v_add3_u32 v66, v66, v84, v85
	scratch_load_b32 v115, off, off offset:656 th:TH_LOAD_LU ; 4-byte Folded Reload
	v_add3_u32 v66, v66, v86, v88
	v_mul_i32_i24_e32 v88, v52, v70
	scratch_load_b32 v70, off, off offset:1060 th:TH_LOAD_LU ; 4-byte Folded Reload
	v_add3_u32 v66, v66, v93, v99
	v_mul_i32_i24_e32 v93, v53, v95
	v_mul_i32_i24_e32 v99, v33, v90
	s_clause 0x1
	scratch_load_b32 v90, off, off offset:220
	scratch_load_b32 v95, off, off offset:232
	v_add3_u32 v66, v66, v101, v102
	v_mul_i32_i24_e32 v101, v54, v94
	v_mul_i32_i24_e32 v102, v55, v98
	s_clause 0x1
	scratch_load_b32 v94, off, off offset:56
	scratch_load_b32 v98, off, off offset:836
	v_add3_u32 v66, v66, v103, v104
	v_mul_i32_i24_e32 v103, v56, v111
	v_mul_i32_i24_e32 v104, v34, v97
	v_mov_b32_e32 v97, v108
	scratch_load_b32 v108, off, off offset:440 th:TH_LOAD_LU ; 4-byte Folded Reload
	v_add3_u32 v66, v66, v116, v117
	v_mul_i32_i24_e32 v116, v57, v100
	v_mul_i32_i24_e32 v117, v58, v113
	s_clause 0x1
	scratch_load_b32 v100, off, off offset:1120 th:TH_LOAD_LU
	scratch_load_b32 v111, off, off offset:640 th:TH_LOAD_LU
	v_add3_u32 v66, v66, v118, v119
	v_mul_i32_i24_e32 v118, v59, v112
	v_mul_i32_i24_e32 v119, v35, v114
	s_clause 0x1
	scratch_load_b32 v112, off, off offset:644 th:TH_LOAD_LU
	scratch_load_b32 v113, off, off offset:648 th:TH_LOAD_LU
	v_add3_u32 v66, v66, v120, v121
	v_mul_i32_i24_e32 v120, v60, v77
	v_mul_i32_i24_e32 v121, v61, v76
	s_clause 0x1
	scratch_load_b32 v76, off, off offset:48
	scratch_load_b32 v77, off, off offset:52
	v_add3_u32 v66, v66, v122, v123
	v_mul_i32_i24_e32 v122, v62, v133
	v_mul_i32_i24_e32 v123, v36, v96
	v_mov_b32_e32 v133, v148
	scratch_load_b32 v148, off, off offset:272 ; 4-byte Folded Reload
	v_add3_u32 v66, v66, v124, v125
	v_mul_i32_i24_e32 v125, v64, v136
	scratch_load_b32 v136, off, off offset:264 ; 4-byte Folded Reload
	v_mul_i32_i24_e32 v124, v63, v134
	scratch_load_b32 v134, off, off offset:256 ; 4-byte Folded Reload
	v_mad_i32_i24 v2, v3, v133, v2
	v_mul_lo_u32 v66, v66, v110
	s_clause 0x2
	scratch_load_b32 v96, off, off offset:236
	scratch_load_b32 v110, off, off offset:636 th:TH_LOAD_LU
	scratch_load_b32 v114, off, off offset:652 th:TH_LOAD_LU
	v_add3_u32 v2, v2, v5, v6
	v_mul_i32_i24_e32 v6, v9, v137
	v_mul_i32_i24_e32 v9, v12, v140
	;; [unrolled: 1-line block ×7, first 2 shown]
	scratch_load_b32 v27, off, off offset:532 ; 4-byte Folded Reload
	v_cvt_f32_i32_e32 v66, v66
	s_delay_alu instid0(VALU_DEP_1)
	v_fma_mix_f32 v66, v0, v66, 0 op_sel_hi:[1,0,0]
	s_wait_loadcnt 0x16
	v_mul_i32_i24_e32 v79, v46, v72
	scratch_load_b32 v72, off, off offset:500 ; 4-byte Folded Reload
	v_add3_u32 v68, v68, v78, v79
	s_wait_loadcnt 0x6
	v_mul_i32_i24_e32 v5, v8, v136
	v_mul_i32_i24_e32 v8, v11, v139
	;; [unrolled: 1-line block ×8, first 2 shown]
	s_clause 0x1
	scratch_load_b32 v28, off, off offset:692
	scratch_load_b32 v130, off, off offset:252
	s_wait_loadcnt 0x7
	v_mul_i32_i24_e32 v3, v4, v134
	v_mul_i32_i24_e32 v4, v7, v135
	s_delay_alu instid0(VALU_DEP_1) | instskip(SKIP_3) | instid1(VALU_DEP_3)
	v_add3_u32 v2, v2, v3, v4
	s_wait_loadcnt 0x3
	v_mul_i32_i24_e32 v27, v39, v27
	v_mul_i32_i24_e32 v4, v44, v131
	v_add3_u32 v2, v2, v5, v6
	v_mul_i32_i24_e32 v5, v30, v132
	v_mul_i32_i24_e32 v6, v47, v74
	;; [unrolled: 1-line block ×3, first 2 shown]
	s_wait_loadcnt 0x2
	v_mul_i32_i24_e32 v80, v47, v72
	scratch_load_b32 v72, off, off offset:508 ; 4-byte Folded Reload
	s_wait_loadcnt 0x2
	v_mul_i32_i24_e32 v28, v40, v28
	s_wait_loadcnt 0x1
	v_mul_i32_i24_e32 v3, v42, v130
	s_delay_alu instid0(VALU_DEP_1) | instskip(NEXT) | instid1(VALU_DEP_1)
	v_mad_i32_i24 v3, v43, v128, v3
	v_add3_u32 v3, v3, v4, v5
	v_mul_i32_i24_e32 v5, v46, v75
	s_wait_loadcnt 0x0
	v_mul_i32_i24_e32 v81, v31, v72
	scratch_load_b32 v72, off, off offset:512 ; 4-byte Folded Reload
	v_add3_u32 v68, v68, v80, v81
	s_wait_loadcnt 0x0
	v_mul_i32_i24_e32 v82, v48, v72
	scratch_load_b32 v72, off, off offset:520 ; 4-byte Folded Reload
	s_wait_loadcnt 0x0
	v_mul_i32_i24_e32 v83, v49, v72
	scratch_load_b32 v72, off, off offset:516 ; 4-byte Folded Reload
	v_add3_u32 v68, v68, v82, v83
	s_wait_loadcnt 0x0
	v_mul_i32_i24_e32 v84, v50, v72
	scratch_load_b32 v72, off, off offset:524 ; 4-byte Folded Reload
	;; [unrolled: 7-line block ×3, first 2 shown]
	v_add3_u32 v68, v68, v86, v88
	s_delay_alu instid0(VALU_DEP_1) | instskip(NEXT) | instid1(VALU_DEP_1)
	v_add3_u32 v68, v68, v93, v99
	v_add3_u32 v68, v68, v101, v102
	s_delay_alu instid0(VALU_DEP_1) | instskip(NEXT) | instid1(VALU_DEP_1)
	v_add3_u32 v68, v68, v103, v104
	;; [unrolled: 3-line block ×5, first 2 shown]
	v_mul_lo_u32 v68, v68, v138
	scratch_load_b32 v138, off, off offset:1024 th:TH_LOAD_LU ; 4-byte Folded Reload
	v_cvt_f32_i32_e32 v68, v68
	s_delay_alu instid0(VALU_DEP_1) | instskip(NEXT) | instid1(VALU_DEP_1)
	v_fma_mix_f32 v66, v1, v68, v66 op_sel_hi:[1,0,0]
	v_fma_f32 v66, v66, v91, -v67
	s_clause 0x1
	scratch_load_b32 v67, off, off offset:720
	scratch_load_b32 v91, off, off offset:224
	s_wait_loadcnt 0x2
	v_mul_i32_i24_e32 v7, v10, v138
	v_mul_i32_i24_e32 v10, v13, v141
	v_mul_i32_i24_e32 v13, v16, v148
	v_mul_i32_i24_e32 v16, v19, v151
	v_mul_i32_i24_e32 v19, v22, v154
	v_mul_i32_i24_e32 v22, v25, v157
	v_mul_i32_i24_e32 v25, v38, v70
	v_mul_i32_i24_e32 v38, v41, v73
	scratch_load_b32 v73, off, off offset:204 ; 4-byte Folded Reload
	v_add3_u32 v2, v2, v7, v8
	v_mul_i32_i24_e32 v7, v31, v76
	v_mul_i32_i24_e32 v8, v48, v77
	;; [unrolled: 1-line block ×3, first 2 shown]
	s_delay_alu instid0(VALU_DEP_4)
	v_add3_u32 v2, v2, v9, v10
	v_mul_i32_i24_e32 v9, v49, v89
	v_mul_i32_i24_e32 v10, v50, v87
	s_wait_loadcnt 0x2
	v_add_f32_e32 v67, v67, v66
	v_add3_u32 v2, v2, v11, v12
	v_mul_i32_i24_e32 v11, v32, v90
	s_wait_loadcnt 0x1
	v_mul_i32_i24_e32 v12, v51, v91
	s_delay_alu instid0(VALU_DEP_3) | instskip(SKIP_2) | instid1(VALU_DEP_3)
	v_add3_u32 v2, v2, v13, v14
	v_mul_i32_i24_e32 v13, v52, v94
	v_mul_i32_i24_e32 v14, v53, v92
	v_add3_u32 v2, v2, v15, v16
	v_mul_i32_i24_e32 v15, v33, v95
	v_mul_i32_i24_e32 v16, v54, v96
	s_delay_alu instid0(VALU_DEP_3) | instskip(SKIP_2) | instid1(VALU_DEP_3)
	v_add3_u32 v2, v2, v17, v18
	v_mul_i32_i24_e32 v17, v55, v98
	v_mul_i32_i24_e32 v18, v56, v97
	v_add3_u32 v2, v2, v19, v20
	v_mul_i32_i24_e32 v19, v34, v100
	;; [unrolled: 7-line block ×4, first 2 shown]
	v_mul_i32_i24_e32 v28, v63, v113
	s_delay_alu instid0(VALU_DEP_3) | instskip(SKIP_1) | instid1(VALU_DEP_2)
	v_add3_u32 v2, v2, v38, v29
	v_mul_i32_i24_e32 v29, v64, v115
	v_mul_lo_u32 v2, v2, v160
	s_delay_alu instid0(VALU_DEP_1) | instskip(NEXT) | instid1(VALU_DEP_1)
	v_cvt_f32_i32_e32 v2, v2
	v_fma_mix_f32 v2, v0, v2, 0 op_sel_hi:[1,0,0]
	v_fma_mix_f32 v0, v71, v0, 0 op_sel:[0,1,0] op_sel_hi:[0,1,0]
	scratch_load_b32 v71, off, off offset:24 ; 4-byte Folded Reload
	s_wait_loadcnt 0x1
	v_mul_i32_i24_e32 v4, v45, v73
	s_delay_alu instid0(VALU_DEP_1) | instskip(NEXT) | instid1(VALU_DEP_1)
	v_add3_u32 v3, v3, v4, v5
	v_add3_u32 v3, v3, v6, v7
	s_delay_alu instid0(VALU_DEP_1) | instskip(NEXT) | instid1(VALU_DEP_1)
	v_add3_u32 v3, v3, v8, v9
	v_add3_u32 v3, v3, v10, v11
	;; [unrolled: 3-line block ×7, first 2 shown]
	s_delay_alu instid0(VALU_DEP_1) | instskip(SKIP_2) | instid1(VALU_DEP_2)
	v_mul_lo_u32 v3, v3, v72
	s_wait_loadcnt 0x0
	v_fma_mix_f32 v0, v71, v1, v0 op_sel:[0,1,0] op_sel_hi:[0,1,0]
	v_cvt_f32_i32_e32 v3, v3
	s_delay_alu instid0(VALU_DEP_1)
	v_fma_mix_f32 v2, v1, v3, v2 op_sel_hi:[1,0,0]
	scratch_load_b32 v1, off, off offset:4  ; 4-byte Folded Reload
	s_wait_loadcnt 0x0
	v_mul_f32_e32 v0, v0, v1
	scratch_load_b32 v1, off, off           ; 4-byte Folded Reload
	s_wait_loadcnt 0x0
	v_fma_f32 v0, v2, v1, -v0
	scratch_load_b32 v1, off, off offset:716 ; 4-byte Folded Reload
	s_wait_loadcnt 0x0
	v_add_f32_e32 v1, v1, v0
	scratch_load_b32 v0, off, off offset:1272 ; 4-byte Folded Reload
	s_clause 0x1
	scratch_store_b32 off, v67, off offset:720
	scratch_store_b32 off, v1, off offset:716
	s_wait_loadcnt 0x0
	v_or_b32_e32 v0, s13, v0
	s_delay_alu instid0(VALU_DEP_1)
	v_lshlrev_b32_e32 v1, 2, v0
	ds_load_b128 v[14:17], v1 offset:16896
	ds_load_b128 v[30:33], v1 offset:16912
	ds_load_b128 v[34:37], v1 offset:16928
	ds_load_b128 v[38:41], v1 offset:16944
	s_clause 0xb
	scratch_load_b32 v66, off, off offset:180
	scratch_load_b32 v67, off, off offset:176
	scratch_load_b32 v68, off, off offset:148
	scratch_load_b32 v81, off, off offset:160
	scratch_load_b32 v84, off, off offset:168
	scratch_load_b32 v93, off, off offset:172
	scratch_load_b32 v85, off, off offset:164
	scratch_load_b32 v82, off, off offset:156
	scratch_load_b32 v101, off, off offset:184
	scratch_load_b32 v123, off, off offset:192
	scratch_load_b32 v125, off, off offset:196
	scratch_load_b32 v124, off, off offset:188
	v_lshrrev_b32_e32 v0, 1, v0
	s_wait_dscnt 0x3
	v_bfe_i32 v2, v14, 0, 8
	v_bfe_i32 v3, v14, 8, 8
	v_bfe_i32 v4, v14, 16, 8
	v_ashrrev_i32_e32 v5, 24, v14
	s_wait_dscnt 0x2
	v_ashrrev_i32_e32 v25, 24, v31
	v_bfe_i32 v6, v15, 0, 8
	v_bfe_i32 v7, v15, 8, 8
	;; [unrolled: 1-line block ×3, first 2 shown]
	v_ashrrev_i32_e32 v9, 24, v15
	v_mul_i32_i24_e32 v117, v177, v25
	scratch_load_b32 v177, off, off offset:1216 th:TH_LOAD_LU ; 4-byte Folded Reload
	s_wait_dscnt 0x1
	v_bfe_i32 v42, v34, 0, 8
	v_bfe_i32 v43, v34, 8, 8
	;; [unrolled: 1-line block ×3, first 2 shown]
	v_ashrrev_i32_e32 v34, 24, v34
	v_mul_i32_i24_e32 v78, v250, v8
	v_mul_i32_i24_e32 v79, v249, v9
	v_bfe_i32 v24, v31, 16, 8
	v_bfe_i32 v46, v35, 8, 8
	scratch_load_b32 v250, off, off offset:1076 th:TH_LOAD_LU ; 4-byte Folded Reload
	v_bfe_i32 v10, v16, 0, 8
	v_bfe_i32 v18, v30, 0, 8
	v_bfe_i32 v19, v30, 8, 8
	v_bfe_i32 v20, v30, 16, 8
	v_ashrrev_i32_e32 v21, 24, v30
	v_bfe_i32 v30, v33, 0, 8
	v_mul_i32_i24_e32 v116, v178, v24
	scratch_load_b32 v178, off, off offset:1084 th:TH_LOAD_LU ; 4-byte Folded Reload
	v_bfe_i32 v11, v16, 8, 8
	v_bfe_i32 v12, v16, 16, 8
	v_ashrrev_i32_e32 v13, 24, v16
	v_bfe_i32 v14, v17, 0, 8
	v_bfe_i32 v15, v17, 8, 8
	;; [unrolled: 1-line block ×3, first 2 shown]
	v_ashrrev_i32_e32 v17, 24, v17
	v_mul_i32_i24_e32 v80, v251, v10
	scratch_load_b32 v251, off, off offset:996 th:TH_LOAD_LU ; 4-byte Folded Reload
	v_mul_i32_i24_e32 v122, v179, v30
	scratch_load_b32 v179, off, off offset:1240 th:TH_LOAD_LU ; 4-byte Folded Reload
	v_mul_i32_i24_e32 v88, v252, v17
	s_clause 0x1
	scratch_load_b32 v252, off, off offset:1000 th:TH_LOAD_LU
	scratch_load_b32 v249, off, off offset:1236 th:TH_LOAD_LU
	v_bfe_i32 v45, v35, 0, 8
	v_bfe_i32 v47, v35, 16, 8
	v_ashrrev_i32_e32 v35, 24, v35
	v_bfe_i32 v48, v36, 0, 8
	v_bfe_i32 v49, v36, 8, 8
	v_bfe_i32 v50, v36, 16, 8
	v_ashrrev_i32_e32 v36, 24, v36
	v_bfe_i32 v51, v37, 0, 8
	;; [unrolled: 4-line block ×3, first 2 shown]
	v_bfe_i32 v23, v31, 8, 8
	s_wait_dscnt 0x0
	v_bfe_i32 v54, v38, 0, 8
	v_bfe_i32 v55, v38, 8, 8
	;; [unrolled: 1-line block ×3, first 2 shown]
	v_ashrrev_i32_e32 v38, 24, v38
	v_mul_i32_i24_e32 v103, v181, v22
	v_mul_i32_i24_e32 v104, v180, v23
	v_bfe_i32 v26, v32, 0, 8
	v_bfe_i32 v27, v32, 8, 8
	;; [unrolled: 1-line block ×5, first 2 shown]
	v_ashrrev_i32_e32 v29, 24, v32
	v_bfe_i32 v59, v39, 16, 8
	v_ashrrev_i32_e32 v39, 24, v39
	v_mul_i32_i24_e32 v118, v182, v26
	v_mul_i32_i24_e32 v119, v188, v27
	v_bfe_i32 v31, v33, 8, 8
	v_bfe_i32 v60, v40, 0, 8
	;; [unrolled: 1-line block ×3, first 2 shown]
	v_mul_i32_i24_e32 v120, v184, v28
	v_mul_i32_i24_e32 v121, v183, v29
	v_bfe_i32 v32, v33, 16, 8
	v_ashrrev_i32_e32 v33, 24, v33
	v_bfe_i32 v62, v40, 16, 8
	v_ashrrev_i32_e32 v40, 24, v40
	v_bfe_i32 v63, v41, 0, 8
	v_bfe_i32 v64, v41, 8, 8
	ds_load_b64 v[0:1], v0 offset:27200
	v_bfe_i32 v65, v41, 16, 8
	v_ashrrev_i32_e32 v41, 24, v41
	s_clause 0x2
	scratch_load_b32 v180, off, off offset:664 th:TH_LOAD_LU
	scratch_load_b32 v183, off, off offset:660 th:TH_LOAD_LU
	;; [unrolled: 1-line block ×3, first 2 shown]
	v_mul_i32_i24_e32 v126, v207, v65
	v_mul_i32_i24_e32 v129, v206, v41
	s_clause 0x4
	scratch_load_b32 v188, off, off offset:472 th:TH_LOAD_LU
	scratch_load_b32 v184, off, off offset:684 th:TH_LOAD_LU
	scratch_load_b32 v182, off, off offset:812
	scratch_load_b32 v206, off, off offset:1132 th:TH_LOAD_LU
	scratch_load_b32 v207, off, off offset:1136 th:TH_LOAD_LU
	s_wait_loadcnt 0x1a
	v_mul_i32_i24_e32 v66, v66, v2
	s_wait_loadcnt 0x19
	v_mul_i32_i24_e32 v67, v67, v4
	;; [unrolled: 2-line block ×5, first 2 shown]
	v_mad_i32_i24 v66, v248, v3, v66
	scratch_load_b32 v248, off, off offset:1080 th:TH_LOAD_LU ; 4-byte Folded Reload
	s_wait_loadcnt 0x14
	v_mul_i32_i24_e32 v82, v82, v12
	v_mul_i32_i24_e32 v85, v85, v15
	;; [unrolled: 1-line block ×3, first 2 shown]
	v_add3_u32 v66, v66, v67, v68
	scratch_load_b32 v67, off, off offset:152 ; 4-byte Folded Reload
	s_wait_loadcnt 0x14
	v_mul_i32_i24_e32 v101, v101, v20
	s_wait_loadcnt 0x13
	v_mul_i32_i24_e32 v123, v123, v31
	s_wait_loadcnt 0x11
	v_mul_i32_i24_e32 v124, v124, v32
	v_mul_i32_i24_e32 v125, v125, v33
	s_wait_loadcnt 0xf
	v_mul_i32_i24_e32 v83, v250, v13
	s_wait_loadcnt 0xd
	;; [unrolled: 2-line block ×6, first 2 shown]
	v_mul_i32_i24_e32 v67, v67, v6
	s_delay_alu instid0(VALU_DEP_1)
	v_add3_u32 v66, v66, v67, v68
	v_mul_i32_i24_e32 v68, v215, v42
	s_clause 0x1
	scratch_load_b32 v67, off, off offset:200
	scratch_load_b32 v215, off, off offset:1168 th:TH_LOAD_LU
	v_add3_u32 v66, v66, v78, v79
	v_mul_i32_i24_e32 v78, v214, v44
	v_mul_i32_i24_e32 v79, v213, v34
	v_mad_i32_i24 v68, v177, v43, v68
	scratch_load_b32 v213, off, off offset:1160 th:TH_LOAD_LU ; 4-byte Folded Reload
	v_add3_u32 v66, v66, v80, v81
	v_mul_i32_i24_e32 v80, v187, v47
	v_mul_i32_i24_e32 v81, v186, v35
	v_add3_u32 v68, v68, v78, v79
	v_mul_i32_i24_e32 v79, v164, v46
	scratch_load_b32 v164, off, off offset:1088 th:TH_LOAD_LU ; 4-byte Folded Reload
	v_mul_i32_i24_e32 v78, v253, v45
	v_add3_u32 v66, v66, v82, v83
	v_mul_i32_i24_e32 v83, v178, v49
	s_clause 0x1
	scratch_load_b32 v187, off, off offset:688 th:TH_LOAD_LU
	scratch_load_b32 v253, off, off offset:92 th:TH_LOAD_LU
	v_add3_u32 v68, v68, v78, v79
	v_add3_u32 v66, v66, v84, v85
	v_mul_i32_i24_e32 v84, v179, v50
	v_mul_i32_i24_e32 v85, v189, v36
	;; [unrolled: 1-line block ×3, first 2 shown]
	v_add3_u32 v68, v68, v80, v81
	v_add3_u32 v66, v66, v86, v88
	v_mul_i32_i24_e32 v86, v193, v51
	v_mul_i32_i24_e32 v88, v192, v52
	;; [unrolled: 1-line block ×4, first 2 shown]
	v_add3_u32 v66, v66, v93, v99
	v_mul_i32_i24_e32 v93, v191, v53
	v_mul_i32_i24_e32 v99, v190, v37
	;; [unrolled: 1-line block ×3, first 2 shown]
	scratch_load_b32 v191, off, off offset:1100 th:TH_LOAD_LU ; 4-byte Folded Reload
	v_add3_u32 v66, v66, v101, v102
	v_mul_i32_i24_e32 v101, v197, v54
	v_mul_i32_i24_e32 v102, v196, v55
	s_clause 0x1
	scratch_load_b32 v190, off, off offset:1104 th:TH_LOAD_LU
	scratch_load_b32 v189, off, off offset:804
	v_add3_u32 v66, v66, v103, v104
	v_mul_i32_i24_e32 v103, v195, v56
	v_mul_i32_i24_e32 v104, v194, v38
	s_clause 0x1
	scratch_load_b32 v193, off, off offset:668 th:TH_LOAD_LU
	scratch_load_b32 v228, off, off offset:112 th:TH_LOAD_LU
	v_add3_u32 v66, v66, v116, v117
	v_mul_i32_i24_e32 v116, v201, v57
	v_mul_i32_i24_e32 v117, v200, v58
	s_clause 0x1
	scratch_load_b32 v229, off, off offset:1092 th:TH_LOAD_LU
	scratch_load_b32 v192, off, off offset:548 th:TH_LOAD_LU
	;; [unrolled: 6-line block ×6, first 2 shown]
	scratch_load_b32 v200, off, off offset:568 th:TH_LOAD_LU
	scratch_load_b32 v202, off, off offset:576 th:TH_LOAD_LU
	;; [unrolled: 1-line block ×9, first 2 shown]
	s_wait_loadcnt 0x1d
	v_mul_lo_u32 v66, v66, v67
	s_wait_dscnt 0x0
	v_fma_mix_f32 v67, v216, v0, 0 op_sel:[0,1,0] op_sel_hi:[0,1,0]
	scratch_load_b32 v216, off, off offset:1172 th:TH_LOAD_LU ; 4-byte Folded Reload
	v_fma_mix_f32 v67, v211, v1, v67 op_sel:[0,1,0] op_sel_hi:[0,1,0]
	scratch_load_b32 v211, off, off offset:1152 th:TH_LOAD_LU ; 4-byte Folded Reload
	v_cvt_f32_i32_e32 v66, v66
	v_mul_f32_e32 v67, v67, v212
	scratch_load_b32 v212, off, off offset:1156 th:TH_LOAD_LU ; 4-byte Folded Reload
	s_wait_loadcnt 0x1d
	v_mul_i32_i24_e32 v82, v164, v48
	v_fma_mix_f32 v66, v0, v66, 0 op_sel_hi:[1,0,0]
	s_delay_alu instid0(VALU_DEP_2)
	v_add3_u32 v68, v68, v82, v83
	v_mul_i32_i24_e32 v82, v12, v233
	v_mul_i32_i24_e32 v83, v13, v234
	s_clause 0x1
	scratch_load_b32 v233, off, off offset:116 th:TH_LOAD_LU
	scratch_load_b32 v234, off, off offset:120 th:TH_LOAD_LU
	v_add3_u32 v68, v68, v84, v85
	v_mul_i32_i24_e32 v84, v14, v235
	v_mul_i32_i24_e32 v85, v15, v236
	s_clause 0x1
	scratch_load_b32 v235, off, off offset:124 th:TH_LOAD_LU
	scratch_load_b32 v236, off, off offset:128 th:TH_LOAD_LU
	;; [unrolled: 6-line block ×3, first 2 shown]
	v_add3_u32 v68, v68, v93, v99
	v_mul_i32_i24_e32 v93, v18, v180
	v_mul_i32_i24_e32 v99, v19, v183
	s_delay_alu instid0(VALU_DEP_3)
	v_add3_u32 v68, v68, v101, v102
	v_mul_i32_i24_e32 v102, v21, v147
	scratch_load_b32 v147, off, off offset:1004 th:TH_LOAD_LU ; 4-byte Folded Reload
	v_mul_i32_i24_e32 v101, v20, v223
	scratch_load_b32 v223, off, off offset:492 th:TH_LOAD_LU ; 4-byte Folded Reload
	v_add3_u32 v68, v68, v103, v104
	v_mul_i32_i24_e32 v103, v22, v161
	scratch_load_b32 v161, off, off offset:1008 th:TH_LOAD_LU ; 4-byte Folded Reload
	v_mul_i32_i24_e32 v104, v23, v162
	scratch_load_b32 v162, off, off offset:448 th:TH_LOAD_LU ; 4-byte Folded Reload
	v_add3_u32 v68, v68, v116, v117
	v_mul_i32_i24_e32 v116, v24, v255
	v_mul_i32_i24_e32 v117, v25, v163
	s_clause 0x1
	scratch_load_b32 v163, off, off offset:452 th:TH_LOAD_LU
	scratch_load_b32 v255, off, off offset:536 th:TH_LOAD_LU
	v_add3_u32 v68, v68, v118, v119
	v_mul_i32_i24_e32 v118, v26, v166
	v_mul_i32_i24_e32 v119, v27, v167
	s_clause 0x1
	scratch_load_b32 v167, off, off offset:456 th:TH_LOAD_LU
	scratch_load_b32 v166, off, off offset:464 th:TH_LOAD_LU
	;; [unrolled: 6-line block ×4, first 2 shown]
	v_add3_u32 v68, v68, v124, v125
	v_mul_i32_i24_e32 v125, v33, v181
	s_delay_alu instid0(VALU_DEP_2) | instskip(NEXT) | instid1(VALU_DEP_1)
	v_add3_u32 v68, v68, v126, v129
	v_mul_lo_u32 v68, v68, v210
	scratch_load_b32 v210, off, off offset:1148 th:TH_LOAD_LU ; 4-byte Folded Reload
	v_cvt_f32_i32_e32 v68, v68
	s_delay_alu instid0(VALU_DEP_1) | instskip(SKIP_1) | instid1(VALU_DEP_2)
	v_fma_mix_f32 v66, v1, v68, v66 op_sel_hi:[1,0,0]
	v_mul_i32_i24_e32 v68, v5, v185
	v_fma_f32 v66, v66, v165, -v67
	s_clause 0x1
	scratch_load_b32 v67, off, off offset:712
	scratch_load_b32 v165, off, off offset:460 th:TH_LOAD_LU
	s_wait_loadcnt 0xe
	v_mul_i32_i24_e32 v124, v32, v147
	s_wait_loadcnt 0x7
	v_mul_i32_i24_e32 v126, v65, v166
	;; [unrolled: 2-line block ×3, first 2 shown]
	s_wait_loadcnt 0x1
	v_add_f32_e32 v67, v67, v66
	v_mul_i32_i24_e32 v66, v2, v69
	v_mov_b32_e32 v69, v224
	scratch_store_b32 off, v67, off offset:712 ; 4-byte Folded Spill
	v_mul_i32_i24_e32 v67, v4, v224
	v_mad_i32_i24 v66, v3, v225, v66
	s_clause 0x1
	scratch_load_b32 v225, off, off offset:564 th:TH_LOAD_LU
	scratch_load_b32 v224, off, off offset:104 th:TH_LOAD_LU
	v_add3_u32 v66, v66, v67, v68
	v_mul_i32_i24_e32 v67, v6, v226
	v_mul_i32_i24_e32 v68, v7, v227
	s_clause 0x1
	scratch_load_b32 v226, off, off offset:16 th:TH_LOAD_LU
	scratch_load_b32 v227, off, off offset:20 th:TH_LOAD_LU
	v_add3_u32 v66, v66, v67, v68
	v_mul_i32_i24_e32 v68, v42, v171
	scratch_load_b32 v171, off, off offset:480 th:TH_LOAD_LU ; 4-byte Folded Reload
	v_fma_mix_f32 v67, v170, v0, 0 op_sel:[0,1,0] op_sel_hi:[0,1,0]
	v_add3_u32 v66, v66, v78, v79
	v_mad_i32_i24 v68, v43, v173, v68
	scratch_load_b32 v173, off, off offset:1012 th:TH_LOAD_LU ; 4-byte Folded Reload
	v_mul_i32_i24_e32 v78, v44, v172
	scratch_load_b32 v172, off, off offset:1020 th:TH_LOAD_LU ; 4-byte Folded Reload
	v_add3_u32 v66, v66, v80, v81
	v_mul_i32_i24_e32 v79, v34, v175
	scratch_load_b32 v175, off, off offset:12 th:TH_LOAD_LU ; 4-byte Folded Reload
	v_mul_i32_i24_e32 v80, v47, v161
	v_mul_i32_i24_e32 v81, v35, v191
	v_add3_u32 v66, v66, v82, v83
	v_add3_u32 v68, v68, v78, v79
	v_mul_i32_i24_e32 v78, v45, v188
	v_mul_i32_i24_e32 v79, v46, v237
	;; [unrolled: 1-line block ×3, first 2 shown]
	v_add3_u32 v66, v66, v84, v85
	v_mul_i32_i24_e32 v83, v49, v187
	v_mul_i32_i24_e32 v84, v50, v190
	v_add3_u32 v68, v68, v78, v79
	v_mul_i32_i24_e32 v85, v36, v218
	v_add3_u32 v66, v66, v86, v88
	v_mul_i32_i24_e32 v86, v51, v240
	v_mul_i32_i24_e32 v88, v52, v219
	v_add3_u32 v68, v68, v80, v81
	v_fma_mix_f32 v67, v176, v1, v67 op_sel:[0,1,0] op_sel_hi:[0,1,0]
	v_add3_u32 v66, v66, v93, v99
	v_mul_i32_i24_e32 v93, v53, v241
	v_mul_i32_i24_e32 v99, v37, v220
	v_add3_u32 v68, v68, v82, v83
	v_mul_f32_e32 v67, v67, v182
	v_add3_u32 v66, v66, v101, v102
	v_mul_i32_i24_e32 v101, v54, v221
	v_mul_i32_i24_e32 v102, v55, v162
	v_add3_u32 v68, v68, v84, v85
	scratch_load_b32 v221, off, off offset:512 th:TH_LOAD_LU ; 4-byte Folded Reload
	v_add3_u32 v66, v66, v103, v104
	v_mul_i32_i24_e32 v103, v56, v222
	v_mul_i32_i24_e32 v104, v38, v163
	v_add3_u32 v68, v68, v86, v88
	scratch_load_b32 v222, off, off offset:672 th:TH_LOAD_LU ; 4-byte Folded Reload
	v_add3_u32 v66, v66, v116, v117
	v_mul_i32_i24_e32 v117, v58, v238
	scratch_load_b32 v237, off, off offset:132 th:TH_LOAD_LU ; 4-byte Folded Reload
	v_add3_u32 v68, v68, v93, v99
	v_mul_i32_i24_e32 v99, v19, v247
	v_add3_u32 v66, v66, v118, v119
	v_mul_i32_i24_e32 v118, v59, v167
	scratch_load_b32 v247, off, off offset:504 th:TH_LOAD_LU ; 4-byte Folded Reload
	v_add3_u32 v68, v68, v101, v102
	scratch_load_b32 v238, off, off offset:136 th:TH_LOAD_LU ; 4-byte Folded Reload
	v_add3_u32 v66, v66, v120, v121
	v_mul_i32_i24_e32 v120, v60, v169
	v_mul_i32_i24_e32 v121, v61, v245
	v_add3_u32 v68, v68, v103, v104
	scratch_load_b32 v240, off, off offset:524 th:TH_LOAD_LU ; 4-byte Folded Reload
	v_add3_u32 v66, v66, v122, v123
	s_wait_loadcnt 0xe
	v_mul_i32_i24_e32 v122, v62, v165
	v_mul_i32_i24_e32 v93, v18, v242
	s_clause 0x1
	scratch_load_b32 v242, off, off offset:528 th:TH_LOAD_LU
	scratch_load_b32 v245, off, off offset:696 th:TH_LOAD_LU
	v_add3_u32 v66, v66, v124, v125
	v_mul_i32_i24_e32 v125, v64, v254
	s_clause 0x2
	scratch_load_b32 v254, off, off offset:96 th:TH_LOAD_LU
	scratch_load_b32 v241, off, off offset:560 th:TH_LOAD_LU
	;; [unrolled: 1-line block ×3, first 2 shown]
	v_mul_lo_u32 v66, v66, v168
	scratch_load_b32 v168, off, off offset:476 th:TH_LOAD_LU ; 4-byte Folded Reload
	v_mul_i32_i24_e32 v78, v8, v228
	v_mul_i32_i24_e32 v79, v9, v229
	;; [unrolled: 1-line block ×6, first 2 shown]
	v_cvt_f32_i32_e32 v66, v66
	v_mul_i32_i24_e32 v84, v14, v235
	v_mul_i32_i24_e32 v85, v15, v236
	;; [unrolled: 1-line block ×4, first 2 shown]
	v_fma_mix_f32 v66, v0, v66, 0 op_sel_hi:[1,0,0]
	s_clause 0x1
	scratch_load_b32 v219, off, off offset:604 th:TH_LOAD_LU
	scratch_load_b32 v220, off, off offset:144
	s_wait_loadcnt 0x11
	v_mul_i32_i24_e32 v123, v40, v171
	s_wait_loadcnt 0x10
	v_mul_i32_i24_e32 v116, v57, v173
	;; [unrolled: 2-line block ×3, first 2 shown]
	s_delay_alu instid0(VALU_DEP_2)
	v_add3_u32 v68, v68, v116, v117
	scratch_load_b32 v116, off, off offset:32 ; 4-byte Folded Reload
	v_mul_i32_i24_e32 v117, v25, v255
	s_wait_loadcnt 0xc
	v_mul_i32_i24_e32 v86, v16, v237
	s_wait_loadcnt 0xa
	;; [unrolled: 2-line block ×5, first 2 shown]
	v_mul_i32_i24_e32 v119, v39, v168
	s_delay_alu instid0(VALU_DEP_1)
	v_add3_u32 v68, v68, v118, v119
	s_clause 0x1
	scratch_load_b32 v118, off, off offset:36
	scratch_load_b32 v119, off, off offset:40
	v_add3_u32 v68, v68, v120, v121
	v_mul_i32_i24_e32 v120, v28, v195
	v_mul_i32_i24_e32 v121, v29, v243
	scratch_load_b32 v243, off, off offset:540 th:TH_LOAD_LU ; 4-byte Folded Reload
	v_add3_u32 v68, v68, v122, v123
	v_mul_i32_i24_e32 v122, v30, v217
	scratch_load_b32 v217, off, off offset:592 th:TH_LOAD_LU ; 4-byte Folded Reload
	v_mul_i32_i24_e32 v123, v31, v223
	v_add3_u32 v68, v68, v124, v125
	v_mul_i32_i24_e32 v125, v33, v230
	scratch_load_b32 v230, off, off offset:516 th:TH_LOAD_LU ; 4-byte Folded Reload
	v_mul_i32_i24_e32 v124, v32, v241
	v_add3_u32 v68, v68, v126, v129
	v_mul_i32_i24_e32 v126, v65, v216
	v_mul_i32_i24_e32 v129, v41, v218
	s_delay_alu instid0(VALU_DEP_3) | instskip(NEXT) | instid1(VALU_DEP_1)
	v_mul_lo_u32 v68, v68, v175
	v_cvt_f32_i32_e32 v68, v68
	s_delay_alu instid0(VALU_DEP_1) | instskip(SKIP_2) | instid1(VALU_DEP_3)
	v_fma_mix_f32 v66, v1, v68, v66 op_sel_hi:[1,0,0]
	v_mul_i32_i24_e32 v68, v5, v225
	v_mul_i32_i24_e32 v5, v5, v145
	v_fma_f32 v66, v66, v189, -v67
	scratch_load_b32 v67, off, off offset:708 ; 4-byte Folded Reload
	s_wait_loadcnt 0x6
	v_mul_i32_i24_e32 v116, v24, v116
	s_wait_loadcnt 0x5
	v_mul_i32_i24_e32 v118, v26, v118
	;; [unrolled: 2-line block ×3, first 2 shown]
	s_wait_loadcnt 0x0
	v_add_f32_e32 v67, v67, v66
	v_mul_i32_i24_e32 v66, v2, v193
	v_mul_i32_i24_e32 v2, v2, v142
	scratch_store_b32 off, v67, off offset:708 ; 4-byte Folded Spill
	v_mul_i32_i24_e32 v67, v4, v222
	v_mad_i32_i24 v66, v3, v224, v66
	v_mul_i32_i24_e32 v4, v4, v143
	v_mad_i32_i24 v2, v3, v133, v2
	scratch_load_b32 v133, off, off offset:624 th:TH_LOAD_LU ; 4-byte Folded Reload
	v_mul_i32_i24_e32 v3, v6, v134
	v_add3_u32 v66, v66, v67, v68
	v_mul_i32_i24_e32 v67, v6, v226
	v_mul_i32_i24_e32 v68, v7, v227
	v_add3_u32 v2, v2, v4, v5
	v_mul_i32_i24_e32 v4, v7, v135
	v_mul_i32_i24_e32 v6, v9, v137
	;; [unrolled: 1-line block ×3, first 2 shown]
	v_add3_u32 v66, v66, v67, v68
	v_fma_mix_f32 v67, v246, v0, 0 op_sel:[0,1,0] op_sel_hi:[0,1,0]
	scratch_load_b32 v246, off, off offset:500 th:TH_LOAD_LU ; 4-byte Folded Reload
	v_mul_i32_i24_e32 v68, v42, v192
	v_mul_i32_i24_e32 v12, v15, v146
	v_add3_u32 v66, v66, v78, v79
	v_mul_i32_i24_e32 v78, v44, v197
	v_mul_i32_i24_e32 v79, v34, v199
	v_mad_i32_i24 v68, v43, v198, v68
	v_mul_i32_i24_e32 v15, v18, v150
	v_add3_u32 v66, v66, v80, v81
	v_mul_i32_i24_e32 v81, v35, v196
	v_mul_i32_i24_e32 v18, v21, v153
	v_add3_u32 v68, v68, v78, v79
	v_mul_i32_i24_e32 v78, v45, v244
	;; [unrolled: 3-line block ×3, first 2 shown]
	v_mul_i32_i24_e32 v83, v49, v239
	v_mul_i32_i24_e32 v21, v24, v156
	v_add3_u32 v68, v68, v78, v79
	v_add3_u32 v66, v66, v84, v85
	v_mul_i32_i24_e32 v84, v50, v230
	v_mul_i32_i24_e32 v85, v36, v240
	;; [unrolled: 1-line block ×3, first 2 shown]
	scratch_load_b32 v159, off, off offset:532 th:TH_LOAD_LU ; 4-byte Folded Reload
	v_add3_u32 v66, v66, v86, v88
	v_mul_i32_i24_e32 v86, v51, v242
	v_mul_i32_i24_e32 v88, v52, v201
	s_clause 0x1
	scratch_load_b32 v135, off, off offset:692 th:TH_LOAD_LU
	scratch_load_b32 v137, off, off offset:616 th:TH_LOAD_LU
	v_add3_u32 v66, v66, v93, v99
	v_mul_i32_i24_e32 v93, v53, v200
	v_mul_i32_i24_e32 v99, v37, v202
	scratch_load_b32 v134, off, off offset:628 th:TH_LOAD_LU ; 4-byte Folded Reload
	v_mul_i32_i24_e32 v5, v8, v136
	v_add3_u32 v66, v66, v101, v102
	v_mul_i32_i24_e32 v101, v54, v203
	v_mul_i32_i24_e32 v102, v55, v205
	scratch_load_b32 v136, off, off offset:620 th:TH_LOAD_LU ; 4-byte Folded Reload
	v_add3_u32 v2, v2, v3, v4
	v_add3_u32 v66, v66, v103, v104
	v_mul_i32_i24_e32 v103, v56, v204
	v_mul_i32_i24_e32 v104, v38, v206
	;; [unrolled: 1-line block ×3, first 2 shown]
	v_add3_u32 v2, v2, v5, v6
	v_add3_u32 v66, v66, v116, v117
	v_mul_i32_i24_e32 v116, v57, v207
	v_mul_i32_i24_e32 v117, v58, v209
	;; [unrolled: 1-line block ×4, first 2 shown]
	v_add3_u32 v66, v66, v118, v119
	v_mul_i32_i24_e32 v118, v59, v208
	v_mul_i32_i24_e32 v119, v39, v210
	v_mad_i32_i24 v3, v43, v128, v3
	v_mul_i32_i24_e32 v7, v10, v138
	v_add3_u32 v66, v66, v120, v121
	v_mul_i32_i24_e32 v120, v60, v211
	v_mul_i32_i24_e32 v121, v61, v213
	;; [unrolled: 1-line block ×3, first 2 shown]
	v_add3_u32 v3, v3, v4, v5
	v_add3_u32 v66, v66, v122, v123
	v_mul_i32_i24_e32 v122, v62, v212
	v_mul_i32_i24_e32 v123, v40, v214
	;; [unrolled: 1-line block ×4, first 2 shown]
	v_add3_u32 v66, v66, v124, v125
	v_mul_i32_i24_e32 v124, v63, v215
	v_mul_i32_i24_e32 v125, v64, v217
	;; [unrolled: 1-line block ×3, first 2 shown]
	v_add3_u32 v2, v2, v7, v8
	v_mul_i32_i24_e32 v6, v47, v74
	v_mul_i32_i24_e32 v7, v35, v76
	v_add3_u32 v3, v3, v4, v5
	v_mul_i32_i24_e32 v11, v14, v144
	v_add3_u32 v2, v2, v9, v10
	v_mul_i32_i24_e32 v8, v48, v77
	v_mul_i32_i24_e32 v9, v49, v89
	v_add3_u32 v3, v3, v6, v7
	v_mul_i32_i24_e32 v13, v16, v148
	;; [unrolled: 3-line block ×4, first 2 shown]
	v_add3_u32 v2, v2, v13, v14
	v_mul_i32_i24_e32 v12, v51, v91
	v_mul_i32_i24_e32 v13, v52, v94
	v_add3_u32 v3, v3, v10, v11
	v_mul_i32_i24_e32 v17, v20, v152
	v_add3_u32 v2, v2, v15, v16
	v_mul_i32_i24_e32 v14, v53, v92
	v_mul_i32_i24_e32 v15, v37, v95
	v_add3_u32 v3, v3, v12, v13
	v_mul_i32_i24_e32 v19, v22, v154
	;; [unrolled: 3-line block ×4, first 2 shown]
	v_add3_u32 v2, v2, v19, v20
	v_mul_i32_i24_e32 v18, v56, v97
	v_mul_i32_i24_e32 v19, v38, v100
	v_add3_u32 v3, v3, v16, v17
	v_mul_i32_i24_e32 v23, v26, v158
	v_add3_u32 v2, v2, v21, v22
	v_mul_i32_i24_e32 v20, v57, v105
	v_mul_i32_i24_e32 v21, v58, v107
	v_add3_u32 v3, v3, v18, v19
	v_mul_i32_i24_e32 v25, v28, v70
	v_add3_u32 v2, v2, v23, v24
	v_mul_i32_i24_e32 v22, v59, v106
	v_mul_i32_i24_e32 v23, v39, v108
	v_add3_u32 v3, v3, v20, v21
	v_mul_i32_i24_e32 v24, v60, v109
	v_mul_lo_u32 v66, v66, v243
	v_fma_mix_f32 v67, v219, v1, v67 op_sel:[0,1,0] op_sel_hi:[0,1,0]
	v_mov_b32_e32 v148, v149
	v_add3_u32 v3, v3, v22, v23
	v_dual_mov_b32 v149, v150 :: v_dual_mov_b32 v150, v151
	s_delay_alu instid0(VALU_DEP_4) | instskip(SKIP_4) | instid1(VALU_DEP_3)
	v_mul_f32_e32 v67, v67, v220
	v_mov_b32_e32 v151, v152
	v_cvt_f32_i32_e32 v66, v66
	v_dual_mov_b32 v152, v153 :: v_dual_mov_b32 v153, v154
	v_dual_mov_b32 v154, v155 :: v_dual_mov_b32 v155, v156
	v_fma_mix_f32 v66, v0, v66, 0 op_sel_hi:[1,0,0]
	v_dual_mov_b32 v156, v157 :: v_dual_mov_b32 v157, v158
	v_mov_b32_e32 v158, v70
	s_wait_loadcnt 0x6
	v_mul_i32_i24_e32 v26, v29, v133
	s_delay_alu instid0(VALU_DEP_1) | instskip(SKIP_4) | instid1(VALU_DEP_3)
	v_add3_u32 v2, v2, v25, v26
	v_mul_i32_i24_e32 v25, v61, v111
	v_mul_i32_i24_e32 v26, v62, v110
	s_wait_loadcnt 0x5
	v_mul_i32_i24_e32 v80, v47, v246
	v_add3_u32 v3, v3, v24, v25
	s_delay_alu instid0(VALU_DEP_2) | instskip(NEXT) | instid1(VALU_DEP_1)
	v_add3_u32 v68, v68, v80, v81
	v_add3_u32 v68, v68, v82, v83
	s_delay_alu instid0(VALU_DEP_1) | instskip(NEXT) | instid1(VALU_DEP_1)
	v_add3_u32 v68, v68, v84, v85
	v_add3_u32 v68, v68, v86, v88
	s_wait_loadcnt 0x4
	v_mul_i32_i24_e32 v27, v30, v159
	s_delay_alu instid0(VALU_DEP_2)
	v_add3_u32 v68, v68, v93, v99
	s_wait_loadcnt 0x3
	v_mul_i32_i24_e32 v28, v31, v135
	s_wait_loadcnt 0x2
	v_mul_i32_i24_e32 v29, v32, v137
	v_mul_i32_i24_e32 v31, v41, v127
	v_add3_u32 v68, v68, v101, v102
	s_wait_loadcnt 0x1
	v_mul_i32_i24_e32 v30, v33, v134
	v_add3_u32 v2, v2, v27, v28
	v_mul_i32_i24_e32 v27, v40, v112
	v_add3_u32 v68, v68, v103, v104
	v_mul_i32_i24_e32 v28, v63, v113
	s_delay_alu instid0(VALU_DEP_4) | instskip(SKIP_1) | instid1(VALU_DEP_4)
	v_add3_u32 v2, v2, v29, v30
	v_mul_i32_i24_e32 v29, v64, v115
	v_add3_u32 v68, v68, v116, v117
	v_add3_u32 v3, v3, v26, v27
	v_mul_i32_i24_e32 v30, v65, v114
	v_mul_lo_u32 v2, v2, v160
	s_delay_alu instid0(VALU_DEP_4) | instskip(NEXT) | instid1(VALU_DEP_4)
	v_add3_u32 v68, v68, v118, v119
	v_add3_u32 v3, v3, v28, v29
	s_delay_alu instid0(VALU_DEP_2) | instskip(NEXT) | instid1(VALU_DEP_2)
	v_add3_u32 v68, v68, v120, v121
	v_add3_u32 v3, v3, v30, v31
	v_cvt_f32_i32_e32 v2, v2
	s_delay_alu instid0(VALU_DEP_3) | instskip(NEXT) | instid1(VALU_DEP_3)
	v_add3_u32 v68, v68, v122, v123
	v_mul_lo_u32 v3, v3, v72
	s_delay_alu instid0(VALU_DEP_3) | instskip(SKIP_3) | instid1(VALU_DEP_2)
	v_fma_mix_f32 v2, v0, v2, 0 op_sel_hi:[1,0,0]
	s_wait_loadcnt 0x0
	v_fma_mix_f32 v0, v136, v0, 0 op_sel:[0,1,0] op_sel_hi:[0,1,0]
	v_add3_u32 v68, v68, v124, v125
	v_fma_mix_f32 v0, v71, v1, v0 op_sel:[0,1,0] op_sel_hi:[0,1,0]
	v_cvt_f32_i32_e32 v3, v3
	s_delay_alu instid0(VALU_DEP_3)
	v_add3_u32 v68, v68, v126, v129
	s_clause 0x1
	scratch_load_b32 v129, off, off offset:600 th:TH_LOAD_LU
	scratch_load_b32 v126, off, off offset:140
	v_fma_mix_f32 v2, v1, v3, v2 op_sel_hi:[1,0,0]
	s_wait_loadcnt 0x1
	v_mul_lo_u32 v68, v68, v129
	s_delay_alu instid0(VALU_DEP_1) | instskip(NEXT) | instid1(VALU_DEP_1)
	v_cvt_f32_i32_e32 v68, v68
	v_fma_mix_f32 v66, v1, v68, v66 op_sel_hi:[1,0,0]
	scratch_load_b32 v1, off, off offset:4  ; 4-byte Folded Reload
	s_wait_loadcnt 0x1
	v_fma_f32 v66, v66, v126, -v67
	scratch_load_b32 v67, off, off offset:704 ; 4-byte Folded Reload
	s_wait_loadcnt 0x1
	v_mul_f32_e32 v0, v0, v1
	scratch_load_b32 v1, off, off           ; 4-byte Folded Reload
	s_wait_loadcnt 0x1
	v_add_f32_e32 v67, v67, v66
	s_wait_loadcnt 0x0
	v_fma_f32 v0, v2, v1, -v0
	scratch_load_b32 v1, off, off offset:700 ; 4-byte Folded Reload
	s_wait_loadcnt 0x0
	v_add_f32_e32 v1, v1, v0
	scratch_load_b32 v0, off, off offset:1276 ; 4-byte Folded Reload
	s_clause 0x1
	scratch_store_b32 off, v67, off offset:704
	scratch_store_b32 off, v1, off offset:700
	s_wait_loadcnt 0x0
	v_or_b32_e32 v0, s13, v0
	s_delay_alu instid0(VALU_DEP_1)
	v_lshlrev_b32_e32 v1, 2, v0
	v_lshrrev_b32_e32 v16, 1, v0
	ds_load_b128 v[8:11], v1 offset:16896
	ds_load_b128 v[12:15], v1 offset:16912
	;; [unrolled: 1-line block ×4, first 2 shown]
	s_clause 0x3
	scratch_load_b32 v66, off, off offset:180 th:TH_LOAD_LU
	scratch_load_b32 v70, off, off offset:976 th:TH_LOAD_LU
	;; [unrolled: 1-line block ×4, first 2 shown]
	s_wait_dscnt 0x3
	v_bfe_i32 v62, v8, 0, 8
	v_bfe_i32 v65, v8, 8, 8
	;; [unrolled: 1-line block ×3, first 2 shown]
	v_ashrrev_i32_e32 v60, 24, v9
	v_bfe_i32 v58, v10, 0, 8
	v_bfe_i32 v56, v10, 8, 8
	;; [unrolled: 1-line block ×5, first 2 shown]
	v_ashrrev_i32_e32 v50, 24, v11
	s_wait_dscnt 0x2
	v_bfe_i32 v49, v12, 0, 8
	v_bfe_i32 v47, v12, 16, 8
	;; [unrolled: 1-line block ×5, first 2 shown]
	v_ashrrev_i32_e32 v42, 24, v13
	v_bfe_i32 v41, v14, 0, 8
	v_bfe_i32 v40, v14, 8, 8
	;; [unrolled: 1-line block ×3, first 2 shown]
	v_ashrrev_i32_e32 v38, 24, v14
	v_bfe_i32 v37, v15, 0, 8
	v_bfe_i32 v36, v15, 8, 8
	;; [unrolled: 1-line block ×4, first 2 shown]
	v_ashrrev_i32_e32 v57, 24, v8
	v_ashrrev_i32_e32 v34, 24, v15
	v_bfe_i32 v64, v9, 0, 8
	v_bfe_i32 v63, v9, 8, 8
	s_wait_dscnt 0x1
	v_bfe_i32 v19, v4, 16, 8
	v_ashrrev_i32_e32 v18, 24, v4
	v_bfe_i32 v20, v4, 0, 8
	v_bfe_i32 v21, v4, 8, 8
	;; [unrolled: 1-line block ×5, first 2 shown]
	v_ashrrev_i32_e32 v54, 24, v10
	v_ashrrev_i32_e32 v25, 24, v6
	v_bfe_i32 v51, v11, 16, 8
	v_bfe_i32 v26, v7, 0, 8
	;; [unrolled: 1-line block ×3, first 2 shown]
	v_mul_i32_i24_e32 v83, v250, v54
	v_bfe_i32 v48, v12, 8, 8
	v_mul_i32_i24_e32 v86, v251, v51
	v_bfe_i32 v23, v7, 16, 8
	v_ashrrev_i32_e32 v22, 24, v7
	v_ashrrev_i32_e32 v46, 24, v12
	v_mul_i32_i24_e32 v99, v252, v48
	s_wait_dscnt 0x0
	v_bfe_i32 v17, v0, 0, 8
	ds_load_b64 v[11:12], v16 offset:27200
	v_bfe_i32 v16, v0, 8, 8
	v_mul_i32_i24_e32 v102, v249, v46
	v_bfe_i32 v10, v0, 16, 8
	v_ashrrev_i32_e32 v15, 24, v0
	v_bfe_i32 v13, v1, 0, 8
	v_bfe_i32 v14, v1, 8, 8
	;; [unrolled: 1-line block ×3, first 2 shown]
	v_ashrrev_i32_e32 v9, 24, v1
	v_bfe_i32 v4, v2, 0, 8
	v_ashrrev_i32_e32 v29, 24, v5
	v_bfe_i32 v5, v2, 8, 8
	v_bfe_i32 v30, v6, 0, 8
	;; [unrolled: 1-line block ×5, first 2 shown]
	v_ashrrev_i32_e32 v2, 24, v2
	v_bfe_i32 v7, v3, 0, 8
	v_bfe_i32 v1, v3, 8, 8
	;; [unrolled: 1-line block ×3, first 2 shown]
	v_ashrrev_i32_e32 v3, 24, v3
	v_mul_i32_i24_e32 v98, v6, v165
	v_mul_i32_i24_e32 v95, v2, v171
	v_mul_i32_i24_e32 v92, v7, v172
	v_mul_i32_i24_e32 v96, v0, v166
	v_mul_i32_i24_e32 v90, v3, v174
	v_mul_i32_i24_e32 v89, v39, v195
	s_wait_loadcnt 0x3
	v_mul_i32_i24_e32 v66, v66, v62
	s_wait_loadcnt 0x1
	v_mul_i32_i24_e32 v67, v67, v59
	;; [unrolled: 2-line block ×3, first 2 shown]
	v_mad_i32_i24 v66, v70, v65, v66
	scratch_load_b32 v70, off, off offset:984 th:TH_LOAD_LU ; 4-byte Folded Reload
	v_add3_u32 v66, v66, v67, v68
	scratch_load_b32 v67, off, off offset:152 th:TH_LOAD_LU ; 4-byte Folded Reload
	v_mul_i32_i24_e32 v68, v248, v63
	s_wait_loadcnt 0x1
	v_mul_i32_i24_e32 v78, v70, v61
	scratch_load_b32 v70, off, off offset:980 th:TH_LOAD_LU ; 4-byte Folded Reload
	s_wait_loadcnt 0x1
	v_mul_i32_i24_e32 v67, v67, v64
	s_delay_alu instid0(VALU_DEP_1)
	v_add3_u32 v66, v66, v67, v68
	s_clause 0x1
	scratch_load_b32 v67, off, off offset:200 th:TH_LOAD_LU
	scratch_load_b32 v68, off, off offset:424 th:TH_LOAD_LU
	s_wait_loadcnt 0x2
	v_mul_i32_i24_e32 v79, v70, v60
	scratch_load_b32 v70, off, off offset:988 th:TH_LOAD_LU ; 4-byte Folded Reload
	v_add3_u32 v66, v66, v78, v79
	s_wait_loadcnt 0x1
	v_mul_i32_i24_e32 v68, v68, v20
	s_delay_alu instid0(VALU_DEP_1)
	v_mad_i32_i24 v68, v177, v21, v68
	s_wait_loadcnt 0x0
	v_mul_i32_i24_e32 v80, v70, v58
	scratch_load_b32 v70, off, off offset:160 th:TH_LOAD_LU ; 4-byte Folded Reload
	s_wait_loadcnt 0x0
	v_mul_i32_i24_e32 v81, v70, v56
	scratch_load_b32 v70, off, off offset:156 th:TH_LOAD_LU ; 4-byte Folded Reload
	v_add3_u32 v66, v66, v80, v81
	v_mul_i32_i24_e32 v81, v186, v29
	s_wait_loadcnt 0x0
	v_mul_i32_i24_e32 v82, v70, v55
	scratch_load_b32 v70, off, off offset:168 th:TH_LOAD_LU ; 4-byte Folded Reload
	v_add3_u32 v66, v66, v82, v83
	v_mul_i32_i24_e32 v82, v164, v30
	v_mul_i32_i24_e32 v83, v178, v31
	s_wait_loadcnt 0x0
	v_mul_i32_i24_e32 v84, v70, v53
	scratch_load_b32 v70, off, off offset:164 th:TH_LOAD_LU ; 4-byte Folded Reload
	s_wait_loadcnt 0x0
	v_mul_i32_i24_e32 v85, v70, v52
	scratch_load_b32 v70, off, off offset:992 th:TH_LOAD_LU ; 4-byte Folded Reload
	v_add3_u32 v66, v66, v84, v85
	v_mul_i32_i24_e32 v84, v179, v27
	s_wait_loadcnt 0x0
	v_mul_i32_i24_e32 v88, v70, v50
	scratch_load_b32 v70, off, off offset:172 th:TH_LOAD_LU ; 4-byte Folded Reload
	v_add3_u32 v66, v66, v86, v88
	s_wait_loadcnt 0x0
	v_mul_i32_i24_e32 v93, v70, v49
	scratch_load_b32 v70, off, off offset:184 th:TH_LOAD_LU ; 4-byte Folded Reload
	v_add3_u32 v66, v66, v93, v99
	;; [unrolled: 4-line block ×3, first 2 shown]
	s_wait_loadcnt 0x0
	v_mul_i32_i24_e32 v103, v70, v45
	scratch_load_b32 v70, off, off offset:876 th:TH_LOAD_LU ; 4-byte Folded Reload
	s_wait_loadcnt 0x0
	v_mul_i32_i24_e32 v104, v70, v44
	scratch_load_b32 v70, off, off offset:872 th:TH_LOAD_LU ; 4-byte Folded Reload
	v_add3_u32 v66, v66, v103, v104
	s_wait_loadcnt 0x0
	v_mul_i32_i24_e32 v116, v70, v43
	scratch_load_b32 v70, off, off offset:868 th:TH_LOAD_LU ; 4-byte Folded Reload
	s_wait_loadcnt 0x0
	v_mul_i32_i24_e32 v117, v70, v42
	scratch_load_b32 v70, off, off offset:884 th:TH_LOAD_LU ; 4-byte Folded Reload
	v_add3_u32 v66, v66, v116, v117
	s_wait_loadcnt 0x0
	v_mul_i32_i24_e32 v118, v70, v41
	scratch_load_b32 v70, off, off offset:896 th:TH_LOAD_LU ; 4-byte Folded Reload
	s_wait_loadcnt 0x0
	v_mul_i32_i24_e32 v119, v70, v40
	scratch_load_b32 v70, off, off offset:892 th:TH_LOAD_LU ; 4-byte Folded Reload
	v_add3_u32 v66, v66, v118, v119
	s_wait_loadcnt 0x0
	v_mul_i32_i24_e32 v120, v70, v39
	scratch_load_b32 v70, off, off offset:888 th:TH_LOAD_LU ; 4-byte Folded Reload
	s_wait_loadcnt 0x0
	v_mul_i32_i24_e32 v121, v70, v38
	scratch_load_b32 v70, off, off offset:396 th:TH_LOAD_LU ; 4-byte Folded Reload
	v_add3_u32 v66, v66, v120, v121
	s_wait_loadcnt 0x0
	v_mul_i32_i24_e32 v122, v70, v37
	scratch_load_b32 v70, off, off offset:192 th:TH_LOAD_LU ; 4-byte Folded Reload
	s_wait_loadcnt 0x0
	v_mul_i32_i24_e32 v123, v70, v36
	scratch_load_b32 v70, off, off offset:188 th:TH_LOAD_LU ; 4-byte Folded Reload
	v_add3_u32 v66, v66, v122, v123
	s_wait_loadcnt 0x0
	v_mul_i32_i24_e32 v124, v70, v35
	scratch_load_b32 v70, off, off offset:196 th:TH_LOAD_LU ; 4-byte Folded Reload
	s_wait_loadcnt 0x0
	v_mul_i32_i24_e32 v125, v70, v34
	scratch_load_b32 v70, off, off offset:420 th:TH_LOAD_LU ; 4-byte Folded Reload
	v_add3_u32 v66, v66, v124, v125
	s_delay_alu instid0(VALU_DEP_1) | instskip(SKIP_3) | instid1(VALU_DEP_1)
	v_mul_lo_u32 v66, v66, v67
	scratch_load_b32 v67, off, off offset:428 th:TH_LOAD_LU ; 4-byte Folded Reload
	v_cvt_f32_i32_e32 v66, v66
	s_wait_dscnt 0x0
	v_fma_mix_f32 v66, v11, v66, 0 op_sel_hi:[1,0,0]
	s_wait_loadcnt 0x1
	v_mul_i32_i24_e32 v78, v70, v19
	scratch_load_b32 v70, off, off offset:416 th:TH_LOAD_LU ; 4-byte Folded Reload
	s_wait_loadcnt 0x1
	v_fma_mix_f32 v67, v67, v11, 0 op_sel:[0,1,0] op_sel_hi:[0,1,0]
	s_wait_loadcnt 0x0
	v_mul_i32_i24_e32 v79, v70, v18
	scratch_load_b32 v70, off, off offset:88 th:TH_LOAD_LU ; 4-byte Folded Reload
	v_add3_u32 v68, v68, v78, v79
	s_wait_loadcnt 0x0
	v_mul_i32_i24_e32 v78, v70, v33
	scratch_load_b32 v70, off, off offset:84 th:TH_LOAD_LU ; 4-byte Folded Reload
	s_wait_loadcnt 0x0
	v_mul_i32_i24_e32 v79, v70, v32
	scratch_load_b32 v70, off, off offset:80 th:TH_LOAD_LU ; 4-byte Folded Reload
	v_add3_u32 v68, v68, v78, v79
	v_mul_i32_i24_e32 v79, v49, v180
	s_wait_loadcnt 0x0
	v_mul_i32_i24_e32 v80, v70, v28
	scratch_load_b32 v70, off, off offset:400 th:TH_LOAD_LU ; 4-byte Folded Reload
	v_add3_u32 v68, v68, v80, v81
	v_mul_i32_i24_e32 v80, v48, v183
	s_delay_alu instid0(VALU_DEP_2)
	v_add3_u32 v68, v68, v82, v83
	s_wait_loadcnt 0x0
	v_mul_i32_i24_e32 v85, v70, v25
	scratch_load_b32 v70, off, off offset:900 th:TH_LOAD_LU ; 4-byte Folded Reload
	v_add3_u32 v68, v68, v84, v85
	s_wait_loadcnt 0x0
	v_mul_i32_i24_e32 v86, v70, v26
	scratch_load_b32 v70, off, off offset:412 th:TH_LOAD_LU ; 4-byte Folded Reload
	s_wait_loadcnt 0x0
	v_mul_i32_i24_e32 v88, v70, v24
	scratch_load_b32 v70, off, off offset:408 th:TH_LOAD_LU ; 4-byte Folded Reload
	v_add3_u32 v68, v68, v86, v88
	s_wait_loadcnt 0x0
	v_mul_i32_i24_e32 v93, v70, v23
	scratch_load_b32 v70, off, off offset:404 th:TH_LOAD_LU ; 4-byte Folded Reload
	;; [unrolled: 7-line block ×4, first 2 shown]
	s_wait_loadcnt 0x0
	v_mul_i32_i24_e32 v104, v70, v15
	scratch_load_b32 v70, off, off offset:932 th:TH_LOAD_LU ; 4-byte Folded Reload
	v_add3_u32 v68, v68, v103, v104
	v_mul_i32_i24_e32 v103, v35, v147
	v_mul_i32_i24_e32 v104, v34, v181
	s_wait_loadcnt 0x0
	v_mul_i32_i24_e32 v77, v70, v13
	scratch_load_b32 v70, off, off offset:928 th:TH_LOAD_LU ; 4-byte Folded Reload
	s_wait_loadcnt 0x0
	v_mul_i32_i24_e32 v116, v70, v14
	scratch_load_b32 v70, off, off offset:924 th:TH_LOAD_LU ; 4-byte Folded Reload
	v_add3_u32 v68, v68, v77, v116
	s_wait_loadcnt 0x0
	v_mul_i32_i24_e32 v117, v70, v8
	scratch_load_b32 v70, off, off offset:920 th:TH_LOAD_LU ; 4-byte Folded Reload
	s_wait_loadcnt 0x0
	v_mul_i32_i24_e32 v118, v70, v9
	scratch_load_b32 v70, off, off offset:948 th:TH_LOAD_LU ; 4-byte Folded Reload
	v_add3_u32 v68, v68, v117, v118
	;; [unrolled: 7-line block ×3, first 2 shown]
	s_wait_loadcnt 0x0
	v_mul_i32_i24_e32 v76, v70, v6
	scratch_load_b32 v70, off, off offset:936 th:TH_LOAD_LU ; 4-byte Folded Reload
	s_wait_loadcnt 0x0
	v_mul_i32_i24_e32 v119, v70, v2
	s_clause 0x5
	scratch_load_b32 v130, off, off offset:824 th:TH_LOAD_LU
	scratch_load_b32 v70, off, off offset:964 th:TH_LOAD_LU
	scratch_load_b32 v71, off, off offset:960 th:TH_LOAD_LU
	scratch_load_b32 v72, off, off offset:956 th:TH_LOAD_LU
	scratch_load_b32 v74, off, off offset:952 th:TH_LOAD_LU
	scratch_load_b32 v87, off, off offset:320 th:TH_LOAD_LU
	v_add3_u32 v68, v68, v76, v119
	s_clause 0xa
	scratch_load_b32 v73, off, off offset:1208 th:TH_LOAD_LU
	scratch_load_b32 v75, off, off offset:384 th:TH_LOAD_LU
	;; [unrolled: 1-line block ×11, first 2 shown]
	s_wait_loadcnt 0xf
	v_mul_i32_i24_e32 v70, v70, v7
	s_wait_loadcnt 0xe
	v_mul_i32_i24_e32 v71, v71, v1
	;; [unrolled: 2-line block ×5, first 2 shown]
	scratch_load_b32 v87, off, off offset:324 th:TH_LOAD_LU ; 4-byte Folded Reload
	v_add3_u32 v68, v68, v70, v71
	s_clause 0x1
	scratch_load_b32 v70, off, off offset:968 th:TH_LOAD_LU
	scratch_load_b32 v71, off, off offset:1200 th:TH_LOAD_LU
	s_wait_loadcnt 0xd
	v_mul_i32_i24_e32 v73, v55, v73
	s_wait_loadcnt 0xc
	v_mul_i32_i24_e32 v75, v53, v75
	v_add3_u32 v68, v68, v72, v74
	s_clause 0x1
	scratch_load_b32 v72, off, off offset:1204 th:TH_LOAD_LU
	scratch_load_b32 v74, off, off offset:860 th:TH_LOAD_LU
	s_wait_loadcnt 0xd
	v_mul_i32_i24_e32 v76, v52, v76
	s_wait_loadcnt 0xc
	v_mul_i32_i24_e32 v77, v51, v77
	;; [unrolled: 2-line block ×10, first 2 shown]
	scratch_load_b32 v87, off, off offset:332 th:TH_LOAD_LU ; 4-byte Folded Reload
	s_wait_loadcnt 0x4
	v_mul_lo_u32 v68, v68, v70
	scratch_load_b32 v70, off, off offset:1196 th:TH_LOAD_LU ; 4-byte Folded Reload
	s_wait_loadcnt 0x4
	v_mul_i32_i24_e32 v71, v58, v71
	s_wait_loadcnt 0x3
	v_mul_i32_i24_e32 v72, v56, v72
	;; [unrolled: 2-line block ×3, first 2 shown]
	v_cvt_f32_i32_e32 v68, v68
	s_delay_alu instid0(VALU_DEP_1)
	v_fma_mix_f32 v66, v12, v68, v66 op_sel_hi:[1,0,0]
	scratch_load_b32 v68, off, off offset:972 th:TH_LOAD_LU ; 4-byte Folded Reload
	s_wait_loadcnt 0x2
	v_mul_i32_i24_e32 v94, v39, v87
	scratch_load_b32 v87, off, off offset:336 th:TH_LOAD_LU ; 4-byte Folded Reload
	s_wait_loadcnt 0x2
	v_mul_i32_i24_e32 v70, v60, v70
	v_mul_i32_i24_e32 v39, v39, v158
	s_wait_loadcnt 0x1
	v_fma_mix_f32 v67, v68, v12, v67 op_sel:[0,1,0] op_sel_hi:[0,1,0]
	scratch_load_b32 v68, off, off offset:808 ; 4-byte Folded Reload
	s_wait_loadcnt 0x1
	v_mul_i32_i24_e32 v99, v38, v87
	s_wait_loadcnt 0x0
	v_mul_f32_e32 v67, v67, v68
	scratch_load_b32 v68, off, off offset:1176 ; 4-byte Folded Reload
	s_wait_loadcnt 0x0
	v_fma_f32 v66, v66, v68, -v67
	v_mul_i32_i24_e32 v67, v59, v69
	scratch_load_b32 v69, off, off offset:1180 th:TH_LOAD_LU ; 4-byte Folded Reload
	v_mul_i32_i24_e32 v68, v57, v185
	v_add_f32_e32 v130, v130, v66
	scratch_load_b32 v66, off, off offset:856 th:TH_LOAD_LU ; 4-byte Folded Reload
	s_wait_loadcnt 0x0
	v_mul_i32_i24_e32 v66, v62, v66
	s_delay_alu instid0(VALU_DEP_1)
	v_mad_i32_i24 v66, v65, v69, v66
	scratch_load_b32 v69, off, off offset:1192 th:TH_LOAD_LU ; 4-byte Folded Reload
	v_add3_u32 v66, v66, v67, v68
	s_clause 0x7
	scratch_load_b32 v67, off, off offset:1184 th:TH_LOAD_LU
	scratch_load_b32 v68, off, off offset:1188 th:TH_LOAD_LU
	scratch_load_b32 v185, off, off offset:1288
	scratch_load_b32 v87, off, off offset:348 th:TH_LOAD_LU
	scratch_load_b32 v186, off, off offset:1316
	scratch_load_b32 v127, off, off offset:828
	;; [unrolled: 1-line block ×4, first 2 shown]
	s_wait_loadcnt 0x8
	v_mul_i32_i24_e32 v69, v61, v69
	s_wait_loadcnt 0x7
	v_mul_i32_i24_e32 v67, v64, v67
	;; [unrolled: 2-line block ×4, first 2 shown]
	scratch_load_b32 v87, off, off offset:356 th:TH_LOAD_LU ; 4-byte Folded Reload
	v_add3_u32 v66, v66, v67, v68
	s_clause 0x1
	scratch_load_b32 v67, off, off offset:328 th:TH_LOAD_LU
	scratch_load_b32 v68, off, off offset:340 th:TH_LOAD_LU
	v_add3_u32 v66, v66, v69, v70
	s_clause 0x1
	scratch_load_b32 v69, off, off offset:72 th:TH_LOAD_LU
	scratch_load_b32 v70, off, off offset:352 th:TH_LOAD_LU
	v_add3_u32 v66, v66, v71, v72
	scratch_load_b32 v71, off, off offset:344 th:TH_LOAD_LU ; 4-byte Folded Reload
	v_mul_i32_i24_e32 v72, v29, v191
	v_add3_u32 v66, v66, v73, v74
	v_mul_i32_i24_e32 v73, v30, v184
	v_mul_i32_i24_e32 v74, v31, v187
	s_delay_alu instid0(VALU_DEP_3)
	v_add3_u32 v66, v66, v75, v76
	scratch_load_b32 v76, off, off offset:360 th:TH_LOAD_LU ; 4-byte Folded Reload
	v_mul_i32_i24_e32 v75, v27, v190
	v_add3_u32 v66, v66, v77, v78
	s_clause 0x1
	scratch_load_b32 v77, off, off offset:364 th:TH_LOAD_LU
	scratch_load_b32 v78, off, off offset:372 th:TH_LOAD_LU
	v_add3_u32 v66, v66, v79, v80
	s_clause 0x1
	scratch_load_b32 v79, off, off offset:368 th:TH_LOAD_LU
	scratch_load_b32 v80, off, off offset:376 th:TH_LOAD_LU
	v_add3_u32 v66, v66, v81, v82
	scratch_load_b32 v81, off, off offset:380 th:TH_LOAD_LU ; 4-byte Folded Reload
	v_mul_i32_i24_e32 v82, v16, v162
	v_add3_u32 v66, v66, v83, v84
	scratch_load_b32 v83, off, off offset:76 th:TH_LOAD_LU ; 4-byte Folded Reload
	v_mul_i32_i24_e32 v84, v15, v163
	;; [unrolled: 3-line block ×3, first 2 shown]
	v_add3_u32 v66, v66, v88, v93
	v_mul_i32_i24_e32 v88, v8, v167
	v_mul_i32_i24_e32 v93, v9, v168
	s_delay_alu instid0(VALU_DEP_3)
	v_add3_u32 v66, v66, v94, v99
	v_mul_i32_i24_e32 v94, v4, v169
	s_wait_loadcnt 0xd
	v_mul_i32_i24_e32 v102, v36, v87
	scratch_load_b32 v87, off, off offset:296 th:TH_LOAD_LU ; 4-byte Folded Reload
	s_wait_loadcnt 0xc
	v_mul_i32_i24_e32 v68, v20, v68
	v_add3_u32 v66, v66, v101, v102
	s_wait_loadcnt 0xb
	v_mul_i32_i24_e32 v69, v19, v69
	s_wait_loadcnt 0xa
	v_mul_i32_i24_e32 v70, v18, v70
	v_add3_u32 v66, v66, v103, v104
	s_wait_loadcnt 0x9
	v_mad_i32_i24 v68, v21, v71, v68
	v_mul_i32_i24_e32 v71, v28, v161
	s_delay_alu instid0(VALU_DEP_3) | instskip(SKIP_1) | instid1(VALU_DEP_4)
	v_mul_lo_u32 v66, v66, v67
	v_fma_mix_f32 v67, v170, v11, 0 op_sel:[0,1,0] op_sel_hi:[0,1,0]
	v_add3_u32 v68, v68, v69, v70
	scratch_load_b32 v70, off, off offset:848 th:TH_LOAD_LU ; 4-byte Folded Reload
	v_mul_i32_i24_e32 v69, v33, v188
	v_fma_mix_f32 v67, v176, v12, v67 op_sel:[0,1,0] op_sel_hi:[0,1,0]
	s_wait_loadcnt 0x9
	v_mul_i32_i24_e32 v76, v25, v76
	v_cvt_f32_i32_e32 v66, v66
	s_delay_alu instid0(VALU_DEP_3)
	v_mul_f32_e32 v67, v67, v182
	s_wait_loadcnt 0x8
	v_mul_i32_i24_e32 v77, v26, v77
	s_wait_loadcnt 0x7
	v_mul_i32_i24_e32 v78, v24, v78
	v_fma_mix_f32 v66, v11, v66, 0 op_sel_hi:[1,0,0]
	s_wait_loadcnt 0x6
	v_mul_i32_i24_e32 v79, v23, v79
	s_wait_loadcnt 0x5
	v_mul_i32_i24_e32 v80, v22, v80
	;; [unrolled: 2-line block ×6, first 2 shown]
	scratch_load_b32 v87, off, off offset:300 th:TH_LOAD_LU ; 4-byte Folded Reload
	s_wait_loadcnt 0x1
	v_mul_i32_i24_e32 v70, v32, v70
	s_delay_alu instid0(VALU_DEP_1) | instskip(SKIP_2) | instid1(VALU_DEP_3)
	v_add3_u32 v68, v68, v69, v70
	v_mul_i32_i24_e32 v69, v61, v228
	v_mul_i32_i24_e32 v70, v60, v229
	v_add3_u32 v68, v68, v71, v72
	v_mul_i32_i24_e32 v71, v58, v231
	v_mul_i32_i24_e32 v72, v56, v232
	v_mul_i32_i24_e32 v58, v58, v138
	v_mul_i32_i24_e32 v56, v56, v139
	v_add3_u32 v68, v68, v73, v74
	v_mul_i32_i24_e32 v73, v55, v233
	v_mul_i32_i24_e32 v74, v54, v234
	;; [unrolled: 5-line block ×4, first 2 shown]
	v_mul_i32_i24_e32 v50, v50, v148
	s_delay_alu instid0(VALU_DEP_4)
	v_add3_u32 v68, v68, v79, v80
	s_clause 0x1
	scratch_load_b32 v79, off, off offset:64 th:TH_LOAD_LU
	scratch_load_b32 v80, off, off offset:844 th:TH_LOAD_LU
	v_add3_u32 v68, v68, v81, v82
	v_mul_i32_i24_e32 v81, v47, v194
	v_mul_i32_i24_e32 v82, v46, v245
	scratch_load_b32 v245, off, off offset:1296 ; 4-byte Folded Reload
	v_mul_i32_i24_e32 v47, v47, v151
	v_add3_u32 v68, v68, v83, v84
	v_mul_i32_i24_e32 v83, v45, v253
	v_mul_i32_i24_e32 v84, v44, v254
	scratch_load_b32 v253, off, off offset:1320 ; 4-byte Folded Reload
	v_mul_i32_i24_e32 v46, v46, v152
	v_add3_u32 v68, v68, v85, v86
	scratch_load_b32 v85, off, off offset:32 th:TH_LOAD_LU ; 4-byte Folded Reload
	v_mul_i32_i24_e32 v86, v42, v255
	v_mul_i32_i24_e32 v45, v45, v153
	v_mul_i32_i24_e32 v44, v44, v154
	v_add3_u32 v68, v68, v88, v93
	scratch_load_b32 v88, off, off offset:40 th:TH_LOAD_LU ; 4-byte Folded Reload
	v_mul_i32_i24_e32 v93, v35, v241
	v_mul_i32_i24_e32 v42, v42, v156
	;; [unrolled: 1-line block ×3, first 2 shown]
	v_add3_u32 v68, v68, v94, v97
	s_clause 0x1
	scratch_load_b32 v97, off, off offset:820 th:TH_LOAD_LU
	scratch_load_b32 v94, off, off offset:276 th:TH_LOAD_LU
	v_add3_u32 v68, v68, v98, v95
	v_mul_i32_i24_e32 v95, v0, v216
	v_mul_i32_i24_e32 v0, v0, v114
	s_wait_loadcnt 0x8
	v_mul_i32_i24_e32 v91, v1, v87
	scratch_load_b32 v87, off, off offset:36 th:TH_LOAD_LU ; 4-byte Folded Reload
	v_add3_u32 v68, v68, v92, v91
	scratch_load_b32 v91, off, off offset:288 th:TH_LOAD_LU ; 4-byte Folded Reload
	v_mul_i32_i24_e32 v92, v36, v223
	v_mul_i32_i24_e32 v36, v36, v135
	v_add3_u32 v68, v68, v96, v90
	scratch_load_b32 v90, off, off offset:284 th:TH_LOAD_LU ; 4-byte Folded Reload
	v_mul_i32_i24_e32 v96, v3, v218
	v_mul_lo_u32 v68, v68, v175
	s_delay_alu instid0(VALU_DEP_1) | instskip(NEXT) | instid1(VALU_DEP_1)
	v_cvt_f32_i32_e32 v68, v68
	v_fma_mix_f32 v66, v12, v68, v66 op_sel_hi:[1,0,0]
	v_mul_i32_i24_e32 v68, v57, v225
	v_mul_i32_i24_e32 v57, v57, v145
	s_delay_alu instid0(VALU_DEP_3)
	v_fma_f32 v66, v66, v189, -v67
	v_mul_i32_i24_e32 v67, v59, v222
	v_mul_i32_i24_e32 v59, v59, v143
	s_wait_loadcnt 0xa
	v_mul_i32_i24_e32 v79, v49, v79
	s_wait_loadcnt 0x9
	v_mul_i32_i24_e32 v80, v48, v80
	v_mul_i32_i24_e32 v49, v49, v149
	;; [unrolled: 1-line block ×3, first 2 shown]
	s_wait_loadcnt 0x6
	v_mul_i32_i24_e32 v85, v43, v85
	v_mul_i32_i24_e32 v43, v43, v155
	s_wait_loadcnt 0x5
	v_mul_i32_i24_e32 v88, v40, v88
	s_wait_loadcnt 0x4
	v_add_f32_e32 v97, v97, v66
	v_mul_i32_i24_e32 v66, v62, v193
	s_wait_loadcnt 0x3
	v_mul_i32_i24_e32 v94, v34, v94
	v_mul_i32_i24_e32 v62, v62, v142
	;; [unrolled: 1-line block ×3, first 2 shown]
	v_mad_i32_i24 v66, v65, v224, v66
	s_delay_alu instid0(VALU_DEP_1) | instskip(SKIP_2) | instid1(VALU_DEP_1)
	v_add3_u32 v66, v66, v67, v68
	v_mul_i32_i24_e32 v67, v64, v226
	v_mul_i32_i24_e32 v68, v63, v227
	v_add3_u32 v66, v66, v67, v68
	scratch_load_b32 v67, off, off offset:280 th:TH_LOAD_LU ; 4-byte Folded Reload
	v_mul_i32_i24_e32 v68, v20, v192
	v_add3_u32 v66, v66, v69, v70
	v_mul_i32_i24_e32 v69, v19, v197
	v_mul_i32_i24_e32 v70, v18, v199
	s_delay_alu instid0(VALU_DEP_4)
	v_mad_i32_i24 v68, v21, v198, v68
	v_mul_i32_i24_e32 v19, v19, v131
	v_add3_u32 v66, v66, v71, v72
	v_mul_i32_i24_e32 v71, v28, v246
	v_mul_i32_i24_e32 v72, v29, v196
	v_add3_u32 v68, v68, v69, v70
	v_mul_i32_i24_e32 v69, v33, v244
	;; [unrolled: 3-line block ×3, first 2 shown]
	v_mul_i32_i24_e32 v74, v31, v239
	v_mul_i32_i24_e32 v18, v18, v132
	v_add3_u32 v68, v68, v69, v70
	v_add3_u32 v66, v66, v75, v76
	v_mul_i32_i24_e32 v75, v27, v230
	v_mul_i32_i24_e32 v76, v25, v240
	scratch_load_b32 v240, off, off offset:832 ; 4-byte Folded Reload
	v_add3_u32 v68, v68, v71, v72
	v_add3_u32 v66, v66, v77, v78
	v_mul_i32_i24_e32 v77, v26, v242
	v_mul_i32_i24_e32 v78, v24, v201
	scratch_load_b32 v72, off, off offset:1248 ; 4-byte Folded Reload
	v_add3_u32 v68, v68, v73, v74
	v_add3_u32 v66, v66, v79, v80
	v_mul_i32_i24_e32 v79, v23, v200
	v_mul_i32_i24_e32 v80, v22, v202
	s_delay_alu instid0(VALU_DEP_4) | instskip(NEXT) | instid1(VALU_DEP_4)
	v_add3_u32 v68, v68, v75, v76
	v_add3_u32 v66, v66, v81, v82
	v_mul_i32_i24_e32 v81, v17, v203
	v_mul_i32_i24_e32 v82, v16, v205
	scratch_load_b32 v76, off, off offset:1280 ; 4-byte Folded Reload
	v_add3_u32 v68, v68, v77, v78
	v_add3_u32 v66, v66, v83, v84
	v_mul_i32_i24_e32 v83, v10, v204
	v_mul_i32_i24_e32 v84, v15, v206
	s_clause 0x1
	scratch_load_b32 v78, off, off offset:1312
	scratch_load_b32 v77, off, off offset:1308
	v_add3_u32 v68, v68, v79, v80
	v_add3_u32 v66, v66, v85, v86
	v_mul_i32_i24_e32 v85, v13, v207
	v_mul_i32_i24_e32 v86, v14, v209
	;; [unrolled: 1-line block ×3, first 2 shown]
	v_add3_u32 v68, v68, v81, v82
	s_delay_alu instid0(VALU_DEP_1) | instskip(NEXT) | instid1(VALU_DEP_1)
	v_add3_u32 v68, v68, v83, v84
	v_add3_u32 v68, v68, v85, v86
	s_wait_loadcnt 0x8
	v_mul_i32_i24_e32 v87, v41, v87
	v_mul_i32_i24_e32 v41, v41, v157
	s_delay_alu instid0(VALU_DEP_2)
	v_add3_u32 v66, v66, v87, v88
	v_mul_i32_i24_e32 v87, v8, v208
	v_mul_i32_i24_e32 v88, v9, v210
	s_wait_loadcnt 0x7
	v_mul_i32_i24_e32 v91, v37, v91
	v_mul_i32_i24_e32 v37, v37, v159
	s_wait_loadcnt 0x6
	v_mul_i32_i24_e32 v90, v38, v90
	v_mul_i32_i24_e32 v38, v38, v133
	v_add3_u32 v68, v68, v87, v88
	s_delay_alu instid0(VALU_DEP_3) | instskip(SKIP_2) | instid1(VALU_DEP_3)
	v_add3_u32 v66, v66, v89, v90
	v_mul_i32_i24_e32 v89, v4, v211
	v_mul_i32_i24_e32 v90, v5, v213
	v_add3_u32 v66, v66, v91, v92
	v_mul_i32_i24_e32 v91, v6, v212
	v_mul_i32_i24_e32 v92, v2, v214
	s_delay_alu instid0(VALU_DEP_4) | instskip(NEXT) | instid1(VALU_DEP_4)
	v_add3_u32 v68, v68, v89, v90
	v_add3_u32 v66, v66, v93, v94
	v_mul_i32_i24_e32 v93, v7, v215
	v_mul_i32_i24_e32 v94, v1, v217
	s_delay_alu instid0(VALU_DEP_4) | instskip(NEXT) | instid1(VALU_DEP_4)
	v_add3_u32 v68, v68, v91, v92
	v_mul_lo_u32 v66, v66, v243
	s_delay_alu instid0(VALU_DEP_2) | instskip(NEXT) | instid1(VALU_DEP_1)
	v_add3_u32 v68, v68, v93, v94
	v_add3_u32 v68, v68, v95, v96
	s_delay_alu instid0(VALU_DEP_3) | instskip(NEXT) | instid1(VALU_DEP_2)
	v_cvt_f32_i32_e32 v66, v66
	v_mul_lo_u32 v68, v68, v129
	s_delay_alu instid0(VALU_DEP_2) | instskip(NEXT) | instid1(VALU_DEP_2)
	v_fma_mix_f32 v66, v11, v66, 0 op_sel_hi:[1,0,0]
	v_cvt_f32_i32_e32 v68, v68
	s_delay_alu instid0(VALU_DEP_1) | instskip(SKIP_2) | instid1(VALU_DEP_1)
	v_fma_mix_f32 v66, v12, v68, v66 op_sel_hi:[1,0,0]
	s_wait_loadcnt 0x5
	v_fma_mix_f32 v67, v67, v11, 0 op_sel:[0,1,0] op_sel_hi:[0,1,0]
	v_fma_mix_f32 v67, v219, v12, v67 op_sel:[0,1,0] op_sel_hi:[0,1,0]
	s_delay_alu instid0(VALU_DEP_1) | instskip(NEXT) | instid1(VALU_DEP_1)
	v_mul_f32_e32 v67, v67, v220
	v_fma_f32 v66, v66, v126, -v67
	scratch_load_b32 v67, off, off offset:8 ; 4-byte Folded Reload
	s_wait_loadcnt 0x0
	v_add_f32_e32 v67, v67, v66
	scratch_store_b32 off, v67, off offset:8 ; 4-byte Folded Spill
	s_clause 0x1
	scratch_load_b32 v66, off, off offset:8
	scratch_load_b32 v67, off, off offset:840 th:TH_LOAD_LU
	s_wait_loadcnt 0x0
	v_mad_i32_i24 v62, v65, v67, v62
	s_delay_alu instid0(VALU_DEP_1)
	v_add3_u32 v57, v62, v59, v57
	s_clause 0x1
	scratch_load_b32 v59, off, off offset:256 th:TH_LOAD_LU
	scratch_load_b32 v62, off, off offset:260 th:TH_LOAD_LU
	s_wait_loadcnt 0x1
	v_mul_i32_i24_e32 v59, v64, v59
	s_wait_loadcnt 0x0
	v_mul_i32_i24_e32 v62, v63, v62
	scratch_load_b32 v63, off, off offset:264 th:TH_LOAD_LU ; 4-byte Folded Reload
	v_add3_u32 v57, v57, v59, v62
	s_wait_loadcnt 0x0
	v_mul_i32_i24_e32 v61, v61, v63
	scratch_load_b32 v63, off, off offset:268 th:TH_LOAD_LU ; 4-byte Folded Reload
	s_wait_loadcnt 0x0
	v_mul_i32_i24_e32 v60, v60, v63
	scratch_load_b32 v63, off, off offset:272 th:TH_LOAD_LU ; 4-byte Folded Reload
	v_add3_u32 v57, v57, v61, v60
	s_delay_alu instid0(VALU_DEP_1) | instskip(NEXT) | instid1(VALU_DEP_1)
	v_add3_u32 v56, v57, v58, v56
	v_add3_u32 v54, v56, v55, v54
	s_delay_alu instid0(VALU_DEP_1) | instskip(SKIP_4) | instid1(VALU_DEP_1)
	v_add3_u32 v52, v54, v53, v52
	s_wait_loadcnt 0x0
	v_mul_i32_i24_e32 v51, v51, v63
	scratch_load_b32 v63, off, off offset:60 th:TH_LOAD_LU ; 4-byte Folded Reload
	v_add3_u32 v50, v52, v51, v50
	v_add3_u32 v48, v50, v49, v48
	s_delay_alu instid0(VALU_DEP_1) | instskip(NEXT) | instid1(VALU_DEP_1)
	v_add3_u32 v46, v48, v47, v46
	v_add3_u32 v44, v46, v45, v44
	scratch_load_b32 v45, off, off offset:816 th:TH_LOAD_LU ; 4-byte Folded Reload
	v_add3_u32 v42, v44, v43, v42
	s_wait_loadcnt 0x1
	v_mul_i32_i24_e32 v40, v40, v63
	s_delay_alu instid0(VALU_DEP_1) | instskip(NEXT) | instid1(VALU_DEP_1)
	v_add3_u32 v40, v42, v41, v40
	v_add3_u32 v38, v40, v39, v38
	s_delay_alu instid0(VALU_DEP_1) | instskip(NEXT) | instid1(VALU_DEP_1)
	v_add3_u32 v36, v38, v37, v36
	v_add3_u32 v34, v36, v35, v34
	scratch_load_b32 v35, off, off offset:252 th:TH_LOAD_LU ; 4-byte Folded Reload
	v_mul_lo_u32 v34, v34, v160
	s_delay_alu instid0(VALU_DEP_1) | instskip(NEXT) | instid1(VALU_DEP_1)
	v_cvt_f32_i32_e32 v34, v34
	v_fma_mix_f32 v34, v11, v34, 0 op_sel_hi:[1,0,0]
	v_fma_mix_f32 v11, v136, v11, 0 op_sel:[0,1,0] op_sel_hi:[0,1,0]
	s_wait_loadcnt 0x0
	v_mul_i32_i24_e32 v20, v20, v35
	scratch_load_b32 v35, off, off offset:248 th:TH_LOAD_LU ; 4-byte Folded Reload
	s_wait_loadcnt 0x0
	v_mad_i32_i24 v20, v21, v35, v20
	s_delay_alu instid0(VALU_DEP_1)
	v_add3_u32 v35, v20, v19, v18
	scratch_load_b32 v18, off, off offset:204 th:TH_LOAD_LU ; 4-byte Folded Reload
	s_wait_loadcnt 0x0
	v_mul_i32_i24_e32 v36, v33, v18
	scratch_load_b32 v18, off, off offset:208 th:TH_LOAD_LU ; 4-byte Folded Reload
	s_wait_loadcnt 0x0
	v_mul_i32_i24_e32 v37, v32, v18
	;; [unrolled: 3-line block ×14, first 2 shown]
	scratch_load_b32 v16, off, off offset:240 th:TH_LOAD_LU ; 4-byte Folded Reload
	v_mul_i32_i24_e32 v17, v15, v100
	v_mul_i32_i24_e32 v15, v13, v105
	;; [unrolled: 1-line block ×7, first 2 shown]
	s_wait_loadcnt 0x0
	v_mul_i32_i24_e32 v16, v10, v16
	v_mul_i32_i24_e32 v10, v8, v106
	;; [unrolled: 1-line block ×4, first 2 shown]
	scratch_load_b32 v1, off, off offset:244 th:TH_LOAD_LU ; 4-byte Folded Reload
	s_wait_loadcnt 0x0
	v_mul_i32_i24_e32 v1, v3, v1
	v_add3_u32 v3, v35, v36, v37
	s_delay_alu instid0(VALU_DEP_1) | instskip(NEXT) | instid1(VALU_DEP_1)
	v_add3_u32 v3, v3, v32, v33
	v_add3_u32 v3, v3, v29, v30
	s_delay_alu instid0(VALU_DEP_1) | instskip(NEXT) | instid1(VALU_DEP_1)
	v_add3_u32 v3, v3, v27, v28
	;; [unrolled: 3-line block ×6, first 2 shown]
	v_add3_u32 v2, v3, v2, v4
	s_delay_alu instid0(VALU_DEP_1)
	v_add3_u32 v0, v2, v0, v1
	s_clause 0x1
	scratch_load_b32 v1, off, off offset:28 th:TH_LOAD_LU
	scratch_load_b32 v2, off, off offset:4
	s_wait_loadcnt 0x1
	v_mul_lo_u32 v0, v0, v1
	scratch_load_b32 v1, off, off offset:24 th:TH_LOAD_LU ; 4-byte Folded Reload
	v_cvt_f32_i32_e32 v0, v0
	s_delay_alu instid0(VALU_DEP_1) | instskip(SKIP_2) | instid1(VALU_DEP_1)
	v_fma_mix_f32 v0, v12, v0, v34 op_sel_hi:[1,0,0]
	s_wait_loadcnt 0x0
	v_fma_mix_f32 v1, v1, v12, v11 op_sel:[0,1,0] op_sel_hi:[0,1,0]
	v_mul_f32_e32 v1, v1, v2
	scratch_load_b32 v2, off, off           ; 4-byte Folded Reload
	s_wait_loadcnt 0x0
	v_fma_f32 v0, v0, v2, -v1
	s_delay_alu instid0(VALU_DEP_1)
	v_add_f32_e32 v45, v45, v0
	s_cbranch_vccnz .LBB171_6
; %bb.7:                                ;   in Loop: Header=BB171_5 Depth=1
	scratch_load_b32 v0, off, off offset:1540 ; 4-byte Folded Reload
	s_wait_loadcnt 0x0
	s_wait_storecnt 0x0
	s_barrier_signal -1
	s_barrier_wait -1
	v_add_nc_u32_e32 v10, s5, v0
	scratch_load_b32 v0, off, off offset:1332 ; 4-byte Folded Reload
	s_wait_loadcnt 0x0
	global_inv scope:SCOPE_SE
	s_clause 0x6
	scratch_load_b32 v1, off, off offset:1336
	scratch_load_b32 v5, off, off offset:1344
	;; [unrolled: 1-line block ×4, first 2 shown]
	scratch_load_b64 v[17:18], off, off offset:1380
	scratch_load_b32 v7, off, off offset:1348
	scratch_load_b32 v13, off, off offset:1356
	s_mov_b32 s5, 16
	v_add_nc_u32_e32 v0, v10, v0
	s_wait_loadcnt 0x6
	v_add_nc_u32_e32 v2, v10, v1
	scratch_load_b32 v1, off, off offset:1340 ; 4-byte Folded Reload
	s_wait_loadcnt 0x5
	v_add_nc_u32_e32 v11, v10, v9
	v_add_nc_u32_e32 v6, v10, v5
	s_wait_loadcnt 0x4
	v_add_nc_u32_e32 v12, v10, v12
	s_wait_loadcnt 0x3
	v_mad_co_i64_i32 v[2:3], null, v2, 36, v[17:18]
	s_wait_loadcnt 0x1
	v_add_nc_u32_e32 v14, v10, v13
	scratch_load_b32 v13, off, off offset:1420 th:TH_LOAD_LU ; 4-byte Folded Reload
	v_add_nc_u32_e32 v8, v10, v7
	v_mad_co_i64_i32 v[6:7], null, v6, 36, v[17:18]
	v_mad_co_i64_i32 v[14:15], null, v14, 36, v[17:18]
	s_delay_alu instid0(VALU_DEP_3) | instskip(SKIP_4) | instid1(VALU_DEP_3)
	v_mad_co_i64_i32 v[8:9], null, v8, 36, v[17:18]
	s_wait_loadcnt 0x1
	v_add_nc_u32_e32 v4, v10, v1
	v_mad_co_i64_i32 v[10:11], null, v11, 36, v[17:18]
	v_mad_co_i64_i32 v[0:1], null, v0, 36, v[17:18]
	v_mad_co_i64_i32 v[4:5], null, v4, 36, v[17:18]
	s_wait_loadcnt 0x0
	v_add_nc_u32_e32 v16, 4, v13
	v_mad_co_i64_i32 v[12:13], null, v12, 36, v[17:18]
	s_delay_alu instid0(VALU_DEP_2)
	v_mad_co_u64_u32 v[16:17], null, v16, 36, s[2:3]
	s_clause 0x8
	global_load_b32 v10, v[10:11], off offset:4
	global_load_b32 v0, v[0:1], off offset:4
	;; [unrolled: 1-line block ×8, first 2 shown]
	global_load_b32 v7, v[16:17], off
	scratch_load_b32 v8, off, off offset:1416 ; 4-byte Folded Reload
	s_wait_loadcnt 0x0
	ds_store_b32 v8, v10
	scratch_load_b32 v8, off, off offset:1388 ; 4-byte Folded Reload
	s_wait_loadcnt 0x0
	ds_store_b32 v8, v0
	;; [unrolled: 3-line block ×9, first 2 shown]
	s_wait_dscnt 0x0
	s_barrier_signal -1
	s_barrier_wait -1
	global_inv scope:SCOPE_SE
	s_clause 0x3
	scratch_load_b32 v0, off, off offset:1364
	scratch_load_b32 v1, off, off offset:1368
	;; [unrolled: 1-line block ×4, first 2 shown]
	s_wait_loadcnt 0x3
	ds_load_b32 v0, v0
	s_wait_loadcnt 0x2
	ds_load_b32 v1, v1 offset:128
	s_wait_loadcnt 0x1
	ds_load_b32 v2, v2 offset:256
	;; [unrolled: 2-line block ×3, first 2 shown]
	s_wait_dscnt 0x3
	v_lshrrev_b32_e32 v4, 16, v0
	v_cvt_f32_f16_e32 v0, v0
	scratch_store_b32 off, v0, off offset:132 ; 4-byte Folded Spill
	s_wait_dscnt 0x2
	v_cvt_f32_f16_e32 v0, v1
	scratch_store_b32 off, v0, off offset:136 ; 4-byte Folded Spill
	v_lshrrev_b32_e32 v0, 16, v1
	s_wait_dscnt 0x1
	v_cvt_f32_f16_e32 v1, v2
	s_delay_alu instid0(VALU_DEP_2)
	v_cvt_f32_f16_e32 v0, v0
	scratch_store_b32 off, v1, off offset:140 ; 4-byte Folded Spill
	v_lshrrev_b32_e32 v1, 16, v2
	s_wait_dscnt 0x0
	v_lshrrev_b32_e32 v2, 16, v3
	v_cvt_f32_f16_e32 v3, v3
	scratch_store_b32 off, v0, off offset:148 ; 4-byte Folded Spill
	v_cvt_f32_f16_e32 v0, v1
	scratch_store_b32 off, v3, off          ; 4-byte Folded Spill
	v_cvt_f32_f16_e32 v3, v4
	scratch_store_b32 off, v0, off offset:16 ; 4-byte Folded Spill
	v_cvt_f32_f16_e32 v0, v2
	s_clause 0x1
	scratch_store_b32 off, v3, off offset:144
	scratch_store_b32 off, v0, off offset:20
.LBB171_8:                              ;   Parent Loop BB171_5 Depth=1
                                        ; =>  This Inner Loop Header: Depth=2
	s_wait_alu 0xfffe
	s_lshl_b32 s16, s5, 2
	s_clause 0x3
	scratch_store_b32 off, v130, off offset:824
	scratch_store_b32 off, v97, off offset:820
	;; [unrolled: 1-line block ×4, first 2 shown]
	s_wait_alu 0xfffe
	v_add_nc_u32_e32 v9, s16, v76
	s_lshr_b32 s12, s5, 2
	s_wait_alu 0xfffe
	s_and_b32 s13, s12, 0x3ffffffe
	s_lshl_b32 s12, s5, 1
	ds_load_2addr_b32 v[17:18], v9 offset1:1
	s_wait_alu 0xfffe
	s_and_b32 s12, s12, 16
	s_addk_co_i32 s13, 0x6200
	s_wait_alu 0xfffe
	v_or_b32_e32 v0, s12, v72
	v_add3_u32 v8, s13, v77, v78
	s_delay_alu instid0(VALU_DEP_2)
	v_lshlrev_b32_e32 v1, 2, v0
	v_lshrrev_b32_e32 v92, 1, v0
	s_wait_dscnt 0x0
	v_and_b32_e32 v0, 0xf0f0f0f, v17
	v_bfe_u32 v137, v17, 24, 4
	v_bfe_u32 v235, v17, 16, 4
	v_bfe_u32 v220, v18, 4, 4
	v_bfe_u32 v159, v17, 4, 4
	v_lshrrev_b16 v14, 8, v0
	ds_load_b128 v[10:13], v1 offset:16896
	ds_load_b128 v[44:47], v1 offset:16912
	;; [unrolled: 1-line block ×4, first 2 shown]
	v_bfe_u32 v165, v18, 20, 4
	v_lshrrev_b32_e32 v162, 28, v17
	v_bfe_u32 v146, v17, 20, 4
	s_wait_dscnt 0x3
	v_lshrrev_b16 v15, 8, v10
	v_lshrrev_b16 v16, 8, v11
	v_ashrrev_i32_e32 v130, 24, v11
	v_bfe_i32 v107, v11, 0, 8
	v_lshrrev_b16 v30, 8, v13
	v_bfe_i32 v133, v15, 0, 8
	v_bfe_u32 v15, v18, 24, 4
	v_bfe_i32 v108, v16, 0, 8
	v_and_b32_e32 v16, 15, v18
	v_and_b32_e32 v238, 15, v17
	v_bfe_i32 v109, v11, 16, 8
	v_mul_i32_i24_e32 v51, v15, v130
	v_mov_b32_e32 v228, v15
	v_mul_i32_i24_e32 v48, v16, v107
	v_mov_b32_e32 v231, v16
	ds_load_2addr_b32 v[15:16], v9 offset0:2 offset1:3
	v_bfe_u32 v11, v18, 16, 4
	v_and_b32_e32 v14, 0xffff, v14
	v_ashrrev_i32_e32 v98, 24, v13
	v_bfe_i32 v93, v13, 16, 8
	v_bfe_i32 v90, v13, 0, 8
	;; [unrolled: 1-line block ×4, first 2 shown]
	v_ashrrev_i32_e32 v132, 24, v10
	v_mov_b32_e32 v229, v11
	v_mul_i32_i24_e32 v10, v14, v133
	v_mov_b32_e32 v227, v14
	v_lshrrev_b16 v26, 8, v12
	v_ashrrev_i32_e32 v106, 24, v12
	v_bfe_i32 v105, v12, 16, 8
	v_bfe_i32 v103, v12, 0, 8
	v_mul_i32_i24_e32 v50, v11, v109
	v_bfe_i32 v104, v26, 0, 8
	v_bfe_i32 v91, v30, 0, 8
	s_wait_dscnt 0x3
	v_lshrrev_b16 v38, 8, v45
	s_wait_dscnt 0x0
	v_bfe_u32 v13, v16, 16, 4
	v_and_b32_e32 v22, 15, v15
	v_bfe_u32 v12, v15, 16, 4
	v_lshrrev_b16 v42, 8, v46
	v_ashrrev_i32_e32 v89, 24, v44
	v_dual_mov_b32 v247, v13 :: v_dual_and_b32 v14, 0xf0f0f0f, v18
	v_mov_b32_e32 v233, v22
	v_mul_i32_i24_e32 v54, v12, v105
	v_mov_b32_e32 v171, v12
	v_bfe_u32 v12, v16, 24, 4
	v_lshrrev_b16 v14, 8, v14
	v_mul_i32_i24_e32 v52, v22, v103
	v_mul_i32_i24_e32 v58, v13, v93
	v_bfe_i32 v88, v44, 16, 8
	v_mul_i32_i24_e32 v59, v12, v98
	v_and_b32_e32 v14, 0xffff, v14
	v_bfe_i32 v86, v44, 0, 8
	v_ashrrev_i32_e32 v85, 24, v45
	v_bfe_i32 v82, v45, 0, 8
	v_mad_i32_i24 v51, v137, v132, v51
	v_mul_i32_i24_e32 v49, v14, v108
	v_mov_b32_e32 v230, v14
	v_bfe_u32 v14, v15, 24, 4
	v_and_b32_e32 v11, 0xf0f0f0f, v15
	v_mad_i32_i24 v48, v238, v131, v48
	v_mad_i32_i24 v50, v235, v134, v50
	v_lshrrev_b16 v60, 8, v47
	v_mov_b32_e32 v170, v14
	v_lshrrev_b16 v11, 8, v11
	v_mul_i32_i24_e32 v55, v14, v106
	v_and_b32_e32 v14, 15, v16
	v_bfe_i32 v84, v45, 16, 8
	v_bfe_i32 v83, v38, 0, 8
	v_and_b32_e32 v11, 0xffff, v11
	v_ashrrev_i32_e32 v81, 24, v46
	v_mov_b32_e32 v250, v14
	v_mul_i32_i24_e32 v56, v14, v90
	v_lshrrev_b16 v14, 8, v44
	v_mul_i32_i24_e32 v53, v11, v104
	v_dual_mov_b32 v232, v11 :: v_dual_and_b32 v11, 0xf0f0f0f, v16
	v_mov_b32_e32 v246, v12
	s_delay_alu instid0(VALU_DEP_4)
	v_bfe_i32 v87, v14, 0, 8
	v_bfe_i32 v79, v42, 0, 8
	v_bfe_i32 v78, v46, 0, 8
	v_lshrrev_b16 v11, 8, v11
	v_ashrrev_i32_e32 v68, 24, v47
	v_bfe_i32 v67, v47, 16, 8
	v_bfe_i32 v47, v47, 0, 8
	v_add3_u32 v10, v10, v49, v53
	v_and_b32_e32 v11, 0xffff, v11
	v_add3_u32 v49, v50, v54, v58
	v_add3_u32 v48, v48, v52, v56
	;; [unrolled: 1-line block ×3, first 2 shown]
	v_bfe_i32 v80, v46, 16, 8
	v_mul_i32_i24_e32 v57, v11, v91
	v_mov_b32_e32 v241, v11
	ds_load_2addr_b32 v[11:12], v9 offset0:4 offset1:5
	v_bfe_i32 v66, v60, 0, 8
	v_bfe_i32 v51, v4, 0, 8
	v_ashrrev_i32_e32 v46, 24, v4
	v_lshrrev_b16 v55, 8, v6
	v_ashrrev_i32_e32 v45, 24, v5
	v_ashrrev_i32_e32 v43, 24, v6
	v_bfe_i32 v54, v6, 16, 8
	v_bfe_i32 v42, v6, 0, 8
	;; [unrolled: 1-line block ×3, first 2 shown]
	v_bfe_u32 v6, v16, 20, 4
	v_bfe_u32 v221, v15, 4, 4
	v_bfe_i32 v40, v7, 0, 8
	v_bfe_u32 v164, v16, 4, 4
	v_bfe_i32 v52, v5, 16, 8
	v_ashrrev_i32_e32 v41, 24, v7
	v_mul_i32_i24_e32 v102, v221, v42
	v_bfe_i32 v56, v7, 16, 8
	v_mul_i32_i24_e32 v110, v164, v40
	v_mul_i32_i24_e32 v100, v165, v52
	s_wait_dscnt 0x0
	v_bfe_u32 v22, v11, 24, 4
	v_and_b32_e32 v13, 0xf0f0f0f, v11
	v_and_b32_e32 v157, 15, v11
	v_bfe_u32 v224, v12, 24, 4
	v_and_b32_e32 v138, 15, v12
	v_mov_b32_e32 v242, v22
	v_lshrrev_b16 v13, 8, v13
	v_bfe_u32 v243, v11, 16, 4
	v_mul_i32_i24_e32 v61, v157, v86
	v_mul_i32_i24_e32 v64, v22, v89
	v_bfe_u32 v172, v12, 16, 4
	v_and_b32_e32 v213, 0xffff, v13
	v_and_b32_e32 v13, 0xf0f0f0f, v12
	v_mul_i32_i24_e32 v65, v138, v82
	v_mul_i32_i24_e32 v71, v224, v85
	v_mul_i32_i24_e32 v63, v243, v88
	v_mul_i32_i24_e32 v62, v213, v87
	v_lshrrev_b16 v13, 8, v13
	v_mul_i32_i24_e32 v70, v172, v84
	v_add3_u32 v50, v50, v64, v71
	v_add3_u32 v48, v48, v61, v65
	;; [unrolled: 1-line block ×3, first 2 shown]
	v_and_b32_e32 v225, 0xffff, v13
	ds_load_2addr_b32 v[13:14], v9 offset0:6 offset1:7
	v_add3_u32 v49, v49, v63, v70
	v_lshrrev_b16 v57, 8, v7
	v_mul_i32_i24_e32 v112, v6, v56
	v_mul_i32_i24_e32 v69, v225, v83
	v_lshrrev_b32_e32 v223, 28, v15
	v_bfe_u32 v163, v15, 20, 4
	v_bfe_i32 v57, v57, 0, 8
	v_bfe_u32 v152, v12, 20, 4
	v_bfe_u32 v154, v12, 4, 4
	v_ashrrev_i32_e32 v37, 24, v2
	v_bfe_i32 v64, v2, 16, 8
	v_bfe_i32 v36, v2, 0, 8
	v_lshrrev_b32_e32 v147, 28, v11
	v_ashrrev_i32_e32 v39, 24, v0
	v_bfe_u32 v150, v11, 4, 4
	v_lshrrev_b32_e32 v151, 28, v12
	v_ashrrev_i32_e32 v38, 24, v1
	v_bfe_i32 v63, v1, 0, 8
	v_lshrrev_b16 v70, 8, v3
	s_wait_dscnt 0x0
	v_and_b32_e32 v9, 0xf0f0f0f, v13
	v_and_b32_e32 v44, 0xf0f0f0f, v14
	v_bfe_u32 v140, v13, 24, 4
	v_and_b32_e32 v139, 15, v13
	v_bfe_u32 v145, v14, 24, 4
	v_lshrrev_b16 v9, 8, v9
	v_lshrrev_b16 v75, 8, v44
	v_and_b32_e32 v143, 15, v14
	v_bfe_u32 v141, v13, 16, 4
	v_mul_i32_i24_e32 v74, v140, v81
	v_and_b32_e32 v142, 0xffff, v9
	v_mul_i32_i24_e32 v9, v139, v78
	v_bfe_u32 v216, v14, 16, 4
	v_and_b32_e32 v144, 0xffff, v75
	v_mul_i32_i24_e32 v60, v143, v47
	v_mul_i32_i24_e32 v72, v142, v79
	;; [unrolled: 1-line block ×6, first 2 shown]
	v_add3_u32 v10, v10, v69, v72
	v_add3_u32 v9, v48, v9, v60
	;; [unrolled: 1-line block ×3, first 2 shown]
	v_bfe_i32 v44, v5, 0, 8
	v_add3_u32 v49, v49, v73, v76
	v_bfe_i32 v60, v0, 0, 8
	v_bfe_i32 v58, v0, 16, 8
	v_add3_u32 v10, v10, v75, v48
	v_mul_i32_i24_e32 v97, v220, v44
	v_lshrrev_b16 v48, 8, v5
	v_lshrrev_b32_e32 v5, 28, v16
	v_bfe_u32 v148, v11, 20, 4
	v_add3_u32 v9, v9, v49, v10
	ds_load_u16 v10, v8
	ds_load_u16 v69, v8 offset:8
	v_bfe_i32 v49, v4, 16, 8
	v_mad_i32_i24 v97, v159, v51, v97
	v_bfe_i32 v53, v48, 0, 8
	scratch_store_b32 off, v5, off offset:992 ; 4-byte Folded Spill
	v_mul_i32_i24_e32 v113, v5, v41
	v_lshrrev_b16 v5, 8, v0
	v_add3_u32 v97, v97, v102, v110
	v_lshrrev_b16 v48, 8, v2
	v_bfe_u32 v2, v13, 4, 4
	v_mad_i32_i24 v100, v146, v49, v100
	v_bfe_i32 v59, v5, 0, 8
	v_lshrrev_b32_e32 v5, 28, v13
	v_bfe_i32 v65, v48, 0, 8
	v_mul_i32_i24_e32 v0, v150, v60
	v_mul_i32_i24_e32 v116, v147, v39
	v_bfe_i32 v61, v1, 16, 8
	v_mul_i32_i24_e32 v119, v151, v38
	v_mul_i32_i24_e32 v122, v5, v37
	s_wait_dscnt 0x1
	v_and_b32_e32 v167, 0xff, v10
	v_lshrrev_b16 v94, 8, v10
	v_lshrrev_b16 v10, 8, v4
	s_wait_dscnt 0x0
	v_cvt_f32_ubyte0_e32 v20, v69
	v_ashrrev_i32_e32 v35, 24, v3
	v_mul_lo_u32 v8, v9, v167
	v_mul_i32_i24_e32 v9, v163, v54
	v_bfe_i32 v50, v10, 0, 8
	v_mov_b32_e32 v110, v20
	v_mul_i32_i24_e32 v10, v223, v43
	v_bfe_i32 v33, v3, 0, 8
	v_bfe_u32 v7, v14, 4, 4
	v_mul_i32_i24_e32 v115, v148, v58
	v_cvt_f32_i32_e32 v95, v8
	v_lshrrev_b32_e32 v8, 4, v17
	scratch_store_b32 off, v6, off offset:948 ; 4-byte Folded Spill
	v_lshrrev_b16 v6, 8, v1
	v_mul_i32_i24_e32 v1, v154, v63
	v_mul_i32_i24_e32 v118, v152, v61
	v_lshrrev_b16 v8, 8, v8
	v_bfe_i32 v48, v3, 16, 8
	v_bfe_i32 v62, v6, 0, 8
	v_bfe_u32 v6, v13, 20, 4
	s_delay_alu instid0(VALU_DEP_4) | instskip(SKIP_2) | instid1(VALU_DEP_4)
	v_dual_mov_b32 v77, v235 :: v_dual_and_b32 v8, 15, v8
	v_bfe_i32 v34, v70, 0, 8
	v_mul_i32_i24_e32 v3, v7, v33
	v_mul_i32_i24_e32 v121, v6, v64
	s_delay_alu instid0(VALU_DEP_4) | instskip(SKIP_3) | instid1(VALU_DEP_4)
	v_dual_mov_b32 v73, v137 :: v_dual_and_b32 v4, 0xffff, v8
	v_lshrrev_b32_e32 v8, 28, v18
	v_add3_u32 v0, v97, v0, v1
	v_dual_mov_b32 v168, v7 :: v_dual_mov_b32 v235, v232
	v_mul_i32_i24_e32 v96, v4, v50
	v_mov_b32_e32 v173, v4
	v_lshrrev_b32_e32 v4, 4, v18
	scratch_store_b32 off, v8, off offset:952 ; 4-byte Folded Spill
	v_mul_i32_i24_e32 v101, v8, v45
	v_mov_b32_e32 v232, v170
	scratch_store_b32 off, v2, off offset:476 ; 4-byte Folded Spill
	v_lshrrev_b16 v4, 8, v4
	v_mul_i32_i24_e32 v2, v2, v36
	v_mad_i32_i24 v101, v162, v46, v101
	scratch_store_b32 off, v168, off offset:492 ; 4-byte Folded Spill
	v_and_b32_e32 v4, 15, v4
	v_add3_u32 v0, v0, v2, v3
	s_delay_alu instid0(VALU_DEP_2) | instskip(SKIP_1) | instid1(VALU_DEP_2)
	v_and_b32_e32 v214, 0xffff, v4
	v_lshrrev_b32_e32 v4, 4, v15
	v_mul_i32_i24_e32 v99, v214, v53
	s_delay_alu instid0(VALU_DEP_2) | instskip(NEXT) | instid1(VALU_DEP_1)
	v_lshrrev_b16 v4, 8, v4
	v_and_b32_e32 v4, 15, v4
	s_delay_alu instid0(VALU_DEP_1) | instskip(SKIP_3) | instid1(VALU_DEP_2)
	v_and_b32_e32 v4, 0xffff, v4
	scratch_store_b32 off, v4, off offset:976 ; 4-byte Folded Spill
	v_mul_i32_i24_e32 v8, v4, v55
	v_lshrrev_b32_e32 v4, 4, v16
	v_add3_u32 v96, v96, v99, v8
	s_delay_alu instid0(VALU_DEP_2) | instskip(SKIP_2) | instid1(VALU_DEP_3)
	v_lshrrev_b16 v4, 8, v4
	v_add3_u32 v99, v100, v9, v112
	v_add3_u32 v100, v101, v10, v113
	v_and_b32_e32 v4, 15, v4
	s_delay_alu instid0(VALU_DEP_3) | instskip(NEXT) | instid1(VALU_DEP_3)
	v_add3_u32 v1, v99, v115, v118
	v_add3_u32 v100, v100, v116, v119
	s_delay_alu instid0(VALU_DEP_3) | instskip(SKIP_3) | instid1(VALU_DEP_1)
	v_and_b32_e32 v4, 0xffff, v4
	scratch_store_b32 off, v4, off offset:528 ; 4-byte Folded Spill
	v_mul_i32_i24_e32 v111, v4, v57
	v_lshrrev_b32_e32 v4, 4, v11
	v_lshrrev_b16 v4, 8, v4
	s_delay_alu instid0(VALU_DEP_1) | instskip(NEXT) | instid1(VALU_DEP_1)
	v_and_b32_e32 v4, 15, v4
	v_and_b32_e32 v149, 0xffff, v4
	v_lshrrev_b32_e32 v4, 4, v12
	s_delay_alu instid0(VALU_DEP_2) | instskip(NEXT) | instid1(VALU_DEP_2)
	v_mul_i32_i24_e32 v114, v149, v59
	v_lshrrev_b16 v4, 8, v4
	s_delay_alu instid0(VALU_DEP_2) | instskip(NEXT) | instid1(VALU_DEP_2)
	v_add3_u32 v96, v96, v111, v114
	v_and_b32_e32 v4, 15, v4
	s_delay_alu instid0(VALU_DEP_1)
	v_and_b32_e32 v153, 0xffff, v4
	v_lshrrev_b32_e32 v4, 4, v13
	scratch_store_b32 off, v5, off offset:464 ; 4-byte Folded Spill
	v_lshrrev_b32_e32 v5, 28, v14
	v_mul_i32_i24_e32 v117, v153, v62
	v_lshrrev_b16 v4, 8, v4
	s_delay_alu instid0(VALU_DEP_3) | instskip(NEXT) | instid1(VALU_DEP_2)
	v_mul_i32_i24_e32 v124, v5, v35
	v_and_b32_e32 v4, 15, v4
	s_delay_alu instid0(VALU_DEP_2) | instskip(NEXT) | instid1(VALU_DEP_2)
	v_add3_u32 v2, v100, v122, v124
	v_and_b32_e32 v4, 0xffff, v4
	s_clause 0x1
	scratch_store_b32 off, v6, off offset:468
	scratch_store_b32 off, v4, off offset:472
	v_mul_i32_i24_e32 v120, v4, v65
	v_lshrrev_b32_e32 v4, 4, v14
	s_delay_alu instid0(VALU_DEP_2) | instskip(NEXT) | instid1(VALU_DEP_2)
	v_add3_u32 v96, v96, v117, v120
	v_lshrrev_b16 v4, 8, v4
	s_delay_alu instid0(VALU_DEP_1) | instskip(SKIP_1) | instid1(VALU_DEP_2)
	v_and_b32_e32 v71, 15, v4
	v_bfe_u32 v4, v14, 20, 4
	v_and_b32_e32 v6, 0xffff, v71
	s_delay_alu instid0(VALU_DEP_2)
	v_mul_i32_i24_e32 v123, v4, v48
	v_mov_b32_e32 v166, v4
	v_cvt_f32_ubyte1_e32 v4, v69
	s_clause 0x1
	scratch_store_b32 off, v5, off offset:480
	scratch_store_b32 off, v6, off offset:488
	v_mul_i32_i24_e32 v14, v6, v34
	v_add3_u32 v1, v1, v121, v123
	v_mov_b32_e32 v112, v4
	scratch_store_b32 off, v166, off offset:484 ; 4-byte Folded Spill
	v_mov_b32_e32 v137, v225
	v_add3_u32 v2, v96, v14, v2
	v_mov_b32_e32 v225, v172
	s_delay_alu instid0(VALU_DEP_2) | instskip(SKIP_2) | instid1(VALU_DEP_1)
	v_add3_u32 v0, v0, v1, v2
	ds_load_b64 v[2:3], v92 offset:27200
	v_and_b32_e32 v1, 0xffff, v94
	v_mul_lo_u32 v0, v0, v1
	v_mov_b32_e32 v111, v1
	s_delay_alu instid0(VALU_DEP_1) | instskip(NEXT) | instid1(VALU_DEP_3)
	v_mov_b32_e32 v170, v111
	v_cvt_f32_i32_e32 v0, v0
	s_wait_dscnt 0x0
	v_fma_mix_f32 v1, v95, v2, 0 op_sel_hi:[0,1,0]
	v_fma_mix_f32 v14, v20, v2, 0 op_sel:[0,1,0] op_sel_hi:[0,1,0]
	s_delay_alu instid0(VALU_DEP_2) | instskip(NEXT) | instid1(VALU_DEP_2)
	v_fma_mix_f32 v0, v0, v3, v1 op_sel_hi:[0,1,0]
	v_fma_mix_f32 v1, v4, v3, v14 op_sel:[0,1,0] op_sel_hi:[0,1,0]
	scratch_load_b32 v4, off, off offset:144 ; 4-byte Folded Reload
	s_wait_loadcnt 0x0
	v_mul_f32_e32 v1, v1, v4
	scratch_load_b32 v4, off, off offset:132 ; 4-byte Folded Reload
	s_wait_loadcnt 0x0
	v_fma_f32 v0, v0, v4, -v1
	v_add_nc_u32_e32 v1, s16, v185
	s_delay_alu instid0(VALU_DEP_2)
	v_add_f32_e32 v127, v127, v0
	ds_load_2addr_b32 v[94:95], v1 offset1:1
	ds_load_2addr_b32 v[125:126], v1 offset0:4 offset1:5
	v_add3_u32 v0, s13, v186, v128
	scratch_store_b32 off, v127, off offset:828 ; 4-byte Folded Spill
	ds_load_2addr_b32 v[127:128], v1 offset0:6 offset1:7
	s_wait_dscnt 0x2
	v_and_b32_e32 v4, 15, v94
	v_bfe_u32 v5, v94, 16, 4
	s_wait_dscnt 0x1
	v_bfe_u32 v74, v125, 24, 4
	v_bfe_u32 v226, v95, 24, 4
	v_and_b32_e32 v99, 15, v125
	s_clause 0x2
	scratch_store_b32 off, v4, off offset:440
	scratch_store_b32 off, v5, off offset:444
	scratch_store_b32 off, v74, off offset:436
	v_mul_i32_i24_e32 v14, v131, v4
	v_bfe_u32 v4, v94, 8, 4
	v_mul_i32_i24_e32 v92, v134, v5
	v_bfe_u32 v5, v94, 24, 4
	;; [unrolled: 2-line block ×3, first 2 shown]
	v_mad_i32_i24 v14, v133, v4, v14
	scratch_store_b32 off, v99, off offset:428 ; 4-byte Folded Spill
	v_mul_i32_i24_e32 v96, v132, v5
	v_mov_b32_e32 v114, v5
	scratch_store_b32 off, v4, off offset:384 ; 4-byte Folded Spill
	v_and_b32_e32 v4, 15, v95
	v_bfe_u32 v5, v94, 4, 4
	v_add3_u32 v14, v14, v92, v96
	s_clause 0x2
	scratch_store_b32 off, v114, off offset:388
	scratch_store_b32 off, v156, off offset:432
	;; [unrolled: 1-line block ×3, first 2 shown]
	v_mul_i32_i24_e32 v92, v107, v4
	v_bfe_u32 v4, v95, 8, 4
	scratch_store_b32 off, v4, off offset:52 ; 4-byte Folded Spill
	v_mul_i32_i24_e32 v96, v108, v4
	v_bfe_u32 v4, v95, 16, 4
	s_delay_alu instid0(VALU_DEP_2) | instskip(NEXT) | instid1(VALU_DEP_2)
	v_add3_u32 v14, v14, v96, v92
	v_mul_i32_i24_e32 v97, v109, v4
	scratch_store_b32 off, v4, off offset:56 ; 4-byte Folded Spill
	v_bfe_u32 v4, v125, 8, 4
	v_add3_u32 v14, v14, v97, v100
	ds_load_2addr_b32 v[96:97], v1 offset0:2 offset1:3
	scratch_store_b32 off, v4, off offset:68 ; 4-byte Folded Spill
	s_wait_dscnt 0x1
	v_and_b32_e32 v1, 15, v127
	s_wait_dscnt 0x0
	v_and_b32_e32 v222, 15, v96
	v_bfe_u32 v218, v96, 8, 4
	v_bfe_u32 v189, v96, 16, 4
	;; [unrolled: 1-line block ×3, first 2 shown]
	v_and_b32_e32 v181, 15, v97
	v_mul_i32_i24_e32 v92, v103, v222
	v_mul_i32_i24_e32 v100, v104, v218
	;; [unrolled: 1-line block ×4, first 2 shown]
	v_bfe_u32 v178, v97, 8, 4
	v_bfe_u32 v160, v97, 16, 4
	v_add3_u32 v14, v14, v100, v92
	v_mul_i32_i24_e32 v92, v90, v181
	v_bfe_u32 v158, v97, 24, 4
	v_mul_i32_i24_e32 v100, v91, v178
	s_clause 0x5
	scratch_store_b32 off, v226, off offset:392
	scratch_store_b32 off, v222, off offset:396
	;; [unrolled: 1-line block ×6, first 2 shown]
	v_add3_u32 v14, v14, v101, v102
	v_mul_i32_i24_e32 v101, v93, v160
	v_mul_i32_i24_e32 v102, v98, v158
	s_clause 0x2
	scratch_store_b32 off, v178, off offset:416
	scratch_store_b32 off, v160, off offset:420
	scratch_store_b32 off, v158, off offset:424
	v_add3_u32 v14, v14, v100, v92
	v_mul_i32_i24_e32 v92, v86, v99
	v_mul_i32_i24_e32 v100, v87, v4
	v_and_b32_e32 v4, 15, v126
	s_delay_alu instid0(VALU_DEP_4)
	v_add3_u32 v14, v14, v101, v102
	v_mul_i32_i24_e32 v101, v88, v156
	v_mul_i32_i24_e32 v102, v89, v74
	scratch_store_b32 off, v4, off offset:60 ; 4-byte Folded Spill
	v_add3_u32 v14, v14, v100, v92
	v_mul_i32_i24_e32 v92, v82, v4
	v_bfe_u32 v4, v126, 8, 4
	s_delay_alu instid0(VALU_DEP_3) | instskip(SKIP_3) | instid1(VALU_DEP_2)
	v_add3_u32 v14, v14, v101, v102
	scratch_store_b32 off, v4, off offset:64 ; 4-byte Folded Spill
	v_mul_i32_i24_e32 v100, v83, v4
	v_bfe_u32 v4, v126, 16, 4
	v_add3_u32 v14, v14, v100, v92
	scratch_store_b32 off, v4, off offset:1164 ; 4-byte Folded Spill
	v_mul_i32_i24_e32 v101, v84, v4
	v_bfe_u32 v4, v126, 24, 4
	scratch_store_b32 off, v4, off offset:584 ; 4-byte Folded Spill
	v_mul_i32_i24_e32 v102, v85, v4
	v_bfe_u32 v4, v127, 8, 4
	scratch_store_b32 off, v1, off offset:1168 ; 4-byte Folded Spill
	v_mul_i32_i24_e32 v1, v78, v1
	v_add3_u32 v14, v14, v101, v102
	scratch_store_b32 off, v4, off offset:1172 ; 4-byte Folded Spill
	v_mul_i32_i24_e32 v92, v79, v4
	v_bfe_u32 v4, v127, 24, 4
	v_bfe_u32 v102, v127, 16, 4
	s_delay_alu instid0(VALU_DEP_3)
	v_add3_u32 v1, v14, v92, v1
	scratch_store_b32 off, v4, off offset:348 ; 4-byte Folded Spill
	v_mul_i32_i24_e32 v101, v81, v4
	v_and_b32_e32 v4, 15, v128
	v_mul_i32_i24_e32 v100, v80, v102
	scratch_store_b32 off, v4, off offset:352 ; 4-byte Folded Spill
	v_mul_i32_i24_e32 v14, v47, v4
	v_bfe_u32 v4, v128, 8, 4
	v_add3_u32 v1, v1, v100, v101
	scratch_store_b32 off, v4, off offset:356 ; 4-byte Folded Spill
	v_mul_i32_i24_e32 v92, v66, v4
	v_bfe_u32 v4, v128, 16, 4
	s_delay_alu instid0(VALU_DEP_2)
	v_add3_u32 v1, v1, v92, v14
	scratch_store_b32 off, v4, off offset:36 ; 4-byte Folded Spill
	v_mul_i32_i24_e32 v100, v67, v4
	v_bfe_u32 v4, v128, 24, 4
	v_mul_i32_i24_e32 v92, v51, v5
	scratch_store_b32 off, v4, off offset:360 ; 4-byte Folded Spill
	ds_load_u16 v14, v0
	ds_load_u16 v0, v0 offset:8
	v_mul_i32_i24_e32 v101, v68, v4
	scratch_store_b32 off, v5, off offset:1176 ; 4-byte Folded Spill
	v_bfe_u32 v5, v94, 12, 4
	v_add3_u32 v1, v1, v100, v101
	v_lshrrev_b32_e32 v101, 28, v94
	s_delay_alu instid0(VALU_DEP_3)
	v_mad_i32_i24 v92, v50, v5, v92
	s_wait_dscnt 0x1
	v_and_b32_e32 v4, 0xff, v14
	v_lshrrev_b16 v129, 8, v14
	scratch_store_b32 off, v4, off offset:572 ; 4-byte Folded Spill
	v_mul_lo_u32 v1, v1, v4
	s_wait_dscnt 0x0
	v_cvt_f32_ubyte0_e32 v4, v0
	v_cvt_f32_ubyte1_e32 v0, v0
	scratch_store_b32 off, v4, off offset:580 ; 4-byte Folded Spill
	v_fma_mix_f32 v14, v2, v4, 0 op_sel:[1,0,0] op_sel_hi:[1,0,0]
	v_bfe_u32 v4, v94, 20, 4
	v_mul_i32_i24_e32 v94, v46, v101
	v_cvt_f32_i32_e32 v1, v1
	scratch_store_b32 off, v4, off offset:1180 ; 4-byte Folded Spill
	v_mul_i32_i24_e32 v100, v49, v4
	v_bfe_u32 v4, v95, 20, 4
	v_fma_mix_f32 v1, v2, v1, 0 op_sel_hi:[1,0,0]
	s_delay_alu instid0(VALU_DEP_3)
	v_add3_u32 v182, v92, v100, v94
	scratch_store_b32 off, v4, off offset:576 ; 4-byte Folded Spill
	v_mul_i32_i24_e32 v185, v52, v4
	v_bfe_u32 v4, v96, 20, 4
	v_bfe_u32 v100, v95, 4, 4
	v_mov_b32_e32 v94, v238
	v_dual_mov_b32 v238, v233 :: v_dual_mov_b32 v233, v171
	scratch_store_b32 off, v4, off offset:984 ; 4-byte Folded Spill
	v_mul_i32_i24_e32 v191, v54, v4
	v_lshrrev_b32_e32 v4, 28, v96
	v_mul_i32_i24_e32 v183, v44, v100
	scratch_store_b32 off, v100, off offset:1236 ; 4-byte Folded Spill
	v_mov_b32_e32 v171, v112
	scratch_store_b32 off, v4, off offset:1188 ; 4-byte Folded Spill
	v_mul_i32_i24_e32 v192, v43, v4
	v_bfe_u32 v4, v97, 20, 4
	scratch_store_b32 off, v5, off offset:588 ; 4-byte Folded Spill
	v_bfe_u32 v5, v95, 12, 4
	v_lshrrev_b32_e32 v95, 28, v95
	scratch_store_b32 off, v4, off offset:592 ; 4-byte Folded Spill
	v_mul_i32_i24_e32 v195, v56, v4
	scratch_store_b32 off, v5, off offset:40 ; 4-byte Folded Spill
	v_mul_i32_i24_e32 v184, v53, v5
	v_bfe_u32 v5, v96, 4, 4
	v_mul_i32_i24_e32 v186, v45, v95
	v_lshrrev_b32_e32 v4, 28, v97
	scratch_store_b32 off, v95, off offset:1244 ; 4-byte Folded Spill
	v_add3_u32 v182, v182, v183, v184
	scratch_store_b32 off, v5, off offset:1184 ; 4-byte Folded Spill
	v_mul_i32_i24_e32 v187, v42, v5
	v_bfe_u32 v5, v96, 12, 4
	scratch_store_b32 off, v4, off offset:560 ; 4-byte Folded Spill
	v_add3_u32 v182, v182, v185, v186
	v_mul_i32_i24_e32 v196, v41, v4
	v_bfe_u32 v4, v125, 20, 4
	scratch_store_b32 off, v5, off offset:364 ; 4-byte Folded Spill
	v_mul_i32_i24_e32 v190, v55, v5
	v_bfe_u32 v5, v97, 4, 4
	v_mov_b32_e32 v96, v167
	scratch_store_b32 off, v4, off offset:596 ; 4-byte Folded Spill
	v_mul_i32_i24_e32 v199, v58, v4
	v_add3_u32 v182, v182, v187, v190
	scratch_store_b32 off, v5, off offset:988 ; 4-byte Folded Spill
	v_mul_i32_i24_e32 v193, v40, v5
	v_bfe_u32 v5, v97, 12, 4
	v_lshrrev_b32_e32 v4, 28, v125
	v_add3_u32 v182, v182, v191, v192
	v_mov_b32_e32 v167, v110
	scratch_store_b32 off, v5, off offset:368 ; 4-byte Folded Spill
	v_mul_i32_i24_e32 v194, v57, v5
	v_bfe_u32 v5, v125, 4, 4
	scratch_store_b32 off, v4, off offset:600 ; 4-byte Folded Spill
	v_mul_i32_i24_e32 v200, v39, v4
	v_bfe_u32 v4, v126, 20, 4
	v_add3_u32 v182, v182, v193, v194
	scratch_store_b32 off, v5, off offset:1192 ; 4-byte Folded Spill
	v_mul_i32_i24_e32 v197, v60, v5
	v_bfe_u32 v5, v125, 12, 4
	scratch_store_b32 off, v4, off offset:604 ; 4-byte Folded Spill
	v_add3_u32 v182, v182, v195, v196
	v_mul_i32_i24_e32 v203, v61, v4
	v_lshrrev_b32_e32 v4, 28, v126
	scratch_store_b32 off, v5, off offset:44 ; 4-byte Folded Spill
	v_mul_i32_i24_e32 v198, v59, v5
	v_bfe_u32 v5, v126, 4, 4
	scratch_store_b32 off, v4, off offset:608 ; 4-byte Folded Spill
	v_mul_i32_i24_e32 v204, v38, v4
	v_add3_u32 v182, v182, v197, v198
	scratch_store_b32 off, v5, off offset:1196 ; 4-byte Folded Spill
	v_mul_i32_i24_e32 v201, v63, v5
	v_bfe_u32 v5, v126, 12, 4
	v_bfe_u32 v4, v127, 20, 4
	v_add3_u32 v182, v182, v199, v200
	v_bfe_u32 v126, v128, 20, 4
	scratch_store_b32 off, v5, off offset:372 ; 4-byte Folded Spill
	v_mul_i32_i24_e32 v202, v62, v5
	v_bfe_u32 v5, v127, 4, 4
	scratch_store_b32 off, v4, off offset:612 ; 4-byte Folded Spill
	v_mul_i32_i24_e32 v207, v64, v4
	v_lshrrev_b32_e32 v4, 28, v127
	v_add3_u32 v182, v182, v201, v202
	scratch_store_b32 off, v5, off offset:1200 ; 4-byte Folded Spill
	v_mul_i32_i24_e32 v205, v36, v5
	v_bfe_u32 v5, v127, 12, 4
	v_mul_i32_i24_e32 v208, v37, v4
	v_add3_u32 v182, v182, v203, v204
	scratch_store_b32 off, v4, off offset:616 ; 4-byte Folded Spill
	v_lshrrev_b32_e32 v4, 28, v128
	scratch_store_b32 off, v5, off offset:376 ; 4-byte Folded Spill
	v_mul_i32_i24_e32 v206, v65, v5
	v_bfe_u32 v5, v128, 4, 4
	v_mul_i32_i24_e32 v211, v48, v126
	s_clause 0x1
	scratch_store_b32 off, v4, off offset:620
	scratch_store_b32 off, v0, off offset:628
	v_add3_u32 v182, v182, v205, v206
	scratch_store_b32 off, v5, off offset:1204 ; 4-byte Folded Spill
	v_mul_i32_i24_e32 v209, v33, v5
	v_bfe_u32 v5, v128, 12, 4
	v_mul_i32_i24_e32 v128, v35, v4
	v_add3_u32 v182, v182, v207, v208
	v_and_b32_e32 v4, 0xffff, v129
	v_fma_mix_f32 v0, v3, v0, v14 op_sel:[1,0,0] op_sel_hi:[1,0,0]
	v_mul_i32_i24_e32 v210, v34, v5
	scratch_store_b32 off, v5, off offset:380 ; 4-byte Folded Spill
	v_add3_u32 v14, s13, v253, v180
	scratch_store_b32 off, v4, off offset:496 ; 4-byte Folded Spill
	v_add3_u32 v182, v182, v209, v210
	scratch_load_b32 v210, off, off offset:136 ; 4-byte Folded Reload
	v_add3_u32 v182, v182, v211, v128
	scratch_load_b32 v211, off, off offset:148 ; 4-byte Folded Reload
	v_mul_lo_u32 v129, v182, v4
	s_delay_alu instid0(VALU_DEP_1) | instskip(NEXT) | instid1(VALU_DEP_1)
	v_cvt_f32_i32_e32 v129, v129
	v_fma_mix_f32 v1, v3, v129, v1 op_sel_hi:[1,0,0]
	s_wait_loadcnt 0x0
	v_mul_f32_e32 v0, v0, v211
	s_delay_alu instid0(VALU_DEP_1) | instskip(NEXT) | instid1(VALU_DEP_1)
	v_fma_f32 v0, v1, v210, -v0
	v_add_f32_e32 v240, v240, v0
	v_dual_mov_b32 v70, v143 :: v_dual_mov_b32 v143, v216
	v_mov_b32_e32 v216, v146
	v_add_nc_u32_e32 v0, s16, v245
	scratch_store_b32 off, v240, off offset:832 ; 4-byte Folded Spill
	v_mov_b32_e32 v146, v164
	ds_load_2addr_b32 v[182:183], v0 offset1:1
	s_wait_dscnt 0x0
	v_and_b32_e32 v209, 15, v182
	v_bfe_u32 v4, v182, 8, 4
	v_bfe_u32 v5, v182, 16, 4
	v_and_b32_e32 v217, 15, v183
	v_bfe_u32 v212, v183, 8, 4
	v_mul_i32_i24_e32 v1, v131, v209
	s_clause 0x1
	scratch_store_b32 off, v4, off offset:324
	scratch_store_b32 off, v5, off offset:320
	v_mul_i32_i24_e32 v184, v134, v5
	v_bfe_u32 v5, v182, 24, 4
	v_mad_i32_i24 v1, v133, v4, v1
	v_bfe_u32 v4, v183, 16, 4
	scratch_store_b32 off, v217, off offset:860 ; 4-byte Folded Spill
	v_mul_i32_i24_e32 v185, v132, v5
	s_clause 0x1
	scratch_store_b32 off, v5, off offset:328
	scratch_store_b32 off, v4, off offset:332
	v_mul_i32_i24_e32 v186, v109, v4
	v_bfe_u32 v4, v183, 24, 4
	v_add3_u32 v1, v1, v184, v185
	v_mul_i32_i24_e32 v184, v107, v217
	v_mul_i32_i24_e32 v185, v108, v212
	v_bfe_u32 v5, v182, 4, 4
	scratch_store_b32 off, v4, off offset:336 ; 4-byte Folded Spill
	v_mul_i32_i24_e32 v187, v130, v4
	v_add3_u32 v1, v1, v185, v184
	ds_load_2addr_b32 v[184:185], v0 offset0:2 offset1:3
	v_add3_u32 v1, v1, v186, v187
	s_wait_dscnt 0x0
	v_bfe_u32 v4, v184, 8, 4
	v_and_b32_e32 v219, 15, v184
	v_bfe_u32 v240, v184, 24, 4
	s_clause 0x2
	scratch_store_b32 off, v126, off offset:1076
	scratch_store_b32 off, v212, off offset:864
	;; [unrolled: 1-line block ×3, first 2 shown]
	v_mul_i32_i24_e32 v187, v104, v4
	v_bfe_u32 v4, v184, 16, 4
	v_mul_i32_i24_e32 v186, v103, v219
	v_mul_i32_i24_e32 v191, v106, v240
	s_clause 0x1
	scratch_store_b32 off, v219, off offset:868
	scratch_store_b32 off, v4, off offset:624
	v_mul_i32_i24_e32 v190, v105, v4
	v_and_b32_e32 v4, 15, v185
	v_add3_u32 v1, v1, v187, v186
	scratch_store_b32 off, v4, off offset:72 ; 4-byte Folded Spill
	v_mul_i32_i24_e32 v186, v90, v4
	v_bfe_u32 v4, v185, 8, 4
	v_add3_u32 v1, v1, v190, v191
	s_delay_alu instid0(VALU_DEP_2)
	v_mul_i32_i24_e32 v187, v91, v4
	scratch_store_b32 off, v4, off offset:76 ; 4-byte Folded Spill
	v_bfe_u32 v4, v185, 16, 4
	v_add3_u32 v1, v1, v187, v186
	ds_load_2addr_b32 v[186:187], v0 offset0:4 offset1:5
	scratch_store_b32 off, v4, off offset:80 ; 4-byte Folded Spill
	v_mul_i32_i24_e32 v190, v93, v4
	v_bfe_u32 v4, v185, 24, 4
	scratch_store_b32 off, v4, off offset:84 ; 4-byte Folded Spill
	v_mul_i32_i24_e32 v191, v98, v4
	s_delay_alu instid0(VALU_DEP_1)
	v_add3_u32 v1, v1, v190, v191
	s_wait_dscnt 0x0
	v_and_b32_e32 v4, 15, v186
	v_bfe_u32 v76, v187, 24, 4
	v_and_b32_e32 v249, 15, v187
	v_bfe_u32 v208, v187, 8, 4
	v_bfe_u32 v92, v187, 16, 4
	scratch_store_b32 off, v4, off offset:88 ; 4-byte Folded Spill
	v_mul_i32_i24_e32 v190, v86, v4
	v_bfe_u32 v4, v186, 8, 4
	s_clause 0x1
	scratch_store_b32 off, v208, off offset:1116
	scratch_store_b32 off, v76, off offset:648
	v_bfe_u32 v254, v186, 12, 4
	s_clause 0x1
	scratch_store_b32 off, v92, off offset:1120
	scratch_store_b32 off, v4, off offset:652
	v_mul_i32_i24_e32 v191, v87, v4
	v_bfe_u32 v4, v186, 16, 4
	v_bfe_u32 v255, v186, 4, 4
	;; [unrolled: 1-line block ×3, first 2 shown]
	v_mul_i32_i24_e32 v19, v59, v254
	v_add3_u32 v1, v1, v191, v190
	scratch_store_b32 off, v4, off offset:92 ; 4-byte Folded Spill
	v_mul_i32_i24_e32 v192, v88, v4
	v_bfe_u32 v4, v186, 24, 4
	v_mul_i32_i24_e32 v190, v82, v249
	v_mul_i32_i24_e32 v191, v83, v208
	;; [unrolled: 1-line block ×3, first 2 shown]
	v_lshrrev_b32_e32 v252, 28, v186
	v_mul_i32_i24_e32 v193, v89, v4
	scratch_store_b32 off, v4, off offset:656 ; 4-byte Folded Spill
	v_mul_i32_i24_e32 v18, v58, v253
	v_bfe_u32 v251, v187, 4, 4
	v_mul_i32_i24_e32 v17, v39, v252
	v_add3_u32 v1, v1, v192, v193
	v_mul_i32_i24_e32 v192, v84, v92
	v_mul_i32_i24_e32 v193, v85, v76
	v_bfe_u32 v248, v187, 12, 4
	v_bfe_u32 v245, v187, 20, 4
	v_add3_u32 v1, v1, v191, v190
	v_mul_i32_i24_e32 v13, v63, v251
	v_lshrrev_b32_e32 v244, 28, v187
	v_mul_i32_i24_e32 v12, v62, v248
	v_mul_i32_i24_e32 v11, v61, v245
	v_add3_u32 v190, v1, v192, v193
	ds_load_2addr_b32 v[0:1], v0 offset0:6 offset1:7
	v_mul_i32_i24_e32 v10, v38, v244
	s_wait_dscnt 0x0
	v_dual_mov_b32 v187, v173 :: v_dual_and_b32 v4, 15, v0
	v_bfe_u32 v179, v0, 24, 4
	v_bfe_u32 v125, v1, 8, 4
	;; [unrolled: 1-line block ×4, first 2 shown]
	scratch_store_b32 off, v4, off offset:848 ; 4-byte Folded Spill
	v_mul_i32_i24_e32 v191, v78, v4
	v_bfe_u32 v4, v0, 8, 4
	scratch_store_b32 off, v209, off offset:856 ; 4-byte Folded Spill
	v_mul_i32_i24_e32 v194, v81, v179
	s_clause 0x3
	scratch_store_b32 off, v179, off offset:1104
	scratch_store_b32 off, v249, off offset:1112
	;; [unrolled: 1-line block ×4, first 2 shown]
	v_mul_i32_i24_e32 v192, v79, v4
	v_bfe_u32 v4, v0, 16, 4
	v_bfe_u32 v236, v0, 20, 4
	v_mul_i32_i24_e32 v9, v36, v239
	v_mul_i32_i24_e32 v8, v65, v237
	v_add3_u32 v190, v190, v192, v191
	scratch_store_b32 off, v4, off offset:844 ; 4-byte Folded Spill
	v_mul_i32_i24_e32 v193, v80, v4
	v_and_b32_e32 v4, 15, v1
	v_mul_i32_i24_e32 v192, v66, v125
	v_lshrrev_b32_e32 v234, 28, v0
	v_mul_i32_i24_e32 v7, v64, v236
	v_add3_u32 v190, v190, v193, v194
	scratch_store_b32 off, v4, off offset:840 ; 4-byte Folded Spill
	v_mul_i32_i24_e32 v191, v47, v4
	v_bfe_u32 v4, v1, 16, 4
	v_mul_i32_i24_e32 v6, v37, v234
	v_bfe_u32 v215, v1, 4, 4
	v_bfe_u32 v75, v1, 20, 4
	v_add3_u32 v190, v190, v192, v191
	scratch_store_b32 off, v4, off offset:312 ; 4-byte Folded Spill
	v_mul_i32_i24_e32 v193, v67, v4
	v_bfe_u32 v4, v1, 24, 4
	scratch_store_b32 off, v4, off offset:316 ; 4-byte Folded Spill
	ds_load_u16 v191, v14
	ds_load_u16 v14, v14 offset:8
	v_mul_i32_i24_e32 v194, v68, v4
	s_clause 0x3
	scratch_store_b32 off, v5, off offset:308
	scratch_store_b32 off, v255, off offset:632
	;; [unrolled: 1-line block ×4, first 2 shown]
	v_add3_u32 v190, v190, v193, v194
	s_clause 0xa
	scratch_store_b32 off, v252, off offset:1128
	scratch_store_b32 off, v251, off offset:1132
	;; [unrolled: 1-line block ×11, first 2 shown]
	s_wait_dscnt 0x1
	v_and_b32_e32 v4, 0xff, v191
	v_lshrrev_b16 v16, 8, v191
	s_wait_dscnt 0x0
	v_cvt_f32_ubyte0_e32 v180, v14
	s_delay_alu instid0(VALU_DEP_3)
	v_mul_lo_u32 v190, v190, v4
	scratch_store_b32 off, v4, off offset:116 ; 4-byte Folded Spill
	v_bfe_u32 v4, v182, 20, 4
	v_fma_mix_f32 v32, v2, v180, 0 op_sel:[1,0,0] op_sel_hi:[1,0,0]
	s_clause 0x1
	scratch_store_b32 off, v180, off offset:1100
	scratch_store_b32 off, v4, off offset:304
	v_cvt_f32_i32_e32 v190, v190
	v_mul_i32_i24_e32 v191, v49, v4
	v_lshrrev_b32_e32 v4, 28, v182
	s_delay_alu instid0(VALU_DEP_3)
	v_fma_mix_f32 v15, v2, v190, 0 op_sel_hi:[1,0,0]
	v_mul_i32_i24_e32 v190, v51, v5
	v_bfe_u32 v5, v182, 12, 4
	scratch_store_b32 off, v4, off offset:112 ; 4-byte Folded Spill
	v_mul_i32_i24_e32 v182, v46, v4
	v_bfe_u32 v4, v183, 20, 4
	scratch_store_b32 off, v5, off offset:660 ; 4-byte Folded Spill
	v_mad_i32_i24 v190, v50, v5, v190
	v_bfe_u32 v5, v183, 4, 4
	scratch_store_b32 off, v4, off offset:668 ; 4-byte Folded Spill
	v_mul_i32_i24_e32 v30, v52, v4
	v_lshrrev_b32_e32 v4, 28, v183
	v_add3_u32 v182, v190, v191, v182
	scratch_store_b32 off, v5, off offset:664 ; 4-byte Folded Spill
	v_mul_i32_i24_e32 v31, v44, v5
	v_bfe_u32 v5, v183, 12, 4
	v_mul_i32_i24_e32 v183, v45, v4
	scratch_store_b32 off, v5, off offset:672 ; 4-byte Folded Spill
	v_mul_i32_i24_e32 v29, v53, v5
	v_bfe_u32 v5, v184, 4, 4
	scratch_store_b32 off, v4, off offset:96 ; 4-byte Folded Spill
	v_bfe_u32 v4, v184, 20, 4
	v_add3_u32 v29, v182, v31, v29
	scratch_store_b32 off, v5, off offset:100 ; 4-byte Folded Spill
	v_mul_i32_i24_e32 v28, v42, v5
	scratch_store_b32 off, v4, off offset:4 ; 4-byte Folded Spill
	v_bfe_u32 v5, v184, 12, 4
	v_mul_i32_i24_e32 v26, v54, v4
	v_lshrrev_b32_e32 v4, 28, v184
	v_add3_u32 v29, v29, v30, v183
	v_bfe_u32 v184, v1, 12, 4
	scratch_store_b32 off, v5, off offset:104 ; 4-byte Folded Spill
	v_mul_i32_i24_e32 v27, v55, v5
	scratch_store_b32 off, v4, off offset:12 ; 4-byte Folded Spill
	v_mul_i32_i24_e32 v25, v43, v4
	v_bfe_u32 v4, v185, 20, 4
	v_bfe_u32 v5, v185, 4, 4
	v_add3_u32 v27, v29, v28, v27
	v_mul_i32_i24_e32 v0, v34, v184
	v_lshrrev_b32_e32 v1, 28, v1
	s_clause 0x1
	scratch_store_b32 off, v4, off offset:124
	scratch_store_b32 off, v5, off offset:120
	v_mul_i32_i24_e32 v24, v40, v5
	v_bfe_u32 v5, v185, 12, 4
	v_mul_i32_i24_e32 v22, v56, v4
	v_lshrrev_b32_e32 v4, 28, v185
	v_add3_u32 v25, v27, v26, v25
	scratch_store_b32 off, v1, off offset:640 ; 4-byte Folded Spill
	v_mul_i32_i24_e32 v23, v57, v5
	s_clause 0x1
	scratch_store_b32 off, v5, off offset:128
	scratch_store_b32 off, v4, off offset:108
	v_mul_i32_i24_e32 v21, v41, v4
	v_mul_i32_i24_e32 v5, v33, v215
	v_add3_u32 v23, v25, v24, v23
	v_mul_i32_i24_e32 v4, v48, v75
	v_mul_i32_i24_e32 v1, v35, v1
	scratch_store_b32 off, v184, off offset:1144 ; 4-byte Folded Spill
	v_add3_u32 v21, v23, v22, v21
	s_delay_alu instid0(VALU_DEP_1) | instskip(NEXT) | instid1(VALU_DEP_1)
	v_add3_u32 v19, v21, v20, v19
	v_add3_u32 v17, v19, v18, v17
	s_delay_alu instid0(VALU_DEP_1) | instskip(NEXT) | instid1(VALU_DEP_1)
	v_add3_u32 v12, v17, v13, v12
	;; [unrolled: 3-line block ×4, first 2 shown]
	v_add3_u32 v0, v0, v4, v1
	scratch_load_b32 v4, off, off offset:16 ; 4-byte Folded Reload
	v_and_b32_e32 v1, 0xffff, v16
	scratch_store_b32 off, v1, off offset:644 ; 4-byte Folded Spill
	v_mul_lo_u32 v0, v0, v1
	v_cvt_f32_ubyte1_e32 v1, v14
	scratch_store_b32 off, v1, off offset:500 ; 4-byte Folded Spill
	v_fma_mix_f32 v1, v3, v1, v32 op_sel:[1,0,0] op_sel_hi:[1,0,0]
	v_cvt_f32_i32_e32 v0, v0
	s_delay_alu instid0(VALU_DEP_1) | instskip(SKIP_1) | instid1(VALU_DEP_3)
	v_fma_mix_f32 v0, v3, v0, v15 op_sel_hi:[1,0,0]
	s_wait_loadcnt 0x0
	v_mul_f32_e32 v1, v1, v4
	scratch_load_b32 v4, off, off offset:140 ; 4-byte Folded Reload
	s_wait_loadcnt 0x0
	v_fma_f32 v0, v0, v4, -v1
	scratch_load_b32 v1, off, off offset:800 ; 4-byte Folded Reload
	s_wait_loadcnt 0x0
	v_add_f32_e32 v1, v1, v0
	scratch_store_b32 off, v1, off offset:800 ; 4-byte Folded Spill
	s_clause 0x1
	scratch_load_b32 v0, off, off offset:1300
	scratch_load_b32 v1, off, off offset:1324
	s_wait_loadcnt 0x0
	v_add3_u32 v4, s13, v1, v0
	scratch_load_b32 v0, off, off offset:1304 ; 4-byte Folded Reload
	s_wait_loadcnt 0x0
	v_add_nc_u32_e32 v5, s16, v0
	ds_load_2addr_b32 v[0:1], v5 offset1:1
	ds_load_2addr_b32 v[19:20], v5 offset0:2 offset1:3
	ds_load_2addr_b32 v[21:22], v5 offset0:4 offset1:5
	;; [unrolled: 1-line block ×3, first 2 shown]
	s_wait_dscnt 0x3
	v_and_b32_e32 v7, 15, v0
	v_bfe_u32 v175, v0, 8, 4
	v_bfe_u32 v177, v0, 16, 4
	;; [unrolled: 1-line block ×3, first 2 shown]
	v_and_b32_e32 v174, 15, v1
	v_mul_i32_i24_e32 v6, v131, v7
	v_mov_b32_e32 v183, v7
	v_mul_i32_i24_e32 v7, v134, v177
	v_mul_i32_i24_e32 v8, v132, v176
	v_bfe_u32 v169, v1, 8, 4
	v_mad_i32_i24 v6, v133, v175, v6
	v_bfe_u32 v161, v1, 16, 4
	v_bfe_u32 v155, v1, 24, 4
	s_wait_dscnt 0x2
	v_and_b32_e32 v136, 15, v19
	v_bfe_u32 v135, v19, 8, 4
	v_add3_u32 v6, v6, v7, v8
	v_mul_i32_i24_e32 v7, v107, v174
	v_mul_i32_i24_e32 v8, v108, v169
	;; [unrolled: 1-line block ×4, first 2 shown]
	v_bfe_u32 v124, v19, 16, 4
	s_wait_dscnt 0x0
	v_and_b32_e32 v5, 15, v23
	v_add3_u32 v6, v6, v8, v7
	v_mul_i32_i24_e32 v7, v103, v136
	v_mul_i32_i24_e32 v8, v104, v135
	s_clause 0x1
	scratch_store_b32 off, v161, off offset:288
	scratch_store_b32 off, v5, off offset:1028
	v_add3_u32 v6, v6, v9, v10
	v_bfe_u32 v10, v19, 24, 4
	v_mul_i32_i24_e32 v9, v105, v124
	v_mul_i32_i24_e32 v5, v78, v5
	v_bfe_u32 v26, v22, 12, 4
	v_add3_u32 v6, v6, v8, v7
	scratch_store_b32 off, v10, off offset:520 ; 4-byte Folded Spill
	v_mul_i32_i24_e32 v10, v106, v10
	v_and_b32_e32 v7, 15, v20
	v_bfe_u32 v8, v20, 8, 4
	v_and_b32_e32 v71, 15, v24
	scratch_store_b32 off, v183, off offset:1232 ; 4-byte Folded Spill
	v_add3_u32 v6, v6, v9, v10
	s_clause 0x1
	scratch_store_b32 off, v7, off offset:504
	scratch_store_b32 off, v8, off offset:508
	v_mul_i32_i24_e32 v7, v90, v7
	v_mul_i32_i24_e32 v8, v91, v8
	v_bfe_u32 v9, v20, 16, 4
	v_bfe_u32 v10, v20, 24, 4
	s_clause 0x4
	scratch_store_b32 off, v177, off offset:956
	scratch_store_b32 off, v176, off offset:960
	;; [unrolled: 1-line block ×5, first 2 shown]
	v_mul_i32_i24_e32 v9, v93, v9
	v_mul_i32_i24_e32 v10, v98, v10
	v_add3_u32 v6, v6, v8, v7
	v_and_b32_e32 v7, 15, v21
	v_bfe_u32 v8, v21, 8, 4
	s_clause 0x1
	scratch_store_b32 off, v174, off offset:280
	scratch_store_b32 off, v169, off offset:284
	v_add3_u32 v6, v6, v9, v10
	s_clause 0x2
	scratch_store_b32 off, v7, off offset:996
	scratch_store_b32 off, v135, off offset:968
	;; [unrolled: 1-line block ×3, first 2 shown]
	v_mul_i32_i24_e32 v7, v86, v7
	v_bfe_u32 v9, v21, 16, 4
	scratch_store_b32 off, v8, off offset:1000 ; 4-byte Folded Spill
	v_mul_i32_i24_e32 v8, v87, v8
	v_bfe_u32 v10, v21, 24, 4
	v_bfe_u32 v15, v20, 12, 4
	scratch_store_b32 off, v9, off offset:1004 ; 4-byte Folded Spill
	v_mul_i32_i24_e32 v9, v88, v9
	v_add3_u32 v6, v6, v8, v7
	v_and_b32_e32 v7, 15, v22
	scratch_store_b32 off, v10, off offset:1008 ; 4-byte Folded Spill
	v_mul_i32_i24_e32 v10, v89, v10
	v_bfe_u32 v8, v22, 8, 4
	s_clause 0x1
	scratch_store_b32 off, v175, off offset:276
	scratch_store_b32 off, v7, off offset:1012
	v_mul_i32_i24_e32 v7, v82, v7
	v_add3_u32 v6, v6, v9, v10
	v_bfe_u32 v9, v22, 16, 4
	scratch_store_b32 off, v8, off offset:1016 ; 4-byte Folded Spill
	v_mul_i32_i24_e32 v8, v83, v8
	v_bfe_u32 v10, v22, 24, 4
	v_lshrrev_b32_e32 v118, 28, v20
	scratch_store_b32 off, v9, off offset:1020 ; 4-byte Folded Spill
	v_mul_i32_i24_e32 v9, v84, v9
	v_add3_u32 v6, v6, v8, v7
	scratch_store_b32 off, v10, off offset:1024 ; 4-byte Folded Spill
	v_mul_i32_i24_e32 v10, v85, v10
	v_bfe_u32 v7, v23, 8, 4
	scratch_store_b32 off, v155, off offset:292 ; 4-byte Folded Spill
	v_bfe_u32 v8, v23, 16, 4
	v_bfe_u32 v18, v21, 4, 4
	v_add3_u32 v6, v6, v9, v10
	scratch_store_b32 off, v7, off offset:296 ; 4-byte Folded Spill
	v_mul_i32_i24_e32 v7, v79, v7
	v_bfe_u32 v9, v23, 24, 4
	scratch_store_b32 off, v8, off offset:1032 ; 4-byte Folded Spill
	v_mul_i32_i24_e32 v8, v80, v8
	v_bfe_u32 v123, v1, 20, 4
	v_add3_u32 v5, v6, v7, v5
	scratch_store_b32 off, v9, off offset:32 ; 4-byte Folded Spill
	v_mul_i32_i24_e32 v9, v81, v9
	v_bfe_u32 v7, v24, 8, 4
	v_mul_i32_i24_e32 v6, v47, v71
	scratch_store_b32 off, v71, off offset:1212 ; 4-byte Folded Spill
	v_lshrrev_b32_e32 v120, 28, v1
	v_add3_u32 v5, v5, v8, v9
	v_bfe_u32 v8, v24, 16, 4
	v_bfe_u32 v9, v24, 24, 4
	scratch_store_b32 off, v7, off offset:1208 ; 4-byte Folded Spill
	v_mul_i32_i24_e32 v7, v66, v7
	v_bfe_u32 v13, v19, 20, 4
	s_clause 0x1
	scratch_store_b32 off, v8, off offset:564
	scratch_store_b32 off, v9, off offset:568
	v_mul_i32_i24_e32 v8, v67, v8
	v_add3_u32 v5, v5, v7, v6
	ds_load_u16 v6, v4
	ds_load_u16 v4, v4 offset:8
	v_mul_i32_i24_e32 v9, v68, v9
	v_bfe_u32 v10, v19, 4, 4
	v_bfe_u32 v11, v19, 12, 4
	s_clause 0x3
	scratch_store_b32 off, v120, off offset:244
	scratch_store_b32 off, v13, off offset:252
	;; [unrolled: 1-line block ×4, first 2 shown]
	v_add3_u32 v5, v5, v8, v9
	v_bfe_u32 v8, v0, 20, 4
	v_bfe_u32 v9, v0, 12, 4
	v_mul_i32_i24_e32 v10, v42, v10
	v_mul_i32_i24_e32 v12, v54, v13
	v_lshrrev_b32_e32 v13, 28, v19
	scratch_store_b32 off, v8, off offset:980 ; 4-byte Folded Spill
	v_mul_i32_i24_e32 v8, v49, v8
	s_clause 0x2
	scratch_store_b32 off, v9, off offset:532
	scratch_store_b32 off, v11, off offset:256
	;; [unrolled: 1-line block ×3, first 2 shown]
	s_wait_dscnt 0x1
	v_lshrrev_b16 v7, 8, v6
	v_and_b32_e32 v6, 0xff, v6
	v_mul_i32_i24_e32 v11, v55, v11
	v_bfe_u32 v16, v20, 20, 4
	v_bfe_u32 v119, v20, 4, 4
	scratch_store_b32 off, v13, off offset:260 ; 4-byte Folded Spill
	v_mul_lo_u32 v5, v5, v6
	scratch_store_b32 off, v6, off offset:300 ; 4-byte Folded Spill
	s_wait_dscnt 0x0
	v_cvt_f32_ubyte0_e32 v6, v4
	v_mul_i32_i24_e32 v13, v43, v13
	s_clause 0x1
	scratch_store_b32 off, v16, off offset:268
	scratch_store_b32 off, v119, off offset:264
	v_mul_i32_i24_e32 v14, v40, v119
	s_clause 0x2
	scratch_store_b32 off, v6, off offset:1088
	scratch_store_b32 off, v18, off offset:1092
	;; [unrolled: 1-line block ×3, first 2 shown]
	v_cvt_f32_i32_e32 v5, v5
	v_mul_i32_i24_e32 v15, v57, v15
	v_mul_i32_i24_e32 v16, v56, v16
	;; [unrolled: 1-line block ×3, first 2 shown]
	v_bfe_u32 v19, v21, 12, 4
	v_fma_mix_f32 v5, v2, v5, 0 op_sel_hi:[1,0,0]
	v_fma_mix_f32 v2, v2, v6, 0 op_sel:[1,0,0] op_sel_hi:[1,0,0]
	v_bfe_u32 v6, v0, 4, 4
	v_lshrrev_b32_e32 v0, 28, v0
	v_bfe_u32 v25, v21, 20, 4
	v_mul_i32_i24_e32 v18, v60, v18
	s_clause 0x1
	scratch_store_b32 off, v19, off offset:1096
	scratch_store_b32 off, v6, off offset:524
	v_mul_i32_i24_e32 v6, v51, v6
	scratch_store_b32 off, v0, off offset:28 ; 4-byte Folded Spill
	v_mul_i32_i24_e32 v0, v46, v0
	v_mul_i32_i24_e32 v19, v59, v19
	v_lshrrev_b32_e32 v21, 28, v21
	v_mad_i32_i24 v6, v50, v9, v6
	v_mul_i32_i24_e32 v9, v52, v123
	scratch_store_b32 off, v25, off offset:1148 ; 4-byte Folded Spill
	v_mul_i32_i24_e32 v20, v58, v25
	v_bfe_u32 v25, v22, 4, 4
	v_add3_u32 v0, v6, v8, v0
	v_bfe_u32 v6, v1, 4, 4
	v_bfe_u32 v8, v1, 12, 4
	v_mul_i32_i24_e32 v1, v45, v120
	s_clause 0x2
	scratch_store_b32 off, v21, off offset:1152
	scratch_store_b32 off, v25, off offset:1156
	;; [unrolled: 1-line block ×3, first 2 shown]
	v_mul_i32_i24_e32 v6, v44, v6
	scratch_store_b32 off, v8, off offset:240 ; 4-byte Folded Spill
	v_mul_i32_i24_e32 v8, v53, v8
	v_mul_i32_i24_e32 v21, v39, v21
	v_bfe_u32 v28, v22, 20, 4
	v_mul_i32_i24_e32 v25, v63, v25
	v_lshrrev_b32_e32 v22, 28, v22
	v_add3_u32 v0, v0, v6, v8
	scratch_store_b32 off, v26, off offset:1036 ; 4-byte Folded Spill
	v_mul_i32_i24_e32 v26, v62, v26
	v_mul_i32_i24_e32 v27, v61, v28
	v_bfe_u32 v30, v23, 20, 4
	v_add3_u32 v0, v0, v9, v1
	scratch_store_b32 off, v22, off offset:1040 ; 4-byte Folded Spill
	v_mul_i32_i24_e32 v22, v38, v22
	v_bfe_u32 v69, v23, 4, 4
	v_bfe_u32 v29, v23, 12, 4
	v_add3_u32 v0, v0, v10, v11
	s_clause 0x1
	scratch_store_b32 off, v28, off offset:1160
	scratch_store_b32 off, v30, off offset:1044
	v_mul_i32_i24_e32 v28, v36, v69
	v_lshrrev_b32_e32 v72, 28, v23
	v_add3_u32 v0, v0, v12, v13
	v_bfe_u32 v31, v24, 4, 4
	scratch_store_b32 off, v29, off offset:1048 ; 4-byte Folded Spill
	v_mul_i32_i24_e32 v29, v65, v29
	v_mul_i32_i24_e32 v30, v64, v30
	v_add3_u32 v0, v0, v14, v15
	v_mul_i32_i24_e32 v23, v37, v72
	v_bfe_u32 v32, v24, 12, 4
	v_bfe_u32 v121, v24, 20, 4
	scratch_store_b32 off, v31, off offset:1052 ; 4-byte Folded Spill
	v_add3_u32 v0, v0, v16, v17
	v_mul_i32_i24_e32 v31, v33, v31
	v_lshrrev_b32_e32 v24, 28, v24
	scratch_store_b32 off, v32, off offset:1056 ; 4-byte Folded Spill
	v_mul_i32_i24_e32 v32, v34, v32
	v_add3_u32 v0, v0, v18, v19
	v_mul_i32_i24_e32 v33, v48, v121
	scratch_store_b32 off, v24, off offset:1060 ; 4-byte Folded Spill
	v_mul_i32_i24_e32 v24, v35, v24
	v_and_b32_e32 v1, 0xffff, v7
	v_add3_u32 v0, v0, v20, v21
	scratch_load_b32 v122, off, off         ; 4-byte Folded Reload
	s_clause 0x2
	scratch_store_b32 off, v69, off offset:1064
	scratch_store_b32 off, v72, off offset:1068
	;; [unrolled: 1-line block ×3, first 2 shown]
	v_add3_u32 v0, v0, v25, v26
	scratch_store_b32 off, v1, off offset:152 ; 4-byte Folded Spill
	v_add3_u32 v0, v0, v27, v22
	s_delay_alu instid0(VALU_DEP_1) | instskip(NEXT) | instid1(VALU_DEP_1)
	v_add3_u32 v0, v0, v28, v29
	v_add3_u32 v0, v0, v30, v23
	s_delay_alu instid0(VALU_DEP_1) | instskip(NEXT) | instid1(VALU_DEP_1)
	v_add3_u32 v0, v0, v31, v32
	v_add3_u32 v0, v0, v33, v24
	s_delay_alu instid0(VALU_DEP_1)
	v_mul_lo_u32 v0, v0, v1
	v_cvt_f32_ubyte1_e32 v1, v4
	scratch_store_b32 off, v1, off offset:676 ; 4-byte Folded Spill
	v_fma_mix_f32 v1, v3, v1, v2 op_sel:[1,0,0] op_sel_hi:[1,0,0]
	scratch_load_b32 v2, off, off offset:20 ; 4-byte Folded Reload
	v_cvt_f32_i32_e32 v0, v0
	s_delay_alu instid0(VALU_DEP_1) | instskip(SKIP_2) | instid1(VALU_DEP_1)
	v_fma_mix_f32 v0, v3, v0, v5 op_sel_hi:[1,0,0]
	s_wait_loadcnt 0x0
	v_mul_f32_e32 v1, v1, v2
	v_fma_f32 v0, v0, v122, -v1
	scratch_load_b32 v1, off, off offset:796 ; 4-byte Folded Reload
	s_wait_loadcnt 0x0
	v_add_f32_e32 v1, v1, v0
	scratch_load_b32 v0, off, off offset:1252 ; 4-byte Folded Reload
	scratch_store_b32 off, v1, off offset:796 ; 4-byte Folded Spill
	s_wait_loadcnt 0x0
	v_or_b32_e32 v0, s12, v0
	s_delay_alu instid0(VALU_DEP_1)
	v_lshlrev_b32_e32 v12, 2, v0
	v_lshrrev_b32_e32 v16, 1, v0
	ds_load_b128 v[0:3], v12 offset:16896
	ds_load_b128 v[4:7], v12 offset:16912
	;; [unrolled: 1-line block ×4, first 2 shown]
	s_clause 0x11
	scratch_load_b32 v97, off, off offset:952
	scratch_load_b32 v185, off, off offset:976
	;; [unrolled: 1-line block ×18, first 2 shown]
	s_wait_dscnt 0x3
	v_bfe_i32 v17, v0, 0, 8
	v_bfe_i32 v18, v0, 8, 8
	;; [unrolled: 1-line block ×3, first 2 shown]
	v_ashrrev_i32_e32 v20, 24, v0
	v_bfe_i32 v21, v1, 0, 8
	v_mul_i32_i24_e32 v66, v94, v17
	v_bfe_i32 v22, v1, 8, 8
	v_mul_i32_i24_e32 v67, v77, v19
	v_mul_i32_i24_e32 v68, v73, v20
	v_bfe_i32 v23, v1, 16, 8
	v_mad_i32_i24 v66, v227, v18, v66
	v_ashrrev_i32_e32 v24, 24, v1
	ds_load_b64 v[0:1], v16 offset:27200
	s_wait_dscnt 0x2
	v_bfe_i32 v16, v8, 0, 8
	v_bfe_i32 v43, v8, 8, 8
	v_add3_u32 v66, v66, v67, v68
	v_mul_i32_i24_e32 v67, v231, v21
	v_mul_i32_i24_e32 v68, v230, v22
	v_bfe_i32 v44, v8, 16, 8
	v_ashrrev_i32_e32 v8, 24, v8
	v_mul_i32_i24_e32 v78, v229, v23
	v_mul_i32_i24_e32 v79, v228, v24
	v_add3_u32 v66, v66, v67, v68
	v_mul_i32_i24_e32 v68, v159, v16
	v_bfe_i32 v25, v2, 0, 8
	v_bfe_i32 v26, v2, 8, 8
	;; [unrolled: 1-line block ×4, first 2 shown]
	v_add3_u32 v66, v66, v78, v79
	v_mul_i32_i24_e32 v78, v216, v44
	v_mul_i32_i24_e32 v79, v162, v8
	v_mad_i32_i24 v68, v187, v43, v68
	v_bfe_i32 v27, v2, 16, 8
	v_ashrrev_i32_e32 v2, 24, v2
	v_bfe_i32 v47, v9, 16, 8
	v_ashrrev_i32_e32 v9, 24, v9
	v_mul_i32_i24_e32 v80, v238, v25
	v_mul_i32_i24_e32 v81, v235, v26
	v_add3_u32 v68, v68, v78, v79
	v_mul_i32_i24_e32 v78, v220, v45
	v_mul_i32_i24_e32 v79, v214, v46
	v_bfe_i32 v28, v3, 0, 8
	v_bfe_i32 v29, v3, 8, 8
	;; [unrolled: 1-line block ×4, first 2 shown]
	v_mul_i32_i24_e32 v82, v233, v27
	v_mul_i32_i24_e32 v83, v232, v2
	v_add3_u32 v66, v66, v80, v81
	v_mul_i32_i24_e32 v80, v165, v47
	v_add3_u32 v68, v68, v78, v79
	v_bfe_i32 v30, v3, 16, 8
	v_ashrrev_i32_e32 v3, 24, v3
	v_bfe_i32 v50, v10, 16, 8
	v_ashrrev_i32_e32 v10, 24, v10
	v_mul_i32_i24_e32 v84, v250, v28
	v_mul_i32_i24_e32 v85, v241, v29
	v_add3_u32 v66, v66, v82, v83
	v_mul_i32_i24_e32 v82, v221, v48
	v_bfe_i32 v31, v4, 0, 8
	v_bfe_i32 v32, v4, 8, 8
	;; [unrolled: 1-line block ×4, first 2 shown]
	v_mul_i32_i24_e32 v86, v247, v30
	v_mul_i32_i24_e32 v87, v246, v3
	v_add3_u32 v66, v66, v84, v85
	v_mul_i32_i24_e32 v84, v163, v50
	v_mul_i32_i24_e32 v85, v223, v10
	v_bfe_i32 v33, v4, 16, 8
	v_ashrrev_i32_e32 v4, 24, v4
	v_bfe_i32 v53, v11, 16, 8
	v_ashrrev_i32_e32 v11, 24, v11
	v_mul_i32_i24_e32 v88, v157, v31
	v_mul_i32_i24_e32 v89, v213, v32
	v_add3_u32 v66, v66, v86, v87
	v_mul_i32_i24_e32 v86, v146, v51
	s_wait_dscnt 0x1
	v_bfe_i32 v54, v12, 0, 8
	v_bfe_i32 v55, v12, 8, 8
	v_mul_i32_i24_e32 v90, v243, v33
	v_mul_i32_i24_e32 v91, v242, v4
	v_add3_u32 v66, v66, v88, v89
	v_bfe_i32 v34, v5, 0, 8
	v_bfe_i32 v35, v5, 8, 8
	;; [unrolled: 1-line block ×3, first 2 shown]
	v_ashrrev_i32_e32 v5, 24, v5
	v_add3_u32 v66, v66, v90, v91
	v_mul_i32_i24_e32 v90, v150, v54
	v_mul_i32_i24_e32 v91, v149, v55
	;; [unrolled: 1-line block ×4, first 2 shown]
	v_bfe_i32 v37, v6, 0, 8
	v_bfe_i32 v38, v6, 8, 8
	v_mul_i32_i24_e32 v103, v225, v36
	v_mul_i32_i24_e32 v104, v224, v5
	v_add3_u32 v66, v66, v93, v98
	v_bfe_i32 v39, v6, 16, 8
	v_ashrrev_i32_e32 v6, 24, v6
	v_mul_i32_i24_e32 v105, v139, v37
	v_mul_i32_i24_e32 v106, v142, v38
	v_add3_u32 v66, v66, v103, v104
	v_bfe_i32 v40, v7, 0, 8
	v_bfe_i32 v41, v7, 8, 8
	v_mul_i32_i24_e32 v107, v141, v39
	v_mul_i32_i24_e32 v108, v140, v6
	v_add3_u32 v66, v66, v105, v106
	v_bfe_i32 v42, v7, 16, 8
	v_ashrrev_i32_e32 v7, 24, v7
	v_mul_i32_i24_e32 v109, v70, v40
	v_mul_i32_i24_e32 v130, v144, v41
	v_add3_u32 v66, v66, v107, v108
	v_bfe_i32 v63, v15, 0, 8
	v_mul_i32_i24_e32 v131, v143, v42
	v_mul_i32_i24_e32 v132, v145, v7
	v_bfe_i32 v65, v15, 16, 8
	v_add3_u32 v66, v66, v109, v130
	s_clause 0x1
	scratch_load_b32 v172, off, off offset:144
	scratch_load_b32 v173, off, off offset:132
	v_bfe_i32 v56, v12, 16, 8
	v_mul_i32_i24_e32 v133, v166, v65
	v_add3_u32 v66, v66, v131, v132
	v_mul_i32_i24_e32 v131, v168, v63
	s_clause 0x1
	scratch_load_b32 v168, off, off offset:488
	scratch_load_b32 v166, off, off offset:480
	v_ashrrev_i32_e32 v12, 24, v12
	v_mul_i32_i24_e32 v93, v148, v56
	v_bfe_i32 v57, v13, 0, 8
	v_bfe_i32 v58, v13, 8, 8
	;; [unrolled: 1-line block ×3, first 2 shown]
	v_mul_i32_i24_e32 v98, v147, v12
	v_ashrrev_i32_e32 v13, 24, v13
	v_mul_i32_i24_e32 v103, v154, v57
	v_mul_i32_i24_e32 v104, v153, v58
	v_bfe_i32 v60, v14, 0, 8
	v_bfe_i32 v61, v14, 8, 8
	v_mul_i32_i24_e32 v105, v152, v59
	v_mul_i32_i24_e32 v106, v151, v13
	v_bfe_i32 v62, v14, 16, 8
	v_ashrrev_i32_e32 v14, 24, v14
	v_bfe_i32 v64, v15, 8, 8
	v_ashrrev_i32_e32 v15, 24, v15
	v_mul_lo_u32 v66, v66, v96
	s_wait_dscnt 0x0
	v_fma_mix_f32 v67, v167, v0, 0 op_sel:[0,1,0] op_sel_hi:[0,1,0]
	s_clause 0xa
	scratch_load_b32 v111, off, off offset:440
	scratch_load_b32 v112, off, off offset:444
	;; [unrolled: 1-line block ×11, first 2 shown]
	v_cvt_f32_i32_e32 v66, v66
	v_fma_mix_f32 v67, v171, v1, v67 op_sel:[0,1,0] op_sel_hi:[0,1,0]
	s_clause 0x4
	scratch_load_b32 v192, off, off offset:1180
	scratch_load_b32 v197, off, off offset:1184
	;; [unrolled: 1-line block ×5, first 2 shown]
	v_fma_mix_f32 v66, v0, v66, 0 op_sel_hi:[1,0,0]
	v_mul_i32_i24_e32 v79, v24, v226
	scratch_load_b32 v226, off, off offset:624 ; 4-byte Folded Reload
	s_clause 0x1f
	scratch_store_b32 off, v94, off offset:208
	scratch_store_b32 off, v77, off offset:204
	;; [unrolled: 1-line block ×32, first 2 shown]
	s_clause 0xa
	scratch_store_b32 off, v159, off offset:1240
	scratch_store_b32 off, v165, off offset:1224
	;; [unrolled: 1-line block ×11, first 2 shown]
	s_wait_loadcnt 0x26
	v_mul_i32_i24_e32 v81, v97, v9
	s_wait_loadcnt 0x25
	v_mul_i32_i24_e32 v83, v185, v49
	s_delay_alu instid0(VALU_DEP_2)
	v_add3_u32 v68, v68, v80, v81
	v_mul_i32_i24_e32 v81, v26, v218
	scratch_load_b32 v218, off, off offset:1196 ; 4-byte Folded Reload
	s_wait_loadcnt 0x1f
	v_mul_i32_i24_e32 v87, v193, v52
	s_wait_loadcnt 0x1e
	v_mul_i32_i24_e32 v107, v113, v60
	v_add3_u32 v68, v68, v82, v83
	s_wait_loadcnt 0x1d
	v_mul_i32_i24_e32 v108, v115, v61
	s_wait_loadcnt 0x1c
	v_mul_i32_i24_e32 v109, v116, v62
	;; [unrolled: 2-line block ×3, first 2 shown]
	v_mul_i32_i24_e32 v82, v27, v189
	v_add3_u32 v68, v68, v84, v85
	s_wait_loadcnt 0x17
	v_mul_i32_i24_e32 v88, v110, v53
	s_wait_loadcnt 0x16
	v_mul_i32_i24_e32 v89, v164, v11
	v_mul_i32_i24_e32 v83, v2, v188
	;; [unrolled: 1-line block ×3, first 2 shown]
	v_add3_u32 v68, v68, v86, v87
	v_mul_i32_i24_e32 v85, v29, v178
	v_mul_i32_i24_e32 v86, v30, v160
	;; [unrolled: 1-line block ×3, first 2 shown]
	scratch_load_b32 v158, off, off offset:584 ; 4-byte Folded Reload
	v_add3_u32 v68, v68, v88, v89
	v_mul_i32_i24_e32 v88, v31, v99
	s_clause 0x2
	scratch_load_b32 v99, off, off offset:68
	scratch_load_b32 v178, off, off offset:348
	;; [unrolled: 1-line block ×3, first 2 shown]
	v_add3_u32 v68, v68, v90, v91
	v_mul_i32_i24_e32 v91, v4, v74
	scratch_load_b32 v74, off, off offset:60 ; 4-byte Folded Reload
	v_mul_i32_i24_e32 v90, v33, v156
	scratch_load_b32 v156, off, off offset:1164 ; 4-byte Folded Reload
	v_add3_u32 v68, v68, v93, v98
	s_clause 0x2
	scratch_load_b32 v188, off, off offset:356
	scratch_load_b32 v189, off, off offset:360
	;; [unrolled: 1-line block ×3, first 2 shown]
	v_add3_u32 v68, v68, v103, v104
	s_delay_alu instid0(VALU_DEP_1) | instskip(SKIP_2) | instid1(VALU_DEP_3)
	v_add3_u32 v68, v68, v105, v106
	v_mul_i32_i24_e32 v105, v37, v182
	v_mul_i32_i24_e32 v106, v38, v186
	v_add3_u32 v68, v68, v107, v108
	v_mul_i32_i24_e32 v107, v39, v102
	s_delay_alu instid0(VALU_DEP_2)
	v_add3_u32 v68, v68, v109, v130
	s_wait_loadcnt 0x1e
	v_mul_f32_e32 v67, v67, v172
	s_wait_loadcnt 0x1c
	v_mul_i32_i24_e32 v132, v168, v64
	s_wait_loadcnt 0x1b
	v_mul_i32_i24_e32 v134, v166, v15
	s_delay_alu instid0(VALU_DEP_2) | instskip(NEXT) | instid1(VALU_DEP_1)
	v_add3_u32 v68, v68, v131, v132
	v_add3_u32 v68, v68, v133, v134
	v_mul_i32_i24_e32 v133, v65, v126
	scratch_load_b32 v126, off, off offset:628 ; 4-byte Folded Reload
	v_mul_i32_i24_e32 v134, v15, v207
	v_mul_lo_u32 v68, v68, v170
	s_delay_alu instid0(VALU_DEP_1) | instskip(SKIP_2) | instid1(VALU_DEP_2)
	v_cvt_f32_i32_e32 v68, v68
	s_wait_loadcnt 0x19
	v_mul_i32_i24_e32 v78, v23, v78
	v_fma_mix_f32 v66, v1, v68, v66 op_sel_hi:[1,0,0]
	v_mul_i32_i24_e32 v68, v20, v114
	scratch_load_b32 v114, off, off offset:384 ; 4-byte Folded Reload
	v_fma_f32 v66, v66, v173, -v67
	scratch_load_b32 v67, off, off offset:792 ; 4-byte Folded Reload
	s_wait_loadcnt 0xb
	v_mul_i32_i24_e32 v104, v5, v158
	s_wait_loadcnt 0xa
	v_mul_i32_i24_e32 v89, v32, v99
	;; [unrolled: 2-line block ×5, first 2 shown]
	scratch_load_b32 v74, off, off offset:64 ; 4-byte Folded Reload
	s_wait_loadcnt 0x7
	v_mul_i32_i24_e32 v103, v36, v156
	s_wait_loadcnt 0x6
	v_mul_i32_i24_e32 v130, v41, v188
	;; [unrolled: 2-line block ×3, first 2 shown]
	s_wait_loadcnt 0x1
	v_add_f32_e32 v67, v67, v66
	v_mul_i32_i24_e32 v66, v17, v111
	v_mul_i32_i24_e32 v80, v25, v222
	scratch_load_b32 v222, off, off offset:604 ; 4-byte Folded Reload
	scratch_store_b32 off, v67, off offset:792 ; 4-byte Folded Spill
	v_mul_i32_i24_e32 v67, v19, v112
	v_mad_i32_i24 v66, v18, v114, v66
	s_delay_alu instid0(VALU_DEP_1)
	v_add3_u32 v66, v66, v67, v68
	s_clause 0x1
	scratch_load_b32 v67, off, off offset:48
	scratch_load_b32 v68, off, off offset:52
	s_wait_loadcnt 0x3
	v_mul_i32_i24_e32 v98, v35, v74
	scratch_load_b32 v74, off, off offset:36 ; 4-byte Folded Reload
	s_wait_loadcnt 0x2
	v_mul_i32_i24_e32 v67, v21, v67
	s_wait_loadcnt 0x1
	v_mul_i32_i24_e32 v68, v22, v68
	s_delay_alu instid0(VALU_DEP_1) | instskip(SKIP_2) | instid1(VALU_DEP_3)
	v_add3_u32 v66, v66, v67, v68
	v_mul_i32_i24_e32 v68, v16, v191
	v_fma_mix_f32 v67, v190, v0, 0 op_sel:[0,1,0] op_sel_hi:[0,1,0]
	v_add3_u32 v66, v66, v78, v79
	v_mul_i32_i24_e32 v78, v44, v192
	v_mul_i32_i24_e32 v79, v8, v101
	v_mad_i32_i24 v68, v43, v195, v68
	v_fma_mix_f32 v67, v126, v1, v67 op_sel:[0,1,0] op_sel_hi:[0,1,0]
	v_add3_u32 v66, v66, v80, v81
	v_mul_i32_i24_e32 v81, v9, v95
	scratch_load_b32 v95, off, off offset:368 ; 4-byte Folded Reload
	v_add3_u32 v68, v68, v78, v79
	v_mul_i32_i24_e32 v78, v45, v100
	v_add3_u32 v66, v66, v82, v83
	scratch_load_b32 v100, off, off offset:364 ; 4-byte Folded Reload
	v_mul_i32_i24_e32 v80, v47, v196
	v_mul_i32_i24_e32 v82, v48, v197
	v_mul_f32_e32 v67, v67, v211
	v_add3_u32 v66, v66, v84, v85
	v_mul_i32_i24_e32 v85, v10, v198
	scratch_load_b32 v211, off, off offset:328 ; 4-byte Folded Reload
	v_add3_u32 v66, v66, v86, v87
	s_delay_alu instid0(VALU_DEP_1) | instskip(SKIP_1) | instid1(VALU_DEP_2)
	v_add3_u32 v66, v66, v88, v89
	v_mul_i32_i24_e32 v88, v53, v199
	v_add3_u32 v66, v66, v90, v91
	scratch_load_b32 v91, off, off offset:44 ; 4-byte Folded Reload
	v_add3_u32 v66, v66, v93, v98
	v_mul_i32_i24_e32 v93, v56, v200
	v_mul_i32_i24_e32 v98, v12, v201
	s_delay_alu instid0(VALU_DEP_3) | instskip(SKIP_2) | instid1(VALU_DEP_3)
	v_add3_u32 v66, v66, v103, v104
	v_mul_i32_i24_e32 v103, v57, v218
	v_mul_i32_i24_e32 v104, v58, v127
	v_add3_u32 v66, v66, v105, v106
	v_mul_i32_i24_e32 v105, v59, v222
	v_mul_i32_i24_e32 v106, v13, v202
	s_delay_alu instid0(VALU_DEP_3) | instskip(SKIP_2) | instid1(VALU_DEP_3)
	v_add3_u32 v66, v66, v107, v108
	v_mul_i32_i24_e32 v107, v60, v203
	v_mul_i32_i24_e32 v108, v61, v128
	v_add3_u32 v66, v66, v109, v130
	v_mul_i32_i24_e32 v109, v62, v204
	v_mul_i32_i24_e32 v130, v14, v205
	s_wait_loadcnt 0x4
	v_mul_i32_i24_e32 v131, v42, v74
	scratch_load_b32 v74, off, off offset:40 ; 4-byte Folded Reload
	v_add3_u32 v66, v66, v131, v132
	v_mul_i32_i24_e32 v131, v63, v206
	v_mul_i32_i24_e32 v132, v64, v129
	s_delay_alu instid0(VALU_DEP_3) | instskip(NEXT) | instid1(VALU_DEP_1)
	v_mul_lo_u32 v66, v66, v194
	v_cvt_f32_i32_e32 v66, v66
	s_delay_alu instid0(VALU_DEP_1)
	v_fma_mix_f32 v66, v0, v66, 0 op_sel_hi:[1,0,0]
	s_wait_loadcnt 0x4
	v_mul_i32_i24_e32 v87, v52, v95
	s_wait_loadcnt 0x3
	v_mul_i32_i24_e32 v83, v49, v100
	;; [unrolled: 2-line block ×4, first 2 shown]
	scratch_load_b32 v74, off, off offset:984 ; 4-byte Folded Reload
	v_add3_u32 v68, v68, v78, v79
	s_delay_alu instid0(VALU_DEP_1)
	v_add3_u32 v68, v68, v80, v81
	v_mul_i32_i24_e32 v80, v25, v219
	scratch_load_b32 v219, off, off offset:340 ; 4-byte Folded Reload
	v_add3_u32 v68, v68, v82, v83
	v_mul_i32_i24_e32 v83, v2, v240
	v_mul_i32_i24_e32 v82, v27, v226
	s_wait_loadcnt 0x1
	v_mul_i32_i24_e32 v84, v50, v74
	scratch_load_b32 v74, off, off offset:988 ; 4-byte Folded Reload
	v_add3_u32 v68, v68, v84, v85
	s_clause 0x1
	scratch_load_b32 v84, off, off offset:72
	scratch_load_b32 v85, off, off offset:76
	s_wait_loadcnt 0x3
	v_mul_i32_i24_e32 v81, v26, v219
	s_wait_loadcnt 0x2
	v_mul_i32_i24_e32 v86, v51, v74
	scratch_load_b32 v74, off, off offset:560 ; 4-byte Folded Reload
	v_add3_u32 v68, v68, v86, v87
	s_wait_loadcnt 0x2
	v_mul_i32_i24_e32 v84, v28, v84
	s_clause 0x1
	scratch_load_b32 v86, off, off offset:80
	scratch_load_b32 v87, off, off offset:84
	s_wait_loadcnt 0x3
	v_mul_i32_i24_e32 v85, v29, v85
	s_wait_loadcnt 0x2
	v_mul_i32_i24_e32 v89, v11, v74
	scratch_load_b32 v74, off, off offset:1192 ; 4-byte Folded Reload
	v_add3_u32 v68, v68, v88, v89
	s_clause 0x1
	scratch_load_b32 v88, off, off offset:88
	scratch_load_b32 v89, off, off offset:652
	s_wait_loadcnt 0x3
	v_mul_i32_i24_e32 v87, v3, v87
	v_mul_i32_i24_e32 v86, v30, v86
	s_wait_loadcnt 0x2
	v_mul_i32_i24_e32 v90, v54, v74
	s_delay_alu instid0(VALU_DEP_1)
	v_add3_u32 v68, v68, v90, v91
	s_wait_loadcnt 0x1
	v_mul_i32_i24_e32 v88, v31, v88
	s_clause 0x1
	scratch_load_b32 v90, off, off offset:92
	scratch_load_b32 v91, off, off offset:656
	s_wait_loadcnt 0x2
	v_mul_i32_i24_e32 v89, v32, v89
	v_add3_u32 v68, v68, v93, v98
	v_mul_i32_i24_e32 v93, v34, v249
	scratch_load_b32 v249, off, off offset:848 ; 4-byte Folded Reload
	v_mul_i32_i24_e32 v98, v35, v208
	scratch_load_b32 v208, off, off offset:316 ; 4-byte Folded Reload
	v_add3_u32 v68, v68, v103, v104
	v_mul_i32_i24_e32 v104, v5, v76
	scratch_load_b32 v76, off, off offset:852 ; 4-byte Folded Reload
	v_mul_i32_i24_e32 v103, v36, v92
	scratch_load_b32 v92, off, off offset:844 ; 4-byte Folded Reload
	v_add3_u32 v68, v68, v105, v106
	s_delay_alu instid0(VALU_DEP_1)
	v_add3_u32 v68, v68, v107, v108
	v_mul_i32_i24_e32 v108, v6, v179
	scratch_load_b32 v179, off, off offset:840 ; 4-byte Folded Reload
	v_add3_u32 v68, v68, v109, v130
	v_mul_i32_i24_e32 v130, v41, v125
	scratch_load_b32 v125, off, off offset:312 ; 4-byte Folded Reload
	v_add3_u32 v68, v68, v131, v132
	s_delay_alu instid0(VALU_DEP_1) | instskip(SKIP_3) | instid1(VALU_DEP_1)
	v_add3_u32 v68, v68, v133, v134
	v_mul_i32_i24_e32 v133, v65, v75
	scratch_load_b32 v75, off, off offset:640 ; 4-byte Folded Reload
	v_mul_lo_u32 v68, v68, v160
	v_cvt_f32_i32_e32 v68, v68
	s_delay_alu instid0(VALU_DEP_1)
	v_fma_mix_f32 v66, v1, v68, v66 op_sel_hi:[1,0,0]
	v_mul_i32_i24_e32 v68, v20, v211
	v_mul_i32_i24_e32 v20, v20, v176
	scratch_load_b32 v176, off, off offset:1040 ; 4-byte Folded Reload
	v_fma_f32 v66, v66, v210, -v67
	s_clause 0x1
	scratch_load_b32 v67, off, off offset:788
	scratch_load_b32 v210, off, off offset:324
	s_wait_loadcnt 0xb
	v_mul_i32_i24_e32 v90, v33, v90
	s_wait_loadcnt 0xa
	v_mul_i32_i24_e32 v91, v4, v91
	;; [unrolled: 2-line block ×9, first 2 shown]
	s_wait_loadcnt 0x1
	v_add_f32_e32 v67, v67, v66
	v_mul_i32_i24_e32 v66, v17, v209
	scratch_load_b32 v209, off, off offset:320 ; 4-byte Folded Reload
	v_mul_i32_i24_e32 v17, v17, v183
	scratch_load_b32 v183, off, off offset:252 ; 4-byte Folded Reload
	scratch_store_b32 off, v67, off offset:788 ; 4-byte Folded Spill
	s_wait_loadcnt 0x2
	v_mad_i32_i24 v66, v18, v210, v66
	v_mad_i32_i24 v17, v18, v175, v17
	v_mul_i32_i24_e32 v18, v21, v174
	s_clause 0x1
	scratch_load_b32 v175, off, off offset:240
	scratch_load_b32 v174, off, off offset:1036
	s_wait_loadcnt 0x3
	v_mul_i32_i24_e32 v67, v19, v209
	v_mul_i32_i24_e32 v19, v19, v177
	s_delay_alu instid0(VALU_DEP_2) | instskip(SKIP_1) | instid1(VALU_DEP_3)
	v_add3_u32 v66, v66, v67, v68
	v_mul_i32_i24_e32 v68, v22, v212
	v_add3_u32 v17, v17, v19, v20
	v_mul_i32_i24_e32 v19, v22, v169
	v_mul_i32_i24_e32 v22, v25, v136
	s_clause 0x1
	scratch_load_b32 v25, off, off offset:520
	scratch_load_b32 v136, off, off offset:272
	v_mul_i32_i24_e32 v67, v21, v217
	s_clause 0x1
	scratch_load_b32 v217, off, off offset:336
	scratch_load_b32 v212, off, off offset:332
	v_mul_i32_i24_e32 v21, v24, v155
	v_mul_i32_i24_e32 v20, v23, v161
	v_add3_u32 v66, v66, v67, v68
	scratch_load_b32 v67, off, off offset:116 ; 4-byte Folded Reload
	v_add3_u32 v17, v17, v18, v19
	s_clause 0x1
	scratch_load_b32 v161, off, off offset:1096
	scratch_load_b32 v155, off, off offset:1088
	v_add3_u32 v17, v17, v20, v21
	s_wait_loadcnt 0x6
	v_mul_i32_i24_e32 v2, v2, v25
	scratch_load_b32 v25, off, off offset:504 ; 4-byte Folded Reload
	s_wait_loadcnt 0x6
	v_mul_i32_i24_e32 v18, v52, v136
	s_wait_loadcnt 0x5
	v_mul_i32_i24_e32 v79, v24, v217
	v_mul_i32_i24_e32 v24, v27, v124
	scratch_load_b32 v27, off, off offset:512 ; 4-byte Folded Reload
	s_wait_loadcnt 0x5
	v_mul_i32_i24_e32 v78, v23, v212
	v_mul_i32_i24_e32 v23, v26, v135
	s_clause 0x1
	scratch_load_b32 v26, off, off offset:508
	scratch_load_b32 v135, off, off offset:248
	s_wait_loadcnt 0x5
	v_mul_i32_i24_e32 v21, v55, v161
	v_add3_u32 v66, v66, v78, v79
	v_add3_u32 v17, v17, v22, v23
	s_clause 0x1
	scratch_load_b32 v78, off, off offset:304
	scratch_load_b32 v79, off, off offset:112
	v_add3_u32 v66, v66, v80, v81
	v_add3_u32 v2, v17, v24, v2
	s_clause 0x1
	scratch_load_b32 v80, off, off offset:660
	scratch_load_b32 v81, off, off offset:96
	v_mul_i32_i24_e32 v17, v51, v119
	v_add3_u32 v66, v66, v82, v83
	s_clause 0x1
	scratch_load_b32 v82, off, off offset:100
	scratch_load_b32 v83, off, off offset:104
	v_mul_i32_i24_e32 v24, v58, v174
	v_add3_u32 v66, v66, v84, v85
	s_clause 0x1
	scratch_load_b32 v84, off, off offset:4
	scratch_load_b32 v85, off, off offset:12
	v_add3_u32 v66, v66, v86, v87
	s_clause 0x1
	scratch_load_b32 v86, off, off offset:120
	scratch_load_b32 v87, off, off offset:128
	;; [unrolled: 4-line block ×3, first 2 shown]
	v_add3_u32 v66, v66, v90, v91
	v_mul_i32_i24_e32 v90, v54, v255
	v_mul_i32_i24_e32 v91, v55, v254
	s_clause 0x1
	scratch_load_b32 v254, off, off offset:152
	scratch_load_b32 v255, off, off offset:676
	v_add3_u32 v66, v66, v93, v98
	v_mul_i32_i24_e32 v93, v56, v253
	v_mul_i32_i24_e32 v98, v12, v252
	s_clause 0x1
	scratch_load_b32 v252, off, off offset:1056
	scratch_load_b32 v253, off, off offset:1060
	v_add3_u32 v66, v66, v103, v104
	v_mul_i32_i24_e32 v103, v57, v251
	scratch_load_b32 v251, off, off offset:644 ; 4-byte Folded Reload
	v_mul_i32_i24_e32 v104, v58, v248
	scratch_load_b32 v248, off, off offset:1044 ; 4-byte Folded Reload
	v_add3_u32 v66, v66, v105, v106
	v_mul_i32_i24_e32 v106, v13, v244
	scratch_load_b32 v244, off, off offset:1156 ; 4-byte Folded Reload
	v_mul_i32_i24_e32 v105, v59, v245
	scratch_load_b32 v245, off, off offset:1160 ; 4-byte Folded Reload
	v_add3_u32 v66, v66, v107, v108
	v_mul_i32_i24_e32 v107, v60, v239
	v_mul_i32_i24_e32 v108, v61, v237
	s_clause 0x1
	scratch_load_b32 v237, off, off offset:1148
	scratch_load_b32 v239, off, off offset:1152
	v_add3_u32 v66, v66, v109, v130
	v_mul_i32_i24_e32 v130, v14, v234
	scratch_load_b32 v234, off, off offset:268 ; 4-byte Folded Reload
	v_mul_i32_i24_e32 v109, v62, v236
	scratch_load_b32 v236, off, off offset:1092 ; 4-byte Folded Reload
	v_add3_u32 v66, v66, v131, v132
	v_mul_i32_i24_e32 v132, v64, v184
	scratch_load_b32 v184, off, off offset:256 ; 4-byte Folded Reload
	v_mul_i32_i24_e32 v131, v63, v215
	scratch_load_b32 v215, off, off offset:260 ; 4-byte Folded Reload
	v_mul_lo_u32 v66, v66, v67
	v_fma_mix_f32 v67, v180, v0, 0 op_sel:[0,1,0] op_sel_hi:[0,1,0]
	scratch_load_b32 v180, off, off offset:308 ; 4-byte Folded Reload
	v_mul_i32_i24_e32 v14, v14, v72
	scratch_load_b32 v72, off, off offset:1052 ; 4-byte Folded Reload
	v_mul_i32_i24_e32 v13, v13, v176
	v_cvt_f32_i32_e32 v66, v66
	s_delay_alu instid0(VALU_DEP_1)
	v_fma_mix_f32 v66, v0, v66, 0 op_sel_hi:[1,0,0]
	s_wait_loadcnt 0x1f
	v_mul_i32_i24_e32 v25, v28, v25
	scratch_load_b32 v28, off, off offset:516 ; 4-byte Folded Reload
	s_wait_loadcnt 0x1f
	v_mul_i32_i24_e32 v27, v30, v27
	scratch_load_b32 v30, off, off offset:1004 ; 4-byte Folded Reload
	;; [unrolled: 3-line block ×3, first 2 shown]
	v_add3_u32 v2, v2, v25, v26
	s_wait_loadcnt 0x1e
	v_mul_i32_i24_e32 v78, v44, v78
	s_wait_loadcnt 0x1d
	v_mul_i32_i24_e32 v79, v8, v79
	v_mul_i32_i24_e32 v26, v60, v69
	scratch_load_b32 v69, off, off offset:1048 ; 4-byte Folded Reload
	s_wait_loadcnt 0x1c
	v_mul_i32_i24_e32 v81, v9, v81
	s_wait_loadcnt 0x1b
	v_mul_i32_i24_e32 v82, v48, v82
	;; [unrolled: 2-line block ×9, first 2 shown]
	v_mul_i32_i24_e32 v11, v11, v118
	s_wait_loadcnt 0x10
	v_mul_i32_i24_e32 v15, v15, v253
	s_wait_loadcnt 0xd
	;; [unrolled: 2-line block ×9, first 2 shown]
	v_mul_i32_i24_e32 v68, v16, v180
	s_delay_alu instid0(VALU_DEP_1)
	v_mad_i32_i24 v68, v43, v80, v68
	scratch_load_b32 v80, off, off offset:668 ; 4-byte Folded Reload
	v_add3_u32 v68, v68, v78, v79
	s_clause 0x1
	scratch_load_b32 v78, off, off offset:664
	scratch_load_b32 v79, off, off offset:672
	s_wait_loadcnt 0x6
	v_mul_i32_i24_e32 v3, v3, v28
	scratch_load_b32 v28, off, off offset:996 ; 4-byte Folded Reload
	s_wait_loadcnt 0x6
	v_mul_i32_i24_e32 v30, v33, v30
	scratch_load_b32 v33, off, off offset:1020 ; 4-byte Folded Reload
	v_add3_u32 v2, v2, v27, v3
	s_wait_loadcnt 0x6
	v_mul_i32_i24_e32 v29, v32, v29
	s_clause 0x1
	scratch_load_b32 v32, off, off offset:1016
	scratch_load_b32 v3, off, off offset:300
	s_wait_loadcnt 0x7
	v_mul_i32_i24_e32 v27, v61, v69
	s_wait_loadcnt 0x6
	v_mul_i32_i24_e32 v80, v47, v80
	;; [unrolled: 2-line block ×4, first 2 shown]
	s_delay_alu instid0(VALU_DEP_1) | instskip(NEXT) | instid1(VALU_DEP_1)
	v_add3_u32 v68, v68, v78, v79
	v_add3_u32 v68, v68, v80, v81
	s_delay_alu instid0(VALU_DEP_1) | instskip(NEXT) | instid1(VALU_DEP_1)
	v_add3_u32 v68, v68, v82, v83
	v_add3_u32 v68, v68, v84, v85
	;; [unrolled: 3-line block ×7, first 2 shown]
	s_delay_alu instid0(VALU_DEP_1) | instskip(NEXT) | instid1(VALU_DEP_1)
	v_mul_lo_u32 v68, v68, v251
	v_cvt_f32_i32_e32 v68, v68
	s_delay_alu instid0(VALU_DEP_1)
	v_fma_mix_f32 v66, v1, v68, v66 op_sel_hi:[1,0,0]
	scratch_load_b32 v68, off, off offset:500 ; 4-byte Folded Reload
	s_wait_loadcnt 0x4
	v_mul_i32_i24_e32 v28, v31, v28
	scratch_load_b32 v31, off, off offset:1008 ; 4-byte Folded Reload
	s_wait_loadcnt 0x4
	v_mul_i32_i24_e32 v33, v36, v33
	scratch_load_b32 v36, off, off offset:1032 ; 4-byte Folded Reload
	v_add3_u32 v2, v2, v28, v29
	s_wait_loadcnt 0x4
	v_mul_i32_i24_e32 v32, v35, v32
	scratch_load_b32 v35, off, off offset:296 ; 4-byte Folded Reload
	v_mul_i32_i24_e32 v28, v62, v248
	v_mul_i32_i24_e32 v29, v63, v72
	s_wait_loadcnt 0x3
	v_fma_mix_f32 v67, v68, v1, v67 op_sel:[0,1,0] op_sel_hi:[0,1,0]
	scratch_load_b32 v68, off, off offset:16 ; 4-byte Folded Reload
	s_wait_loadcnt 0x3
	v_mul_i32_i24_e32 v4, v4, v31
	scratch_load_b32 v31, off, off offset:1012 ; 4-byte Folded Reload
	s_wait_loadcnt 0x3
	v_mul_i32_i24_e32 v36, v39, v36
	scratch_load_b32 v39, off, off offset:564 ; 4-byte Folded Reload
	v_add3_u32 v2, v2, v30, v4
	s_wait_loadcnt 0x3
	v_mul_i32_i24_e32 v35, v38, v35
	scratch_load_b32 v4, off, off offset:980 ; 4-byte Folded Reload
	v_mul_i32_i24_e32 v30, v64, v252
	s_wait_loadcnt 0x3
	v_mul_f32_e32 v67, v67, v68
	scratch_load_b32 v68, off, off offset:140 ; 4-byte Folded Reload
	s_wait_loadcnt 0x3
	v_mul_i32_i24_e32 v31, v34, v31
	scratch_load_b32 v34, off, off offset:1024 ; 4-byte Folded Reload
	s_wait_loadcnt 0x3
	v_mul_i32_i24_e32 v39, v42, v39
	v_add3_u32 v2, v2, v31, v32
	v_mul_i32_i24_e32 v31, v65, v121
	s_wait_loadcnt 0x2
	v_mul_i32_i24_e32 v4, v44, v4
	s_wait_loadcnt 0x1
	v_fma_f32 v66, v66, v68, -v67
	scratch_load_b32 v67, off, off offset:784 ; 4-byte Folded Reload
	s_wait_loadcnt 0x1
	v_mul_i32_i24_e32 v5, v5, v34
	scratch_load_b32 v34, off, off offset:1028 ; 4-byte Folded Reload
	v_add3_u32 v2, v2, v33, v5
	scratch_load_b32 v5, off, off offset:28 ; 4-byte Folded Reload
	s_wait_loadcnt 0x2
	v_add_f32_e32 v67, v67, v66
	scratch_store_b32 off, v67, off offset:784 ; 4-byte Folded Spill
	s_wait_loadcnt 0x1
	v_mul_i32_i24_e32 v34, v37, v34
	scratch_load_b32 v37, off, off offset:32 ; 4-byte Folded Reload
	v_add3_u32 v2, v2, v34, v35
	s_wait_loadcnt 0x1
	v_mul_i32_i24_e32 v5, v8, v5
	v_mul_i32_i24_e32 v8, v48, v135
	s_wait_loadcnt 0x0
	v_mul_i32_i24_e32 v6, v6, v37
	v_mul_i32_i24_e32 v37, v40, v71
	s_clause 0x1
	scratch_load_b32 v71, off, off offset:1208
	scratch_load_b32 v40, off, off offset:568
	v_add3_u32 v2, v2, v36, v6
	scratch_load_b32 v6, off, off offset:532 ; 4-byte Folded Reload
	s_wait_loadcnt 0x2
	v_mul_i32_i24_e32 v38, v41, v71
	s_wait_loadcnt 0x1
	v_mul_i32_i24_e32 v7, v7, v40
	s_delay_alu instid0(VALU_DEP_2) | instskip(NEXT) | instid1(VALU_DEP_1)
	v_add3_u32 v2, v2, v37, v38
	v_add3_u32 v2, v2, v39, v7
	v_mul_i32_i24_e32 v7, v9, v120
	v_mul_i32_i24_e32 v9, v49, v184
	s_delay_alu instid0(VALU_DEP_3) | instskip(SKIP_2) | instid1(VALU_DEP_1)
	v_mul_lo_u32 v2, v2, v3
	scratch_load_b32 v3, off, off offset:524 ; 4-byte Folded Reload
	v_cvt_f32_i32_e32 v2, v2
	v_fma_mix_f32 v2, v0, v2, 0 op_sel_hi:[1,0,0]
	v_fma_mix_f32 v0, v155, v0, 0 op_sel:[0,1,0] op_sel_hi:[0,1,0]
	s_delay_alu instid0(VALU_DEP_1) | instskip(SKIP_3) | instid1(VALU_DEP_2)
	v_fma_mix_f32 v0, v255, v1, v0 op_sel:[0,1,0] op_sel_hi:[0,1,0]
	s_wait_loadcnt 0x0
	v_mul_i32_i24_e32 v3, v16, v3
	v_mul_i32_i24_e32 v16, v50, v183
	v_mad_i32_i24 v3, v43, v6, v3
	v_mul_i32_i24_e32 v6, v47, v123
	s_delay_alu instid0(VALU_DEP_2) | instskip(SKIP_4) | instid1(VALU_DEP_1)
	v_add3_u32 v3, v3, v4, v5
	scratch_load_b32 v4, off, off offset:24 ; 4-byte Folded Reload
	v_mul_i32_i24_e32 v5, v46, v175
	s_wait_loadcnt 0x0
	v_mul_i32_i24_e32 v4, v45, v4
	v_add3_u32 v3, v3, v4, v5
	s_delay_alu instid0(VALU_DEP_1) | instskip(NEXT) | instid1(VALU_DEP_1)
	v_add3_u32 v3, v3, v6, v7
	v_add3_u32 v3, v3, v8, v9
	s_delay_alu instid0(VALU_DEP_1) | instskip(NEXT) | instid1(VALU_DEP_1)
	v_add3_u32 v3, v3, v16, v10
	;; [unrolled: 3-line block ×7, first 2 shown]
	v_mul_lo_u32 v3, v3, v254
	s_delay_alu instid0(VALU_DEP_1) | instskip(NEXT) | instid1(VALU_DEP_1)
	v_cvt_f32_i32_e32 v3, v3
	v_fma_mix_f32 v2, v1, v3, v2 op_sel_hi:[1,0,0]
	scratch_load_b32 v1, off, off offset:20 ; 4-byte Folded Reload
	s_wait_loadcnt 0x0
	v_mul_f32_e32 v0, v0, v1
	scratch_load_b32 v1, off, off offset:780 ; 4-byte Folded Reload
	v_fma_f32 v0, v2, v122, -v0
	s_wait_loadcnt 0x0
	s_delay_alu instid0(VALU_DEP_1) | instskip(SKIP_4) | instid1(VALU_DEP_1)
	v_add_f32_e32 v1, v1, v0
	scratch_load_b32 v0, off, off offset:1256 ; 4-byte Folded Reload
	scratch_store_b32 off, v1, off offset:780 ; 4-byte Folded Spill
	s_wait_loadcnt 0x0
	v_or_b32_e32 v0, s12, v0
	v_lshlrev_b32_e32 v12, 2, v0
	v_lshrrev_b32_e32 v16, 1, v0
	ds_load_b128 v[0:3], v12 offset:16896
	ds_load_b128 v[4:7], v12 offset:16912
	;; [unrolled: 1-line block ×4, first 2 shown]
	s_wait_dscnt 0x3
	v_bfe_i32 v17, v0, 0, 8
	v_bfe_i32 v18, v0, 8, 8
	;; [unrolled: 1-line block ×3, first 2 shown]
	v_ashrrev_i32_e32 v20, 24, v0
	v_bfe_i32 v21, v1, 0, 8
	v_bfe_i32 v22, v1, 8, 8
	;; [unrolled: 1-line block ×3, first 2 shown]
	v_ashrrev_i32_e32 v24, 24, v1
	ds_load_b64 v[0:1], v16 offset:27200
	s_wait_dscnt 0x3
	v_bfe_i32 v36, v5, 16, 8
	v_bfe_i32 v40, v7, 0, 8
	v_mul_i32_i24_e32 v66, v94, v17
	v_mul_i32_i24_e32 v67, v77, v19
	;; [unrolled: 1-line block ×5, first 2 shown]
	v_mad_i32_i24 v66, v227, v18, v66
	v_dual_mov_b32 v70, v96 :: v_dual_mov_b32 v227, v216
	v_mov_b32_e32 v225, v162
	v_bfe_i32 v31, v4, 0, 8
	v_bfe_i32 v32, v4, 8, 8
	s_clause 0x3
	scratch_store_b32 off, v70, off offset:924
	scratch_store_b32 off, v227, off offset:920
	;; [unrolled: 1-line block ×4, first 2 shown]
	s_wait_dscnt 0x2
	v_bfe_i32 v16, v8, 0, 8
	v_add3_u32 v66, v66, v67, v68
	v_mul_i32_i24_e32 v67, v231, v21
	v_mul_i32_i24_e32 v68, v230, v22
	s_clause 0x3
	scratch_load_b32 v169, off, off offset:492
	scratch_load_b32 v94, off, off offset:428
	;; [unrolled: 1-line block ×4, first 2 shown]
	v_mul_i32_i24_e32 v88, v157, v31
	v_mul_i32_i24_e32 v89, v213, v32
	v_add3_u32 v66, v66, v67, v68
	s_wait_dscnt 0x0
	v_fma_mix_f32 v67, v167, v0, 0 op_sel:[0,1,0] op_sel_hi:[0,1,0]
	v_mul_i32_i24_e32 v68, v159, v16
	s_clause 0x3
	scratch_load_b32 v157, off, off offset:964
	scratch_load_b32 v159, off, off offset:972
	;; [unrolled: 1-line block ×4, first 2 shown]
	v_bfe_i32 v43, v8, 8, 8
	v_bfe_i32 v44, v8, 16, 8
	v_ashrrev_i32_e32 v8, 24, v8
	v_mul_i32_i24_e32 v78, v229, v23
	v_mul_i32_i24_e32 v79, v228, v24
	v_bfe_i32 v25, v2, 0, 8
	v_bfe_i32 v26, v2, 8, 8
	;; [unrolled: 1-line block ×4, first 2 shown]
	v_add3_u32 v66, v66, v78, v79
	v_mul_i32_i24_e32 v78, v216, v44
	v_mul_i32_i24_e32 v79, v162, v8
	v_mad_i32_i24 v68, v187, v43, v68
	v_bfe_i32 v27, v2, 16, 8
	v_ashrrev_i32_e32 v2, 24, v2
	v_bfe_i32 v47, v9, 16, 8
	v_ashrrev_i32_e32 v9, 24, v9
	v_mul_i32_i24_e32 v80, v238, v25
	v_mul_i32_i24_e32 v81, v235, v26
	v_add3_u32 v68, v68, v78, v79
	v_mul_i32_i24_e32 v78, v220, v45
	v_mul_i32_i24_e32 v79, v214, v46
	v_mov_b32_e32 v216, v97
	v_bfe_i32 v28, v3, 0, 8
	v_bfe_i32 v29, v3, 8, 8
	;; [unrolled: 1-line block ×4, first 2 shown]
	v_mul_i32_i24_e32 v82, v233, v27
	v_mul_i32_i24_e32 v83, v232, v2
	v_add3_u32 v66, v66, v80, v81
	v_mul_i32_i24_e32 v80, v165, v47
	v_mul_i32_i24_e32 v81, v216, v9
	v_add3_u32 v68, v68, v78, v79
	v_bfe_i32 v30, v3, 16, 8
	v_ashrrev_i32_e32 v3, 24, v3
	v_bfe_i32 v50, v10, 16, 8
	v_ashrrev_i32_e32 v10, 24, v10
	v_mul_i32_i24_e32 v84, v250, v28
	v_mul_i32_i24_e32 v85, v241, v29
	v_add3_u32 v66, v66, v82, v83
	v_mul_i32_i24_e32 v82, v221, v48
	v_mul_i32_i24_e32 v83, v185, v49
	v_add3_u32 v68, v68, v80, v81
	v_bfe_i32 v51, v11, 0, 8
	v_bfe_i32 v52, v11, 8, 8
	v_mul_i32_i24_e32 v86, v247, v30
	v_mul_i32_i24_e32 v87, v246, v3
	v_add3_u32 v66, v66, v84, v85
	v_mul_i32_i24_e32 v84, v163, v50
	v_mul_i32_i24_e32 v85, v223, v10
	v_add3_u32 v68, v68, v82, v83
	v_bfe_i32 v33, v4, 16, 8
	v_ashrrev_i32_e32 v4, 24, v4
	v_bfe_i32 v53, v11, 16, 8
	v_ashrrev_i32_e32 v11, 24, v11
	v_add3_u32 v66, v66, v86, v87
	v_mul_i32_i24_e32 v86, v146, v51
	v_mul_i32_i24_e32 v87, v193, v52
	v_mov_b32_e32 v73, v110
	v_add3_u32 v68, v68, v84, v85
	v_bfe_i32 v34, v5, 0, 8
	v_bfe_i32 v35, v5, 8, 8
	;; [unrolled: 1-line block ×4, first 2 shown]
	v_mul_i32_i24_e32 v90, v243, v33
	v_mul_i32_i24_e32 v91, v242, v4
	v_add3_u32 v66, v66, v88, v89
	v_mul_i32_i24_e32 v88, v73, v53
	v_mul_i32_i24_e32 v89, v164, v11
	v_add3_u32 v68, v68, v86, v87
	v_ashrrev_i32_e32 v5, 24, v5
	v_bfe_i32 v56, v12, 16, 8
	v_ashrrev_i32_e32 v12, 24, v12
	v_mul_i32_i24_e32 v93, v138, v34
	v_mul_i32_i24_e32 v98, v137, v35
	v_add3_u32 v66, v66, v90, v91
	v_mul_i32_i24_e32 v90, v150, v54
	v_mul_i32_i24_e32 v91, v149, v55
	v_add3_u32 v68, v68, v88, v89
	v_bfe_i32 v37, v6, 0, 8
	v_bfe_i32 v38, v6, 8, 8
	;; [unrolled: 1-line block ×4, first 2 shown]
	v_mul_i32_i24_e32 v104, v224, v5
	v_add3_u32 v66, v66, v93, v98
	v_mul_i32_i24_e32 v93, v148, v56
	v_mul_i32_i24_e32 v98, v147, v12
	v_add3_u32 v68, v68, v90, v91
	v_bfe_i32 v39, v6, 16, 8
	v_ashrrev_i32_e32 v6, 24, v6
	v_bfe_i32 v59, v13, 16, 8
	v_ashrrev_i32_e32 v13, 24, v13
	v_mul_i32_i24_e32 v105, v139, v37
	v_mul_i32_i24_e32 v106, v142, v38
	v_add3_u32 v66, v66, v103, v104
	v_mul_i32_i24_e32 v103, v154, v57
	v_mul_i32_i24_e32 v104, v153, v58
	v_add3_u32 v68, v68, v93, v98
	v_bfe_i32 v41, v7, 8, 8
	v_bfe_i32 v60, v14, 0, 8
	;; [unrolled: 1-line block ×3, first 2 shown]
	v_mul_i32_i24_e32 v107, v141, v39
	v_mul_i32_i24_e32 v108, v140, v6
	v_add3_u32 v66, v66, v105, v106
	v_mul_i32_i24_e32 v105, v152, v59
	v_mul_i32_i24_e32 v106, v151, v13
	v_dual_mov_b32 v165, v113 :: v_dual_mov_b32 v164, v115
	v_add3_u32 v68, v68, v103, v104
	v_bfe_i32 v42, v7, 16, 8
	v_ashrrev_i32_e32 v7, 24, v7
	v_bfe_i32 v62, v14, 16, 8
	v_ashrrev_i32_e32 v14, 24, v14
	v_mul_i32_i24_e32 v130, v144, v41
	v_add3_u32 v66, v66, v107, v108
	v_dual_mov_b32 v228, v185 :: v_dual_mov_b32 v185, v163
	v_mul_i32_i24_e32 v107, v165, v60
	v_mul_i32_i24_e32 v108, v164, v61
	v_dual_mov_b32 v163, v116 :: v_dual_mov_b32 v162, v117
	v_add3_u32 v68, v68, v105, v106
	v_bfe_i32 v63, v15, 0, 8
	v_bfe_i32 v64, v15, 8, 8
	v_mul_i32_i24_e32 v131, v143, v42
	v_mul_i32_i24_e32 v132, v145, v7
	v_add3_u32 v66, v66, v109, v130
	v_mul_i32_i24_e32 v109, v163, v62
	v_mul_i32_i24_e32 v130, v162, v14
	v_add3_u32 v68, v68, v107, v108
	v_bfe_i32 v65, v15, 16, 8
	v_ashrrev_i32_e32 v15, 24, v15
	v_add3_u32 v66, v66, v131, v132
	v_mul_i32_i24_e32 v132, v168, v64
	v_add3_u32 v68, v68, v109, v130
	v_fma_mix_f32 v67, v171, v1, v67 op_sel:[0,1,0] op_sel_hi:[0,1,0]
	v_mul_i32_i24_e32 v134, v166, v15
	v_mul_lo_u32 v66, v66, v70
	v_mul_i32_i24_e32 v108, v6, v178
	v_mov_b32_e32 v231, v178
	v_dual_mul_f32 v67, v67, v172 :: v_dual_mov_b32 v178, v101
	scratch_load_b32 v113, off, off offset:388 ; 4-byte Folded Reload
	v_dual_mov_b32 v110, v111 :: v_dual_mov_b32 v111, v112
	v_cvt_f32_i32_e32 v66, v66
	v_mov_b32_e32 v112, v114
	s_clause 0x2
	scratch_load_b32 v114, off, off offset:48
	scratch_load_b32 v115, off, off offset:52
	;; [unrolled: 1-line block ×3, first 2 shown]
	v_fma_mix_f32 v66, v0, v66, 0 op_sel_hi:[1,0,0]
	s_clause 0x8
	scratch_load_b32 v117, off, off offset:392
	scratch_load_b32 v118, off, off offset:396
	;; [unrolled: 1-line block ×9, first 2 shown]
	v_mul_i32_i24_e32 v106, v38, v186
	v_dual_mov_b32 v229, v102 :: v_dual_mov_b32 v186, v100
	v_dual_mov_b32 v233, v189 :: v_dual_mov_b32 v242, v249
	v_mul_i32_i24_e32 v89, v32, v99
	v_mov_b32_e32 v193, v95
	s_clause 0x1
	scratch_load_b32 v97, off, off offset:60
	scratch_load_b32 v99, off, off offset:64
	v_mul_i32_i24_e32 v130, v41, v188
	v_mov_b32_e32 v232, v188
	scratch_load_b32 v188, off, off offset:36 ; 4-byte Folded Reload
	v_mul_i32_i24_e32 v103, v36, v156
	v_mul_i32_i24_e32 v104, v5, v158
	;; [unrolled: 1-line block ×5, first 2 shown]
	s_clause 0x9
	scratch_load_b32 v182, off, off offset:1232
	scratch_load_b32 v153, off, off offset:284
	;; [unrolled: 1-line block ×10, first 2 shown]
	v_mov_b32_e32 v235, v146
	v_dual_mov_b32 v247, v149 :: v_dual_mov_b32 v246, v148
	v_mov_b32_e32 v238, v147
	v_mov_b32_e32 v250, v151
	s_clause 0x5
	scratch_store_b32 off, v170, off offset:928
	scratch_store_b32 off, v185, off offset:1220
	scratch_store_b32 off, v247, off offset:908
	scratch_store_b32 off, v246, off offset:904
	scratch_store_b32 off, v250, off offset:912
	scratch_store_b32 off, v171, off offset:932
	v_dual_mov_b32 v230, v181 :: v_dual_mov_b32 v243, v180
	v_mov_b32_e32 v224, v142
	s_clause 0x3
	scratch_store_b32 off, v238, off offset:900
	scratch_store_b32 off, v229, off offset:872
	;; [unrolled: 1-line block ×4, first 2 shown]
	s_wait_loadcnt 0x21
	v_mul_i32_i24_e32 v131, v169, v63
	s_wait_loadcnt 0x20
	v_mul_i32_i24_e32 v88, v31, v94
	;; [unrolled: 2-line block ×4, first 2 shown]
	v_add3_u32 v68, v68, v131, v132
	v_mul_i32_i24_e32 v132, v7, v189
	scratch_load_b32 v189, off, off offset:40 ; 4-byte Folded Reload
	s_wait_loadcnt 0x1b
	v_mul_i32_i24_e32 v133, v167, v65
	s_delay_alu instid0(VALU_DEP_1) | instskip(SKIP_3) | instid1(VALU_DEP_1)
	v_add3_u32 v68, v68, v133, v134
	v_mul_i32_i24_e32 v134, v15, v207
	scratch_load_b32 v207, off, off offset:856 ; 4-byte Folded Reload
	v_mul_lo_u32 v68, v68, v170
	v_cvt_f32_i32_e32 v68, v68
	s_delay_alu instid0(VALU_DEP_1) | instskip(NEXT) | instid1(VALU_DEP_1)
	v_fma_mix_f32 v66, v1, v68, v66 op_sel_hi:[1,0,0]
	v_fma_f32 v66, v66, v173, -v67
	scratch_load_b32 v67, off, off offset:776 ; 4-byte Folded Reload
	s_wait_loadcnt 0x1c
	v_mul_i32_i24_e32 v68, v20, v113
	s_wait_loadcnt 0x19
	v_mul_i32_i24_e32 v78, v23, v116
	;; [unrolled: 2-line block ×14, first 2 shown]
	s_wait_loadcnt 0x0
	v_add_f32_e32 v67, v67, v66
	v_mul_i32_i24_e32 v66, v17, v110
	scratch_store_b32 off, v67, off offset:776 ; 4-byte Folded Spill
	v_mul_i32_i24_e32 v67, v19, v111
	v_mad_i32_i24 v66, v18, v112, v66
	s_delay_alu instid0(VALU_DEP_1) | instskip(SKIP_2) | instid1(VALU_DEP_1)
	v_add3_u32 v66, v66, v67, v68
	v_mul_i32_i24_e32 v67, v21, v114
	v_mul_i32_i24_e32 v68, v22, v115
	v_add3_u32 v66, v66, v67, v68
	v_mul_i32_i24_e32 v68, v16, v191
	v_fma_mix_f32 v67, v190, v0, 0 op_sel:[0,1,0] op_sel_hi:[0,1,0]
	s_delay_alu instid0(VALU_DEP_3) | instskip(NEXT) | instid1(VALU_DEP_3)
	v_add3_u32 v66, v66, v78, v79
	v_mad_i32_i24 v68, v43, v195, v68
	scratch_load_b32 v195, off, off offset:1236 ; 4-byte Folded Reload
	v_mul_i32_i24_e32 v78, v44, v192
	v_mul_i32_i24_e32 v79, v8, v101
	v_add3_u32 v66, v66, v80, v81
	v_mul_i32_i24_e32 v80, v47, v196
	scratch_load_b32 v196, off, off offset:1244 ; 4-byte Folded Reload
	v_fma_mix_f32 v67, v126, v1, v67 op_sel:[0,1,0] op_sel_hi:[0,1,0]
	v_add3_u32 v68, v68, v78, v79
	v_add3_u32 v66, v66, v82, v83
	v_mul_i32_i24_e32 v82, v48, v197
	scratch_load_b32 v197, off, off offset:984 ; 4-byte Folded Reload
	v_mul_i32_i24_e32 v79, v46, v189
	v_mul_i32_i24_e32 v83, v49, v100
	v_add3_u32 v66, v66, v84, v85
	v_mul_i32_i24_e32 v85, v10, v198
	s_clause 0x1
	scratch_load_b32 v198, off, off offset:988
	scratch_load_b32 v126, off, off offset:276
	v_add3_u32 v66, v66, v86, v87
	v_mul_i32_i24_e32 v87, v52, v95
	scratch_load_b32 v95, off, off offset:44 ; 4-byte Folded Reload
	v_add3_u32 v66, v66, v88, v89
	v_mul_i32_i24_e32 v88, v53, v199
	scratch_load_b32 v199, off, off offset:560 ; 4-byte Folded Reload
	;; [unrolled: 3-line block ×3, first 2 shown]
	v_add3_u32 v66, v66, v93, v98
	v_mul_i32_i24_e32 v93, v56, v200
	v_mul_i32_i24_e32 v98, v12, v201
	s_clause 0x1
	scratch_load_b32 v200, off, off offset:520
	scratch_load_b32 v201, off, off offset:1020
	v_add3_u32 v66, v66, v103, v104
	v_mul_i32_i24_e32 v104, v58, v127
	v_mul_i32_i24_e32 v103, v57, v218
	v_mov_b32_e32 v218, v76
	s_delay_alu instid0(VALU_DEP_4)
	v_add3_u32 v66, v66, v105, v106
	v_mul_i32_i24_e32 v105, v59, v222
	v_mul_i32_i24_e32 v106, v13, v202
	scratch_load_b32 v202, off, off offset:1024 ; 4-byte Folded Reload
	v_mov_b32_e32 v222, v179
	v_add3_u32 v66, v66, v107, v108
	v_mul_i32_i24_e32 v108, v61, v128
	scratch_load_b32 v128, off, off offset:136 ; 4-byte Folded Reload
	v_mul_i32_i24_e32 v107, v60, v203
	scratch_load_b32 v203, off, off offset:1028 ; 4-byte Folded Reload
	v_add3_u32 v66, v66, v109, v130
	v_mul_i32_i24_e32 v109, v62, v204
	v_mul_i32_i24_e32 v130, v14, v205
	s_clause 0x1
	scratch_load_b32 v204, off, off offset:296
	scratch_load_b32 v205, off, off offset:300
	v_add3_u32 v66, v66, v131, v132
	v_mul_i32_i24_e32 v131, v63, v206
	scratch_load_b32 v206, off, off offset:1076 ; 4-byte Folded Reload
	v_mul_i32_i24_e32 v132, v64, v129
	v_mul_lo_u32 v66, v66, v194
	v_mov_b32_e32 v194, v127
	scratch_load_b32 v127, off, off offset:148 ; 4-byte Folded Reload
	v_cvt_f32_i32_e32 v66, v66
	s_delay_alu instid0(VALU_DEP_1) | instskip(SKIP_4) | instid1(VALU_DEP_2)
	v_fma_mix_f32 v66, v0, v66, 0 op_sel_hi:[1,0,0]
	s_wait_loadcnt 0x10
	v_mul_i32_i24_e32 v78, v45, v195
	s_wait_loadcnt 0xf
	v_mul_i32_i24_e32 v81, v9, v196
	v_add3_u32 v68, v68, v78, v79
	v_mul_i32_i24_e32 v78, v23, v212
	v_mul_i32_i24_e32 v79, v24, v217
	scratch_load_b32 v212, off, off offset:996 ; 4-byte Folded Reload
	s_wait_loadcnt 0xf
	v_mul_i32_i24_e32 v84, v50, v197
	v_add3_u32 v68, v68, v80, v81
	v_mul_i32_i24_e32 v81, v26, v219
	scratch_load_b32 v217, off, off offset:1212 ; 4-byte Folded Reload
	s_wait_loadcnt 0xf
	v_mul_i32_i24_e32 v86, v51, v198
	v_add3_u32 v68, v68, v82, v83
	v_mul_i32_i24_e32 v82, v27, v226
	v_mul_i32_i24_e32 v83, v2, v240
	s_wait_loadcnt 0xd
	v_mul_i32_i24_e32 v91, v55, v95
	v_add3_u32 v68, v68, v84, v85
	s_wait_loadcnt 0xc
	v_mul_i32_i24_e32 v89, v11, v199
	s_delay_alu instid0(VALU_DEP_2)
	v_add3_u32 v68, v68, v86, v87
	s_wait_loadcnt 0xb
	v_mul_i32_i24_e32 v84, v28, v74
	scratch_load_b32 v74, off, off offset:76 ; 4-byte Folded Reload
	v_add3_u32 v68, v68, v88, v89
	s_wait_loadcnt 0xb
	v_mul_i32_i24_e32 v2, v2, v200
	s_delay_alu instid0(VALU_DEP_2) | instskip(NEXT) | instid1(VALU_DEP_1)
	v_add3_u32 v68, v68, v90, v91
	v_add3_u32 v68, v68, v93, v98
	s_delay_alu instid0(VALU_DEP_1) | instskip(NEXT) | instid1(VALU_DEP_1)
	v_add3_u32 v68, v68, v103, v104
	v_add3_u32 v68, v68, v105, v106
	v_mul_i32_i24_e32 v106, v38, v76
	scratch_load_b32 v76, off, off offset:112 ; 4-byte Folded Reload
	v_mul_i32_i24_e32 v105, v37, v249
	v_add3_u32 v68, v68, v107, v108
	v_mul_i32_i24_e32 v107, v39, v92
	s_wait_loadcnt 0x5
	v_mul_i32_i24_e32 v133, v65, v206
	s_delay_alu instid0(VALU_DEP_3) | instskip(SKIP_3) | instid1(VALU_DEP_3)
	v_add3_u32 v68, v68, v109, v130
	v_mul_i32_i24_e32 v109, v40, v179
	s_wait_loadcnt 0x4
	v_mul_f32_e32 v67, v67, v127
	v_add3_u32 v68, v68, v131, v132
	v_mul_i32_i24_e32 v131, v42, v125
	v_mul_i32_i24_e32 v132, v7, v208
	scratch_load_b32 v125, off, off offset:956 ; 4-byte Folded Reload
	v_add3_u32 v68, v68, v133, v134
	v_mul_i32_i24_e32 v134, v15, v75
	scratch_load_b32 v75, off, off offset:564 ; 4-byte Folded Reload
	v_mul_i32_i24_e32 v15, v15, v253
	v_mul_lo_u32 v68, v68, v160
	scratch_load_b32 v160, off, off offset:868 ; 4-byte Folded Reload
	v_cvt_f32_i32_e32 v68, v68
	s_delay_alu instid0(VALU_DEP_1)
	v_fma_mix_f32 v66, v1, v68, v66 op_sel_hi:[1,0,0]
	v_mul_i32_i24_e32 v68, v20, v211
	scratch_load_b32 v211, off, off offset:864 ; 4-byte Folded Reload
	v_fma_f32 v66, v66, v128, -v67
	scratch_load_b32 v67, off, off offset:772 ; 4-byte Folded Reload
	s_wait_loadcnt 0x6
	v_mul_i32_i24_e32 v85, v29, v74
	scratch_load_b32 v74, off, off offset:80 ; 4-byte Folded Reload
	s_wait_loadcnt 0x3
	v_mul_i32_i24_e32 v80, v25, v160
	s_wait_loadcnt 0x1
	v_add_f32_e32 v67, v67, v66
	v_mul_i32_i24_e32 v66, v17, v207
	v_mul_i32_i24_e32 v17, v17, v182
	scratch_store_b32 off, v67, off offset:772 ; 4-byte Folded Spill
	v_mad_i32_i24 v66, v18, v210, v66
	scratch_load_b32 v210, off, off offset:860 ; 4-byte Folded Reload
	v_mul_i32_i24_e32 v67, v19, v209
	v_mov_b32_e32 v241, v208
	scratch_load_b32 v208, off, off offset:960 ; 4-byte Folded Reload
	v_mul_i32_i24_e32 v19, v19, v125
	v_mad_i32_i24 v17, v18, v126, v17
	v_add3_u32 v66, v66, v67, v68
	v_mul_i32_i24_e32 v68, v22, v211
	v_mul_i32_i24_e32 v18, v21, v152
	v_mov_b32_e32 v209, v92
	scratch_load_b32 v92, off, off offset:568 ; 4-byte Folded Reload
	s_wait_loadcnt 0x3
	v_mul_i32_i24_e32 v86, v30, v74
	scratch_load_b32 v74, off, off offset:84 ; 4-byte Folded Reload
	s_wait_loadcnt 0x3
	v_mul_i32_i24_e32 v67, v21, v210
	v_mul_i32_i24_e32 v21, v24, v156
	;; [unrolled: 1-line block ×3, first 2 shown]
	s_wait_loadcnt 0x2
	v_mul_i32_i24_e32 v20, v20, v208
	scratch_load_b32 v27, off, off offset:512 ; 4-byte Folded Reload
	v_add3_u32 v66, v66, v67, v68
	v_mul_i32_i24_e32 v68, v16, v180
	scratch_load_b32 v67, off, off offset:116 ; 4-byte Folded Reload
	v_add3_u32 v17, v17, v19, v20
	v_mul_i32_i24_e32 v19, v22, v153
	v_add3_u32 v66, v66, v78, v79
	v_mul_i32_i24_e32 v79, v8, v76
	scratch_load_b32 v76, off, off offset:660 ; 4-byte Folded Reload
	v_mul_i32_i24_e32 v22, v25, v157
	scratch_load_b32 v25, off, off offset:504 ; 4-byte Folded Reload
	v_add3_u32 v66, v66, v80, v81
	v_mul_i32_i24_e32 v20, v23, v154
	v_mul_i32_i24_e32 v23, v26, v158
	scratch_load_b32 v26, off, off offset:508 ; 4-byte Folded Reload
	v_add3_u32 v17, v17, v18, v19
	v_add3_u32 v66, v66, v82, v83
	s_wait_loadcnt 0x6
	v_mul_i32_i24_e32 v7, v7, v92
	v_mul_i32_i24_e32 v18, v52, v136
	;; [unrolled: 1-line block ×3, first 2 shown]
	v_add3_u32 v17, v17, v20, v21
	v_add3_u32 v66, v66, v84, v85
	scratch_load_b32 v20, off, off offset:1084 ; 4-byte Folded Reload
	v_mul_i32_i24_e32 v21, v55, v161
	v_add3_u32 v17, v17, v22, v23
	v_mul_i32_i24_e32 v22, v56, v237
	v_mul_i32_i24_e32 v23, v57, v244
	s_delay_alu instid0(VALU_DEP_3)
	v_add3_u32 v2, v17, v24, v2
	scratch_load_b32 v17, off, off offset:264 ; 4-byte Folded Reload
	v_mul_i32_i24_e32 v24, v58, v174
	s_wait_loadcnt 0x7
	v_mul_i32_i24_e32 v87, v3, v74
	scratch_load_b32 v74, off, off offset:88 ; 4-byte Folded Reload
	v_add3_u32 v66, v66, v86, v87
	s_wait_loadcnt 0x7
	v_mul_i32_i24_e32 v27, v30, v27
	v_mul_i32_i24_e32 v30, v33, v214
	s_wait_loadcnt 0x5
	v_mad_i32_i24 v68, v43, v76, v68
	scratch_load_b32 v76, off, off offset:664 ; 4-byte Folded Reload
	s_wait_loadcnt 0x5
	v_mul_i32_i24_e32 v25, v28, v25
	scratch_load_b32 v28, off, off offset:516 ; 4-byte Folded Reload
	s_wait_loadcnt 0x5
	v_mul_i32_i24_e32 v26, v29, v26
	v_mul_i32_i24_e32 v29, v32, v213
	s_delay_alu instid0(VALU_DEP_2)
	v_add3_u32 v2, v2, v25, v26
	scratch_load_b32 v26, off, off offset:1064 ; 4-byte Folded Reload
	v_mul_i32_i24_e32 v25, v59, v245
	v_mov_b32_e32 v245, v199
	s_wait_loadcnt 0x4
	v_mul_i32_i24_e32 v17, v51, v17
	s_wait_loadcnt 0x3
	v_mul_i32_i24_e32 v88, v31, v74
	scratch_load_b32 v74, off, off offset:652 ; 4-byte Folded Reload
	s_wait_loadcnt 0x2
	v_mul_i32_i24_e32 v3, v3, v28
	v_mul_i32_i24_e32 v28, v31, v212
	;; [unrolled: 1-line block ×3, first 2 shown]
	s_delay_alu instid0(VALU_DEP_3)
	v_add3_u32 v2, v2, v27, v3
	scratch_load_b32 v3, off, off offset:524 ; 4-byte Folded Reload
	v_mul_i32_i24_e32 v27, v61, v69
	s_wait_loadcnt 0x2
	v_mul_i32_i24_e32 v26, v60, v26
	v_add3_u32 v2, v2, v28, v29
	scratch_load_b32 v29, off, off offset:1068 ; 4-byte Folded Reload
	v_mul_i32_i24_e32 v28, v62, v248
	s_wait_loadcnt 0x2
	v_mul_i32_i24_e32 v89, v32, v74
	scratch_load_b32 v74, off, off offset:92 ; 4-byte Folded Reload
	v_mul_i32_i24_e32 v32, v35, v223
	v_add3_u32 v66, v66, v88, v89
	s_wait_loadcnt 0x2
	v_mul_i32_i24_e32 v3, v16, v3
	v_mul_i32_i24_e32 v16, v50, v183
	s_wait_loadcnt 0x0
	v_mul_i32_i24_e32 v90, v33, v74
	scratch_load_b32 v74, off, off offset:656 ; 4-byte Folded Reload
	v_mul_i32_i24_e32 v33, v36, v201
	s_wait_loadcnt 0x0
	v_mul_i32_i24_e32 v91, v4, v74
	scratch_load_b32 v74, off, off offset:1112 ; 4-byte Folded Reload
	v_mul_i32_i24_e32 v4, v4, v220
	v_add3_u32 v66, v66, v90, v91
	s_delay_alu instid0(VALU_DEP_2)
	v_add3_u32 v2, v2, v30, v4
	scratch_load_b32 v4, off, off offset:980 ; 4-byte Folded Reload
	v_mul_i32_i24_e32 v30, v64, v252
	v_add3_u32 v2, v2, v31, v32
	scratch_load_b32 v31, off, off offset:1072 ; 4-byte Folded Reload
	s_wait_loadcnt 0x2
	v_mul_i32_i24_e32 v93, v34, v74
	scratch_load_b32 v74, off, off offset:1116 ; 4-byte Folded Reload
	v_mul_i32_i24_e32 v34, v37, v203
	scratch_load_b32 v37, off, off offset:32 ; 4-byte Folded Reload
	s_wait_loadcnt 0x3
	v_mul_i32_i24_e32 v4, v44, v4
	s_wait_loadcnt 0x2
	v_mul_i32_i24_e32 v31, v65, v31
	;; [unrolled: 2-line block ×3, first 2 shown]
	scratch_load_b32 v74, off, off offset:1120 ; 4-byte Folded Reload
	v_mul_i32_i24_e32 v35, v38, v204
	v_mul_i32_i24_e32 v38, v41, v71
	v_add3_u32 v66, v66, v93, v98
	s_wait_loadcnt 0x0
	v_mul_i32_i24_e32 v103, v36, v74
	scratch_load_b32 v74, off, off offset:648 ; 4-byte Folded Reload
	s_wait_loadcnt 0x0
	v_mul_i32_i24_e32 v104, v5, v74
	scratch_load_b32 v74, off, off offset:1104 ; 4-byte Folded Reload
	v_mul_i32_i24_e32 v5, v5, v202
	v_add3_u32 v66, v66, v103, v104
	s_delay_alu instid0(VALU_DEP_2)
	v_add3_u32 v2, v2, v33, v5
	scratch_load_b32 v5, off, off offset:28 ; 4-byte Folded Reload
	v_add3_u32 v66, v66, v105, v106
	v_add3_u32 v2, v2, v34, v35
	s_wait_loadcnt 0x1
	v_mul_i32_i24_e32 v108, v6, v74
	scratch_load_b32 v74, off, off offset:1108 ; 4-byte Folded Reload
	v_mul_i32_i24_e32 v6, v6, v37
	v_mul_i32_i24_e32 v37, v40, v217
	v_add3_u32 v66, v66, v107, v108
	s_wait_loadcnt 0x1
	v_mul_i32_i24_e32 v5, v8, v5
	v_mul_i32_i24_e32 v8, v48, v135
	s_wait_loadcnt 0x0
	v_mul_i32_i24_e32 v130, v41, v74
	scratch_load_b32 v74, off, off offset:304 ; 4-byte Folded Reload
	v_add3_u32 v66, v66, v109, v130
	s_delay_alu instid0(VALU_DEP_1) | instskip(NEXT) | instid1(VALU_DEP_1)
	v_add3_u32 v66, v66, v131, v132
	v_mul_lo_u32 v66, v66, v67
	scratch_load_b32 v67, off, off offset:1100 ; 4-byte Folded Reload
	v_cvt_f32_i32_e32 v66, v66
	s_delay_alu instid0(VALU_DEP_1) | instskip(SKIP_2) | instid1(VALU_DEP_1)
	v_fma_mix_f32 v66, v0, v66, 0 op_sel_hi:[1,0,0]
	s_wait_loadcnt 0x1
	v_mul_i32_i24_e32 v78, v44, v74
	v_add3_u32 v68, v68, v78, v79
	v_mul_i32_i24_e32 v78, v45, v76
	scratch_load_b32 v76, off, off offset:672 ; 4-byte Folded Reload
	s_wait_loadcnt 0x1
	v_fma_mix_f32 v67, v67, v0, 0 op_sel:[0,1,0] op_sel_hi:[0,1,0]
	s_wait_loadcnt 0x0
	v_mul_i32_i24_e32 v79, v46, v76
	scratch_load_b32 v76, off, off offset:668 ; 4-byte Folded Reload
	v_add3_u32 v68, v68, v78, v79
	s_wait_loadcnt 0x0
	v_mul_i32_i24_e32 v80, v47, v76
	scratch_load_b32 v76, off, off offset:96 ; 4-byte Folded Reload
	s_wait_loadcnt 0x0
	v_mul_i32_i24_e32 v81, v9, v76
	scratch_load_b32 v76, off, off offset:100 ; 4-byte Folded Reload
	v_add3_u32 v68, v68, v80, v81
	s_wait_loadcnt 0x0
	v_mul_i32_i24_e32 v82, v48, v76
	scratch_load_b32 v76, off, off offset:104 ; 4-byte Folded Reload
	;; [unrolled: 7-line block ×3, first 2 shown]
	s_wait_loadcnt 0x0
	v_mul_i32_i24_e32 v85, v10, v76
	scratch_load_b32 v76, off, off offset:120 ; 4-byte Folded Reload
	v_mul_i32_i24_e32 v10, v10, v215
	v_add3_u32 v68, v68, v84, v85
	s_wait_loadcnt 0x0
	v_mul_i32_i24_e32 v86, v51, v76
	scratch_load_b32 v76, off, off offset:128 ; 4-byte Folded Reload
	s_wait_loadcnt 0x0
	v_mul_i32_i24_e32 v87, v52, v76
	scratch_load_b32 v76, off, off offset:124 ; 4-byte Folded Reload
	v_add3_u32 v68, v68, v86, v87
	s_wait_loadcnt 0x0
	v_mul_i32_i24_e32 v88, v53, v76
	scratch_load_b32 v76, off, off offset:108 ; 4-byte Folded Reload
	s_wait_loadcnt 0x0
	v_mul_i32_i24_e32 v89, v11, v76
	scratch_load_b32 v76, off, off offset:632 ; 4-byte Folded Reload
	v_mul_i32_i24_e32 v11, v11, v20
	v_mul_i32_i24_e32 v20, v54, v236
	v_add3_u32 v68, v68, v88, v89
	s_wait_loadcnt 0x0
	v_mul_i32_i24_e32 v90, v54, v76
	scratch_load_b32 v76, off, off offset:1124 ; 4-byte Folded Reload
	s_wait_loadcnt 0x0
	v_mul_i32_i24_e32 v91, v55, v76
	scratch_load_b32 v76, off, off offset:636 ; 4-byte Folded Reload
	v_add3_u32 v68, v68, v90, v91
	s_wait_loadcnt 0x0
	v_mul_i32_i24_e32 v93, v56, v76
	scratch_load_b32 v76, off, off offset:1128 ; 4-byte Folded Reload
	s_wait_loadcnt 0x0
	v_mul_i32_i24_e32 v98, v12, v76
	scratch_load_b32 v76, off, off offset:1132 ; 4-byte Folded Reload
	v_mul_i32_i24_e32 v12, v12, v239
	v_add3_u32 v68, v68, v93, v98
	s_wait_loadcnt 0x0
	v_mul_i32_i24_e32 v103, v57, v76
	scratch_load_b32 v76, off, off offset:1136 ; 4-byte Folded Reload
	s_wait_loadcnt 0x0
	v_mul_i32_i24_e32 v104, v58, v76
	scratch_load_b32 v76, off, off offset:344 ; 4-byte Folded Reload
	v_add3_u32 v68, v68, v103, v104
	s_wait_loadcnt 0x0
	v_mul_i32_i24_e32 v105, v59, v76
	scratch_load_b32 v76, off, off offset:536 ; 4-byte Folded Reload
	s_wait_loadcnt 0x0
	v_mul_i32_i24_e32 v106, v13, v76
	scratch_load_b32 v76, off, off offset:540 ; 4-byte Folded Reload
	;; [unrolled: 15-line block ×3, first 2 shown]
	v_mul_i32_i24_e32 v14, v14, v29
	v_mul_i32_i24_e32 v29, v63, v72
	v_add3_u32 v68, v68, v109, v130
	s_wait_loadcnt 0x0
	v_mul_i32_i24_e32 v131, v63, v76
	scratch_load_b32 v76, off, off offset:1144 ; 4-byte Folded Reload
	s_wait_loadcnt 0x0
	v_mul_i32_i24_e32 v132, v64, v76
	scratch_load_b32 v76, off, off offset:1140 ; 4-byte Folded Reload
	v_add3_u32 v68, v68, v131, v132
	s_wait_loadcnt 0x0
	v_mul_i32_i24_e32 v133, v65, v76
	scratch_load_b32 v76, off, off offset:1032 ; 4-byte Folded Reload
	v_add3_u32 v68, v68, v133, v134
	s_delay_alu instid0(VALU_DEP_1) | instskip(NEXT) | instid1(VALU_DEP_1)
	v_mul_lo_u32 v68, v68, v251
	v_cvt_f32_i32_e32 v68, v68
	s_delay_alu instid0(VALU_DEP_1) | instskip(SKIP_4) | instid1(VALU_DEP_2)
	v_fma_mix_f32 v66, v1, v68, v66 op_sel_hi:[1,0,0]
	scratch_load_b32 v68, off, off offset:500 ; 4-byte Folded Reload
	s_wait_loadcnt 0x1
	v_mul_i32_i24_e32 v36, v39, v76
	v_mul_i32_i24_e32 v39, v42, v75
	v_add3_u32 v2, v2, v36, v6
	scratch_load_b32 v6, off, off offset:532 ; 4-byte Folded Reload
	v_add3_u32 v2, v2, v37, v38
	s_delay_alu instid0(VALU_DEP_1)
	v_add3_u32 v2, v2, v39, v7
	scratch_load_b32 v7, off, off offset:244 ; 4-byte Folded Reload
	v_mul_lo_u32 v2, v2, v205
	s_wait_loadcnt 0x2
	v_fma_mix_f32 v67, v68, v1, v67 op_sel:[0,1,0] op_sel_hi:[0,1,0]
	scratch_load_b32 v68, off, off offset:16 ; 4-byte Folded Reload
	v_cvt_f32_i32_e32 v2, v2
	s_delay_alu instid0(VALU_DEP_1) | instskip(SKIP_1) | instid1(VALU_DEP_1)
	v_fma_mix_f32 v2, v0, v2, 0 op_sel_hi:[1,0,0]
	v_fma_mix_f32 v0, v155, v0, 0 op_sel:[0,1,0] op_sel_hi:[0,1,0]
	v_fma_mix_f32 v0, v255, v1, v0 op_sel:[0,1,0] op_sel_hi:[0,1,0]
	s_wait_loadcnt 0x2
	v_mad_i32_i24 v3, v43, v6, v3
	scratch_load_b32 v6, off, off offset:236 ; 4-byte Folded Reload
	v_add3_u32 v3, v3, v4, v5
	scratch_load_b32 v4, off, off offset:24 ; 4-byte Folded Reload
	v_mul_i32_i24_e32 v5, v46, v175
	s_wait_loadcnt 0x3
	v_mul_i32_i24_e32 v7, v9, v7
	v_mul_i32_i24_e32 v9, v49, v184
	s_wait_loadcnt 0x2
	v_mul_f32_e32 v67, v67, v68
	scratch_load_b32 v68, off, off offset:140 ; 4-byte Folded Reload
	s_wait_loadcnt 0x2
	v_mul_i32_i24_e32 v6, v47, v6
	s_wait_loadcnt 0x1
	v_mul_i32_i24_e32 v4, v45, v4
	s_delay_alu instid0(VALU_DEP_1) | instskip(NEXT) | instid1(VALU_DEP_1)
	v_add3_u32 v3, v3, v4, v5
	v_add3_u32 v3, v3, v6, v7
	s_wait_loadcnt 0x0
	v_fma_f32 v66, v66, v68, -v67
	scratch_load_b32 v67, off, off offset:768 ; 4-byte Folded Reload
	v_add3_u32 v3, v3, v8, v9
	s_delay_alu instid0(VALU_DEP_1) | instskip(NEXT) | instid1(VALU_DEP_1)
	v_add3_u32 v3, v3, v16, v10
	v_add3_u32 v3, v3, v17, v18
	s_delay_alu instid0(VALU_DEP_1) | instskip(NEXT) | instid1(VALU_DEP_1)
	v_add3_u32 v3, v3, v19, v11
	;; [unrolled: 3-line block ×6, first 2 shown]
	v_mul_lo_u32 v3, v3, v254
	s_delay_alu instid0(VALU_DEP_1) | instskip(NEXT) | instid1(VALU_DEP_1)
	v_cvt_f32_i32_e32 v3, v3
	v_fma_mix_f32 v2, v1, v3, v2 op_sel_hi:[1,0,0]
	scratch_load_b32 v1, off, off offset:20 ; 4-byte Folded Reload
	s_wait_loadcnt 0x0
	v_dual_add_f32 v67, v67, v66 :: v_dual_mul_f32 v0, v0, v1
	scratch_load_b32 v1, off, off           ; 4-byte Folded Reload
	s_wait_loadcnt 0x0
	v_fma_f32 v0, v2, v1, -v0
	scratch_load_b32 v1, off, off offset:764 ; 4-byte Folded Reload
	s_wait_loadcnt 0x0
	v_add_f32_e32 v1, v1, v0
	scratch_load_b32 v0, off, off offset:1260 ; 4-byte Folded Reload
	s_clause 0x1
	scratch_store_b32 off, v67, off offset:768
	scratch_store_b32 off, v1, off offset:764
	s_wait_loadcnt 0x0
	v_or_b32_e32 v0, s12, v0
	s_delay_alu instid0(VALU_DEP_1)
	v_lshlrev_b32_e32 v12, 2, v0
	v_lshrrev_b32_e32 v16, 1, v0
	ds_load_b128 v[0:3], v12 offset:16896
	ds_load_b128 v[4:7], v12 offset:16912
	;; [unrolled: 1-line block ×4, first 2 shown]
	s_clause 0x1f
	scratch_load_b32 v181, off, off offset:208
	scratch_load_b32 v148, off, off offset:212
	;; [unrolled: 1-line block ×32, first 2 shown]
	s_clause 0xf
	scratch_load_b32 v151, off, off offset:224
	scratch_load_b32 v176, off, off offset:232
	scratch_load_b32 v234, off, off offset:576
	scratch_load_b32 v244, off, off offset:592
	scratch_load_b32 v161, off, off offset:496
	scratch_load_b32 v102, off, off offset:228
	scratch_load_b32 v150, off, off offset:220
	scratch_load_b32 v149, off, off offset:216
	scratch_load_b32 v191, off, off offset:692
	scratch_load_b32 v190, off, off offset:688
	scratch_load_b32 v192, off, off offset:684
	scratch_load_b32 v248, off, off offset:600
	scratch_load_b32 v251, off, off offset:608
	scratch_load_b32 v253, off, off offset:612
	scratch_load_b32 v254, off, off offset:616
	scratch_load_b32 v174, off, off offset:628
	s_wait_dscnt 0x3
	v_bfe_i32 v17, v0, 0, 8
	v_bfe_i32 v18, v0, 8, 8
	v_bfe_i32 v19, v0, 16, 8
	v_ashrrev_i32_e32 v20, 24, v0
	v_bfe_i32 v21, v1, 0, 8
	v_bfe_i32 v22, v1, 8, 8
	v_bfe_i32 v23, v1, 16, 8
	v_ashrrev_i32_e32 v24, 24, v1
	;; [unrolled: 4-line block ×4, first 2 shown]
	s_wait_dscnt 0x2
	v_bfe_i32 v31, v4, 0, 8
	v_bfe_i32 v32, v4, 8, 8
	;; [unrolled: 1-line block ×3, first 2 shown]
	v_ashrrev_i32_e32 v4, 24, v4
	v_bfe_i32 v34, v5, 0, 8
	v_bfe_i32 v35, v5, 8, 8
	;; [unrolled: 1-line block ×3, first 2 shown]
	v_ashrrev_i32_e32 v5, 24, v5
	v_bfe_i32 v37, v6, 0, 8
	v_bfe_i32 v38, v6, 8, 8
	v_mov_b32_e32 v101, v224
	v_bfe_i32 v39, v6, 16, 8
	v_ashrrev_i32_e32 v6, 24, v6
	v_bfe_i32 v40, v7, 0, 8
	v_bfe_i32 v41, v7, 8, 8
	v_mul_i32_i24_e32 v106, v101, v38
	v_bfe_i32 v42, v7, 16, 8
	v_ashrrev_i32_e32 v7, 24, v7
	s_clause 0x1
	scratch_load_b32 v215, off, off offset:1240
	scratch_load_b32 v69, off, off offset:1228
	s_wait_dscnt 0x1
	v_bfe_i32 v53, v11, 16, 8
	scratch_load_b32 v224, off, off offset:680 ; 4-byte Folded Reload
	ds_load_b64 v[0:1], v16 offset:27200
	v_bfe_i32 v16, v8, 0, 8
	v_bfe_i32 v43, v8, 8, 8
	v_bfe_i32 v44, v8, 16, 8
	v_ashrrev_i32_e32 v8, 24, v8
	v_bfe_i32 v45, v9, 0, 8
	v_bfe_i32 v46, v9, 8, 8
	v_bfe_i32 v47, v9, 16, 8
	v_ashrrev_i32_e32 v9, 24, v9
	;; [unrolled: 4-line block ×3, first 2 shown]
	v_bfe_i32 v51, v11, 0, 8
	v_bfe_i32 v52, v11, 8, 8
	v_ashrrev_i32_e32 v11, 24, v11
	s_wait_dscnt 0x1
	v_bfe_i32 v54, v12, 0, 8
	v_bfe_i32 v55, v12, 8, 8
	v_bfe_i32 v56, v12, 16, 8
	v_ashrrev_i32_e32 v12, 24, v12
	v_bfe_i32 v57, v13, 0, 8
	v_bfe_i32 v58, v13, 8, 8
	v_bfe_i32 v59, v13, 16, 8
	v_ashrrev_i32_e32 v13, 24, v13
	;; [unrolled: 4-line block ×4, first 2 shown]
	scratch_load_b32 v199, off, off offset:16 ; 4-byte Folded Reload
	scratch_store_b32 off, v101, off offset:1216 ; 4-byte Folded Spill
	v_mul_i32_i24_e32 v133, v167, v65
	v_mul_i32_i24_e32 v134, v166, v15
	s_clause 0x1
	scratch_load_b32 v166, off, off offset:108
	scratch_load_b32 v167, off, off offset:632
	s_wait_loadcnt 0x35
	v_mul_i32_i24_e32 v66, v181, v17
	s_wait_loadcnt 0x34
	v_mul_i32_i24_e32 v91, v148, v4
	;; [unrolled: 2-line block ×13, first 2 shown]
	s_wait_loadcnt 0x25
	v_mad_i32_i24 v66, v135, v18, v66
	s_wait_loadcnt 0x24
	v_mul_i32_i24_e32 v93, v219, v34
	s_wait_loadcnt 0x23
	v_mul_i32_i24_e32 v105, v175, v37
	;; [unrolled: 2-line block ×4, first 2 shown]
	v_add3_u32 v66, v66, v67, v68
	v_mul_i32_i24_e32 v67, v139, v21
	v_mul_i32_i24_e32 v68, v138, v22
	s_wait_loadcnt 0x1d
	v_mul_i32_i24_e32 v79, v136, v24
	v_mul_i32_i24_e32 v108, v240, v6
	s_wait_loadcnt 0x1c
	v_mul_i32_i24_e32 v132, v155, v7
	v_add3_u32 v66, v66, v67, v68
	s_wait_loadcnt 0x15
	v_mul_i32_i24_e32 v88, v151, v31
	s_delay_alu instid0(VALU_DEP_2)
	v_add3_u32 v66, v66, v78, v79
	s_wait_loadcnt 0x14
	v_mul_i32_i24_e32 v109, v176, v40
	v_mul_i32_i24_e32 v78, v227, v44
	;; [unrolled: 1-line block ×3, first 2 shown]
	s_wait_loadcnt 0x10
	v_mul_i32_i24_e32 v130, v102, v41
	v_add3_u32 v66, v66, v80, v81
	s_wait_loadcnt 0xf
	v_mul_i32_i24_e32 v89, v150, v32
	s_wait_loadcnt 0xe
	v_mul_i32_i24_e32 v90, v149, v33
	s_wait_loadcnt 0xd
	v_mul_i32_i24_e32 v98, v191, v35
	s_wait_loadcnt 0xc
	v_mul_i32_i24_e32 v103, v190, v36
	v_add3_u32 v66, v66, v82, v83
	s_wait_loadcnt 0xb
	v_mul_i32_i24_e32 v104, v192, v5
	v_mul_i32_i24_e32 v80, v184, v47
	;; [unrolled: 1-line block ×4, first 2 shown]
	v_add3_u32 v66, v66, v84, v85
	v_mul_i32_i24_e32 v84, v185, v50
	v_mul_i32_i24_e32 v85, v71, v10
	s_clause 0x1
	scratch_load_b32 v225, off, off offset:584
	scratch_load_b32 v227, off, off offset:1172
	v_add3_u32 v66, v66, v86, v87
	scratch_load_b32 v87, off, off offset:528 ; 4-byte Folded Reload
	v_mul_i32_i24_e32 v86, v235, v51
	scratch_load_b32 v228, off, off offset:572 ; 4-byte Folded Reload
	v_mov_b32_e32 v235, v196
	v_add3_u32 v66, v66, v88, v89
	v_mul_i32_i24_e32 v88, v73, v53
	s_clause 0x2
	scratch_load_b32 v73, off, off offset:992
	scratch_load_b32 v216, off, off offset:100
	;; [unrolled: 1-line block ×3, first 2 shown]
	v_add3_u32 v66, v66, v90, v91
	scratch_load_b32 v90, off, off offset:448 ; 4-byte Folded Reload
	v_mul_i32_i24_e32 v91, v247, v55
	s_clause 0x1
	scratch_load_b32 v247, off, off offset:596
	scratch_load_b32 v196, off, off offset:644
	v_add3_u32 v66, v66, v93, v98
	v_mul_i32_i24_e32 v93, v246, v56
	v_mul_i32_i24_e32 v98, v238, v12
	s_clause 0x1
	scratch_load_b32 v238, off, off offset:1188
	scratch_load_b32 v246, off, off offset:1192
	v_add3_u32 v66, v66, v103, v104
	s_clause 0x1
	scratch_load_b32 v103, off, off offset:460
	scratch_load_b32 v104, off, off offset:456
	v_add3_u32 v66, v66, v105, v106
	scratch_load_b32 v105, off, off offset:452 ; 4-byte Folded Reload
	v_mul_i32_i24_e32 v106, v250, v13
	scratch_load_b32 v250, off, off offset:604 ; 4-byte Folded Reload
	s_wait_loadcnt 0x15
	v_mul_i32_i24_e32 v68, v215, v16
	v_add3_u32 v66, v66, v107, v108
	s_wait_loadcnt 0x14
	v_mul_i32_i24_e32 v82, v69, v48
	v_mul_i32_i24_e32 v107, v165, v60
	v_mul_i32_i24_e32 v108, v164, v61
	v_mad_i32_i24 v68, v187, v43, v68
	v_add3_u32 v66, v66, v109, v130
	v_mul_i32_i24_e32 v109, v163, v62
	v_mul_i32_i24_e32 v130, v162, v14
	s_wait_loadcnt_dscnt 0x1300
	v_fma_mix_f32 v67, v224, v0, 0 op_sel:[0,1,0] op_sel_hi:[0,1,0]
	v_add3_u32 v68, v68, v78, v79
	v_add3_u32 v66, v66, v131, v132
	v_mul_i32_i24_e32 v79, v72, v46
	v_mul_i32_i24_e32 v131, v169, v63
	;; [unrolled: 1-line block ×3, first 2 shown]
	v_fma_mix_f32 v67, v171, v1, v67 op_sel:[0,1,0] op_sel_hi:[0,1,0]
	v_mul_lo_u32 v66, v66, v70
	s_clause 0x2
	scratch_load_b32 v70, off, off offset:888
	scratch_load_b32 v169, off, off offset:1164
	;; [unrolled: 1-line block ×3, first 2 shown]
	v_mul_f32_e32 v67, v67, v172
	v_mov_b32_e32 v237, v197
	s_clause 0x1
	scratch_load_b32 v171, off, off offset:1132
	scratch_load_b32 v162, off, off offset:92
	v_cvt_f32_i32_e32 v66, v66
	s_clause 0x3
	scratch_load_b32 v164, off, off offset:1112
	scratch_load_b32 v165, off, off offset:1116
	;; [unrolled: 1-line block ×4, first 2 shown]
	v_fma_mix_f32 v66, v0, v66, 0 op_sel_hi:[1,0,0]
	s_clause 0x1
	scratch_load_b32 v187, off, off offset:540
	scratch_load_b32 v197, off, off offset:500
	s_wait_loadcnt 0x18
	v_mul_i32_i24_e32 v87, v87, v52
	s_wait_loadcnt 0x16
	v_mul_i32_i24_e32 v89, v73, v11
	;; [unrolled: 2-line block ×7, first 2 shown]
	s_delay_alu instid0(VALU_DEP_1)
	v_add3_u32 v68, v68, v78, v79
	v_mul_i32_i24_e32 v79, v24, v117
	scratch_load_b32 v117, off, off offset:620 ; 4-byte Folded Reload
	v_mul_i32_i24_e32 v78, v23, v116
	scratch_load_b32 v116, off, off offset:1080 ; 4-byte Folded Reload
	v_add3_u32 v68, v68, v80, v81
	v_mul_i32_i24_e32 v80, v25, v118
	v_mul_i32_i24_e32 v81, v26, v119
	s_clause 0x1
	scratch_load_b32 v118, off, off offset:320
	scratch_load_b32 v119, off, off offset:324
	v_add3_u32 v68, v68, v82, v83
	v_mul_i32_i24_e32 v83, v2, v121
	scratch_load_b32 v121, off, off offset:376 ; 4-byte Folded Reload
	v_mul_i32_i24_e32 v82, v27, v120
	scratch_load_b32 v120, off, off offset:328 ; 4-byte Folded Reload
	v_add3_u32 v68, v68, v84, v85
	v_mul_i32_i24_e32 v84, v28, v122
	scratch_load_b32 v122, off, off offset:380 ; 4-byte Folded Reload
	v_mul_i32_i24_e32 v85, v29, v123
	scratch_load_b32 v123, off, off offset:312 ; 4-byte Folded Reload
	;; [unrolled: 5-line block ×3, first 2 shown]
	v_add3_u32 v68, v68, v88, v89
	v_mul_i32_i24_e32 v88, v31, v94
	v_mov_b32_e32 v94, v210
	scratch_load_b32 v210, off, off offset:104 ; 4-byte Folded Reload
	v_add3_u32 v68, v68, v90, v91
	v_mul_i32_i24_e32 v90, v33, v177
	v_mul_i32_i24_e32 v91, v4, v96
	scratch_load_b32 v96, off, off offset:332 ; 4-byte Folded Reload
	v_add3_u32 v68, v68, v93, v98
	v_mul_i32_i24_e32 v98, v35, v99
	v_mov_b32_e32 v99, v160
	scratch_load_b32 v160, off, off offset:652 ; 4-byte Folded Reload
	v_mul_i32_i24_e32 v93, v34, v97
	v_add3_u32 v68, v68, v103, v104
	s_wait_loadcnt 0x16
	v_mul_i32_i24_e32 v103, v36, v169
	v_mul_i32_i24_e32 v104, v5, v225
	scratch_load_b32 v97, off, off offset:336 ; 4-byte Folded Reload
	v_add3_u32 v68, v68, v105, v106
	v_mul_i32_i24_e32 v105, v37, v226
	v_mul_i32_i24_e32 v106, v38, v227
	s_delay_alu instid0(VALU_DEP_3)
	v_add3_u32 v68, v68, v107, v108
	v_mul_i32_i24_e32 v108, v6, v231
	scratch_load_b32 v231, off, off offset:1180 ; 4-byte Folded Reload
	v_mul_i32_i24_e32 v107, v39, v229
	scratch_load_b32 v229, off, off offset:580 ; 4-byte Folded Reload
	v_add3_u32 v68, v68, v109, v130
	v_mul_i32_i24_e32 v109, v40, v230
	scratch_load_b32 v230, off, off offset:1176 ; 4-byte Folded Reload
	v_mul_i32_i24_e32 v130, v41, v232
	scratch_load_b32 v232, off, off offset:588 ; 4-byte Folded Reload
	v_add3_u32 v68, v68, v131, v132
	v_mul_i32_i24_e32 v132, v7, v233
	v_mov_b32_e32 v233, v195
	v_mul_i32_i24_e32 v131, v42, v188
	scratch_load_b32 v188, off, off offset:1140 ; 4-byte Folded Reload
	v_add3_u32 v68, v68, v133, v134
	scratch_load_b32 v195, off, off offset:640 ; 4-byte Folded Reload
	v_mul_lo_u32 v68, v68, v170
	scratch_load_b32 v170, off, off offset:1128 ; 4-byte Folded Reload
	v_cvt_f32_i32_e32 v68, v68
	s_delay_alu instid0(VALU_DEP_1)
	v_fma_mix_f32 v66, v1, v68, v66 op_sel_hi:[1,0,0]
	v_mul_i32_i24_e32 v68, v20, v113
	scratch_load_b32 v113, off, off offset:84 ; 4-byte Folded Reload
	v_fma_f32 v66, v66, v173, -v67
	s_clause 0x1
	scratch_load_b32 v67, off, off offset:760
	scratch_load_b32 v173, off, off offset:1136
	s_wait_loadcnt 0x17
	v_mul_i32_i24_e32 v134, v15, v117
	s_wait_loadcnt 0xf
	v_mul_i32_i24_e32 v89, v32, v77
	v_mov_b32_e32 v77, v207
	scratch_load_b32 v207, off, off offset:504 ; 4-byte Folded Reload
	s_wait_loadcnt 0x2
	v_add_f32_e32 v67, v67, v66
	v_mul_i32_i24_e32 v66, v17, v110
	scratch_load_b32 v110, off, off offset:72 ; 4-byte Folded Reload
	scratch_store_b32 off, v67, off offset:760 ; 4-byte Folded Spill
	v_mul_i32_i24_e32 v67, v19, v111
	v_mad_i32_i24 v66, v18, v112, v66
	s_clause 0x1
	scratch_load_b32 v112, off, off offset:80
	scratch_load_b32 v111, off, off offset:76
	v_add3_u32 v66, v66, v67, v68
	v_mul_i32_i24_e32 v67, v21, v114
	v_mul_i32_i24_e32 v68, v22, v115
	s_clause 0x1
	scratch_load_b32 v115, off, off offset:624
	scratch_load_b32 v114, off, off offset:340
	v_add3_u32 v66, v66, v67, v68
	v_mul_i32_i24_e32 v68, v16, v230
	v_fma_mix_f32 v67, v229, v0, 0 op_sel:[0,1,0] op_sel_hi:[0,1,0]
	s_delay_alu instid0(VALU_DEP_3)
	v_add3_u32 v66, v66, v78, v79
	v_mul_i32_i24_e32 v78, v44, v231
	v_mul_i32_i24_e32 v79, v8, v178
	v_mad_i32_i24 v68, v43, v232, v68
	scratch_load_b32 v178, off, off offset:1120 ; 4-byte Folded Reload
	v_add3_u32 v66, v66, v80, v81
	v_mul_i32_i24_e32 v80, v47, v234
	v_mul_i32_i24_e32 v81, v9, v235
	v_add3_u32 v68, v68, v78, v79
	v_mul_i32_i24_e32 v78, v45, v233
	v_mul_i32_i24_e32 v79, v46, v189
	v_add3_u32 v66, v66, v82, v83
	v_mul_i32_i24_e32 v82, v48, v236
	v_mul_i32_i24_e32 v83, v49, v186
	v_mov_b32_e32 v239, v198
	v_add3_u32 v68, v68, v78, v79
	v_add3_u32 v66, v66, v84, v85
	v_mul_i32_i24_e32 v84, v50, v237
	v_mul_i32_i24_e32 v85, v10, v238
	v_fma_mix_f32 v67, v174, v1, v67 op_sel:[0,1,0] op_sel_hi:[0,1,0]
	v_add3_u32 v68, v68, v80, v81
	v_add3_u32 v66, v66, v86, v87
	v_mul_i32_i24_e32 v86, v51, v239
	v_mul_i32_i24_e32 v87, v52, v193
	scratch_load_b32 v189, off, off offset:1144 ; 4-byte Folded Reload
	v_add3_u32 v68, v68, v82, v83
	v_add3_u32 v66, v66, v88, v89
	v_mul_i32_i24_e32 v88, v53, v244
	v_mul_i32_i24_e32 v89, v11, v245
	v_mul_f32_e32 v67, v67, v127
	v_add3_u32 v68, v68, v84, v85
	v_add3_u32 v66, v66, v90, v91
	v_mul_i32_i24_e32 v90, v54, v246
	v_mul_i32_i24_e32 v91, v55, v95
	scratch_load_b32 v198, off, off offset:140 ; 4-byte Folded Reload
	v_add3_u32 v68, v68, v86, v87
	v_add3_u32 v66, v66, v93, v98
	v_mul_i32_i24_e32 v93, v56, v247
	v_mul_i32_i24_e32 v98, v12, v248
	v_mov_b32_e32 v95, v211
	v_add3_u32 v68, v68, v88, v89
	v_add3_u32 v66, v66, v103, v104
	v_mul_i32_i24_e32 v103, v57, v249
	v_mul_i32_i24_e32 v104, v58, v194
	v_mul_i32_i24_e32 v79, v24, v97
	v_add3_u32 v68, v68, v90, v91
	v_add3_u32 v66, v66, v105, v106
	v_mul_i32_i24_e32 v105, v59, v250
	v_mul_i32_i24_e32 v106, v13, v251
	v_mul_i32_i24_e32 v90, v33, v162
	v_add3_u32 v68, v68, v93, v98
	v_add3_u32 v66, v66, v107, v108
	v_mul_i32_i24_e32 v107, v60, v252
	v_mul_i32_i24_e32 v108, v61, v121
	v_mul_i32_i24_e32 v78, v23, v96
	v_add3_u32 v68, v68, v103, v104
	v_add3_u32 v66, v66, v109, v130
	v_mul_i32_i24_e32 v109, v62, v253
	v_mul_i32_i24_e32 v130, v14, v254
	scratch_load_b32 v104, off, off offset:648 ; 4-byte Folded Reload
	v_add3_u32 v68, v68, v105, v106
	v_add3_u32 v66, v66, v131, v132
	v_mul_i32_i24_e32 v131, v63, v255
	v_mul_i32_i24_e32 v132, v64, v122
	;; [unrolled: 1-line block ×3, first 2 shown]
	v_add3_u32 v68, v68, v107, v108
	scratch_load_b32 v218, off, off offset:672 ; 4-byte Folded Reload
	v_mov_b32_e32 v177, v206
	v_mul_lo_u32 v66, v66, v228
	scratch_load_b32 v206, off, off offset:516 ; 4-byte Folded Reload
	v_add3_u32 v68, v68, v109, v130
	v_mul_i32_i24_e32 v105, v37, v242
	v_mul_i32_i24_e32 v133, v65, v177
	scratch_load_b32 v242, off, off offset:1104 ; 4-byte Folded Reload
	v_mul_i32_i24_e32 v83, v2, v116
	v_add3_u32 v68, v68, v131, v132
	v_cvt_f32_i32_e32 v66, v66
	v_mul_i32_i24_e32 v2, v2, v200
	v_mul_i32_i24_e32 v80, v25, v99
	v_mul_i32_i24_e32 v87, v3, v113
	v_add3_u32 v68, v68, v133, v134
	v_fma_mix_f32 v66, v0, v66, 0 op_sel_hi:[1,0,0]
	scratch_load_b32 v186, off, off offset:536 ; 4-byte Folded Reload
	v_mul_i32_i24_e32 v109, v40, v222
	scratch_load_b32 v222, off, off offset:1108 ; 4-byte Folded Reload
	v_mul_lo_u32 v68, v68, v161
	v_mul_i32_i24_e32 v107, v39, v209
	scratch_load_b32 v211, off, off offset:552 ; 4-byte Folded Reload
	v_mul_i32_i24_e32 v132, v7, v241
	v_mul_i32_i24_e32 v7, v7, v92
	s_clause 0x1
	scratch_load_b32 v92, off, off offset:980 th:TH_LOAD_LU
	scratch_load_b32 v200, off, off offset:532
	v_mul_i32_i24_e32 v91, v4, v163
	v_cvt_f32_i32_e32 v68, v68
	v_mul_i32_i24_e32 v4, v4, v220
	v_mul_i32_i24_e32 v88, v31, v183
	;; [unrolled: 1-line block ×4, first 2 shown]
	v_fma_mix_f32 v66, v1, v68, v66 op_sel_hi:[1,0,0]
	v_mul_i32_i24_e32 v68, v20, v120
	v_mul_i32_i24_e32 v20, v20, v208
	scratch_load_b32 v208, off, off offset:508 ; 4-byte Folded Reload
	v_mul_i32_i24_e32 v98, v35, v165
	v_fma_f32 v66, v66, v128, -v67
	s_clause 0x7
	scratch_load_b32 v67, off, off offset:756
	scratch_load_b32 v128, off, off offset:668
	;; [unrolled: 1-line block ×8, first 2 shown]
	v_mul_i32_i24_e32 v131, v42, v123
	scratch_load_b32 v123, off, off offset:1100 ; 4-byte Folded Reload
	v_mul_i32_i24_e32 v133, v65, v188
	v_mul_i32_i24_e32 v134, v15, v195
	s_wait_loadcnt 0x1a
	v_mul_i32_i24_e32 v84, v28, v110
	s_wait_loadcnt 0x19
	;; [unrolled: 2-line block ×7, first 2 shown]
	v_mul_i32_i24_e32 v104, v5, v104
	v_mul_i32_i24_e32 v5, v5, v202
	scratch_load_b32 v202, off, off offset:24 ; 4-byte Folded Reload
	s_wait_loadcnt 0x11
	v_mul_i32_i24_e32 v3, v3, v206
	s_wait_loadcnt 0x10
	v_mul_i32_i24_e32 v108, v6, v242
	;; [unrolled: 2-line block ×3, first 2 shown]
	s_wait_loadcnt 0x9
	v_add_f32_e32 v67, v67, v66
	v_mul_i32_i24_e32 v66, v17, v77
	v_mul_i32_i24_e32 v17, v17, v182
	scratch_load_b32 v182, off, off offset:1208 ; 4-byte Folded Reload
	scratch_store_b32 off, v67, off offset:756 ; 4-byte Folded Spill
	v_mul_i32_i24_e32 v67, v19, v118
	v_mad_i32_i24 v66, v18, v119, v66
	v_mad_i32_i24 v17, v18, v126, v17
	v_mul_i32_i24_e32 v18, v21, v152
	v_mul_i32_i24_e32 v19, v19, v125
	scratch_load_b32 v125, off, off offset:244 ; 4-byte Folded Reload
	v_add3_u32 v66, v66, v67, v68
	v_mul_i32_i24_e32 v67, v21, v94
	v_mul_i32_i24_e32 v68, v22, v95
	;; [unrolled: 1-line block ×4, first 2 shown]
	v_add3_u32 v17, v17, v19, v20
	v_mul_i32_i24_e32 v19, v22, v153
	v_add3_u32 v66, v66, v67, v68
	v_mul_i32_i24_e32 v68, v16, v243
	scratch_load_b32 v243, off, off offset:512 ; 4-byte Folded Reload
	v_mul_i32_i24_e32 v20, v23, v154
	v_add3_u32 v17, v17, v18, v19
	v_mul_i32_i24_e32 v22, v25, v157
	v_mul_i32_i24_e32 v23, v26, v158
	;; [unrolled: 1-line block ×4, first 2 shown]
	v_add3_u32 v17, v17, v20, v21
	v_mul_i32_i24_e32 v28, v31, v212
	v_mul_i32_i24_e32 v29, v32, v213
	scratch_load_b32 v153, off, off offset:240 ; 4-byte Folded Reload
	v_mul_i32_i24_e32 v31, v34, v221
	v_add3_u32 v17, v17, v22, v23
	v_mul_i32_i24_e32 v32, v35, v223
	v_add3_u32 v66, v66, v78, v79
	v_mul_i32_i24_e32 v78, v44, v74
	scratch_load_b32 v74, off, off offset:112 ; 4-byte Folded Reload
	v_add3_u32 v2, v17, v24, v2
	v_mul_i32_i24_e32 v34, v37, v203
	v_mul_i32_i24_e32 v35, v38, v204
	v_add3_u32 v66, v66, v80, v81
	v_mul_i32_i24_e32 v37, v40, v217
	v_add3_u32 v2, v2, v25, v26
	s_clause 0x1
	scratch_load_b32 v26, off, off offset:1040
	scratch_load_b32 v203, off, off offset:236
	v_add3_u32 v66, v66, v82, v83
	s_clause 0x3
	scratch_load_b32 v154, off, off offset:248
	scratch_load_b32 v157, off, off offset:256
	scratch_load_b32 v156, off, off offset:252
	scratch_load_b32 v158, off, off offset:260
	v_add3_u32 v66, v66, v84, v85
	s_clause 0x3
	scratch_load_b32 v84, off, off offset:4
	scratch_load_b32 v85, off, off offset:12
	;; [unrolled: 6-line block ×5, first 2 shown]
	scratch_load_b32 v152, off, off offset:1088
	scratch_load_b32 v217, off, off offset:676
	v_add3_u32 v66, v66, v93, v98
	v_mad_i32_i24 v68, v43, v124, v68
	s_wait_loadcnt 0x23
	v_mul_i32_i24_e32 v80, v47, v128
	s_wait_loadcnt 0x21
	v_mul_i32_i24_e32 v81, v9, v193
	v_mul_i32_i24_e32 v82, v48, v216
	v_add3_u32 v66, v66, v103, v104
	v_mul_i32_i24_e32 v83, v49, v210
	v_mul_i32_i24_e32 v89, v11, v166
	;; [unrolled: 1-line block ×3, first 2 shown]
	s_wait_loadcnt 0x20
	v_mul_i32_i24_e32 v91, v55, v194
	v_add3_u32 v66, v66, v105, v106
	v_mul_i32_i24_e32 v106, v13, v186
	v_mul_i32_i24_e32 v93, v56, v168
	;; [unrolled: 1-line block ×3, first 2 shown]
	s_wait_loadcnt 0x1f
	v_mul_i32_i24_e32 v12, v12, v220
	v_add3_u32 v66, v66, v107, v108
	v_mul_i32_i24_e32 v103, v57, v171
	v_mul_i32_i24_e32 v104, v58, v173
	;; [unrolled: 1-line block ×4, first 2 shown]
	v_add3_u32 v66, v66, v109, v130
	v_mul_i32_i24_e32 v130, v14, v211
	s_wait_loadcnt 0x1e
	v_mul_i32_i24_e32 v108, v61, v209
	v_mul_i32_i24_e32 v109, v62, v185
	v_add3_u32 v66, v66, v131, v132
	s_wait_loadcnt 0x1d
	v_mul_i32_i24_e32 v131, v63, v241
	v_mul_i32_i24_e32 v132, v64, v189
	s_wait_loadcnt 0x1a
	v_mul_i32_i24_e32 v38, v41, v182
	s_wait_loadcnt 0x18
	v_mul_i32_i24_e32 v27, v30, v243
	v_mul_i32_i24_e32 v30, v33, v214
	;; [unrolled: 1-line block ×4, first 2 shown]
	scratch_load_b32 v76, off, off offset:32 ; 4-byte Folded Reload
	v_add3_u32 v2, v2, v27, v3
	v_mul_i32_i24_e32 v39, v42, v75
	s_clause 0x2
	scratch_load_b32 v75, off, off offset:524
	scratch_load_b32 v201, off, off offset:28
	;; [unrolled: 1-line block ×3, first 2 shown]
	v_add3_u32 v2, v2, v28, v29
	s_clause 0x2
	scratch_load_b32 v28, off, off offset:1044
	scratch_load_b32 v29, off, off offset:1068
	scratch_load_b32 v27, off, off offset:1048
	v_add3_u32 v2, v2, v30, v4
	scratch_load_b32 v30, off, off offset:1056 ; 4-byte Folded Reload
	v_mul_i32_i24_e32 v4, v44, v92
	s_wait_loadcnt 0x1e
	v_mul_i32_i24_e32 v79, v8, v74
	v_add3_u32 v2, v2, v31, v32
	s_clause 0x1
	scratch_load_b32 v31, off, off offset:1072
	scratch_load_b32 v32, off, off offset:1060
	s_wait_loadcnt 0x1f
	v_mul_i32_i24_e32 v13, v13, v26
	scratch_load_b32 v26, off, off offset:1064 ; 4-byte Folded Reload
	v_add3_u32 v2, v2, v33, v5
	v_add3_u32 v68, v68, v78, v79
	v_mul_i32_i24_e32 v78, v45, v127
	v_mul_i32_i24_e32 v79, v46, v218
	s_delay_alu instid0(VALU_DEP_4)
	v_add3_u32 v2, v2, v34, v35
	s_wait_loadcnt 0x1a
	v_mul_i32_i24_e32 v84, v50, v84
	s_wait_loadcnt 0x19
	v_mul_i32_i24_e32 v85, v10, v85
	v_add3_u32 v68, v68, v78, v79
	v_mul_i32_i24_e32 v10, v10, v158
	s_wait_loadcnt 0x18
	v_mul_i32_i24_e32 v17, v51, v126
	s_wait_loadcnt 0x16
	;; [unrolled: 2-line block ×3, first 2 shown]
	v_mul_i32_i24_e32 v87, v52, v87
	v_add3_u32 v68, v68, v80, v81
	v_mul_i32_i24_e32 v19, v53, v159
	s_wait_loadcnt 0x14
	v_mul_i32_i24_e32 v11, v11, v204
	s_wait_loadcnt 0x12
	v_mul_i32_i24_e32 v88, v53, v88
	v_mul_i32_i24_e32 v20, v54, v212
	v_add3_u32 v68, v68, v82, v83
	s_wait_loadcnt 0x11
	v_mul_i32_i24_e32 v21, v55, v213
	s_wait_loadcnt 0x10
	v_mul_i32_i24_e32 v23, v57, v221
	;; [unrolled: 2-line block ×4, first 2 shown]
	v_add3_u32 v68, v68, v84, v85
	s_wait_loadcnt 0xd
	v_mul_lo_u32 v66, v66, v67
	v_fma_mix_f32 v67, v123, v0, 0 op_sel:[0,1,0] op_sel_hi:[0,1,0]
	s_delay_alu instid0(VALU_DEP_3) | instskip(NEXT) | instid1(VALU_DEP_2)
	v_add3_u32 v68, v68, v86, v87
	v_fma_mix_f32 v67, v197, v1, v67 op_sel:[0,1,0] op_sel_hi:[0,1,0]
	s_delay_alu instid0(VALU_DEP_4) | instskip(NEXT) | instid1(VALU_DEP_3)
	v_cvt_f32_i32_e32 v66, v66
	v_add3_u32 v68, v68, v88, v89
	s_delay_alu instid0(VALU_DEP_3) | instskip(NEXT) | instid1(VALU_DEP_3)
	v_mul_f32_e32 v67, v67, v199
	v_fma_mix_f32 v66, v0, v66, 0 op_sel_hi:[1,0,0]
	s_delay_alu instid0(VALU_DEP_3) | instskip(NEXT) | instid1(VALU_DEP_1)
	v_add3_u32 v68, v68, v90, v91
	v_add3_u32 v68, v68, v93, v98
	s_delay_alu instid0(VALU_DEP_1) | instskip(NEXT) | instid1(VALU_DEP_1)
	v_add3_u32 v68, v68, v103, v104
	v_add3_u32 v68, v68, v105, v106
	s_delay_alu instid0(VALU_DEP_1) | instskip(NEXT) | instid1(VALU_DEP_1)
	v_add3_u32 v68, v68, v107, v108
	v_add3_u32 v68, v68, v109, v130
	s_delay_alu instid0(VALU_DEP_1) | instskip(NEXT) | instid1(VALU_DEP_1)
	v_add3_u32 v68, v68, v131, v132
	v_add3_u32 v68, v68, v133, v134
	s_delay_alu instid0(VALU_DEP_1) | instskip(NEXT) | instid1(VALU_DEP_1)
	v_mul_lo_u32 v68, v68, v196
	v_cvt_f32_i32_e32 v68, v68
	s_delay_alu instid0(VALU_DEP_1) | instskip(NEXT) | instid1(VALU_DEP_1)
	v_fma_mix_f32 v66, v1, v68, v66 op_sel_hi:[1,0,0]
	v_fma_f32 v66, v66, v198, -v67
	scratch_load_b32 v67, off, off offset:752 ; 4-byte Folded Reload
	s_wait_loadcnt 0xb
	v_mul_i32_i24_e32 v6, v6, v76
	s_wait_loadcnt 0xa
	v_mul_i32_i24_e32 v3, v16, v75
	;; [unrolled: 2-line block ×3, first 2 shown]
	v_add3_u32 v2, v2, v36, v6
	v_mul_i32_i24_e32 v6, v47, v203
	v_mul_i32_i24_e32 v8, v48, v154
	s_wait_loadcnt 0x6
	v_mul_i32_i24_e32 v14, v14, v29
	scratch_load_b32 v29, off, off offset:1052 ; 4-byte Folded Reload
	v_add3_u32 v2, v2, v37, v38
	v_mad_i32_i24 v3, v43, v200, v3
	v_mul_i32_i24_e32 v16, v50, v156
	v_mul_i32_i24_e32 v22, v56, v214
	s_wait_loadcnt 0x6
	v_mul_i32_i24_e32 v27, v61, v27
	v_add3_u32 v2, v2, v39, v7
	v_add3_u32 v3, v3, v4, v5
	v_mul_i32_i24_e32 v4, v45, v202
	v_mul_i32_i24_e32 v5, v46, v153
	;; [unrolled: 1-line block ×3, first 2 shown]
	v_mul_lo_u32 v2, v2, v205
	scratch_load_b32 v205, off, off offset:272 ; 4-byte Folded Reload
	v_mul_i32_i24_e32 v9, v49, v157
	v_add3_u32 v3, v3, v4, v5
	scratch_load_b32 v4, off, off offset:152 ; 4-byte Folded Reload
	s_wait_loadcnt 0x4
	v_mul_i32_i24_e32 v26, v60, v26
	v_mul_i32_i24_e32 v28, v62, v28
	;; [unrolled: 1-line block ×3, first 2 shown]
	v_add3_u32 v3, v3, v6, v7
	v_mul_i32_i24_e32 v31, v65, v31
	v_mul_i32_i24_e32 v15, v15, v32
	v_cvt_f32_i32_e32 v2, v2
	s_delay_alu instid0(VALU_DEP_4) | instskip(NEXT) | instid1(VALU_DEP_2)
	v_add3_u32 v3, v3, v8, v9
	v_fma_mix_f32 v2, v0, v2, 0 op_sel_hi:[1,0,0]
	v_fma_mix_f32 v0, v152, v0, 0 op_sel:[0,1,0] op_sel_hi:[0,1,0]
	s_delay_alu instid0(VALU_DEP_3) | instskip(NEXT) | instid1(VALU_DEP_2)
	v_add3_u32 v3, v3, v16, v10
	v_fma_mix_f32 v0, v217, v1, v0 op_sel:[0,1,0] op_sel_hi:[0,1,0]
	s_wait_loadcnt 0x3
	v_add_f32_e32 v67, v67, v66
	s_wait_loadcnt 0x2
	v_mul_i32_i24_e32 v29, v63, v29
	s_wait_loadcnt 0x1
	v_mul_i32_i24_e32 v18, v52, v205
	s_delay_alu instid0(VALU_DEP_1) | instskip(NEXT) | instid1(VALU_DEP_1)
	v_add3_u32 v3, v3, v17, v18
	v_add3_u32 v3, v3, v19, v11
	s_delay_alu instid0(VALU_DEP_1) | instskip(NEXT) | instid1(VALU_DEP_1)
	v_add3_u32 v3, v3, v20, v21
	v_add3_u32 v3, v3, v22, v12
	;; [unrolled: 3-line block ×5, first 2 shown]
	s_wait_loadcnt 0x0
	s_delay_alu instid0(VALU_DEP_1) | instskip(NEXT) | instid1(VALU_DEP_1)
	v_mul_lo_u32 v3, v3, v4
	v_cvt_f32_i32_e32 v3, v3
	s_delay_alu instid0(VALU_DEP_1)
	v_fma_mix_f32 v2, v1, v3, v2 op_sel_hi:[1,0,0]
	scratch_load_b32 v1, off, off offset:20 ; 4-byte Folded Reload
	s_wait_loadcnt 0x0
	v_mul_f32_e32 v0, v0, v1
	scratch_load_b32 v1, off, off           ; 4-byte Folded Reload
	s_wait_loadcnt 0x0
	v_fma_f32 v0, v2, v1, -v0
	scratch_load_b32 v1, off, off offset:748 ; 4-byte Folded Reload
	s_wait_loadcnt 0x0
	v_add_f32_e32 v1, v1, v0
	scratch_load_b32 v0, off, off offset:1264 ; 4-byte Folded Reload
	s_clause 0x1
	scratch_store_b32 off, v67, off offset:752
	scratch_store_b32 off, v1, off offset:748
	s_wait_loadcnt 0x0
	v_or_b32_e32 v0, s12, v0
	s_delay_alu instid0(VALU_DEP_1)
	v_lshlrev_b32_e32 v12, 2, v0
	v_lshrrev_b32_e32 v16, 1, v0
	ds_load_b128 v[0:3], v12 offset:16896
	ds_load_b128 v[4:7], v12 offset:16912
	;; [unrolled: 1-line block ×4, first 2 shown]
	s_wait_dscnt 0x3
	v_bfe_i32 v63, v0, 0, 8
	v_bfe_i32 v50, v0, 8, 8
	v_bfe_i32 v64, v0, 16, 8
	v_ashrrev_i32_e32 v65, 24, v0
	v_bfe_i32 v51, v1, 0, 8
	v_bfe_i32 v52, v1, 8, 8
	v_bfe_i32 v53, v1, 16, 8
	v_ashrrev_i32_e32 v54, 24, v1
	;; [unrolled: 4-line block ×4, first 2 shown]
	s_wait_dscnt 0x2
	v_bfe_i32 v48, v4, 0, 8
	v_bfe_i32 v49, v4, 8, 8
	v_bfe_i32 v34, v4, 16, 8
	v_ashrrev_i32_e32 v35, 24, v4
	v_bfe_i32 v36, v5, 0, 8
	v_bfe_i32 v37, v5, 8, 8
	v_bfe_i32 v38, v5, 16, 8
	v_ashrrev_i32_e32 v39, 24, v5
	;; [unrolled: 4-line block ×4, first 2 shown]
	ds_load_b64 v[0:1], v16 offset:27200
	s_wait_dscnt 0x2
	v_bfe_i32 v31, v8, 0, 8
	v_bfe_i32 v16, v8, 8, 8
	v_bfe_i32 v32, v8, 16, 8
	v_ashrrev_i32_e32 v33, 24, v8
	v_bfe_i32 v17, v9, 0, 8
	v_bfe_i32 v18, v9, 8, 8
	v_bfe_i32 v19, v9, 16, 8
	v_ashrrev_i32_e32 v20, 24, v9
	;; [unrolled: 4-line block ×4, first 2 shown]
	s_wait_dscnt 0x1
	v_bfe_i32 v29, v12, 0, 8
	v_bfe_i32 v30, v12, 8, 8
	v_bfe_i32 v66, v12, 16, 8
	v_ashrrev_i32_e32 v2, 24, v12
	v_bfe_i32 v3, v13, 0, 8
	v_bfe_i32 v4, v13, 8, 8
	v_bfe_i32 v5, v13, 16, 8
	v_ashrrev_i32_e32 v6, 24, v13
	;; [unrolled: 4-line block ×4, first 2 shown]
	v_mul_i32_i24_e32 v15, v181, v63
	v_mul_i32_i24_e32 v67, v180, v64
	;; [unrolled: 1-line block ×5, first 2 shown]
	v_mad_i32_i24 v15, v135, v50, v15
	v_mul_i32_i24_e32 v80, v143, v55
	v_mul_i32_i24_e32 v81, v142, v56
	;; [unrolled: 1-line block ×4, first 2 shown]
	v_add3_u32 v15, v15, v67, v68
	v_mul_i32_i24_e32 v67, v139, v51
	v_mul_i32_i24_e32 v68, v138, v52
	;; [unrolled: 1-line block ×6, first 2 shown]
	v_add3_u32 v15, v15, v67, v68
	v_mul_i32_i24_e32 v88, v151, v48
	v_mul_i32_i24_e32 v89, v150, v49
	;; [unrolled: 1-line block ×4, first 2 shown]
	v_add3_u32 v15, v15, v78, v79
	v_mul_i32_i24_e32 v93, v219, v36
	v_mul_i32_i24_e32 v98, v191, v37
	;; [unrolled: 1-line block ×4, first 2 shown]
	v_add3_u32 v15, v15, v80, v81
	v_mul_i32_i24_e32 v105, v175, v40
	v_mul_i32_i24_e32 v109, v176, v44
	v_mov_b32_e32 v176, v129
	v_mul_i32_i24_e32 v106, v101, v41
	v_add3_u32 v15, v15, v82, v83
	v_mul_i32_i24_e32 v82, v69, v21
	scratch_load_b32 v69, off, off offset:976 ; 4-byte Folded Reload
	v_mul_i32_i24_e32 v107, v100, v42
	v_mul_i32_i24_e32 v108, v240, v43
	v_add3_u32 v15, v15, v84, v85
	v_mul_i32_i24_e32 v130, v102, v45
	v_mul_i32_i24_e32 v131, v129, v46
	;; [unrolled: 1-line block ×3, first 2 shown]
	s_clause 0x1
	scratch_load_b32 v78, off, off offset:920
	scratch_load_b32 v79, off, off offset:916
	v_add3_u32 v15, v15, v86, v87
	scratch_load_b32 v80, off, off offset:880 ; 4-byte Folded Reload
	v_mul_i32_i24_e32 v68, v215, v31
	scratch_load_b32 v67, off, off offset:924 ; 4-byte Folded Reload
	v_mul_i32_i24_e32 v85, v71, v24
	v_add3_u32 v15, v15, v88, v89
	v_mul_i32_i24_e32 v89, v73, v28
	v_mov_b32_e32 v179, v219
	v_mov_b32_e32 v219, v191
	;; [unrolled: 1-line block ×3, first 2 shown]
	v_add3_u32 v15, v15, v90, v91
	v_mov_b32_e32 v190, v215
	v_mov_b32_e32 v138, v163
	;; [unrolled: 1-line block ×4, first 2 shown]
	v_add3_u32 v15, v15, v93, v98
	v_dual_mov_b32 v148, v218 :: v_dual_mov_b32 v181, v100
	v_mov_b32_e32 v100, v240
	v_mov_b32_e32 v240, v171
	s_delay_alu instid0(VALU_DEP_4)
	v_add3_u32 v15, v15, v103, v104
	v_mov_b32_e32 v215, v169
	s_clause 0x2
	scratch_load_b32 v137, off, off offset:128
	scratch_load_b32 v144, off, off offset:124
	;; [unrolled: 1-line block ×3, first 2 shown]
	v_add3_u32 v15, v15, v105, v106
	s_clause 0x3
	scratch_load_b32 v147, off, off offset:1232 th:TH_LOAD_LU
	scratch_load_b32 v149, off, off offset:996 th:TH_LOAD_LU
	;; [unrolled: 1-line block ×4, first 2 shown]
	v_add3_u32 v15, v15, v107, v108
	s_clause 0x1
	scratch_load_b32 v155, off, off offset:1020 th:TH_LOAD_LU
	scratch_load_b32 v71, off, off offset:564
	v_dual_mov_b32 v101, v123 :: v_dual_mov_b32 v146, v160
	v_add3_u32 v15, v15, v109, v130
	v_dual_mov_b32 v129, v222 :: v_dual_mov_b32 v180, v175
	v_mov_b32_e32 v175, v246
	v_mov_b32_e32 v73, v182
	s_delay_alu instid0(VALU_DEP_4)
	v_add3_u32 v15, v15, v131, v132
	v_mov_b32_e32 v145, v165
	v_dual_mov_b32 v139, v164 :: v_dual_mov_b32 v136, v189
	v_mov_b32_e32 v135, v188
	v_dual_mov_b32 v143, v197 :: v_dual_mov_b32 v142, v198
	s_wait_loadcnt 0xd
	v_mul_i32_i24_e32 v83, v69, v22
	scratch_load_b32 v69, off, off offset:1220 ; 4-byte Folded Reload
	s_wait_loadcnt 0xd
	v_mul_i32_i24_e32 v78, v78, v32
	s_wait_loadcnt 0xc
	v_mul_i32_i24_e32 v79, v79, v33
	s_wait_loadcnt 0xb
	v_mad_i32_i24 v68, v80, v16, v68
	v_mul_i32_i24_e32 v80, v184, v19
	s_wait_loadcnt 0xa
	v_mul_lo_u32 v15, v15, v67
	s_wait_dscnt 0x0
	v_fma_mix_f32 v67, v224, v0, 0 op_sel:[0,1,0] op_sel_hi:[0,1,0]
	scratch_load_b32 v184, off, off offset:844 ; 4-byte Folded Reload
	v_add3_u32 v68, v68, v78, v79
	v_mul_i32_i24_e32 v78, v70, v17
	scratch_load_b32 v70, off, off offset:952 ; 4-byte Folded Reload
	v_mul_i32_i24_e32 v79, v72, v18
	scratch_load_b32 v72, off, off offset:152 ; 4-byte Folded Reload
	v_cvt_f32_i32_e32 v15, v15
	v_add3_u32 v68, v68, v78, v79
	s_delay_alu instid0(VALU_DEP_2)
	v_fma_mix_f32 v15, v0, v15, 0 op_sel_hi:[1,0,0]
	s_wait_loadcnt 0x3
	v_mul_i32_i24_e32 v84, v69, v23
	scratch_load_b32 v69, off, off offset:896 ; 4-byte Folded Reload
	s_wait_loadcnt 0x2
	v_mul_i32_i24_e32 v81, v70, v20
	scratch_load_b32 v70, off, off offset:1012 th:TH_LOAD_LU ; 4-byte Folded Reload
	v_add3_u32 v68, v68, v80, v81
	s_delay_alu instid0(VALU_DEP_1) | instskip(NEXT) | instid1(VALU_DEP_1)
	v_add3_u32 v68, v68, v82, v83
	v_add3_u32 v68, v68, v84, v85
	s_wait_loadcnt 0x1
	v_mul_i32_i24_e32 v86, v69, v25
	scratch_load_b32 v69, off, off offset:528 ; 4-byte Folded Reload
	s_wait_loadcnt 0x0
	v_mul_i32_i24_e32 v87, v69, v26
	scratch_load_b32 v69, off, off offset:948 ; 4-byte Folded Reload
	v_add3_u32 v68, v68, v86, v87
	s_wait_loadcnt 0x0
	v_mul_i32_i24_e32 v88, v69, v27
	scratch_load_b32 v69, off, off offset:448 ; 4-byte Folded Reload
	v_add3_u32 v68, v68, v88, v89
	s_wait_loadcnt 0x0
	v_mul_i32_i24_e32 v90, v69, v29
	scratch_load_b32 v69, off, off offset:908 ; 4-byte Folded Reload
	s_wait_loadcnt 0x0
	v_mul_i32_i24_e32 v91, v69, v30
	scratch_load_b32 v69, off, off offset:904 ; 4-byte Folded Reload
	v_add3_u32 v68, v68, v90, v91
	s_wait_loadcnt 0x0
	v_mul_i32_i24_e32 v93, v69, v66
	scratch_load_b32 v69, off, off offset:900 ; 4-byte Folded Reload
	;; [unrolled: 7-line block ×3, first 2 shown]
	s_wait_loadcnt 0x0
	v_mul_i32_i24_e32 v104, v69, v4
	scratch_load_b32 v69, off, off offset:452 ; 4-byte Folded Reload
	v_add3_u32 v68, v68, v103, v104
	v_mul_i32_i24_e32 v103, v38, v169
	v_mul_i32_i24_e32 v104, v39, v225
	scratch_load_b32 v169, off, off offset:304 ; 4-byte Folded Reload
	v_mov_b32_e32 v225, v170
	s_wait_loadcnt 0x1
	v_mul_i32_i24_e32 v105, v69, v5
	scratch_load_b32 v69, off, off offset:912 ; 4-byte Folded Reload
	s_wait_loadcnt 0x0
	v_mul_i32_i24_e32 v106, v69, v6
	scratch_load_b32 v69, off, off offset:476 ; 4-byte Folded Reload
	v_add3_u32 v68, v68, v105, v106
	v_mul_i32_i24_e32 v105, v40, v226
	v_mul_i32_i24_e32 v106, v41, v227
	s_wait_loadcnt 0x0
	v_mul_i32_i24_e32 v107, v69, v7
	scratch_load_b32 v69, off, off offset:472 ; 4-byte Folded Reload
	s_wait_loadcnt 0x0
	v_mul_i32_i24_e32 v108, v69, v8
	scratch_load_b32 v69, off, off offset:468 ; 4-byte Folded Reload
	v_add3_u32 v68, v68, v107, v108
	s_wait_loadcnt 0x0
	v_mul_i32_i24_e32 v109, v69, v9
	scratch_load_b32 v69, off, off offset:464 ; 4-byte Folded Reload
	s_wait_loadcnt 0x0
	v_mul_i32_i24_e32 v130, v69, v10
	scratch_load_b32 v69, off, off offset:492 ; 4-byte Folded Reload
	v_add3_u32 v68, v68, v109, v130
	;; [unrolled: 7-line block ×4, first 2 shown]
	v_mul_i32_i24_e32 v133, v13, v177
	v_mul_i32_i24_e32 v134, v14, v117
	s_clause 0x1
	scratch_load_b32 v177, off, off offset:840
	scratch_load_b32 v117, off, off offset:1044 th:TH_LOAD_LU
	s_wait_loadcnt 0x2
	v_mul_lo_u32 v68, v68, v69
	scratch_load_b32 v69, off, off offset:384 ; 4-byte Folded Reload
	v_cvt_f32_i32_e32 v68, v68
	s_delay_alu instid0(VALU_DEP_1)
	v_fma_mix_f32 v15, v1, v68, v15 op_sel_hi:[1,0,0]
	scratch_load_b32 v68, off, off offset:932 ; 4-byte Folded Reload
	s_wait_loadcnt 0x0
	v_fma_mix_f32 v67, v68, v1, v67 op_sel:[0,1,0] op_sel_hi:[0,1,0]
	scratch_load_b32 v68, off, off offset:144 ; 4-byte Folded Reload
	s_wait_loadcnt 0x0
	v_mul_f32_e32 v67, v67, v68
	scratch_load_b32 v68, off, off offset:132 ; 4-byte Folded Reload
	s_wait_loadcnt 0x0
	v_fma_f32 v15, v15, v68, -v67
	s_clause 0x1
	scratch_load_b32 v67, off, off offset:744
	scratch_load_b32 v68, off, off offset:388
	s_wait_loadcnt 0x1
	v_add_f32_e32 v67, v67, v15
	scratch_load_b32 v15, off, off offset:440 ; 4-byte Folded Reload
	s_wait_loadcnt 0x1
	v_mul_i32_i24_e32 v68, v65, v68
	scratch_store_b32 off, v67, off offset:744 ; 4-byte Folded Spill
	scratch_load_b32 v67, off, off offset:444 ; 4-byte Folded Reload
	s_wait_loadcnt 0x1
	v_mul_i32_i24_e32 v15, v63, v15
	s_delay_alu instid0(VALU_DEP_1) | instskip(SKIP_3) | instid1(VALU_DEP_1)
	v_mad_i32_i24 v15, v50, v69, v15
	scratch_load_b32 v69, off, off offset:56 ; 4-byte Folded Reload
	s_wait_loadcnt 0x1
	v_mul_i32_i24_e32 v67, v64, v67
	v_add3_u32 v15, v15, v67, v68
	s_clause 0x1
	scratch_load_b32 v67, off, off offset:48
	scratch_load_b32 v68, off, off offset:52
	s_wait_loadcnt 0x2
	v_mul_i32_i24_e32 v78, v53, v69
	scratch_load_b32 v69, off, off offset:392 ; 4-byte Folded Reload
	s_wait_loadcnt 0x2
	v_mul_i32_i24_e32 v67, v51, v67
	s_wait_loadcnt 0x1
	v_mul_i32_i24_e32 v68, v52, v68
	s_delay_alu instid0(VALU_DEP_1) | instskip(SKIP_3) | instid1(VALU_DEP_3)
	v_add3_u32 v15, v15, v67, v68
	v_mul_i32_i24_e32 v68, v31, v230
	v_fma_mix_f32 v67, v229, v0, 0 op_sel:[0,1,0] op_sel_hi:[0,1,0]
	v_mov_b32_e32 v229, v249
	v_mad_i32_i24 v68, v16, v232, v68
	s_delay_alu instid0(VALU_DEP_3)
	v_fma_mix_f32 v67, v174, v1, v67 op_sel:[0,1,0] op_sel_hi:[0,1,0]
	scratch_load_b32 v174, off, off offset:852 ; 4-byte Folded Reload
	s_wait_loadcnt 0x1
	v_mul_i32_i24_e32 v79, v54, v69
	scratch_load_b32 v69, off, off offset:396 ; 4-byte Folded Reload
	v_add3_u32 v15, v15, v78, v79
	v_mul_i32_i24_e32 v78, v32, v231
	s_wait_loadcnt 0x0
	v_mul_i32_i24_e32 v80, v55, v69
	scratch_load_b32 v69, off, off offset:400 ; 4-byte Folded Reload
	s_wait_loadcnt 0x0
	v_mul_i32_i24_e32 v81, v56, v69
	scratch_load_b32 v69, off, off offset:404 ; 4-byte Folded Reload
	v_add3_u32 v15, v15, v80, v81
	v_mul_i32_i24_e32 v80, v19, v234
	v_mov_b32_e32 v234, v255
	v_mul_i32_i24_e32 v81, v20, v235
	s_wait_loadcnt 0x0
	v_mul_i32_i24_e32 v82, v57, v69
	scratch_load_b32 v69, off, off offset:408 ; 4-byte Folded Reload
	s_wait_loadcnt 0x0
	v_mul_i32_i24_e32 v83, v58, v69
	scratch_load_b32 v69, off, off offset:412 ; 4-byte Folded Reload
	v_add3_u32 v15, v15, v82, v83
	v_mul_i32_i24_e32 v82, v21, v236
	s_wait_loadcnt 0x0
	v_mul_i32_i24_e32 v84, v59, v69
	scratch_load_b32 v69, off, off offset:416 ; 4-byte Folded Reload
	s_wait_loadcnt 0x0
	v_mul_i32_i24_e32 v85, v60, v69
	scratch_load_b32 v69, off, off offset:420 ; 4-byte Folded Reload
	v_add3_u32 v15, v15, v84, v85
	v_mul_i32_i24_e32 v84, v23, v237
	v_mul_i32_i24_e32 v85, v24, v238
	s_wait_loadcnt 0x0
	v_mul_i32_i24_e32 v86, v61, v69
	scratch_load_b32 v69, off, off offset:424 ; 4-byte Folded Reload
	s_wait_loadcnt 0x0
	v_mul_i32_i24_e32 v87, v62, v69
	scratch_load_b32 v69, off, off offset:428 ; 4-byte Folded Reload
	v_add3_u32 v15, v15, v86, v87
	v_mul_i32_i24_e32 v86, v25, v239
	s_wait_loadcnt 0x0
	v_mul_i32_i24_e32 v88, v48, v69
	scratch_load_b32 v69, off, off offset:68 ; 4-byte Folded Reload
	s_wait_loadcnt 0x0
	v_mul_i32_i24_e32 v89, v49, v69
	scratch_load_b32 v69, off, off offset:432 ; 4-byte Folded Reload
	v_add3_u32 v15, v15, v88, v89
	v_mul_i32_i24_e32 v88, v27, v244
	;; [unrolled: 17-line block ×3, first 2 shown]
	v_mul_i32_i24_e32 v98, v2, v248
	v_mov_b32_e32 v247, v173
	s_delay_alu instid0(VALU_DEP_4) | instskip(SKIP_1) | instid1(VALU_DEP_2)
	v_add3_u32 v15, v15, v103, v104
	v_mul_i32_i24_e32 v103, v3, v249
	v_add3_u32 v15, v15, v105, v106
	v_mul_i32_i24_e32 v105, v5, v250
	v_mul_i32_i24_e32 v106, v6, v251
	s_wait_loadcnt 0x0
	v_mul_i32_i24_e32 v107, v42, v69
	scratch_load_b32 v69, off, off offset:348 ; 4-byte Folded Reload
	s_wait_loadcnt 0x0
	v_mul_i32_i24_e32 v108, v43, v69
	scratch_load_b32 v69, off, off offset:352 ; 4-byte Folded Reload
	v_add3_u32 v15, v15, v107, v108
	v_mul_i32_i24_e32 v107, v7, v252
	v_mul_i32_i24_e32 v108, v8, v121
	scratch_load_b32 v121, off, off offset:1072 th:TH_LOAD_LU ; 4-byte Folded Reload
	s_wait_loadcnt 0x1
	v_mul_i32_i24_e32 v109, v44, v69
	scratch_load_b32 v69, off, off offset:356 ; 4-byte Folded Reload
	s_wait_loadcnt 0x0
	v_mul_i32_i24_e32 v130, v45, v69
	scratch_load_b32 v69, off, off offset:36 ; 4-byte Folded Reload
	v_add3_u32 v15, v15, v109, v130
	v_mul_i32_i24_e32 v109, v9, v253
	v_mul_i32_i24_e32 v130, v10, v254
	s_wait_loadcnt 0x0
	v_mul_i32_i24_e32 v131, v46, v69
	scratch_load_b32 v69, off, off offset:360 ; 4-byte Folded Reload
	s_wait_loadcnt 0x0
	v_mul_i32_i24_e32 v132, v47, v69
	scratch_load_b32 v69, off, off offset:876 ; 4-byte Folded Reload
	v_add3_u32 v15, v15, v131, v132
	v_mul_i32_i24_e32 v131, v11, v255
	v_mul_i32_i24_e32 v132, v12, v122
	scratch_load_b32 v122, off, off offset:1056 th:TH_LOAD_LU ; 4-byte Folded Reload
	v_mul_lo_u32 v15, v15, v228
	v_mov_b32_e32 v228, v252
	s_delay_alu instid0(VALU_DEP_2) | instskip(NEXT) | instid1(VALU_DEP_1)
	v_cvt_f32_i32_e32 v15, v15
	v_fma_mix_f32 v15, v0, v15, 0 op_sel_hi:[1,0,0]
	s_wait_loadcnt 0x1
	v_mul_i32_i24_e32 v79, v33, v69
	scratch_load_b32 v69, off, off offset:40 ; 4-byte Folded Reload
	v_add3_u32 v68, v68, v78, v79
	v_mul_i32_i24_e32 v78, v17, v233
	s_wait_loadcnt 0x0
	v_mul_i32_i24_e32 v79, v18, v69
	scratch_load_b32 v69, off, off offset:364 ; 4-byte Folded Reload
	v_add3_u32 v68, v68, v78, v79
	v_mul_i32_i24_e32 v78, v53, v96
	v_mul_i32_i24_e32 v79, v54, v97
	s_clause 0x1
	scratch_load_b32 v96, off, off offset:296
	scratch_load_b32 v97, off, off offset:300
	v_add3_u32 v68, v68, v80, v81
	v_mul_i32_i24_e32 v80, v55, v99
	v_mul_i32_i24_e32 v81, v56, v114
	s_clause 0x1
	scratch_load_b32 v114, off, off offset:1036 th:TH_LOAD_LU
	scratch_load_b32 v99, off, off offset:1032 th:TH_LOAD_LU
	s_wait_loadcnt 0x4
	v_mul_i32_i24_e32 v83, v22, v69
	scratch_load_b32 v69, off, off offset:368 ; 4-byte Folded Reload
	v_add3_u32 v68, v68, v82, v83
	v_mul_i32_i24_e32 v82, v57, v115
	v_mul_i32_i24_e32 v83, v58, v116
	s_clause 0x1
	scratch_load_b32 v115, off, off offset:1040 th:TH_LOAD_LU
	scratch_load_b32 v116, off, off offset:1064 th:TH_LOAD_LU
	v_add3_u32 v68, v68, v84, v85
	v_mul_i32_i24_e32 v84, v59, v110
	v_mul_i32_i24_e32 v85, v60, v111
	s_clause 0x1
	scratch_load_b32 v110, off, off offset:648
	scratch_load_b32 v111, off, off offset:312
	s_wait_loadcnt 0x4
	v_mul_i32_i24_e32 v87, v26, v69
	scratch_load_b32 v69, off, off offset:44 ; 4-byte Folded Reload
	v_add3_u32 v68, v68, v86, v87
	v_mul_i32_i24_e32 v87, v62, v113
	scratch_load_b32 v113, off, off offset:120 ; 4-byte Folded Reload
	v_mul_i32_i24_e32 v86, v61, v112
	scratch_load_b32 v112, off, off offset:848 ; 4-byte Folded Reload
	v_add3_u32 v68, v68, v88, v89
	v_mul_i32_i24_e32 v88, v48, v183
	v_mul_i32_i24_e32 v89, v49, v160
	;; [unrolled: 1-line block ×4, first 2 shown]
	s_wait_loadcnt 0x2
	v_mul_i32_i24_e32 v91, v30, v69
	scratch_load_b32 v69, off, off offset:372 ; 4-byte Folded Reload
	v_add3_u32 v68, v68, v90, v91
	v_mul_i32_i24_e32 v90, v34, v162
	v_mul_i32_i24_e32 v91, v35, v163
	v_mul_i32_i24_e32 v34, v34, v151
	s_delay_alu instid0(VALU_DEP_4)
	v_add3_u32 v68, v68, v93, v98
	v_mul_i32_i24_e32 v93, v36, v164
	v_mul_i32_i24_e32 v98, v37, v165
	;; [unrolled: 1-line block ×3, first 2 shown]
	s_wait_loadcnt 0x0
	v_mul_i32_i24_e32 v104, v4, v69
	scratch_load_b32 v69, off, off offset:316 ; 4-byte Folded Reload
	v_add3_u32 v68, v68, v103, v104
	v_mul_i32_i24_e32 v103, v38, v178
	v_mul_i32_i24_e32 v104, v39, v110
	;; [unrolled: 1-line block ×3, first 2 shown]
	s_delay_alu instid0(VALU_DEP_4) | instskip(SKIP_3) | instid1(VALU_DEP_4)
	v_add3_u32 v68, v68, v105, v106
	v_mul_i32_i24_e32 v105, v40, v112
	v_mul_i32_i24_e32 v106, v41, v174
	;; [unrolled: 1-line block ×3, first 2 shown]
	v_add3_u32 v68, v68, v107, v108
	v_mul_i32_i24_e32 v107, v42, v184
	v_mul_i32_i24_e32 v108, v43, v242
	;; [unrolled: 1-line block ×3, first 2 shown]
	scratch_load_b32 v76, off, off offset:1212 ; 4-byte Folded Reload
	v_add3_u32 v68, v68, v109, v130
	v_mul_i32_i24_e32 v109, v44, v177
	v_mul_i32_i24_e32 v130, v45, v222
	;; [unrolled: 1-line block ×4, first 2 shown]
	v_add3_u32 v68, v68, v131, v132
	v_mul_i32_i24_e32 v131, v46, v111
	v_mul_i32_i24_e32 v46, v46, v71
	s_delay_alu instid0(VALU_DEP_3) | instskip(SKIP_3) | instid1(VALU_DEP_4)
	v_add3_u32 v68, v68, v133, v134
	v_mul_i32_i24_e32 v133, v13, v188
	v_mul_i32_i24_e32 v134, v14, v195
	;; [unrolled: 1-line block ×3, first 2 shown]
	v_mul_lo_u32 v68, v68, v161
	v_mov_b32_e32 v161, v194
	s_delay_alu instid0(VALU_DEP_2) | instskip(NEXT) | instid1(VALU_DEP_1)
	v_cvt_f32_i32_e32 v68, v68
	v_fma_mix_f32 v15, v1, v68, v15 op_sel_hi:[1,0,0]
	scratch_load_b32 v68, off, off offset:148 ; 4-byte Folded Reload
	s_wait_loadcnt 0x2
	v_mul_i32_i24_e32 v132, v47, v69
	scratch_load_b32 v69, off, off offset:4 ; 4-byte Folded Reload
	s_wait_loadcnt 0x2
	v_mul_i32_i24_e32 v44, v44, v76
	s_wait_loadcnt 0x1
	v_mul_f32_e32 v67, v67, v68
	scratch_load_b32 v68, off, off offset:136 ; 4-byte Folded Reload
	s_wait_loadcnt 0x0
	v_fma_f32 v15, v15, v68, -v67
	scratch_load_b32 v67, off, off offset:740 ; 4-byte Folded Reload
	v_mul_i32_i24_e32 v68, v65, v120
	scratch_load_b32 v120, off, off offset:1052 th:TH_LOAD_LU ; 4-byte Folded Reload
	s_wait_loadcnt 0x1
	v_add_f32_e32 v67, v67, v15
	v_mul_i32_i24_e32 v15, v63, v77
	scratch_load_b32 v77, off, off offset:1016 th:TH_LOAD_LU ; 4-byte Folded Reload
	scratch_store_b32 off, v67, off offset:740 ; 4-byte Folded Spill
	v_mul_i32_i24_e32 v67, v64, v118
	v_mad_i32_i24 v15, v50, v119, v15
	s_clause 0x1
	scratch_load_b32 v118, off, off offset:1048 th:TH_LOAD_LU
	scratch_load_b32 v119, off, off offset:1068 th:TH_LOAD_LU
	v_add3_u32 v15, v15, v67, v68
	v_mul_i32_i24_e32 v67, v51, v94
	v_mul_i32_i24_e32 v68, v52, v95
	s_clause 0x1
	scratch_load_b32 v94, off, off offset:1024 th:TH_LOAD_LU
	scratch_load_b32 v95, off, off offset:1028 th:TH_LOAD_LU
	v_add3_u32 v15, v15, v67, v68
	scratch_load_b32 v68, off, off offset:308 ; 4-byte Folded Reload
	v_fma_mix_f32 v67, v123, v0, 0 op_sel:[0,1,0] op_sel_hi:[0,1,0]
	scratch_load_b32 v123, off, off offset:1060 th:TH_LOAD_LU ; 4-byte Folded Reload
	v_add3_u32 v15, v15, v78, v79
	v_mul_i32_i24_e32 v78, v32, v169
	v_mul_i32_i24_e32 v79, v33, v74
	v_fma_mix_f32 v67, v197, v1, v67 op_sel:[0,1,0] op_sel_hi:[0,1,0]
	scratch_load_b32 v74, off, off offset:568 ; 4-byte Folded Reload
	v_add3_u32 v15, v15, v80, v81
	v_mul_i32_i24_e32 v80, v19, v128
	v_mul_i32_i24_e32 v81, v20, v193
	v_mul_f32_e32 v67, v67, v199
	v_mul_i32_i24_e32 v32, v32, v92
	v_add3_u32 v15, v15, v82, v83
	v_mul_i32_i24_e32 v82, v21, v216
	v_mul_i32_i24_e32 v83, v22, v210
	;; [unrolled: 1-line block ×4, first 2 shown]
	v_add3_u32 v15, v15, v84, v85
	v_mul_i32_i24_e32 v84, v23, v69
	scratch_load_b32 v69, off, off offset:12 ; 4-byte Folded Reload
	v_mul_i32_i24_e32 v20, v20, v125
	v_mul_i32_i24_e32 v21, v21, v154
	v_add3_u32 v15, v15, v86, v87
	v_mul_i32_i24_e32 v86, v25, v113
	v_mul_i32_i24_e32 v87, v26, v137
	v_mul_i32_i24_e32 v22, v22, v157
	v_mul_i32_i24_e32 v23, v23, v156
	v_add3_u32 v15, v15, v88, v89
	v_mul_i32_i24_e32 v88, v27, v144
	v_mul_i32_i24_e32 v89, v28, v166
	;; [unrolled: 5-line block ×8, first 2 shown]
	v_mul_i32_i24_e32 v9, v9, v117
	v_mov_b32_e32 v126, v92
	v_add3_u32 v15, v15, v131, v132
	v_mul_i32_i24_e32 v131, v11, v241
	v_mul_i32_i24_e32 v132, v12, v189
	s_wait_loadcnt 0x9
	v_mul_i32_i24_e32 v11, v11, v120
	v_mul_i32_i24_e32 v12, v12, v122
	v_mul_lo_u32 v15, v15, v141
	v_dual_mov_b32 v172, v112 :: v_dual_mov_b32 v173, v174
	v_mov_b32_e32 v171, v111
	v_mov_b32_e32 v159, v97
	s_delay_alu instid0(VALU_DEP_4) | instskip(NEXT) | instid1(VALU_DEP_1)
	v_cvt_f32_i32_e32 v15, v15
	v_fma_mix_f32 v15, v0, v15, 0 op_sel_hi:[1,0,0]
	s_wait_loadcnt 0x8
	v_mul_i32_i24_e32 v37, v37, v77
	v_mov_b32_e32 v154, v77
	s_wait_loadcnt 0x7
	v_mul_i32_i24_e32 v8, v8, v118
	s_wait_loadcnt 0x6
	v_mul_i32_i24_e32 v10, v10, v119
	;; [unrolled: 2-line block ×4, first 2 shown]
	v_dual_mov_b32 v156, v94 :: v_dual_mov_b32 v157, v95
	s_wait_loadcnt 0x3
	v_mul_i32_i24_e32 v68, v31, v68
	v_mul_i32_i24_e32 v31, v31, v75
	s_wait_loadcnt 0x2
	v_mul_i32_i24_e32 v14, v14, v123
	s_delay_alu instid0(VALU_DEP_3) | instskip(NEXT) | instid1(VALU_DEP_3)
	v_mad_i32_i24 v68, v16, v124, v68
	v_mad_i32_i24 v16, v16, v200, v31
	v_mul_i32_i24_e32 v31, v66, v214
	s_wait_loadcnt 0x1
	v_mul_i32_i24_e32 v47, v47, v74
	v_add3_u32 v68, v68, v78, v79
	v_mul_i32_i24_e32 v78, v17, v127
	v_mul_i32_i24_e32 v79, v18, v218
	v_add3_u32 v16, v16, v32, v33
	v_mul_i32_i24_e32 v17, v17, v202
	v_mul_i32_i24_e32 v18, v18, v153
	v_mov_b32_e32 v153, v70
	v_add3_u32 v68, v68, v78, v79
	s_delay_alu instid0(VALU_DEP_3) | instskip(SKIP_2) | instid1(VALU_DEP_3)
	v_add3_u32 v16, v16, v17, v18
	s_wait_loadcnt 0x0
	v_mul_i32_i24_e32 v85, v24, v69
	v_add3_u32 v68, v68, v80, v81
	scratch_load_b32 v69, off, off offset:1008 th:TH_LOAD_LU ; 4-byte Folded Reload
	v_mul_i32_i24_e32 v24, v24, v158
	v_add3_u32 v16, v16, v19, v20
	v_mov_b32_e32 v158, v96
	v_add3_u32 v68, v68, v82, v83
	s_delay_alu instid0(VALU_DEP_3) | instskip(NEXT) | instid1(VALU_DEP_2)
	v_add3_u32 v16, v16, v21, v22
	v_add3_u32 v68, v68, v84, v85
	s_delay_alu instid0(VALU_DEP_2) | instskip(NEXT) | instid1(VALU_DEP_2)
	v_add3_u32 v16, v16, v23, v24
	v_add3_u32 v68, v68, v86, v87
	s_delay_alu instid0(VALU_DEP_2) | instskip(NEXT) | instid1(VALU_DEP_2)
	;; [unrolled: 3-line block ×11, first 2 shown]
	v_add3_u32 v2, v2, v13, v14
	v_mul_lo_u32 v68, v68, v196
	s_delay_alu instid0(VALU_DEP_2) | instskip(NEXT) | instid1(VALU_DEP_2)
	v_mul_lo_u32 v2, v2, v72
	v_cvt_f32_i32_e32 v68, v68
	s_delay_alu instid0(VALU_DEP_2) | instskip(NEXT) | instid1(VALU_DEP_2)
	v_cvt_f32_i32_e32 v2, v2
	v_fma_mix_f32 v15, v1, v68, v15 op_sel_hi:[1,0,0]
	s_delay_alu instid0(VALU_DEP_1)
	v_fma_f32 v15, v15, v198, -v67
	scratch_load_b32 v67, off, off offset:736 ; 4-byte Folded Reload
	s_wait_loadcnt 0x1
	v_mul_i32_i24_e32 v35, v35, v69
	s_wait_loadcnt 0x0
	v_add_f32_e32 v67, v67, v15
	v_mul_i32_i24_e32 v15, v63, v147
	scratch_load_b32 v63, off, off offset:956 ; 4-byte Folded Reload
	scratch_store_b32 off, v67, off offset:736 ; 4-byte Folded Spill
	s_wait_loadcnt 0x0
	v_mul_i32_i24_e32 v63, v64, v63
	scratch_load_b32 v64, off, off offset:960 ; 4-byte Folded Reload
	s_wait_loadcnt 0x0
	v_mul_i32_i24_e32 v64, v65, v64
	scratch_load_b32 v65, off, off offset:276 ; 4-byte Folded Reload
	s_wait_loadcnt 0x0
	v_mad_i32_i24 v15, v50, v65, v15
	scratch_load_b32 v50, off, off offset:280 ; 4-byte Folded Reload
	v_add3_u32 v15, v15, v63, v64
	s_wait_loadcnt 0x0
	v_mul_i32_i24_e32 v50, v51, v50
	scratch_load_b32 v51, off, off offset:284 ; 4-byte Folded Reload
	s_wait_loadcnt 0x0
	v_mul_i32_i24_e32 v51, v52, v51
	scratch_load_b32 v52, off, off offset:288 ; 4-byte Folded Reload
	v_add3_u32 v15, v15, v50, v51
	s_wait_loadcnt 0x0
	v_mul_i32_i24_e32 v52, v53, v52
	scratch_load_b32 v53, off, off offset:292 ; 4-byte Folded Reload
	s_wait_loadcnt 0x0
	v_mul_i32_i24_e32 v53, v54, v53
	;; [unrolled: 7-line block ×4, first 2 shown]
	v_mul_i32_i24_e32 v58, v59, v207
	v_mul_i32_i24_e32 v59, v60, v208
	v_mul_i32_i24_e32 v60, v61, v243
	v_mul_i32_i24_e32 v61, v62, v206
	v_add3_u32 v15, v15, v56, v57
	v_mov_b32_e32 v243, v217
	s_delay_alu instid0(VALU_DEP_2) | instskip(NEXT) | instid1(VALU_DEP_1)
	v_add3_u32 v15, v15, v58, v59
	v_add3_u32 v15, v15, v60, v61
	s_delay_alu instid0(VALU_DEP_1) | instskip(NEXT) | instid1(VALU_DEP_1)
	v_add3_u32 v15, v15, v48, v49
	v_add3_u32 v15, v15, v34, v35
	s_delay_alu instid0(VALU_DEP_1) | instskip(NEXT) | instid1(VALU_DEP_1)
	;; [unrolled: 3-line block ×5, first 2 shown]
	v_mul_lo_u32 v15, v15, v97
	v_cvt_f32_i32_e32 v15, v15
	s_delay_alu instid0(VALU_DEP_1) | instskip(SKIP_2) | instid1(VALU_DEP_3)
	v_fma_mix_f32 v15, v0, v15, 0 op_sel_hi:[1,0,0]
	v_fma_mix_f32 v0, v152, v0, 0 op_sel:[0,1,0] op_sel_hi:[0,1,0]
	v_dual_mov_b32 v152, v69 :: v_dual_mov_b32 v69, v99
	v_fma_mix_f32 v2, v1, v2, v15 op_sel_hi:[1,0,0]
	s_delay_alu instid0(VALU_DEP_3)
	v_fma_mix_f32 v0, v217, v1, v0 op_sel:[0,1,0] op_sel_hi:[0,1,0]
	scratch_load_b32 v1, off, off offset:20 ; 4-byte Folded Reload
	s_wait_loadcnt 0x0
	v_mul_f32_e32 v0, v0, v1
	scratch_load_b32 v1, off, off           ; 4-byte Folded Reload
	s_wait_loadcnt 0x0
	v_fma_f32 v0, v2, v1, -v0
	scratch_load_b32 v1, off, off offset:732 ; 4-byte Folded Reload
	s_wait_loadcnt 0x0
	v_add_f32_e32 v1, v1, v0
	scratch_load_b32 v0, off, off offset:1268 ; 4-byte Folded Reload
	scratch_store_b32 off, v1, off offset:732 ; 4-byte Folded Spill
	s_wait_loadcnt 0x0
	v_or_b32_e32 v0, s12, v0
	s_delay_alu instid0(VALU_DEP_1)
	v_lshlrev_b32_e32 v1, 2, v0
	v_lshrrev_b32_e32 v4, 1, v0
	ds_load_b128 v[20:23], v1 offset:16896
	ds_load_b128 v[34:37], v1 offset:16912
	;; [unrolled: 1-line block ×4, first 2 shown]
	s_clause 0xf
	scratch_load_b32 v67, off, off offset:204
	scratch_load_b32 v68, off, off offset:160
	;; [unrolled: 1-line block ×16, first 2 shown]
	s_wait_dscnt 0x3
	v_bfe_i32 v9, v21, 16, 8
	v_bfe_i32 v11, v22, 0, 8
	;; [unrolled: 1-line block ×4, first 2 shown]
	v_ashrrev_i32_e32 v14, 24, v22
	v_bfe_i32 v15, v23, 0, 8
	v_bfe_i32 v16, v23, 8, 8
	;; [unrolled: 1-line block ×5, first 2 shown]
	v_ashrrev_i32_e32 v10, 24, v21
	v_ashrrev_i32_e32 v21, 24, v23
	s_wait_dscnt 0x2
	v_bfe_i32 v22, v34, 0, 8
	v_bfe_i32 v23, v34, 8, 8
	;; [unrolled: 1-line block ×3, first 2 shown]
	v_ashrrev_i32_e32 v25, 24, v34
	v_bfe_i32 v31, v36, 8, 8
	s_clause 0x7
	scratch_load_b32 v245, off, off offset:936
	scratch_load_b32 v246, off, off offset:940
	scratch_load_b32 v242, off, off offset:1224 th:TH_LOAD_LU
	scratch_load_b32 v241, off, off offset:952 th:TH_LOAD_LU
	scratch_load_b32 v251, off, off offset:976 th:TH_LOAD_LU
	scratch_load_b32 v250, off, off offset:1220 th:TH_LOAD_LU
	scratch_load_b32 v253, off, off offset:992 th:TH_LOAD_LU
	scratch_load_b32 v254, off, off offset:948 th:TH_LOAD_LU
	v_bfe_i32 v34, v37, 0, 8
	v_bfe_i32 v18, v20, 0, 8
	v_bfe_i32 v6, v20, 8, 8
	v_bfe_i32 v19, v20, 16, 8
	v_ashrrev_i32_e32 v20, 24, v20
	v_bfe_i32 v26, v35, 0, 8
	v_bfe_i32 v27, v35, 8, 8
	;; [unrolled: 1-line block ×3, first 2 shown]
	v_ashrrev_i32_e32 v29, 24, v35
	v_bfe_i32 v35, v37, 8, 8
	s_clause 0x1f
	scratch_load_b32 v204, off, off offset:924
	scratch_load_b32 v167, off, off offset:916
	;; [unrolled: 1-line block ×16, first 2 shown]
	scratch_load_b32 v252, off, off offset:1228 th:TH_LOAD_LU
	scratch_load_b32 v255, off, off offset:528 th:TH_LOAD_LU
	scratch_load_b32 v212, off, off offset:476
	scratch_load_b32 v220, off, off offset:492
	;; [unrolled: 1-line block ×4, first 2 shown]
	scratch_load_b32 v125, off, off offset:524 th:TH_LOAD_LU
	scratch_load_b32 v214, off, off offset:484
	scratch_load_b32 v207, off, off offset:468
	;; [unrolled: 1-line block ×9, first 2 shown]
	scratch_load_b32 v198, off, off offset:436 ; 4-byte Folded Reload
	v_mul_i32_i24_e32 v98, v219, v27
	scratch_load_b32 v219, off, off offset:488 ; 4-byte Folded Reload
	ds_load_b64 v[4:5], v4 offset:27200
	v_bfe_i32 v30, v36, 0, 8
	v_bfe_i32 v32, v36, 16, 8
	v_ashrrev_i32_e32 v33, 24, v36
	v_bfe_i32 v36, v37, 16, 8
	v_ashrrev_i32_e32 v37, 24, v37
	s_wait_dscnt 0x2
	v_bfe_i32 v38, v50, 0, 8
	v_bfe_i32 v39, v50, 8, 8
	v_bfe_i32 v40, v50, 16, 8
	v_ashrrev_i32_e32 v41, 24, v50
	v_bfe_i32 v42, v51, 0, 8
	v_bfe_i32 v43, v51, 8, 8
	v_bfe_i32 v44, v51, 16, 8
	v_ashrrev_i32_e32 v45, 24, v51
	;; [unrolled: 4-line block ×4, first 2 shown]
	s_wait_dscnt 0x1
	v_bfe_i32 v54, v0, 0, 8
	v_bfe_i32 v55, v0, 8, 8
	;; [unrolled: 1-line block ×3, first 2 shown]
	v_ashrrev_i32_e32 v0, 24, v0
	v_mul_i32_i24_e32 v93, v179, v26
	v_bfe_i32 v57, v1, 0, 8
	v_bfe_i32 v58, v1, 8, 8
	v_mul_i32_i24_e32 v103, v191, v28
	v_mul_i32_i24_e32 v104, v192, v29
	v_bfe_i32 v59, v1, 16, 8
	v_ashrrev_i32_e32 v1, 24, v1
	v_mul_i32_i24_e32 v105, v180, v30
	v_bfe_i32 v60, v2, 0, 8
	v_bfe_i32 v61, v2, 8, 8
	v_mul_i32_i24_e32 v107, v181, v32
	v_mul_i32_i24_e32 v108, v100, v33
	v_bfe_i32 v62, v2, 16, 8
	v_ashrrev_i32_e32 v2, 24, v2
	v_bfe_i32 v63, v3, 0, 8
	v_bfe_i32 v64, v3, 8, 8
	v_mul_i32_i24_e32 v131, v176, v36
	v_bfe_i32 v65, v3, 16, 8
	v_ashrrev_i32_e32 v3, 24, v3
	s_clause 0x19
	scratch_load_b32 v100, off, off offset:440
	scratch_load_b32 v178, off, off offset:388
	;; [unrolled: 1-line block ×23, first 2 shown]
	scratch_load_b32 v111, off, off offset:1152 th:TH_LOAD_LU
	scratch_load_b32 v112, off, off offset:1156 th:TH_LOAD_LU
	scratch_load_b32 v70, off, off offset:32
	s_wait_loadcnt 0x3e
	v_mul_i32_i24_e32 v67, v67, v19
	v_mul_i32_i24_e32 v68, v68, v20
	;; [unrolled: 1-line block ×3, first 2 shown]
	scratch_load_b32 v75, off, off offset:184 ; 4-byte Folded Reload
	v_mul_i32_i24_e32 v66, v66, v18
	s_delay_alu instid0(VALU_DEP_1) | instskip(SKIP_1) | instid1(VALU_DEP_2)
	v_mad_i32_i24 v66, v245, v6, v66
	v_mul_i32_i24_e32 v79, v246, v10
	v_add3_u32 v66, v66, v67, v68
	s_clause 0x1
	scratch_load_b32 v67, off, off offset:168
	scratch_load_b32 v68, off, off offset:164
	s_wait_loadcnt 0x2a
	v_mul_i32_i24_e32 v134, v213, v3
	s_wait_loadcnt 0x27
	v_mul_i32_i24_e32 v133, v214, v65
	s_wait_loadcnt 0x2
	v_mul_i32_i24_e32 v80, v75, v11
	scratch_load_b32 v75, off, off offset:180 ; 4-byte Folded Reload
	s_wait_loadcnt 0x2
	v_mul_i32_i24_e32 v67, v67, v7
	s_wait_loadcnt 0x1
	v_mul_i32_i24_e32 v68, v68, v8
	s_delay_alu instid0(VALU_DEP_1)
	v_add3_u32 v66, v66, v67, v68
	s_wait_dscnt 0x0
	v_fma_mix_f32 v67, v224, v4, 0 op_sel:[0,1,0] op_sel_hi:[0,1,0]
	scratch_load_b32 v224, off, off offset:144 ; 4-byte Folded Reload
	v_mul_i32_i24_e32 v68, v190, v38
	scratch_load_b32 v190, off, off offset:408 ; 4-byte Folded Reload
	v_add3_u32 v66, v66, v78, v79
	v_mul_i32_i24_e32 v78, v168, v40
	v_mul_i32_i24_e32 v79, v167, v41
	v_mad_i32_i24 v68, v232, v39, v68
	v_fma_mix_f32 v67, v223, v5, v67 op_sel:[0,1,0] op_sel_hi:[0,1,0]
	s_delay_alu instid0(VALU_DEP_2) | instskip(SKIP_2) | instid1(VALU_DEP_1)
	v_add3_u32 v68, v68, v78, v79
	v_mul_i32_i24_e32 v78, v248, v42
	v_mul_i32_i24_e32 v79, v194, v43
	v_add3_u32 v68, v68, v78, v79
	v_mul_i32_i24_e32 v78, v9, v181
	v_mul_i32_i24_e32 v79, v10, v183
	s_wait_loadcnt 0x2
	v_mul_i32_i24_e32 v81, v75, v12
	scratch_load_b32 v75, off, off offset:176 ; 4-byte Folded Reload
	v_add3_u32 v66, v66, v80, v81
	v_mul_i32_i24_e32 v80, v242, v44
	v_mul_i32_i24_e32 v81, v241, v45
	s_delay_alu instid0(VALU_DEP_1)
	v_add3_u32 v68, v68, v80, v81
	v_mul_i32_i24_e32 v80, v11, v185
	v_mul_i32_i24_e32 v81, v12, v188
	s_wait_loadcnt 0x2
	v_mul_f32_e32 v67, v67, v224
	s_wait_loadcnt 0x0
	v_mul_i32_i24_e32 v82, v75, v13
	scratch_load_b32 v75, off, off offset:172 ; 4-byte Folded Reload
	s_wait_loadcnt 0x0
	v_mul_i32_i24_e32 v83, v75, v14
	scratch_load_b32 v75, off, off offset:200 ; 4-byte Folded Reload
	v_add3_u32 v66, v66, v82, v83
	v_mul_i32_i24_e32 v82, v252, v46
	v_mul_i32_i24_e32 v83, v251, v47
	s_delay_alu instid0(VALU_DEP_1)
	v_add3_u32 v68, v68, v82, v83
	v_mul_i32_i24_e32 v82, v13, v189
	v_mul_i32_i24_e32 v83, v14, v190
	s_wait_loadcnt 0x0
	v_mul_i32_i24_e32 v84, v75, v15
	scratch_load_b32 v75, off, off offset:196 ; 4-byte Folded Reload
	s_wait_loadcnt 0x0
	v_mul_i32_i24_e32 v85, v75, v16
	scratch_load_b32 v75, off, off offset:192 ; 4-byte Folded Reload
	v_add3_u32 v66, v66, v84, v85
	v_mul_i32_i24_e32 v84, v250, v48
	v_mul_i32_i24_e32 v85, v249, v49
	s_delay_alu instid0(VALU_DEP_1)
	v_add3_u32 v68, v68, v84, v85
	v_mul_i32_i24_e32 v84, v15, v191
	v_mul_i32_i24_e32 v85, v16, v192
	;; [unrolled: 13-line block ×4, first 2 shown]
	s_wait_loadcnt 0x0
	v_mul_i32_i24_e32 v90, v75, v24
	scratch_load_b32 v75, off, off offset:212 ; 4-byte Folded Reload
	s_wait_loadcnt 0x0
	v_mul_i32_i24_e32 v91, v75, v25
	scratch_load_b32 v75, off, off offset:1216 ; 4-byte Folded Reload
	v_add3_u32 v66, v66, v90, v91
	v_mul_i32_i24_e32 v90, v162, v54
	v_mul_i32_i24_e32 v91, v186, v55
	s_delay_alu instid0(VALU_DEP_3) | instskip(SKIP_2) | instid1(VALU_DEP_4)
	v_add3_u32 v66, v66, v93, v98
	v_mul_i32_i24_e32 v93, v182, v56
	v_mul_i32_i24_e32 v98, v216, v0
	v_add3_u32 v68, v68, v90, v91
	v_mul_i32_i24_e32 v90, v24, v197
	v_add3_u32 v66, v66, v103, v104
	v_mul_i32_i24_e32 v103, v166, v57
	v_mul_i32_i24_e32 v104, v165, v58
	v_add3_u32 v68, v68, v93, v98
	v_mul_i32_i24_e32 v91, v25, v198
	v_mul_i32_i24_e32 v93, v26, v199
	;; [unrolled: 1-line block ×3, first 2 shown]
	s_delay_alu instid0(VALU_DEP_4)
	v_add3_u32 v68, v68, v103, v104
	v_mul_i32_i24_e32 v103, v28, v215
	scratch_load_b32 v215, off, off offset:36 ; 4-byte Folded Reload
	s_wait_loadcnt 0x1
	v_mul_i32_i24_e32 v106, v75, v31
	scratch_load_b32 v75, off, off offset:232 ; 4-byte Folded Reload
	v_add3_u32 v66, v66, v105, v106
	v_mul_i32_i24_e32 v105, v164, v59
	v_mul_i32_i24_e32 v106, v163, v1
	s_delay_alu instid0(VALU_DEP_3) | instskip(SKIP_2) | instid1(VALU_DEP_4)
	v_add3_u32 v66, v66, v107, v108
	v_mul_i32_i24_e32 v107, v212, v60
	v_mul_i32_i24_e32 v108, v208, v61
	v_add3_u32 v68, v68, v105, v106
	v_mul_i32_i24_e32 v105, v30, v226
	v_mul_i32_i24_e32 v106, v31, v227
	s_clause 0x1
	scratch_load_b32 v226, off, off offset:368
	scratch_load_b32 v227, off, off offset:320
	v_add3_u32 v68, v68, v107, v108
	v_mul_i32_i24_e32 v107, v32, v203
	v_mul_i32_i24_e32 v108, v33, v205
	s_wait_loadcnt 0x2
	v_mul_i32_i24_e32 v109, v75, v34
	scratch_load_b32 v75, off, off offset:228 ; 4-byte Folded Reload
	s_wait_loadcnt 0x0
	v_mul_i32_i24_e32 v130, v75, v35
	scratch_load_b32 v75, off, off offset:944 ; 4-byte Folded Reload
	v_add3_u32 v66, v66, v109, v130
	v_mul_i32_i24_e32 v109, v207, v62
	v_mul_i32_i24_e32 v130, v206, v2
	s_delay_alu instid0(VALU_DEP_1)
	v_add3_u32 v68, v68, v109, v130
	v_mul_i32_i24_e32 v109, v34, v209
	v_mul_i32_i24_e32 v130, v35, v211
	s_wait_loadcnt 0x0
	v_mul_i32_i24_e32 v132, v75, v37
	scratch_load_b32 v75, off, off offset:584 ; 4-byte Folded Reload
	v_add3_u32 v66, v66, v131, v132
	v_mul_i32_i24_e32 v131, v220, v63
	v_mul_i32_i24_e32 v132, v219, v64
	s_delay_alu instid0(VALU_DEP_3) | instskip(NEXT) | instid1(VALU_DEP_2)
	v_mul_lo_u32 v66, v66, v204
	v_add3_u32 v68, v68, v131, v132
	v_mul_i32_i24_e32 v131, v36, v215
	v_mul_i32_i24_e32 v132, v37, v217
	s_delay_alu instid0(VALU_DEP_3) | instskip(SKIP_1) | instid1(VALU_DEP_2)
	v_add3_u32 v68, v68, v133, v134
	v_cvt_f32_i32_e32 v66, v66
	v_mul_lo_u32 v68, v68, v221
	s_delay_alu instid0(VALU_DEP_2) | instskip(NEXT) | instid1(VALU_DEP_2)
	v_fma_mix_f32 v66, v4, v66, 0 op_sel_hi:[1,0,0]
	v_cvt_f32_i32_e32 v68, v68
	s_delay_alu instid0(VALU_DEP_1) | instskip(SKIP_1) | instid1(VALU_DEP_2)
	v_fma_mix_f32 v66, v5, v68, v66 op_sel_hi:[1,0,0]
	v_mul_i32_i24_e32 v68, v20, v178
	v_fma_f32 v66, v66, v202, -v67
	scratch_load_b32 v67, off, off offset:728 ; 4-byte Folded Reload
	s_wait_loadcnt 0x1
	v_mul_i32_i24_e32 v104, v29, v75
	scratch_load_b32 v75, off, off offset:588 ; 4-byte Folded Reload
	s_wait_loadcnt 0x1
	v_add_f32_e32 v67, v67, v66
	v_mul_i32_i24_e32 v66, v18, v100
	scratch_store_b32 off, v67, off offset:728 ; 4-byte Folded Spill
	v_mul_i32_i24_e32 v67, v19, v244
	v_mad_i32_i24 v66, v6, v176, v66
	s_delay_alu instid0(VALU_DEP_1) | instskip(SKIP_2) | instid1(VALU_DEP_1)
	v_add3_u32 v66, v66, v67, v68
	v_mul_i32_i24_e32 v67, v7, v179
	v_mul_i32_i24_e32 v68, v8, v180
	v_add3_u32 v66, v66, v67, v68
	v_mul_i32_i24_e32 v68, v38, v230
	s_clause 0x1
	scratch_load_b32 v230, off, off offset:44
	scratch_load_b32 v67, off, off offset:572
	v_add3_u32 v66, v66, v78, v79
	v_mul_i32_i24_e32 v78, v40, v231
	v_mul_i32_i24_e32 v79, v41, v210
	scratch_load_b32 v231, off, off offset:860 ; 4-byte Folded Reload
	v_add3_u32 v66, v66, v80, v81
	v_mul_i32_i24_e32 v81, v45, v235
	scratch_load_b32 v235, off, off offset:372 ; 4-byte Folded Reload
	v_add3_u32 v66, v66, v82, v83
	v_mul_i32_i24_e32 v82, v46, v236
	v_mul_i32_i24_e32 v83, v47, v222
	scratch_load_b32 v236, off, off offset:336 ; 4-byte Folded Reload
	v_add3_u32 v66, v66, v84, v85
	v_mul_i32_i24_e32 v84, v48, v237
	v_mul_i32_i24_e32 v85, v49, v238
	s_clause 0x1
	scratch_load_b32 v237, off, off offset:868
	scratch_load_b32 v238, off, off offset:340
	v_add3_u32 v66, v66, v86, v87
	v_mul_i32_i24_e32 v86, v50, v239
	scratch_load_b32 v239, off, off offset:376 ; 4-byte Folded Reload
	v_mul_i32_i24_e32 v87, v51, v226
	v_add3_u32 v66, v66, v88, v89
	s_delay_alu instid0(VALU_DEP_1) | instskip(SKIP_3) | instid1(VALU_DEP_1)
	v_add3_u32 v66, v66, v90, v91
	v_mul_i32_i24_e32 v90, v54, v175
	scratch_load_b32 v175, off, off offset:136 ; 4-byte Folded Reload
	v_add3_u32 v66, v66, v93, v98
	v_add3_u32 v66, v66, v103, v104
	v_mul_i32_i24_e32 v103, v57, v229
	scratch_load_b32 v229, off, off offset:328 ; 4-byte Folded Reload
	v_add3_u32 v66, v66, v105, v106
	s_delay_alu instid0(VALU_DEP_1) | instskip(SKIP_3) | instid1(VALU_DEP_1)
	v_add3_u32 v66, v66, v107, v108
	v_mul_i32_i24_e32 v107, v60, v228
	scratch_load_b32 v228, off, off offset:324 ; 4-byte Folded Reload
	v_add3_u32 v66, v66, v109, v130
	v_add3_u32 v66, v66, v131, v132
	v_mul_i32_i24_e32 v131, v63, v234
	v_mul_i32_i24_e32 v132, v64, v160
	scratch_load_b32 v234, off, off offset:332 ; 4-byte Folded Reload
	s_wait_loadcnt 0xc
	v_mad_i32_i24 v68, v39, v75, v68
	scratch_load_b32 v75, off, off offset:576 ; 4-byte Folded Reload
	v_add3_u32 v68, v68, v78, v79
	v_mul_i32_i24_e32 v78, v42, v233
	v_mul_i32_i24_e32 v79, v43, v218
	scratch_load_b32 v233, off, off offset:864 ; 4-byte Folded Reload
	v_add3_u32 v68, v68, v78, v79
	s_wait_loadcnt 0xd
	v_mul_i32_i24_e32 v91, v55, v230
	s_wait_loadcnt 0xc
	v_mul_lo_u32 v66, v66, v67
	scratch_load_b32 v67, off, off offset:580 ; 4-byte Folded Reload
	v_cvt_f32_i32_e32 v66, v66
	s_wait_loadcnt 0xb
	v_mul_i32_i24_e32 v104, v58, v235
	s_delay_alu instid0(VALU_DEP_2)
	v_fma_mix_f32 v66, v4, v66, 0 op_sel_hi:[1,0,0]
	s_wait_loadcnt 0xa
	v_mul_i32_i24_e32 v79, v10, v236
	s_wait_loadcnt 0x7
	v_mul_i32_i24_e32 v108, v61, v239
	;; [unrolled: 2-line block ×4, first 2 shown]
	scratch_load_b32 v75, off, off offset:592 ; 4-byte Folded Reload
	v_add3_u32 v68, v68, v80, v81
	v_mul_i32_i24_e32 v80, v11, v237
	v_mul_i32_i24_e32 v81, v12, v238
	s_delay_alu instid0(VALU_DEP_3)
	v_add3_u32 v68, v68, v82, v83
	s_clause 0x1
	scratch_load_b32 v82, off, off offset:624
	scratch_load_b32 v83, off, off offset:1080
	v_add3_u32 v68, v68, v84, v85
	s_clause 0x1
	scratch_load_b32 v84, off, off offset:72
	scratch_load_b32 v85, off, off offset:76
	;; [unrolled: 4-line block ×3, first 2 shown]
	s_wait_loadcnt 0x7
	v_fma_mix_f32 v67, v67, v4, 0 op_sel:[0,1,0] op_sel_hi:[0,1,0]
	s_wait_loadcnt 0x6
	v_mul_i32_i24_e32 v88, v52, v75
	scratch_load_b32 v75, off, off offset:560 ; 4-byte Folded Reload
	s_wait_loadcnt 0x6
	v_mul_i32_i24_e32 v82, v13, v82
	s_wait_loadcnt 0x5
	v_mul_i32_i24_e32 v83, v14, v83
	;; [unrolled: 2-line block ×7, first 2 shown]
	scratch_load_b32 v75, off, off offset:596 ; 4-byte Folded Reload
	v_add3_u32 v68, v68, v88, v89
	scratch_load_b32 v88, off, off offset:88 ; 4-byte Folded Reload
	v_mul_i32_i24_e32 v89, v23, v146
	scratch_load_b32 v146, off, off offset:508 th:TH_LOAD_LU ; 4-byte Folded Reload
	v_add3_u32 v68, v68, v90, v91
	scratch_load_b32 v90, off, off offset:92 ; 4-byte Folded Reload
	v_mul_i32_i24_e32 v91, v25, v138
	scratch_load_b32 v138, off, off offset:964 th:TH_LOAD_LU ; 4-byte Folded Reload
	s_wait_loadcnt 0x4
	v_mul_i32_i24_e32 v93, v56, v75
	scratch_load_b32 v75, off, off offset:600 ; 4-byte Folded Reload
	s_wait_loadcnt 0x4
	v_mul_i32_i24_e32 v88, v22, v88
	s_wait_loadcnt 0x3
	v_mul_i32_i24_e32 v16, v16, v146
	;; [unrolled: 2-line block ×5, first 2 shown]
	scratch_load_b32 v75, off, off offset:604 ; 4-byte Folded Reload
	v_add3_u32 v68, v68, v93, v98
	v_mul_i32_i24_e32 v93, v26, v139
	v_mul_i32_i24_e32 v98, v27, v145
	s_clause 0x1
	scratch_load_b32 v145, off, off offset:960 th:TH_LOAD_LU
	scratch_load_b32 v139, off, off offset:968 th:TH_LOAD_LU
	v_add3_u32 v68, v68, v103, v104
	v_mul_i32_i24_e32 v103, v28, v140
	v_mul_i32_i24_e32 v104, v29, v110
	s_clause 0x1
	scratch_load_b32 v140, off, off offset:972 th:TH_LOAD_LU
	scratch_load_b32 v110, off, off offset:1096 th:TH_LOAD_LU
	s_wait_loadcnt 0x4
	v_mul_i32_i24_e32 v105, v59, v75
	scratch_load_b32 v75, off, off offset:608 ; 4-byte Folded Reload
	s_wait_loadcnt 0x3
	v_mul_i32_i24_e32 v12, v12, v139
	s_wait_loadcnt 0x2
	v_mul_i32_i24_e32 v13, v13, v140
	;; [unrolled: 2-line block ×3, first 2 shown]
	scratch_load_b32 v75, off, off offset:612 ; 4-byte Folded Reload
	v_add3_u32 v68, v68, v105, v106
	v_mul_i32_i24_e32 v105, v30, v172
	v_mul_i32_i24_e32 v106, v31, v173
	s_delay_alu instid0(VALU_DEP_3)
	v_add3_u32 v68, v68, v107, v108
	v_mul_i32_i24_e32 v107, v32, v184
	v_mul_i32_i24_e32 v108, v33, v102
	scratch_load_b32 v102, off, off offset:1148 th:TH_LOAD_LU ; 4-byte Folded Reload
	s_wait_loadcnt 0x1
	v_mul_i32_i24_e32 v109, v62, v75
	scratch_load_b32 v75, off, off offset:616 ; 4-byte Folded Reload
	s_wait_loadcnt 0x0
	v_mul_i32_i24_e32 v130, v2, v75
	scratch_load_b32 v75, off, off offset:1076 ; 4-byte Folded Reload
	v_add3_u32 v68, v68, v109, v130
	v_mul_i32_i24_e32 v109, v34, v177
	v_mul_i32_i24_e32 v130, v35, v129
	scratch_load_b32 v129, off, off offset:280 ; 4-byte Folded Reload
	v_add3_u32 v68, v68, v131, v132
	v_mul_i32_i24_e32 v131, v36, v171
	v_mul_i32_i24_e32 v132, v37, v174
	s_wait_loadcnt 0x1
	v_mul_i32_i24_e32 v133, v65, v75
	scratch_load_b32 v75, off, off offset:620 ; 4-byte Folded Reload
	s_wait_loadcnt 0x0
	v_mul_i32_i24_e32 v134, v3, v75
	scratch_load_b32 v75, off, off offset:496 ; 4-byte Folded Reload
	v_add3_u32 v68, v68, v133, v134
	v_mul_i32_i24_e32 v133, v65, v135
	scratch_load_b32 v135, off, off offset:284 ; 4-byte Folded Reload
	s_wait_loadcnt 0x1
	v_mul_lo_u32 v68, v68, v75
	scratch_load_b32 v75, off, off offset:856 ; 4-byte Folded Reload
	v_cvt_f32_i32_e32 v68, v68
	s_delay_alu instid0(VALU_DEP_1)
	v_fma_mix_f32 v66, v5, v68, v66 op_sel_hi:[1,0,0]
	scratch_load_b32 v68, off, off offset:628 ; 4-byte Folded Reload
	s_wait_loadcnt 0x0
	v_fma_mix_f32 v67, v68, v5, v67 op_sel:[0,1,0] op_sel_hi:[0,1,0]
	scratch_load_b32 v68, off, off offset:148 ; 4-byte Folded Reload
	s_wait_loadcnt 0x0
	v_mul_f32_e32 v67, v67, v68
	v_mul_i32_i24_e32 v68, v20, v229
	v_mul_i32_i24_e32 v20, v20, v145
	s_delay_alu instid0(VALU_DEP_3)
	v_fma_f32 v66, v66, v175, -v67
	scratch_load_b32 v67, off, off offset:724 ; 4-byte Folded Reload
	s_wait_loadcnt 0x0
	v_add_f32_e32 v67, v67, v66
	v_mul_i32_i24_e32 v66, v18, v75
	scratch_store_b32 off, v67, off offset:724 ; 4-byte Folded Spill
	v_mul_i32_i24_e32 v67, v19, v227
	v_mad_i32_i24 v66, v6, v228, v66
	s_delay_alu instid0(VALU_DEP_1) | instskip(SKIP_4) | instid1(VALU_DEP_3)
	v_add3_u32 v66, v66, v67, v68
	v_mul_i32_i24_e32 v67, v7, v231
	v_mul_i32_i24_e32 v68, v8, v233
	v_mul_i32_i24_e32 v7, v7, v129
	v_mul_i32_i24_e32 v8, v8, v135
	v_add3_u32 v66, v66, v67, v68
	v_fma_mix_f32 v67, v101, v4, 0 op_sel:[0,1,0] op_sel_hi:[0,1,0]
	scratch_load_b32 v101, off, off offset:536 ; 4-byte Folded Reload
	v_mul_i32_i24_e32 v68, v38, v170
	v_add3_u32 v66, v66, v78, v79
	scratch_load_b32 v79, off, off offset:112 ; 4-byte Folded Reload
	v_mul_i32_i24_e32 v78, v40, v169
	v_mad_i32_i24 v68, v39, v124, v68
	v_fma_mix_f32 v67, v143, v5, v67 op_sel:[0,1,0] op_sel_hi:[0,1,0]
	v_add3_u32 v66, v66, v80, v81
	scratch_load_b32 v81, off, off offset:96 ; 4-byte Folded Reload
	v_mul_i32_i24_e32 v80, v44, v128
	s_clause 0x1
	scratch_load_b32 v143, off, off offset:956 th:TH_LOAD_LU
	scratch_load_b32 v128, off, off offset:276
	v_add3_u32 v66, v66, v82, v83
	s_clause 0x2
	scratch_load_b32 v82, off, off offset:100
	scratch_load_b32 v83, off, off offset:104
	scratch_load_b32 v124, off, off offset:532 th:TH_LOAD_LU
	v_add3_u32 v66, v66, v84, v85
	s_clause 0x1
	scratch_load_b32 v84, off, off offset:4
	scratch_load_b32 v85, off, off offset:12
	v_add3_u32 v66, v66, v86, v87
	v_mul_i32_i24_e32 v86, v50, v113
	v_mul_i32_i24_e32 v87, v51, v137
	s_clause 0x1
	scratch_load_b32 v137, off, off offset:292
	scratch_load_b32 v113, off, off offset:1160 th:TH_LOAD_LU
	v_add3_u32 v66, v66, v88, v89
	scratch_load_b32 v89, off, off offset:108 ; 4-byte Folded Reload
	v_mul_i32_i24_e32 v88, v52, v144
	scratch_load_b32 v144, off, off offset:504 th:TH_LOAD_LU ; 4-byte Folded Reload
	v_add3_u32 v66, v66, v90, v91
	scratch_load_b32 v90, off, off offset:632 ; 4-byte Folded Reload
	v_mul_i32_i24_e32 v91, v55, v161
	scratch_load_b32 v161, off, off offset:1088 th:TH_LOAD_LU ; 4-byte Folded Reload
	v_add3_u32 v66, v66, v93, v98
	scratch_load_b32 v93, off, off offset:636 ; 4-byte Folded Reload
	v_mul_i32_i24_e32 v98, v0, v225
	scratch_load_b32 v225, off, off offset:240 ; 4-byte Folded Reload
	v_mul_i32_i24_e32 v0, v0, v111
	v_add3_u32 v66, v66, v103, v104
	v_mul_i32_i24_e32 v104, v58, v247
	scratch_load_b32 v247, off, off offset:344 ; 4-byte Folded Reload
	v_mul_i32_i24_e32 v103, v57, v240
	scratch_load_b32 v240, off, off offset:1084 th:TH_LOAD_LU ; 4-byte Folded Reload
	v_add3_u32 v66, v66, v105, v106
	s_delay_alu instid0(VALU_DEP_1) | instskip(NEXT) | instid1(VALU_DEP_1)
	v_add3_u32 v66, v66, v107, v108
	v_add3_u32 v66, v66, v109, v130
	s_delay_alu instid0(VALU_DEP_1)
	v_add3_u32 v66, v66, v131, v132
	v_mul_i32_i24_e32 v132, v64, v136
	scratch_load_b32 v136, off, off offset:288 ; 4-byte Folded Reload
	v_mul_lo_u32 v66, v66, v141
	scratch_load_b32 v141, off, off offset:520 th:TH_LOAD_LU ; 4-byte Folded Reload
	v_cvt_f32_i32_e32 v66, v66
	s_delay_alu instid0(VALU_DEP_1)
	v_fma_mix_f32 v66, v4, v66, 0 op_sel_hi:[1,0,0]
	s_wait_loadcnt 0x15
	v_mul_i32_i24_e32 v106, v1, v101
	scratch_load_b32 v101, off, off offset:540 ; 4-byte Folded Reload
	v_mul_i32_i24_e32 v1, v1, v115
	s_wait_loadcnt 0x15
	v_mul_i32_i24_e32 v79, v41, v79
	s_delay_alu instid0(VALU_DEP_1)
	v_add3_u32 v68, v68, v78, v79
	v_mul_i32_i24_e32 v78, v42, v127
	v_mul_i32_i24_e32 v79, v43, v148
	s_wait_loadcnt 0x14
	v_mul_i32_i24_e32 v81, v45, v81
	s_wait_loadcnt 0x13
	v_mul_i32_i24_e32 v19, v19, v143
	s_wait_loadcnt 0x11
	v_mul_i32_i24_e32 v82, v46, v82
	s_wait_loadcnt 0x10
	v_mul_i32_i24_e32 v83, v47, v83
	v_add3_u32 v68, v68, v78, v79
	s_clause 0x1
	scratch_load_b32 v78, off, off offset:644
	scratch_load_b32 v127, off, off offset:28
	s_wait_loadcnt 0x10
	v_mul_i32_i24_e32 v84, v48, v84
	s_wait_loadcnt 0xf
	v_mul_i32_i24_e32 v85, v49, v85
	v_add3_u32 v68, v68, v80, v81
	scratch_load_b32 v148, off, off offset:516 th:TH_LOAD_LU ; 4-byte Folded Reload
	v_add3_u32 v68, v68, v82, v83
	s_wait_loadcnt 0xf
	v_mul_i32_i24_e32 v10, v10, v137
	s_wait_loadcnt 0xd
	v_mul_i32_i24_e32 v89, v53, v89
	v_add3_u32 v68, v68, v84, v85
	s_wait_loadcnt 0xc
	v_mul_i32_i24_e32 v15, v15, v144
	s_wait_loadcnt 0xb
	v_mul_i32_i24_e32 v90, v54, v90
	v_add3_u32 v68, v68, v86, v87
	s_wait_loadcnt 0x9
	v_mul_i32_i24_e32 v93, v56, v93
	s_delay_alu instid0(VALU_DEP_2) | instskip(SKIP_2) | instid1(VALU_DEP_2)
	v_add3_u32 v68, v68, v88, v89
	s_wait_loadcnt 0x7
	v_mul_i32_i24_e32 v105, v59, v247
	v_add3_u32 v68, v68, v90, v91
	s_delay_alu instid0(VALU_DEP_1) | instskip(NEXT) | instid1(VALU_DEP_1)
	v_add3_u32 v68, v68, v93, v98
	v_add3_u32 v68, v68, v103, v104
	s_delay_alu instid0(VALU_DEP_1)
	v_add3_u32 v68, v68, v105, v106
	s_wait_loadcnt 0x5
	v_mul_i32_i24_e32 v9, v9, v136
	s_wait_loadcnt 0x4
	v_mul_i32_i24_e32 v14, v14, v141
	;; [unrolled: 2-line block ×3, first 2 shown]
	scratch_load_b32 v101, off, off offset:548 ; 4-byte Folded Reload
	s_wait_loadcnt 0x0
	v_mul_i32_i24_e32 v108, v61, v101
	scratch_load_b32 v101, off, off offset:544 ; 4-byte Folded Reload
	v_add3_u32 v68, v68, v107, v108
	s_wait_loadcnt 0x0
	v_mul_i32_i24_e32 v109, v62, v101
	scratch_load_b32 v101, off, off offset:552 ; 4-byte Folded Reload
	s_wait_loadcnt 0x0
	v_mul_i32_i24_e32 v130, v2, v101
	scratch_load_b32 v101, off, off offset:556 ; 4-byte Folded Reload
	v_mul_i32_i24_e32 v2, v2, v119
	v_add3_u32 v68, v68, v109, v130
	s_wait_loadcnt 0x0
	v_mul_i32_i24_e32 v131, v63, v101
	scratch_load_b32 v101, off, off offset:640 ; 4-byte Folded Reload
	v_add3_u32 v68, v68, v131, v132
	s_wait_loadcnt 0x0
	v_mul_i32_i24_e32 v134, v3, v101
	scratch_load_b32 v101, off, off offset:1092 th:TH_LOAD_LU ; 4-byte Folded Reload
	v_mul_i32_i24_e32 v3, v3, v123
	v_add3_u32 v68, v68, v133, v134
	s_delay_alu instid0(VALU_DEP_1) | instskip(NEXT) | instid1(VALU_DEP_1)
	v_mul_lo_u32 v68, v68, v78
	v_cvt_f32_i32_e32 v68, v68
	s_delay_alu instid0(VALU_DEP_1) | instskip(SKIP_3) | instid1(VALU_DEP_1)
	v_fma_mix_f32 v66, v5, v68, v66 op_sel_hi:[1,0,0]
	scratch_load_b32 v68, off, off offset:16 ; 4-byte Folded Reload
	s_wait_loadcnt 0x0
	v_mul_f32_e32 v67, v67, v68
	v_fma_f32 v66, v66, v142, -v67
	v_mov_b32_e32 v142, v147
	s_clause 0x1
	scratch_load_b32 v147, off, off offset:512 th:TH_LOAD_LU
	scratch_load_b32 v67, off, off offset:720
	v_mul_i32_i24_e32 v18, v18, v142
	s_delay_alu instid0(VALU_DEP_1)
	v_mad_i32_i24 v6, v6, v128, v18
	v_mul_i32_i24_e32 v18, v21, v148
	v_mul_i32_i24_e32 v21, v24, v151
	;; [unrolled: 1-line block ×4, first 2 shown]
	v_add3_u32 v6, v6, v19, v20
	v_mul_i32_i24_e32 v20, v23, v150
	v_mul_i32_i24_e32 v23, v26, v153
	;; [unrolled: 1-line block ×5, first 2 shown]
	scratch_load_b32 v73, off, off offset:24 ; 4-byte Folded Reload
	v_mul_i32_i24_e32 v19, v22, v149
	v_mul_i32_i24_e32 v22, v25, v152
	;; [unrolled: 1-line block ×6, first 2 shown]
	s_clause 0x1
	scratch_load_b32 v74, off, off offset:236
	scratch_load_b32 v76, off, off offset:244
	v_add3_u32 v6, v6, v7, v8
	v_mul_i32_i24_e32 v7, v38, v125
	v_mul_i32_i24_e32 v8, v40, v126
	v_mul_i32_i24_e32 v30, v33, v70
	v_mul_i32_i24_e32 v33, v36, v71
	v_add3_u32 v6, v6, v9, v10
	v_mul_i32_i24_e32 v9, v41, v127
	v_mad_i32_i24 v7, v39, v124, v7
	v_mov_b32_e32 v71, v243
	scratch_load_b32 v243, off, off offset:20 ; 4-byte Folded Reload
	v_add3_u32 v6, v6, v11, v12
	v_mul_i32_i24_e32 v12, v46, v77
	v_add3_u32 v7, v7, v8, v9
	v_mul_i32_i24_e32 v9, v43, v225
	s_delay_alu instid0(VALU_DEP_4) | instskip(SKIP_2) | instid1(VALU_DEP_3)
	v_add3_u32 v6, v6, v13, v14
	v_mul_i32_i24_e32 v13, v47, v94
	v_mul_i32_i24_e32 v14, v48, v92
	v_add3_u32 v6, v6, v15, v16
	v_mul_i32_i24_e32 v15, v49, v95
	v_mul_i32_i24_e32 v16, v50, v96
	s_wait_loadcnt 0x5
	v_mul_i32_i24_e32 v17, v17, v147
	s_wait_loadcnt 0x4
	v_add_f32_e32 v67, v67, v66
	s_delay_alu instid0(VALU_DEP_2) | instskip(SKIP_2) | instid1(VALU_DEP_3)
	v_add3_u32 v6, v6, v17, v18
	v_mul_i32_i24_e32 v17, v51, v99
	v_mul_i32_i24_e32 v18, v52, v97
	v_add3_u32 v6, v6, v19, v20
	v_mul_i32_i24_e32 v19, v53, v240
	v_mul_i32_i24_e32 v20, v54, v101
	s_delay_alu instid0(VALU_DEP_3)
	v_add3_u32 v6, v6, v21, v22
	v_mul_i32_i24_e32 v21, v55, v110
	v_mul_i32_i24_e32 v22, v56, v102
	s_wait_loadcnt 0x3
	v_mul_i32_i24_e32 v8, v42, v73
	v_add3_u32 v6, v6, v23, v24
	v_mul_i32_i24_e32 v23, v57, v112
	v_mul_i32_i24_e32 v24, v58, v114
	s_delay_alu instid0(VALU_DEP_4) | instskip(NEXT) | instid1(VALU_DEP_4)
	v_add3_u32 v7, v7, v8, v9
	v_add3_u32 v6, v6, v25, v26
	s_wait_loadcnt 0x2
	v_mul_i32_i24_e32 v10, v44, v74
	s_wait_loadcnt 0x1
	v_mul_i32_i24_e32 v11, v45, v76
	v_mul_i32_i24_e32 v25, v59, v113
	;; [unrolled: 1-line block ×3, first 2 shown]
	v_add3_u32 v6, v6, v27, v28
	v_mul_i32_i24_e32 v27, v61, v118
	v_add3_u32 v7, v7, v10, v11
	v_mul_i32_i24_e32 v28, v62, v117
	s_delay_alu instid0(VALU_DEP_4) | instskip(SKIP_1) | instid1(VALU_DEP_4)
	v_add3_u32 v6, v6, v29, v30
	v_mul_i32_i24_e32 v29, v63, v120
	v_add3_u32 v7, v7, v12, v13
	v_mul_i32_i24_e32 v30, v64, v122
	s_delay_alu instid0(VALU_DEP_4) | instskip(SKIP_1) | instid1(VALU_DEP_4)
	v_add3_u32 v6, v6, v31, v32
	v_mul_i32_i24_e32 v31, v65, v121
	v_add3_u32 v7, v7, v14, v15
	s_delay_alu instid0(VALU_DEP_3) | instskip(NEXT) | instid1(VALU_DEP_2)
	v_add3_u32 v6, v6, v33, v34
	v_add3_u32 v7, v7, v16, v17
	s_delay_alu instid0(VALU_DEP_2) | instskip(NEXT) | instid1(VALU_DEP_2)
	v_mul_lo_u32 v6, v6, v159
	v_add3_u32 v7, v7, v18, v19
	s_delay_alu instid0(VALU_DEP_1) | instskip(NEXT) | instid1(VALU_DEP_3)
	v_add3_u32 v7, v7, v20, v21
	v_cvt_f32_i32_e32 v6, v6
	s_delay_alu instid0(VALU_DEP_2) | instskip(NEXT) | instid1(VALU_DEP_2)
	v_add3_u32 v0, v7, v22, v0
	v_fma_mix_f32 v6, v4, v6, 0 op_sel_hi:[1,0,0]
	v_fma_mix_f32 v4, v161, v4, 0 op_sel:[0,1,0] op_sel_hi:[0,1,0]
	s_delay_alu instid0(VALU_DEP_3) | instskip(NEXT) | instid1(VALU_DEP_1)
	v_add3_u32 v0, v0, v23, v24
	v_add3_u32 v0, v0, v25, v1
	s_delay_alu instid0(VALU_DEP_3) | instskip(NEXT) | instid1(VALU_DEP_2)
	v_fma_mix_f32 v1, v71, v5, v4 op_sel:[0,1,0] op_sel_hi:[0,1,0]
	v_add3_u32 v0, v0, v26, v27
	s_wait_loadcnt 0x0
	s_delay_alu instid0(VALU_DEP_2) | instskip(NEXT) | instid1(VALU_DEP_2)
	v_mul_f32_e32 v1, v1, v243
	v_add3_u32 v0, v0, v28, v2
	scratch_load_b32 v2, off, off           ; 4-byte Folded Reload
	v_add3_u32 v0, v0, v29, v30
	s_delay_alu instid0(VALU_DEP_1) | instskip(NEXT) | instid1(VALU_DEP_1)
	v_add3_u32 v0, v0, v31, v3
	v_mul_lo_u32 v0, v0, v72
	s_delay_alu instid0(VALU_DEP_1) | instskip(NEXT) | instid1(VALU_DEP_1)
	v_cvt_f32_i32_e32 v0, v0
	v_fma_mix_f32 v0, v5, v0, v6 op_sel_hi:[1,0,0]
	s_wait_loadcnt 0x0
	s_delay_alu instid0(VALU_DEP_1)
	v_fma_f32 v0, v0, v2, -v1
	scratch_load_b32 v1, off, off offset:716 ; 4-byte Folded Reload
	s_wait_loadcnt 0x0
	v_add_f32_e32 v1, v1, v0
	scratch_load_b32 v0, off, off offset:1272 ; 4-byte Folded Reload
	s_clause 0x1
	scratch_store_b32 off, v67, off offset:720
	scratch_store_b32 off, v1, off offset:716
	s_wait_loadcnt 0x0
	v_or_b32_e32 v0, s12, v0
	s_delay_alu instid0(VALU_DEP_1)
	v_lshlrev_b32_e32 v1, 2, v0
	v_lshrrev_b32_e32 v11, 1, v0
	ds_load_b128 v[24:27], v1 offset:16896
	ds_load_b128 v[38:41], v1 offset:16912
	;; [unrolled: 1-line block ×4, first 2 shown]
	s_clause 0xf
	scratch_load_b32 v66, off, off offset:208
	scratch_load_b32 v88, off, off offset:224
	;; [unrolled: 1-line block ×16, first 2 shown]
	s_wait_dscnt 0x3
	v_bfe_i32 v22, v24, 0, 8
	v_bfe_i32 v8, v24, 8, 8
	;; [unrolled: 1-line block ×3, first 2 shown]
	v_ashrrev_i32_e32 v24, 24, v24
	s_clause 0x9
	scratch_load_b32 v93, off, off offset:696
	scratch_load_b32 v105, off, off offset:804
	;; [unrolled: 1-line block ×10, first 2 shown]
	v_ashrrev_i32_e32 v14, 24, v25
	v_bfe_i32 v9, v25, 0, 8
	v_bfe_i32 v10, v25, 8, 8
	;; [unrolled: 1-line block ×4, first 2 shown]
	v_mul_i32_i24_e32 v79, v246, v14
	scratch_load_b32 v246, off, off offset:944 th:TH_LOAD_LU ; 4-byte Folded Reload
	v_bfe_i32 v16, v26, 8, 8
	v_bfe_i32 v17, v26, 16, 8
	v_ashrrev_i32_e32 v18, 24, v26
	v_bfe_i32 v19, v27, 0, 8
	v_bfe_i32 v20, v27, 8, 8
	v_bfe_i32 v21, v27, 16, 8
	v_ashrrev_i32_e32 v25, 24, v27
	s_wait_dscnt 0x2
	v_bfe_i32 v26, v38, 0, 8
	v_bfe_i32 v27, v38, 8, 8
	v_bfe_i32 v28, v38, 16, 8
	v_ashrrev_i32_e32 v29, 24, v38
	v_bfe_i32 v30, v39, 0, 8
	v_bfe_i32 v31, v39, 8, 8
	v_bfe_i32 v32, v39, 16, 8
	v_ashrrev_i32_e32 v33, 24, v39
	v_bfe_i32 v34, v40, 0, 8
	v_bfe_i32 v35, v40, 8, 8
	v_bfe_i32 v36, v40, 16, 8
	v_ashrrev_i32_e32 v37, 24, v40
	v_bfe_i32 v38, v41, 0, 8
	v_bfe_i32 v39, v41, 8, 8
	v_bfe_i32 v40, v41, 16, 8
	v_ashrrev_i32_e32 v41, 24, v41
	s_wait_dscnt 0x1
	v_bfe_i32 v51, v4, 0, 8
	v_bfe_i32 v42, v4, 8, 8
	v_bfe_i32 v52, v4, 16, 8
	v_ashrrev_i32_e32 v53, 24, v4
	v_bfe_i32 v4, v5, 0, 8
	v_bfe_i32 v43, v5, 8, 8
	v_bfe_i32 v44, v5, 16, 8
	v_ashrrev_i32_e32 v5, 24, v5
	v_bfe_i32 v45, v6, 0, 8
	;; [unrolled: 17-line block ×3, first 2 shown]
	v_bfe_i32 v61, v2, 8, 8
	v_bfe_i32 v62, v2, 16, 8
	v_ashrrev_i32_e32 v2, 24, v2
	v_bfe_i32 v63, v3, 0, 8
	v_bfe_i32 v64, v3, 8, 8
	ds_load_b64 v[11:12], v11 offset:27200
	v_bfe_i32 v65, v3, 16, 8
	v_ashrrev_i32_e32 v3, 24, v3
	s_delay_alu instid0(VALU_DEP_2) | instskip(NEXT) | instid1(VALU_DEP_2)
	v_mul_i32_i24_e32 v133, v214, v65
	v_mul_i32_i24_e32 v134, v213, v3
	s_clause 0x1
	scratch_load_b32 v214, off, off offset:664 th:TH_LOAD_LU
	scratch_load_b32 v213, off, off offset:552 th:TH_LOAD_LU
	s_wait_loadcnt 0x1c
	v_mul_i32_i24_e32 v66, v66, v22
	s_wait_loadcnt 0x1b
	v_mul_i32_i24_e32 v88, v88, v26
	;; [unrolled: 2-line block ×6, first 2 shown]
	v_mad_i32_i24 v66, v245, v8, v66
	scratch_load_b32 v245, off, off offset:1216 th:TH_LOAD_LU ; 4-byte Folded Reload
	s_wait_loadcnt 0x15
	v_mul_i32_i24_e32 v68, v68, v24
	s_wait_loadcnt 0x14
	v_mul_i32_i24_e32 v80, v80, v15
	;; [unrolled: 2-line block ×5, first 2 shown]
	v_add3_u32 v66, v66, v67, v68
	s_clause 0x1
	scratch_load_b32 v67, off, off offset:168
	scratch_load_b32 v68, off, off offset:164
	s_wait_loadcnt 0x10
	v_mul_i32_i24_e32 v81, v81, v16
	v_mul_i32_i24_e32 v84, v84, v19
	;; [unrolled: 1-line block ×5, first 2 shown]
	s_wait_loadcnt 0xf
	v_mul_i32_i24_e32 v93, v93, v30
	s_wait_loadcnt 0xe
	v_mul_i32_i24_e32 v105, v105, v34
	;; [unrolled: 2-line block ×5, first 2 shown]
	v_mul_i32_i24_e32 v108, v108, v37
	s_wait_loadcnt 0x9
	v_mul_i32_i24_e32 v109, v109, v38
	s_wait_loadcnt 0x7
	v_mul_i32_i24_e32 v107, v107, v36
	v_mul_i32_i24_e32 v130, v130, v39
	s_wait_loadcnt 0x6
	v_mul_i32_i24_e32 v131, v131, v40
	s_wait_loadcnt 0x5
	;; [unrolled: 2-line block ×5, first 2 shown]
	v_mul_i32_i24_e32 v68, v68, v10
	s_delay_alu instid0(VALU_DEP_1)
	v_add3_u32 v66, v66, v67, v68
	scratch_load_b32 v67, off, off offset:680 ; 4-byte Folded Reload
	v_add3_u32 v66, v66, v78, v79
	v_mul_i32_i24_e32 v78, v168, v52
	v_mul_i32_i24_e32 v79, v167, v53
	s_clause 0x1
	scratch_load_b32 v167, off, off offset:604 th:TH_LOAD_LU
	scratch_load_b32 v168, off, off offset:612 th:TH_LOAD_LU
	v_add3_u32 v66, v66, v80, v81
	v_mul_i32_i24_e32 v80, v242, v44
	v_mul_i32_i24_e32 v81, v241, v5
	s_delay_alu instid0(VALU_DEP_3) | instskip(SKIP_2) | instid1(VALU_DEP_3)
	v_add3_u32 v66, v66, v82, v83
	v_mul_i32_i24_e32 v82, v252, v45
	v_mul_i32_i24_e32 v83, v251, v46
	v_add3_u32 v66, v66, v84, v85
	v_mul_i32_i24_e32 v84, v250, v47
	v_mul_i32_i24_e32 v85, v249, v6
	scratch_load_b32 v249, off, off offset:1140 th:TH_LOAD_LU ; 4-byte Folded Reload
	v_add3_u32 v66, v66, v86, v87
	v_mul_i32_i24_e32 v86, v187, v48
	v_mul_i32_i24_e32 v87, v255, v49
	scratch_load_b32 v187, off, off offset:1180 th:TH_LOAD_LU ; 4-byte Folded Reload
	v_add3_u32 v66, v66, v88, v89
	v_mul_i32_i24_e32 v88, v254, v50
	v_mul_i32_i24_e32 v89, v253, v7
	s_delay_alu instid0(VALU_DEP_3)
	v_add3_u32 v66, v66, v90, v91
	v_mul_i32_i24_e32 v90, v162, v54
	v_mul_i32_i24_e32 v91, v186, v55
	s_clause 0x1
	scratch_load_b32 v186, off, off offset:1172 th:TH_LOAD_LU
	scratch_load_b32 v162, off, off offset:588 th:TH_LOAD_LU
	v_add3_u32 v66, v66, v93, v98
	v_mul_i32_i24_e32 v93, v182, v56
	v_mul_i32_i24_e32 v98, v216, v0
	s_clause 0x1
	scratch_load_b32 v182, off, off offset:572 th:TH_LOAD_LU
	scratch_load_b32 v216, off, off offset:72 th:TH_LOAD_LU
	;; [unrolled: 6-line block ×4, first 2 shown]
	v_add3_u32 v66, v66, v107, v108
	v_mul_i32_i24_e32 v107, v212, v60
	v_mul_i32_i24_e32 v108, v208, v61
	s_clause 0x1
	scratch_load_b32 v212, off, off offset:660 th:TH_LOAD_LU
	scratch_load_b32 v208, off, off offset:16
	v_add3_u32 v66, v66, v109, v130
	v_mul_i32_i24_e32 v109, v207, v62
	v_mul_i32_i24_e32 v130, v206, v2
	s_clause 0x1
	scratch_load_b32 v206, off, off offset:640 th:TH_LOAD_LU
	scratch_load_b32 v207, off, off offset:500 th:TH_LOAD_LU
	v_add3_u32 v66, v66, v131, v132
	v_mul_i32_i24_e32 v131, v220, v63
	v_mul_i32_i24_e32 v132, v219, v64
	s_clause 0x1
	scratch_load_b32 v219, off, off offset:84 th:TH_LOAD_LU
	scratch_load_b32 v220, off, off offset:88 th:TH_LOAD_LU
	v_mul_lo_u32 v66, v66, v204
	scratch_load_b32 v204, off, off offset:1240 th:TH_LOAD_LU ; 4-byte Folded Reload
	v_cvt_f32_i32_e32 v66, v66
	s_wait_dscnt 0x0
	s_delay_alu instid0(VALU_DEP_1) | instskip(SKIP_2) | instid1(VALU_DEP_1)
	v_fma_mix_f32 v66, v11, v66, 0 op_sel_hi:[1,0,0]
	s_wait_loadcnt 0x13
	v_fma_mix_f32 v67, v67, v11, 0 op_sel:[0,1,0] op_sel_hi:[0,1,0]
	v_fma_mix_f32 v67, v223, v12, v67 op_sel:[0,1,0] op_sel_hi:[0,1,0]
	scratch_load_b32 v223, off, off offset:656 th:TH_LOAD_LU ; 4-byte Folded Reload
	v_mul_f32_e32 v67, v67, v224
	scratch_load_b32 v224, off, off offset:1112 th:TH_LOAD_LU ; 4-byte Folded Reload
	s_wait_loadcnt 0x2
	v_mul_i32_i24_e32 v68, v204, v51
	s_delay_alu instid0(VALU_DEP_1)
	v_mad_i32_i24 v68, v232, v42, v68
	scratch_load_b32 v232, off, off offset:120 th:TH_LOAD_LU ; 4-byte Folded Reload
	v_add3_u32 v68, v68, v78, v79
	v_mul_i32_i24_e32 v78, v248, v4
	v_mul_i32_i24_e32 v79, v194, v43
	s_clause 0x1
	scratch_load_b32 v194, off, off offset:600 th:TH_LOAD_LU
	scratch_load_b32 v248, off, off offset:1124 th:TH_LOAD_LU
	v_add3_u32 v68, v68, v78, v79
	v_mul_i32_i24_e32 v78, v13, v181
	scratch_load_b32 v181, off, off offset:1168 th:TH_LOAD_LU ; 4-byte Folded Reload
	v_mul_i32_i24_e32 v79, v14, v183
	scratch_load_b32 v183, off, off offset:580 th:TH_LOAD_LU ; 4-byte Folded Reload
	v_add3_u32 v68, v68, v80, v81
	v_mul_i32_i24_e32 v80, v15, v185
	scratch_load_b32 v185, off, off offset:1176 th:TH_LOAD_LU ; 4-byte Folded Reload
	v_mul_i32_i24_e32 v81, v16, v188
	scratch_load_b32 v188, off, off offset:1244 th:TH_LOAD_LU ; 4-byte Folded Reload
	;; [unrolled: 5-line block ×4, first 2 shown]
	v_add3_u32 v68, v68, v86, v87
	v_mul_i32_i24_e32 v86, v21, v193
	v_mul_i32_i24_e32 v87, v25, v195
	s_clause 0x1
	scratch_load_b32 v193, off, off offset:988 th:TH_LOAD_LU
	scratch_load_b32 v195, off, off offset:1192 th:TH_LOAD_LU
	v_add3_u32 v68, v68, v88, v89
	v_mul_i32_i24_e32 v88, v26, v196
	v_mul_i32_i24_e32 v89, v27, v201
	s_clause 0x1
	scratch_load_b32 v196, off, off offset:608 th:TH_LOAD_LU
	scratch_load_b32 v201, off, off offset:628 th:TH_LOAD_LU
	;; [unrolled: 6-line block ×3, first 2 shown]
	v_add3_u32 v68, v68, v93, v98
	v_mul_i32_i24_e32 v93, v30, v199
	v_mul_i32_i24_e32 v98, v31, v200
	s_clause 0x1
	scratch_load_b32 v200, off, off offset:620 th:TH_LOAD_LU
	scratch_load_b32 v199, off, off offset:148
	v_add3_u32 v68, v68, v103, v104
	s_delay_alu instid0(VALU_DEP_1) | instskip(SKIP_1) | instid1(VALU_DEP_2)
	v_add3_u32 v68, v68, v105, v106
	v_mul_i32_i24_e32 v106, v35, v186
	v_add3_u32 v68, v68, v107, v108
	v_mul_i32_i24_e32 v107, v36, v203
	v_mul_i32_i24_e32 v108, v37, v205
	s_clause 0x1
	scratch_load_b32 v203, off, off offset:1132 th:TH_LOAD_LU
	scratch_load_b32 v205, off, off offset:1144 th:TH_LOAD_LU
	v_add3_u32 v68, v68, v109, v130
	v_mul_i32_i24_e32 v109, v38, v209
	v_mul_i32_i24_e32 v130, v39, v211
	s_clause 0x1
	scratch_load_b32 v209, off, off offset:648 th:TH_LOAD_LU
	scratch_load_b32 v211, off, off offset:1100 th:TH_LOAD_LU
	;; [unrolled: 6-line block ×3, first 2 shown]
	v_add3_u32 v68, v68, v133, v134
	s_delay_alu instid0(VALU_DEP_1) | instskip(SKIP_2) | instid1(VALU_DEP_1)
	v_mul_lo_u32 v68, v68, v221
	scratch_load_b32 v221, off, off offset:652 th:TH_LOAD_LU ; 4-byte Folded Reload
	v_cvt_f32_i32_e32 v68, v68
	v_fma_mix_f32 v66, v12, v68, v66 op_sel_hi:[1,0,0]
	v_mul_i32_i24_e32 v68, v24, v178
	scratch_load_b32 v178, off, off offset:1204 th:TH_LOAD_LU ; 4-byte Folded Reload
	v_fma_f32 v66, v66, v202, -v67
	s_clause 0x1
	scratch_load_b32 v67, off, off offset:712
	scratch_load_b32 v202, off, off offset:1128 th:TH_LOAD_LU
	s_wait_loadcnt 0x19
	v_mul_i32_i24_e32 v105, v34, v181
	s_wait_loadcnt 0xb
	v_mul_i32_i24_e32 v134, v3, v200
	s_wait_loadcnt 0x1
	v_add_f32_e32 v67, v67, v66
	v_mul_i32_i24_e32 v66, v22, v100
	scratch_load_b32 v100, off, off offset:1164 th:TH_LOAD_LU ; 4-byte Folded Reload
	scratch_store_b32 off, v67, off offset:712 ; 4-byte Folded Spill
	v_mul_i32_i24_e32 v67, v23, v244
	v_mad_i32_i24 v66, v8, v176, v66
	s_clause 0x1
	scratch_load_b32 v176, off, off offset:1200 th:TH_LOAD_LU
	scratch_load_b32 v244, off, off offset:548 th:TH_LOAD_LU
	v_add3_u32 v66, v66, v67, v68
	v_mul_i32_i24_e32 v68, v10, v180
	scratch_load_b32 v180, off, off offset:584 th:TH_LOAD_LU ; 4-byte Folded Reload
	v_mul_i32_i24_e32 v67, v9, v179
	scratch_load_b32 v179, off, off offset:496 th:TH_LOAD_LU ; 4-byte Folded Reload
	v_add3_u32 v66, v66, v67, v68
	v_mul_i32_i24_e32 v68, v51, v185
	v_fma_mix_f32 v67, v183, v11, 0 op_sel:[0,1,0] op_sel_hi:[0,1,0]
	s_delay_alu instid0(VALU_DEP_3)
	v_add3_u32 v66, v66, v78, v79
	v_mul_i32_i24_e32 v78, v52, v187
	v_mul_i32_i24_e32 v79, v53, v210
	v_mad_i32_i24 v68, v42, v162, v68
	v_fma_mix_f32 v67, v201, v12, v67 op_sel:[0,1,0] op_sel_hi:[0,1,0]
	v_add3_u32 v66, v66, v80, v81
	v_mul_i32_i24_e32 v80, v44, v163
	v_mul_i32_i24_e32 v81, v5, v188
	v_add3_u32 v68, v68, v78, v79
	v_mul_i32_i24_e32 v78, v4, v189
	v_add3_u32 v66, v66, v82, v83
	v_mul_i32_i24_e32 v79, v43, v218
	v_mul_i32_i24_e32 v82, v45, v191
	;; [unrolled: 1-line block ×3, first 2 shown]
	v_mul_f32_e32 v67, v67, v199
	v_add3_u32 v66, v66, v84, v85
	v_add3_u32 v68, v68, v78, v79
	v_mul_i32_i24_e32 v84, v47, v164
	v_mul_i32_i24_e32 v85, v6, v190
	scratch_load_b32 v218, off, off offset:80 th:TH_LOAD_LU ; 4-byte Folded Reload
	v_add3_u32 v66, v66, v86, v87
	v_add3_u32 v68, v68, v80, v81
	v_mul_i32_i24_e32 v86, v48, v193
	v_mul_i32_i24_e32 v87, v49, v226
	scratch_load_b32 v222, off, off offset:92 th:TH_LOAD_LU ; 4-byte Folded Reload
	;; [unrolled: 5-line block ×3, first 2 shown]
	v_add3_u32 v66, v66, v90, v91
	v_add3_u32 v68, v68, v84, v85
	v_mul_i32_i24_e32 v90, v54, v195
	v_mul_i32_i24_e32 v91, v55, v230
	;; [unrolled: 1-line block ×3, first 2 shown]
	v_add3_u32 v66, v66, v93, v98
	v_add3_u32 v68, v68, v86, v87
	v_mul_i32_i24_e32 v93, v56, v166
	v_mul_i32_i24_e32 v98, v0, v194
	;; [unrolled: 1-line block ×4, first 2 shown]
	v_add3_u32 v68, v68, v88, v89
	v_mul_i32_i24_e32 v14, v14, v137
	s_clause 0x1
	scratch_load_b32 v136, off, off offset:564 th:TH_LOAD_LU
	scratch_load_b32 v137, off, off offset:568 th:TH_LOAD_LU
	v_mul_i32_i24_e32 v80, v15, v237
	v_add3_u32 v68, v68, v90, v91
	v_mul_i32_i24_e32 v81, v16, v238
	v_mul_i32_i24_e32 v15, v15, v138
	;; [unrolled: 1-line block ×4, first 2 shown]
	v_add3_u32 v68, v68, v93, v98
	v_mul_i32_i24_e32 v18, v18, v141
	v_mul_i32_i24_e32 v84, v19, v216
	;; [unrolled: 1-line block ×10, first 2 shown]
	s_clause 0x5
	scratch_load_b32 v230, off, off offset:104 th:TH_LOAD_LU
	scratch_load_b32 v234, off, off offset:128 th:TH_LOAD_LU
	;; [unrolled: 1-line block ×6, first 2 shown]
	s_wait_loadcnt 0xf
	v_mul_i32_i24_e32 v103, v32, v100
	s_wait_loadcnt 0xc
	v_mul_i32_i24_e32 v104, v33, v180
	s_delay_alu instid0(VALU_DEP_1)
	v_add3_u32 v66, v66, v103, v104
	v_mul_i32_i24_e32 v103, v57, v197
	v_mul_i32_i24_e32 v104, v58, v235
	scratch_load_b32 v235, off, off offset:108 th:TH_LOAD_LU ; 4-byte Folded Reload
	v_add3_u32 v66, v66, v105, v106
	v_mul_i32_i24_e32 v105, v59, v167
	v_mul_i32_i24_e32 v106, v1, v196
	v_add3_u32 v68, v68, v103, v104
	v_mul_i32_i24_e32 v104, v33, v209
	v_add3_u32 v66, v66, v107, v108
	v_mul_i32_i24_e32 v107, v60, v176
	v_mul_i32_i24_e32 v108, v61, v239
	v_add3_u32 v68, v68, v105, v106
	v_mul_i32_i24_e32 v105, v34, v172
	v_add3_u32 v66, v66, v109, v130
	v_mul_i32_i24_e32 v109, v62, v168
	v_mul_i32_i24_e32 v130, v2, v198
	v_add3_u32 v68, v68, v107, v108
	scratch_load_b32 v172, off, off offset:1104 th:TH_LOAD_LU ; 4-byte Folded Reload
	v_add3_u32 v66, v66, v131, v132
	v_mul_i32_i24_e32 v132, v64, v160
	scratch_load_b32 v160, off, off offset:1076 th:TH_LOAD_LU ; 4-byte Folded Reload
	v_mul_i32_i24_e32 v131, v63, v178
	v_add3_u32 v68, v68, v109, v130
	v_mul_lo_u32 v66, v66, v182
	v_mul_i32_i24_e32 v106, v35, v173
	scratch_load_b32 v173, off, off offset:1108 th:TH_LOAD_LU ; 4-byte Folded Reload
	v_mul_i32_i24_e32 v107, v36, v184
	v_add3_u32 v68, v68, v131, v132
	v_mul_i32_i24_e32 v131, v40, v171
	s_clause 0x1
	scratch_load_b32 v171, off, off offset:116 th:TH_LOAD_LU
	scratch_load_b32 v184, off, off offset:96 th:TH_LOAD_LU
	v_cvt_f32_i32_e32 v66, v66
	s_wait_loadcnt 0x10
	v_mul_i32_i24_e32 v86, v21, v218
	v_mul_i32_i24_e32 v21, v21, v147
	s_wait_loadcnt 0xf
	v_mul_i32_i24_e32 v90, v28, v222
	s_wait_loadcnt 0xe
	v_mul_i32_i24_e32 v98, v31, v226
	v_fma_mix_f32 v66, v11, v66, 0 op_sel_hi:[1,0,0]
	v_mul_i32_i24_e32 v109, v38, v177
	v_mul_i32_i24_e32 v132, v41, v174
	s_clause 0x2
	scratch_load_b32 v177, off, off offset:672 th:TH_LOAD_LU
	scratch_load_b32 v174, off, off offset:668 th:TH_LOAD_LU
	;; [unrolled: 1-line block ×3, first 2 shown]
	s_wait_loadcnt 0x7
	v_mul_i32_i24_e32 v108, v37, v172
	s_wait_loadcnt 0x6
	v_mul_i32_i24_e32 v133, v65, v160
	s_delay_alu instid0(VALU_DEP_1)
	v_add3_u32 v68, v68, v133, v134
	s_wait_loadcnt 0x5
	v_mul_i32_i24_e32 v130, v39, v173
	v_mul_i32_i24_e32 v134, v3, v206
	;; [unrolled: 1-line block ×4, first 2 shown]
	v_mul_lo_u32 v68, v68, v179
	s_delay_alu instid0(VALU_DEP_1) | instskip(NEXT) | instid1(VALU_DEP_1)
	v_cvt_f32_i32_e32 v68, v68
	v_fma_mix_f32 v66, v12, v68, v66 op_sel_hi:[1,0,0]
	v_mul_i32_i24_e32 v68, v24, v229
	v_mul_i32_i24_e32 v24, v24, v145
	scratch_load_b32 v229, off, off offset:4 th:TH_LOAD_LU ; 4-byte Folded Reload
	v_fma_f32 v66, v66, v175, -v67
	s_clause 0x1
	scratch_load_b32 v67, off, off offset:708
	scratch_load_b32 v175, off, off offset:624 th:TH_LOAD_LU
	s_wait_loadcnt 0x1
	v_add_f32_e32 v67, v67, v66
	v_mul_i32_i24_e32 v66, v22, v75
	v_mul_i32_i24_e32 v22, v22, v142
	s_wait_loadcnt 0x0
	v_mul_i32_i24_e32 v82, v17, v175
	v_mul_i32_i24_e32 v17, v17, v140
	scratch_store_b32 off, v67, off offset:708 ; 4-byte Folded Spill
	v_mul_i32_i24_e32 v67, v23, v227
	scratch_load_b32 v227, off, off offset:1120 th:TH_LOAD_LU ; 4-byte Folded Reload
	v_mad_i32_i24 v66, v8, v228, v66
	v_mul_i32_i24_e32 v23, v23, v143
	v_mad_i32_i24 v8, v8, v128, v22
	v_mul_i32_i24_e32 v22, v25, v148
	v_mul_i32_i24_e32 v25, v28, v151
	v_add3_u32 v66, v66, v67, v68
	v_mul_i32_i24_e32 v67, v9, v231
	v_mul_i32_i24_e32 v68, v10, v233
	;; [unrolled: 1-line block ×4, first 2 shown]
	s_clause 0x1
	scratch_load_b32 v129, off, off offset:1212 th:TH_LOAD_LU
	scratch_load_b32 v135, off, off offset:1208 th:TH_LOAD_LU
	v_add3_u32 v66, v66, v67, v68
	v_mul_i32_i24_e32 v68, v51, v170
	s_clause 0x1
	scratch_load_b32 v170, off, off offset:112 th:TH_LOAD_LU
	scratch_load_b32 v231, off, off offset:12 th:TH_LOAD_LU
	v_add3_u32 v8, v8, v23, v24
	v_add3_u32 v66, v66, v78, v79
	v_mul_i32_i24_e32 v78, v52, v169
	scratch_load_b32 v169, off, off offset:536 th:TH_LOAD_LU ; 4-byte Folded Reload
	v_mul_i32_i24_e32 v23, v26, v149
	v_add3_u32 v8, v8, v9, v10
	v_add3_u32 v66, v66, v80, v81
	v_mul_i32_i24_e32 v24, v27, v150
	v_mul_i32_i24_e32 v26, v29, v152
	v_mul_i32_i24_e32 v27, v30, v153
	v_add3_u32 v8, v8, v13, v14
	v_add3_u32 v66, v66, v82, v83
	v_mul_i32_i24_e32 v28, v31, v154
	v_mul_i32_i24_e32 v29, v32, v155
	;; [unrolled: 5-line block ×3, first 2 shown]
	v_mul_i32_i24_e32 v34, v37, v70
	v_add3_u32 v8, v8, v17, v18
	v_add3_u32 v66, v66, v86, v87
	v_mul_i32_i24_e32 v37, v40, v136
	scratch_load_b32 v228, off, off offset:100 th:TH_LOAD_LU ; 4-byte Folded Reload
	v_mul_i32_i24_e32 v10, v51, v125
	v_add3_u32 v8, v8, v19, v20
	v_add3_u32 v66, v66, v88, v89
	v_fma_mix_f32 v67, v211, v11, 0 op_sel:[0,1,0] op_sel_hi:[0,1,0]
	v_mad_i32_i24 v68, v42, v212, v68
	v_fma_mix_f32 v9, v161, v11, 0 op_sel:[0,1,0] op_sel_hi:[0,1,0]
	v_add3_u32 v8, v8, v21, v22
	v_add3_u32 v66, v66, v90, v91
	v_mul_i32_i24_e32 v13, v53, v127
	v_mad_i32_i24 v10, v42, v124, v10
	scratch_load_b32 v233, off, off offset:124 th:TH_LOAD_LU ; 4-byte Folded Reload
	v_add3_u32 v8, v8, v23, v24
	v_add3_u32 v66, v66, v93, v98
	v_mul_i32_i24_e32 v81, v5, v184
	v_mul_i32_i24_e32 v5, v5, v76
	v_mul_i32_i24_e32 v14, v45, v77
	v_add3_u32 v8, v8, v25, v26
	v_mul_i32_i24_e32 v15, v46, v94
	v_mul_i32_i24_e32 v16, v47, v92
	v_mul_i32_i24_e32 v17, v48, v96
	v_mul_i32_i24_e32 v18, v49, v99
	v_add3_u32 v8, v8, v27, v28
	v_mul_i32_i24_e32 v89, v7, v235
	v_mul_i32_i24_e32 v19, v50, v97
	v_mul_i32_i24_e32 v7, v7, v240
	v_mul_i32_i24_e32 v20, v54, v101
	v_add3_u32 v8, v8, v29, v30
	v_mul_i32_i24_e32 v21, v55, v110
	v_mul_i32_i24_e32 v98, v0, v202
	v_mul_i32_i24_e32 v22, v56, v102
	;; [unrolled: 1-line block ×19, first 2 shown]
	v_fma_mix_f32 v67, v207, v12, v67 op_sel:[0,1,0] op_sel_hi:[0,1,0]
	s_delay_alu instid0(VALU_DEP_1) | instskip(SKIP_4) | instid1(VALU_DEP_3)
	v_mul_f32_e32 v67, v67, v208
	s_wait_loadcnt 0x7
	v_mul_i32_i24_e32 v103, v32, v227
	v_mul_i32_i24_e32 v32, v35, v158
	v_mov_b32_e32 v158, v69
	v_add3_u32 v66, v66, v103, v104
	s_delay_alu instid0(VALU_DEP_3)
	v_add3_u32 v8, v8, v31, v32
	v_mul_i32_i24_e32 v103, v57, v203
	v_mul_i32_i24_e32 v104, v58, v210
	;; [unrolled: 1-line block ×3, first 2 shown]
	v_add3_u32 v66, v66, v105, v106
	s_wait_loadcnt 0x6
	v_mul_i32_i24_e32 v35, v38, v129
	s_wait_loadcnt 0x5
	v_mul_i32_i24_e32 v36, v39, v135
	v_add3_u32 v8, v8, v33, v34
	v_mul_i32_i24_e32 v38, v41, v137
	v_add3_u32 v66, v66, v107, v108
	s_wait_loadcnt 0x4
	v_mul_i32_i24_e32 v79, v53, v170
	s_wait_loadcnt 0x3
	v_mul_i32_i24_e32 v85, v6, v231
	v_add3_u32 v8, v8, v35, v36
	v_mul_i32_i24_e32 v6, v6, v95
	v_add3_u32 v66, v66, v109, v130
	v_add3_u32 v68, v68, v78, v79
	v_mul_i32_i24_e32 v78, v4, v214
	v_add3_u32 v8, v8, v37, v38
	v_mul_i32_i24_e32 v4, v4, v73
	;; [unrolled: 2-line block ×3, first 2 shown]
	scratch_load_b32 v247, off, off offset:556 th:TH_LOAD_LU ; 4-byte Folded Reload
	v_mul_lo_u32 v8, v8, v159
	s_wait_loadcnt 0x3
	v_mul_i32_i24_e32 v106, v1, v169
	v_mul_lo_u32 v66, v66, v171
	v_mul_i32_i24_e32 v1, v1, v115
	v_mul_i32_i24_e32 v130, v2, v213
	;; [unrolled: 1-line block ×5, first 2 shown]
	v_cvt_f32_i32_e32 v8, v8
	v_mul_i32_i24_e32 v108, v61, v244
	v_cvt_f32_i32_e32 v66, v66
	v_add3_u32 v68, v68, v78, v79
	s_wait_loadcnt 0x2
	v_mul_i32_i24_e32 v82, v45, v228
	v_fma_mix_f32 v8, v11, v8, 0 op_sel_hi:[1,0,0]
	v_mul_i32_i24_e32 v109, v62, v239
	v_fma_mix_f32 v66, v11, v66, 0 op_sel_hi:[1,0,0]
	v_mul_i32_i24_e32 v11, v52, v126
	v_add3_u32 v68, v68, v80, v81
	v_mul_i32_i24_e32 v132, v64, v205
	s_delay_alu instid0(VALU_DEP_3)
	v_add3_u32 v10, v10, v11, v13
	v_mul_i32_i24_e32 v11, v43, v225
	v_mul_i32_i24_e32 v13, v44, v74
	v_add3_u32 v68, v68, v82, v83
	s_wait_loadcnt 0x1
	v_mul_i32_i24_e32 v88, v50, v233
	v_mov_b32_e32 v225, v240
	v_add3_u32 v4, v10, v4, v11
	v_add3_u32 v68, v68, v84, v85
	s_delay_alu instid0(VALU_DEP_2) | instskip(NEXT) | instid1(VALU_DEP_2)
	v_add3_u32 v4, v4, v13, v5
	v_add3_u32 v68, v68, v86, v87
	s_delay_alu instid0(VALU_DEP_2) | instskip(NEXT) | instid1(VALU_DEP_2)
	;; [unrolled: 3-line block ×8, first 2 shown]
	v_add3_u32 v0, v0, v23, v24
	v_add3_u32 v68, v68, v109, v130
	s_delay_alu instid0(VALU_DEP_2) | instskip(SKIP_1) | instid1(VALU_DEP_2)
	v_add3_u32 v0, v0, v25, v1
	v_fma_mix_f32 v1, v71, v12, v9 op_sel:[0,1,0] op_sel_hi:[0,1,0]
	v_add3_u32 v0, v0, v26, v27
	s_delay_alu instid0(VALU_DEP_2) | instskip(NEXT) | instid1(VALU_DEP_2)
	v_mul_f32_e32 v1, v1, v243
	v_add3_u32 v0, v0, v28, v2
	scratch_load_b32 v2, off, off           ; 4-byte Folded Reload
	v_add3_u32 v0, v0, v29, v30
	s_delay_alu instid0(VALU_DEP_1) | instskip(NEXT) | instid1(VALU_DEP_1)
	v_add3_u32 v0, v0, v31, v3
	v_mul_lo_u32 v0, v0, v72
	s_delay_alu instid0(VALU_DEP_1) | instskip(NEXT) | instid1(VALU_DEP_1)
	v_cvt_f32_i32_e32 v0, v0
	v_fma_mix_f32 v0, v12, v0, v8 op_sel_hi:[1,0,0]
	s_wait_loadcnt 0x1
	v_mul_i32_i24_e32 v131, v63, v247
	s_delay_alu instid0(VALU_DEP_1) | instskip(NEXT) | instid1(VALU_DEP_1)
	v_add3_u32 v68, v68, v131, v132
	v_add3_u32 v68, v68, v133, v134
	s_clause 0x1
	scratch_load_b32 v134, off, off offset:644 th:TH_LOAD_LU
	scratch_load_b32 v133, off, off offset:140
	s_wait_loadcnt 0x2
	v_fma_f32 v0, v0, v2, -v1
	scratch_load_b32 v1, off, off offset:700 ; 4-byte Folded Reload
	s_wait_loadcnt 0x2
	v_mul_lo_u32 v68, v68, v134
	s_delay_alu instid0(VALU_DEP_1) | instskip(NEXT) | instid1(VALU_DEP_1)
	v_cvt_f32_i32_e32 v68, v68
	v_fma_mix_f32 v66, v12, v68, v66 op_sel_hi:[1,0,0]
	s_wait_loadcnt 0x1
	s_delay_alu instid0(VALU_DEP_1)
	v_fma_f32 v66, v66, v133, -v67
	scratch_load_b32 v67, off, off offset:704 ; 4-byte Folded Reload
	s_wait_loadcnt 0x1
	v_add_f32_e32 v1, v1, v0
	scratch_load_b32 v0, off, off offset:1276 ; 4-byte Folded Reload
	scratch_store_b32 off, v1, off offset:700 ; 4-byte Folded Spill
	s_wait_loadcnt 0x1
	v_add_f32_e32 v67, v67, v66
	scratch_store_b32 off, v67, off offset:704 ; 4-byte Folded Spill
	s_wait_loadcnt 0x0
	v_or_b32_e32 v0, s12, v0
	s_add_co_i32 s12, s5, 8
	s_cmp_lt_u32 s5, 24
	s_wait_alu 0xfffe
	s_mov_b32 s5, s12
	v_lshlrev_b32_e32 v1, 2, v0
	v_lshrrev_b32_e32 v16, 1, v0
	ds_load_b128 v[8:11], v1 offset:16896
	ds_load_b128 v[12:15], v1 offset:16912
	;; [unrolled: 1-line block ×4, first 2 shown]
	s_clause 0x4
	scratch_load_b32 v66, off, off offset:208 th:TH_LOAD_LU
	scratch_load_b32 v69, off, off offset:936 th:TH_LOAD_LU
	;; [unrolled: 1-line block ×5, first 2 shown]
	s_wait_dscnt 0x3
	v_bfe_i32 v61, v8, 0, 8
	v_bfe_i32 v65, v8, 8, 8
	v_bfe_i32 v62, v9, 16, 8
	v_ashrrev_i32_e32 v60, 24, v9
	v_bfe_i32 v58, v10, 0, 8
	v_bfe_i32 v56, v10, 8, 8
	v_bfe_i32 v55, v10, 16, 8
	v_ashrrev_i32_e32 v54, 24, v10
	;; [unrolled: 4-line block ×3, first 2 shown]
	s_wait_dscnt 0x2
	v_bfe_i32 v49, v12, 0, 8
	v_bfe_i32 v48, v12, 8, 8
	;; [unrolled: 1-line block ×3, first 2 shown]
	v_ashrrev_i32_e32 v46, 24, v12
	v_bfe_i32 v45, v13, 0, 8
	v_bfe_i32 v44, v13, 8, 8
	;; [unrolled: 1-line block ×3, first 2 shown]
	v_ashrrev_i32_e32 v42, 24, v13
	v_bfe_i32 v41, v14, 0, 8
	v_bfe_i32 v39, v14, 16, 8
	v_ashrrev_i32_e32 v38, 24, v14
	v_bfe_i32 v37, v15, 0, 8
	v_bfe_i32 v36, v15, 8, 8
	;; [unrolled: 1-line block ×3, first 2 shown]
	v_ashrrev_i32_e32 v57, 24, v8
	v_bfe_i32 v35, v15, 16, 8
	v_bfe_i32 v64, v9, 0, 8
	;; [unrolled: 1-line block ×3, first 2 shown]
	s_wait_dscnt 0x1
	v_bfe_i32 v19, v4, 16, 8
	v_ashrrev_i32_e32 v18, 24, v4
	v_bfe_i32 v20, v4, 0, 8
	v_bfe_i32 v21, v4, 8, 8
	;; [unrolled: 1-line block ×4, first 2 shown]
	v_ashrrev_i32_e32 v25, 24, v6
	v_bfe_i32 v26, v7, 0, 8
	s_wait_dscnt 0x0
	v_bfe_i32 v17, v0, 0, 8
	ds_load_b64 v[11:12], v16 offset:27200
	v_bfe_i32 v16, v0, 8, 8
	v_bfe_i32 v10, v0, 16, 8
	v_ashrrev_i32_e32 v34, 24, v15
	v_ashrrev_i32_e32 v15, 24, v0
	v_bfe_i32 v13, v1, 0, 8
	v_bfe_i32 v40, v14, 8, 8
	;; [unrolled: 1-line block ×4, first 2 shown]
	v_ashrrev_i32_e32 v9, 24, v1
	v_bfe_i32 v4, v2, 0, 8
	v_mul_i32_i24_e32 v106, v245, v40
	v_bfe_i32 v28, v5, 16, 8
	v_ashrrev_i32_e32 v29, 24, v5
	v_bfe_i32 v5, v2, 8, 8
	v_bfe_i32 v30, v6, 0, 8
	;; [unrolled: 1-line block ×5, first 2 shown]
	v_ashrrev_i32_e32 v2, 24, v2
	v_bfe_i32 v24, v7, 8, 8
	v_bfe_i32 v23, v7, 16, 8
	v_ashrrev_i32_e32 v22, 24, v7
	v_bfe_i32 v7, v3, 0, 8
	v_bfe_i32 v1, v3, 8, 8
	;; [unrolled: 1-line block ×3, first 2 shown]
	v_ashrrev_i32_e32 v3, 24, v3
	v_mul_i32_i24_e32 v132, v246, v34
	s_delay_alu instid0(VALU_DEP_3) | instskip(NEXT) | instid1(VALU_DEP_3)
	v_mul_i32_i24_e32 v95, v0, v160
	v_mul_i32_i24_e32 v96, v3, v200
	s_wait_loadcnt 0x4
	v_mul_i32_i24_e32 v66, v66, v61
	s_wait_loadcnt 0x1
	;; [unrolled: 2-line block ×3, first 2 shown]
	v_mul_i32_i24_e32 v68, v68, v57
	v_mad_i32_i24 v66, v69, v65, v66
	scratch_load_b32 v69, off, off offset:156 th:TH_LOAD_LU ; 4-byte Folded Reload
	v_add3_u32 v66, v66, v67, v68
	s_clause 0x1
	scratch_load_b32 v67, off, off offset:168 th:TH_LOAD_LU
	scratch_load_b32 v68, off, off offset:164 th:TH_LOAD_LU
	s_wait_loadcnt 0x2
	v_mul_i32_i24_e32 v78, v69, v62
	scratch_load_b32 v69, off, off offset:940 th:TH_LOAD_LU ; 4-byte Folded Reload
	s_wait_loadcnt 0x2
	v_mul_i32_i24_e32 v67, v67, v64
	s_wait_loadcnt 0x1
	v_mul_i32_i24_e32 v68, v68, v63
	s_delay_alu instid0(VALU_DEP_1)
	v_add3_u32 v66, v66, v67, v68
	v_mul_i32_i24_e32 v68, v204, v20
	scratch_load_b32 v67, off, off offset:924 th:TH_LOAD_LU ; 4-byte Folded Reload
	s_wait_loadcnt 0x1
	v_mul_i32_i24_e32 v79, v69, v60
	scratch_load_b32 v69, off, off offset:184 th:TH_LOAD_LU ; 4-byte Folded Reload
	v_add3_u32 v66, v66, v78, v79
	s_wait_loadcnt 0x0
	v_mul_i32_i24_e32 v80, v69, v58
	scratch_load_b32 v69, off, off offset:180 th:TH_LOAD_LU ; 4-byte Folded Reload
	s_wait_loadcnt 0x0
	v_mul_i32_i24_e32 v81, v69, v56
	scratch_load_b32 v69, off, off offset:176 th:TH_LOAD_LU ; 4-byte Folded Reload
	v_add3_u32 v66, v66, v80, v81
	v_mul_i32_i24_e32 v80, v242, v28
	v_mul_i32_i24_e32 v81, v241, v29
	s_wait_loadcnt 0x0
	v_mul_i32_i24_e32 v82, v69, v55
	scratch_load_b32 v69, off, off offset:172 th:TH_LOAD_LU ; 4-byte Folded Reload
	s_wait_loadcnt 0x0
	v_mul_i32_i24_e32 v83, v69, v54
	scratch_load_b32 v69, off, off offset:200 th:TH_LOAD_LU ; 4-byte Folded Reload
	v_add3_u32 v66, v66, v82, v83
	v_mul_i32_i24_e32 v82, v252, v30
	v_mul_i32_i24_e32 v83, v251, v31
	s_wait_loadcnt 0x0
	v_mul_i32_i24_e32 v84, v69, v53
	scratch_load_b32 v69, off, off offset:196 th:TH_LOAD_LU ; 4-byte Folded Reload
	s_wait_loadcnt 0x0
	v_mul_i32_i24_e32 v85, v69, v52
	scratch_load_b32 v69, off, off offset:192 th:TH_LOAD_LU ; 4-byte Folded Reload
	v_add3_u32 v66, v66, v84, v85
	v_mul_i32_i24_e32 v84, v250, v27
	s_wait_loadcnt 0x0
	v_mul_i32_i24_e32 v86, v69, v51
	scratch_load_b32 v69, off, off offset:188 th:TH_LOAD_LU ; 4-byte Folded Reload
	s_wait_loadcnt 0x0
	v_mul_i32_i24_e32 v87, v69, v50
	scratch_load_b32 v69, off, off offset:224 th:TH_LOAD_LU ; 4-byte Folded Reload
	v_add3_u32 v66, v66, v86, v87
	;; [unrolled: 8-line block ×3, first 2 shown]
	v_mul_i32_i24_e32 v88, v254, v23
	v_mul_i32_i24_e32 v89, v253, v22
	s_wait_loadcnt 0x0
	v_mul_i32_i24_e32 v90, v69, v47
	scratch_load_b32 v69, off, off offset:212 th:TH_LOAD_LU ; 4-byte Folded Reload
	s_wait_loadcnt 0x0
	v_mul_i32_i24_e32 v91, v69, v46
	scratch_load_b32 v69, off, off offset:696 th:TH_LOAD_LU ; 4-byte Folded Reload
	v_add3_u32 v66, v66, v90, v91
	s_wait_loadcnt 0x0
	v_mul_i32_i24_e32 v93, v69, v45
	scratch_load_b32 v69, off, off offset:692 th:TH_LOAD_LU ; 4-byte Folded Reload
	s_wait_loadcnt 0x0
	v_mul_i32_i24_e32 v98, v69, v44
	scratch_load_b32 v69, off, off offset:688 th:TH_LOAD_LU ; 4-byte Folded Reload
	v_add3_u32 v66, v66, v93, v98
	;; [unrolled: 7-line block ×3, first 2 shown]
	s_wait_loadcnt 0x0
	v_mul_i32_i24_e32 v105, v69, v41
	scratch_load_b32 v69, off, off offset:812 th:TH_LOAD_LU ; 4-byte Folded Reload
	v_add3_u32 v66, v66, v105, v106
	s_wait_loadcnt 0x0
	v_mul_i32_i24_e32 v107, v69, v39
	scratch_load_b32 v69, off, off offset:808 th:TH_LOAD_LU ; 4-byte Folded Reload
	s_wait_loadcnt 0x0
	v_mul_i32_i24_e32 v108, v69, v38
	scratch_load_b32 v69, off, off offset:232 th:TH_LOAD_LU ; 4-byte Folded Reload
	v_add3_u32 v66, v66, v107, v108
	s_wait_loadcnt 0x0
	v_mul_i32_i24_e32 v109, v69, v37
	scratch_load_b32 v69, off, off offset:228 th:TH_LOAD_LU ; 4-byte Folded Reload
	s_wait_loadcnt 0x0
	v_mul_i32_i24_e32 v130, v69, v36
	scratch_load_b32 v69, off, off offset:836 th:TH_LOAD_LU ; 4-byte Folded Reload
	v_add3_u32 v66, v66, v109, v130
	scratch_load_b32 v130, off, off offset:824 th:TH_LOAD_LU ; 4-byte Folded Reload
	s_wait_loadcnt 0x1
	v_mul_i32_i24_e32 v131, v69, v35
	scratch_load_b32 v69, off, off offset:920 th:TH_LOAD_LU ; 4-byte Folded Reload
	v_add3_u32 v66, v66, v131, v132
	s_delay_alu instid0(VALU_DEP_1) | instskip(SKIP_3) | instid1(VALU_DEP_1)
	v_mul_lo_u32 v66, v66, v67
	scratch_load_b32 v67, off, off offset:680 th:TH_LOAD_LU ; 4-byte Folded Reload
	v_cvt_f32_i32_e32 v66, v66
	s_wait_dscnt 0x0
	v_fma_mix_f32 v66, v11, v66, 0 op_sel_hi:[1,0,0]
	s_wait_loadcnt 0x1
	v_mul_i32_i24_e32 v78, v69, v19
	scratch_load_b32 v69, off, off offset:916 th:TH_LOAD_LU ; 4-byte Folded Reload
	s_wait_loadcnt 0x1
	v_fma_mix_f32 v67, v67, v11, 0 op_sel:[0,1,0] op_sel_hi:[0,1,0]
	s_wait_loadcnt 0x0
	v_mul_i32_i24_e32 v79, v69, v18
	scratch_load_b32 v69, off, off offset:880 th:TH_LOAD_LU ; 4-byte Folded Reload
	s_wait_loadcnt 0x0
	v_mad_i32_i24 v68, v69, v21, v68
	scratch_load_b32 v69, off, off offset:888 th:TH_LOAD_LU ; 4-byte Folded Reload
	v_add3_u32 v68, v68, v78, v79
	s_wait_loadcnt 0x0
	v_mul_i32_i24_e32 v78, v69, v33
	scratch_load_b32 v69, off, off offset:884 th:TH_LOAD_LU ; 4-byte Folded Reload
	s_wait_loadcnt 0x0
	v_mul_i32_i24_e32 v79, v69, v32
	scratch_load_b32 v69, off, off offset:892 th:TH_LOAD_LU ; 4-byte Folded Reload
	v_add3_u32 v68, v68, v78, v79
	s_clause 0x1
	scratch_load_b32 v78, off, off offset:424 th:TH_LOAD_LU
	scratch_load_b32 v79, off, off offset:428 th:TH_LOAD_LU
	v_add3_u32 v68, v68, v80, v81
	s_clause 0x1
	scratch_load_b32 v80, off, off offset:68 th:TH_LOAD_LU
	scratch_load_b32 v81, off, off offset:432 th:TH_LOAD_LU
	;; [unrolled: 4-line block ×3, first 2 shown]
	s_wait_loadcnt 0x6
	v_mul_i32_i24_e32 v85, v69, v25
	scratch_load_b32 v69, off, off offset:896 th:TH_LOAD_LU ; 4-byte Folded Reload
	v_add3_u32 v68, v68, v84, v85
	scratch_load_b32 v84, off, off offset:64 th:TH_LOAD_LU ; 4-byte Folded Reload
	s_wait_loadcnt 0x7
	v_mul_i32_i24_e32 v78, v50, v78
	s_wait_loadcnt 0x6
	v_mul_i32_i24_e32 v79, v49, v79
	v_mul_i32_i24_e32 v85, v43, v100
	s_wait_loadcnt 0x5
	v_mul_i32_i24_e32 v80, v48, v80
	s_wait_loadcnt 0x4
	;; [unrolled: 2-line block ×5, first 2 shown]
	v_mul_i32_i24_e32 v86, v69, v26
	scratch_load_b32 v69, off, off offset:448 th:TH_LOAD_LU ; 4-byte Folded Reload
	v_add3_u32 v68, v68, v86, v87
	s_wait_loadcnt 0x1
	v_mul_i32_i24_e32 v84, v44, v84
	v_mul_i32_i24_e32 v86, v42, v180
	;; [unrolled: 1-line block ×3, first 2 shown]
	v_add3_u32 v68, v68, v88, v89
	v_mul_i32_i24_e32 v88, v40, v186
	scratch_load_b32 v89, off, off offset:872 th:TH_LOAD_LU ; 4-byte Folded Reload
	s_wait_loadcnt 0x1
	v_mul_i32_i24_e32 v90, v69, v17
	scratch_load_b32 v69, off, off offset:908 th:TH_LOAD_LU ; 4-byte Folded Reload
	s_wait_loadcnt 0x1
	v_mul_i32_i24_e32 v89, v39, v89
	s_wait_loadcnt 0x0
	v_mul_i32_i24_e32 v91, v69, v16
	scratch_load_b32 v69, off, off offset:904 th:TH_LOAD_LU ; 4-byte Folded Reload
	v_add3_u32 v68, v68, v90, v91
	s_clause 0x1
	scratch_load_b32 v90, off, off offset:348 th:TH_LOAD_LU
	scratch_load_b32 v91, off, off offset:352 th:TH_LOAD_LU
	s_wait_loadcnt 0x2
	v_mul_i32_i24_e32 v93, v69, v10
	scratch_load_b32 v69, off, off offset:900 th:TH_LOAD_LU ; 4-byte Folded Reload
	s_wait_loadcnt 0x2
	v_mul_i32_i24_e32 v90, v38, v90
	s_wait_loadcnt 0x1
	v_mul_i32_i24_e32 v91, v37, v91
	s_wait_loadcnt 0x0
	v_mul_i32_i24_e32 v98, v69, v15
	scratch_load_b32 v69, off, off offset:460 th:TH_LOAD_LU ; 4-byte Folded Reload
	v_add3_u32 v68, v68, v93, v98
	v_mul_i32_i24_e32 v93, v36, v92
	scratch_load_b32 v92, off, off offset:36 th:TH_LOAD_LU ; 4-byte Folded Reload
	s_wait_loadcnt 0x1
	v_mul_i32_i24_e32 v77, v69, v13
	scratch_load_b32 v69, off, off offset:456 th:TH_LOAD_LU ; 4-byte Folded Reload
	s_wait_loadcnt 0x1
	v_mul_i32_i24_e32 v98, v35, v92
	s_wait_loadcnt 0x0
	v_mul_i32_i24_e32 v103, v69, v14
	scratch_load_b32 v69, off, off offset:452 th:TH_LOAD_LU ; 4-byte Folded Reload
	v_add3_u32 v68, v68, v77, v103
	scratch_load_b32 v77, off, off offset:420 th:TH_LOAD_LU ; 4-byte Folded Reload
	s_wait_loadcnt 0x1
	v_mul_i32_i24_e32 v104, v69, v8
	scratch_load_b32 v69, off, off offset:912 th:TH_LOAD_LU ; 4-byte Folded Reload
	s_wait_loadcnt 0x1
	v_mul_i32_i24_e32 v77, v51, v77
	s_wait_loadcnt 0x0
	v_mul_i32_i24_e32 v105, v69, v9
	scratch_load_b32 v69, off, off offset:476 th:TH_LOAD_LU ; 4-byte Folded Reload
	v_add3_u32 v68, v68, v104, v105
	s_wait_loadcnt 0x0
	v_mul_i32_i24_e32 v73, v69, v4
	scratch_load_b32 v69, off, off offset:472 th:TH_LOAD_LU ; 4-byte Folded Reload
	s_wait_loadcnt 0x0
	v_mul_i32_i24_e32 v75, v69, v5
	scratch_load_b32 v69, off, off offset:468 th:TH_LOAD_LU ; 4-byte Folded Reload
	v_add3_u32 v68, v68, v73, v75
	s_clause 0x1
	scratch_load_b32 v73, off, off offset:404 th:TH_LOAD_LU
	scratch_load_b32 v75, off, off offset:412 th:TH_LOAD_LU
	s_wait_loadcnt 0x2
	v_mul_i32_i24_e32 v76, v69, v6
	scratch_load_b32 v69, off, off offset:464 th:TH_LOAD_LU ; 4-byte Folded Reload
	s_wait_loadcnt 0x2
	v_mul_i32_i24_e32 v73, v55, v73
	s_wait_loadcnt 0x1
	v_mul_i32_i24_e32 v75, v53, v75
	;; [unrolled: 2-line block ×3, first 2 shown]
	scratch_load_b32 v69, off, off offset:492 th:TH_LOAD_LU ; 4-byte Folded Reload
	v_add3_u32 v68, v68, v76, v106
	scratch_load_b32 v76, off, off offset:416 th:TH_LOAD_LU ; 4-byte Folded Reload
	s_wait_loadcnt 0x1
	v_mul_i32_i24_e32 v70, v69, v7
	scratch_load_b32 v69, off, off offset:488 th:TH_LOAD_LU ; 4-byte Folded Reload
	s_wait_loadcnt 0x1
	v_mul_i32_i24_e32 v76, v52, v76
	s_wait_loadcnt 0x0
	v_mul_i32_i24_e32 v71, v69, v1
	scratch_load_b32 v69, off, off offset:484 th:TH_LOAD_LU ; 4-byte Folded Reload
	v_add3_u32 v68, v68, v70, v71
	s_clause 0x1
	scratch_load_b32 v70, off, off offset:392 th:TH_LOAD_LU
	scratch_load_b32 v71, off, off offset:396 th:TH_LOAD_LU
	s_wait_loadcnt 0x2
	v_mul_i32_i24_e32 v72, v69, v0
	scratch_load_b32 v69, off, off offset:480 th:TH_LOAD_LU ; 4-byte Folded Reload
	s_wait_loadcnt 0x2
	v_mul_i32_i24_e32 v70, v60, v70
	s_wait_loadcnt 0x1
	v_mul_i32_i24_e32 v71, v58, v71
	;; [unrolled: 2-line block ×3, first 2 shown]
	scratch_load_b32 v69, off, off offset:928 th:TH_LOAD_LU ; 4-byte Folded Reload
	v_add3_u32 v68, v68, v72, v74
	s_clause 0x1
	scratch_load_b32 v72, off, off offset:400 th:TH_LOAD_LU
	scratch_load_b32 v74, off, off offset:408 th:TH_LOAD_LU
	s_wait_loadcnt 0x2
	v_mul_lo_u32 v68, v68, v69
	scratch_load_b32 v69, off, off offset:384 th:TH_LOAD_LU ; 4-byte Folded Reload
	s_wait_loadcnt 0x2
	v_mul_i32_i24_e32 v72, v56, v72
	s_wait_loadcnt 0x1
	v_mul_i32_i24_e32 v74, v54, v74
	v_cvt_f32_i32_e32 v68, v68
	s_delay_alu instid0(VALU_DEP_1)
	v_fma_mix_f32 v66, v12, v68, v66 op_sel_hi:[1,0,0]
	scratch_load_b32 v68, off, off offset:932 th:TH_LOAD_LU ; 4-byte Folded Reload
	s_wait_loadcnt 0x0
	v_fma_mix_f32 v67, v68, v12, v67 op_sel:[0,1,0] op_sel_hi:[0,1,0]
	scratch_load_b32 v68, off, off offset:144 ; 4-byte Folded Reload
	s_wait_loadcnt 0x0
	v_mul_f32_e32 v67, v67, v68
	scratch_load_b32 v68, off, off offset:132 ; 4-byte Folded Reload
	s_wait_loadcnt 0x0
	v_fma_f32 v66, v66, v68, -v67
	s_clause 0x1
	scratch_load_b32 v67, off, off offset:444 th:TH_LOAD_LU
	scratch_load_b32 v68, off, off offset:388 th:TH_LOAD_LU
	v_add_f32_e32 v130, v130, v66
	scratch_load_b32 v66, off, off offset:440 th:TH_LOAD_LU ; 4-byte Folded Reload
	s_wait_loadcnt 0x2
	v_mul_i32_i24_e32 v67, v59, v67
	s_wait_loadcnt 0x1
	v_mul_i32_i24_e32 v68, v57, v68
	;; [unrolled: 2-line block ×3, first 2 shown]
	s_delay_alu instid0(VALU_DEP_1)
	v_mad_i32_i24 v66, v65, v69, v66
	scratch_load_b32 v69, off, off offset:56 th:TH_LOAD_LU ; 4-byte Folded Reload
	v_add3_u32 v66, v66, v67, v68
	s_clause 0x7
	scratch_load_b32 v67, off, off offset:48 th:TH_LOAD_LU
	scratch_load_b32 v68, off, off offset:52 th:TH_LOAD_LU
	scratch_load_b32 v186, off, off offset:1316
	scratch_load_b32 v92, off, off offset:360 th:TH_LOAD_LU
	scratch_load_b32 v97, off, off offset:820 th:TH_LOAD_LU
	scratch_load_b32 v127, off, off offset:828
	scratch_load_b32 v128, off, off offset:1284
	scratch_load_b32 v94, off, off offset:380 th:TH_LOAD_LU
	s_wait_loadcnt 0x8
	v_mul_i32_i24_e32 v69, v62, v69
	s_wait_loadcnt 0x7
	v_mul_i32_i24_e32 v67, v64, v67
	;; [unrolled: 2-line block ×4, first 2 shown]
	v_mul_i32_i24_e32 v92, v2, v198
	s_delay_alu instid0(VALU_DEP_3)
	v_add3_u32 v66, v66, v67, v68
	v_mul_i32_i24_e32 v68, v20, v185
	s_wait_loadcnt 0x0
	v_mul_i32_i24_e32 v94, v1, v94
	v_fma_mix_f32 v67, v183, v11, 0 op_sel:[0,1,0] op_sel_hi:[0,1,0]
	scratch_load_b32 v185, off, off offset:1288 ; 4-byte Folded Reload
	v_add3_u32 v66, v66, v69, v70
	scratch_load_b32 v70, off, off offset:876 th:TH_LOAD_LU ; 4-byte Folded Reload
	v_mul_i32_i24_e32 v69, v19, v187
	v_mad_i32_i24 v68, v21, v162, v68
	v_fma_mix_f32 v67, v201, v12, v67 op_sel:[0,1,0] op_sel_hi:[0,1,0]
	v_add3_u32 v66, v66, v71, v72
	v_mul_i32_i24_e32 v71, v28, v163
	v_mul_i32_i24_e32 v72, v29, v188
	s_delay_alu instid0(VALU_DEP_4) | instskip(NEXT) | instid1(VALU_DEP_4)
	v_mul_f32_e32 v67, v67, v199
	v_add3_u32 v66, v66, v73, v74
	scratch_load_b32 v74, off, off offset:364 th:TH_LOAD_LU ; 4-byte Folded Reload
	v_mul_i32_i24_e32 v73, v30, v191
	v_add3_u32 v66, v66, v75, v76
	v_mul_i32_i24_e32 v75, v27, v164
	v_mul_i32_i24_e32 v76, v25, v190
	s_delay_alu instid0(VALU_DEP_3)
	v_add3_u32 v66, v66, v77, v78
	scratch_load_b32 v78, off, off offset:368 th:TH_LOAD_LU ; 4-byte Folded Reload
	v_mul_i32_i24_e32 v77, v26, v193
	v_add3_u32 v66, v66, v79, v80
	v_mul_i32_i24_e32 v79, v23, v165
	v_mul_i32_i24_e32 v80, v22, v192
	s_delay_alu instid0(VALU_DEP_3)
	;; [unrolled: 7-line block ×4, first 2 shown]
	v_add3_u32 v66, v66, v89, v90
	scratch_load_b32 v90, off, off offset:376 th:TH_LOAD_LU ; 4-byte Folded Reload
	v_mul_i32_i24_e32 v89, v4, v176
	v_add3_u32 v66, v66, v91, v93
	v_mul_i32_i24_e32 v91, v6, v168
	v_mul_i32_i24_e32 v93, v7, v178
	s_delay_alu instid0(VALU_DEP_3) | instskip(NEXT) | instid1(VALU_DEP_1)
	v_add3_u32 v66, v66, v98, v99
	v_mul_lo_u32 v66, v66, v182
	s_delay_alu instid0(VALU_DEP_1) | instskip(NEXT) | instid1(VALU_DEP_1)
	v_cvt_f32_i32_e32 v66, v66
	v_fma_mix_f32 v66, v11, v66, 0 op_sel_hi:[1,0,0]
	s_wait_loadcnt 0x5
	v_mul_i32_i24_e32 v70, v18, v70
	s_delay_alu instid0(VALU_DEP_1)
	v_add3_u32 v68, v68, v69, v70
	scratch_load_b32 v70, off, off offset:40 th:TH_LOAD_LU ; 4-byte Folded Reload
	v_mul_i32_i24_e32 v69, v33, v189
	s_wait_loadcnt 0x5
	v_mul_i32_i24_e32 v74, v31, v74
	s_wait_loadcnt 0x4
	;; [unrolled: 2-line block ×6, first 2 shown]
	v_mul_i32_i24_e32 v70, v32, v70
	s_delay_alu instid0(VALU_DEP_1)
	v_add3_u32 v68, v68, v69, v70
	s_clause 0x1
	scratch_load_b32 v69, off, off offset:324 th:TH_LOAD_LU
	scratch_load_b32 v70, off, off offset:336 th:TH_LOAD_LU
	v_add3_u32 v68, v68, v71, v72
	s_clause 0x1
	scratch_load_b32 v71, off, off offset:868 th:TH_LOAD_LU
	scratch_load_b32 v72, off, off offset:340 th:TH_LOAD_LU
	v_add3_u32 v68, v68, v73, v74
	v_mul_i32_i24_e32 v73, v55, v175
	v_mul_i32_i24_e32 v74, v54, v215
	v_mul_i32_i24_e32 v55, v55, v140
	v_mul_i32_i24_e32 v54, v54, v141
	v_add3_u32 v68, v68, v75, v76
	v_mul_i32_i24_e32 v75, v53, v216
	v_mul_i32_i24_e32 v76, v52, v217
	v_mul_i32_i24_e32 v53, v53, v144
	v_mul_i32_i24_e32 v52, v52, v146
	;; [unrolled: 5-line block ×7, first 2 shown]
	v_add3_u32 v68, v68, v87, v88
	scratch_load_b32 v87, off, off offset:848 th:TH_LOAD_LU ; 4-byte Folded Reload
	v_add3_u32 v68, v68, v89, v90
	v_mul_i32_i24_e32 v90, v38, v172
	s_delay_alu instid0(VALU_DEP_2) | instskip(SKIP_2) | instid1(VALU_DEP_3)
	v_add3_u32 v68, v68, v91, v92
	v_mul_i32_i24_e32 v92, v36, v173
	v_mul_i32_i24_e32 v36, v36, v135
	v_add3_u32 v68, v68, v93, v94
	s_delay_alu instid0(VALU_DEP_1) | instskip(SKIP_3) | instid1(VALU_DEP_4)
	v_add3_u32 v68, v68, v95, v96
	v_mul_i32_i24_e32 v95, v0, v249
	v_mul_i32_i24_e32 v96, v3, v206
	;; [unrolled: 1-line block ×3, first 2 shown]
	v_mul_lo_u32 v68, v68, v179
	s_delay_alu instid0(VALU_DEP_1) | instskip(NEXT) | instid1(VALU_DEP_1)
	v_cvt_f32_i32_e32 v68, v68
	v_fma_mix_f32 v66, v12, v68, v66 op_sel_hi:[1,0,0]
	scratch_load_b32 v68, off, off offset:136 ; 4-byte Folded Reload
	s_wait_loadcnt 0x4
	v_mul_i32_i24_e32 v70, v60, v70
	s_wait_loadcnt 0x3
	v_mul_i32_i24_e32 v71, v58, v71
	;; [unrolled: 2-line block ×3, first 2 shown]
	v_mul_i32_i24_e32 v58, v58, v138
	v_mul_i32_i24_e32 v56, v56, v139
	s_wait_loadcnt 0x1
	v_mul_i32_i24_e32 v87, v41, v87
	v_mul_i32_i24_e32 v41, v41, v157
	s_wait_loadcnt 0x0
	v_fma_f32 v66, v66, v68, -v67
	s_clause 0x1
	scratch_load_b32 v67, off, off offset:320 th:TH_LOAD_LU
	scratch_load_b32 v68, off, off offset:328 th:TH_LOAD_LU
	v_add_f32_e32 v97, v97, v66
	scratch_load_b32 v66, off, off offset:856 th:TH_LOAD_LU ; 4-byte Folded Reload
	s_wait_loadcnt 0x2
	v_mul_i32_i24_e32 v67, v59, v67
	s_wait_loadcnt 0x1
	v_mul_i32_i24_e32 v68, v57, v68
	v_mul_i32_i24_e32 v59, v59, v143
	;; [unrolled: 1-line block ×3, first 2 shown]
	s_wait_loadcnt 0x0
	v_mul_i32_i24_e32 v66, v61, v66
	v_mul_i32_i24_e32 v61, v61, v142
	s_delay_alu instid0(VALU_DEP_2)
	v_mad_i32_i24 v66, v65, v69, v66
	scratch_load_b32 v69, off, off offset:332 th:TH_LOAD_LU ; 4-byte Folded Reload
	v_add3_u32 v66, v66, v67, v68
	s_clause 0xa
	scratch_load_b32 v67, off, off offset:860 th:TH_LOAD_LU
	scratch_load_b32 v68, off, off offset:864 th:TH_LOAD_LU
	scratch_load_b32 v240, off, off offset:832
	scratch_load_b32 v88, off, off offset:852 th:TH_LOAD_LU
	scratch_load_b32 v180, off, off offset:1292
	scratch_load_b32 v89, off, off offset:844 th:TH_LOAD_LU
	scratch_load_b32 v91, off, off offset:840 th:TH_LOAD_LU
	scratch_load_b32 v253, off, off offset:1320
	scratch_load_b32 v93, off, off offset:312 th:TH_LOAD_LU
	scratch_load_b32 v245, off, off offset:1296
	scratch_load_b32 v94, off, off offset:316 th:TH_LOAD_LU
	s_wait_loadcnt 0xb
	v_mul_i32_i24_e32 v69, v62, v69
	s_wait_loadcnt 0xa
	v_mul_i32_i24_e32 v67, v64, v67
	;; [unrolled: 2-line block ×6, first 2 shown]
	v_mul_i32_i24_e32 v39, v39, v158
	v_add3_u32 v66, v66, v67, v68
	scratch_load_b32 v68, off, off offset:308 th:TH_LOAD_LU ; 4-byte Folded Reload
	s_wait_loadcnt 0x3
	v_mul_i32_i24_e32 v93, v35, v93
	s_wait_loadcnt 0x1
	v_mul_i32_i24_e32 v94, v34, v94
	v_fma_mix_f32 v67, v211, v11, 0 op_sel:[0,1,0] op_sel_hi:[0,1,0]
	v_add3_u32 v66, v66, v69, v70
	scratch_load_b32 v69, off, off offset:304 th:TH_LOAD_LU ; 4-byte Folded Reload
	v_mul_i32_i24_e32 v70, v18, v170
	v_mul_i32_i24_e32 v37, v37, v129
	v_fma_mix_f32 v67, v207, v12, v67 op_sel:[0,1,0] op_sel_hi:[0,1,0]
	v_add3_u32 v66, v66, v71, v72
	v_mul_i32_i24_e32 v71, v28, v174
	v_mul_i32_i24_e32 v72, v29, v184
	;; [unrolled: 1-line block ×3, first 2 shown]
	v_mul_f32_e32 v67, v67, v208
	v_add3_u32 v66, v66, v73, v74
	v_mul_i32_i24_e32 v73, v30, v228
	v_mul_i32_i24_e32 v74, v31, v230
	;; [unrolled: 1-line block ×3, first 2 shown]
	s_delay_alu instid0(VALU_DEP_4) | instskip(SKIP_2) | instid1(VALU_DEP_3)
	v_add3_u32 v66, v66, v75, v76
	v_mul_i32_i24_e32 v75, v27, v229
	v_mul_i32_i24_e32 v76, v25, v231
	v_add3_u32 v66, v66, v77, v78
	v_mul_i32_i24_e32 v77, v26, v232
	v_mul_i32_i24_e32 v78, v24, v234
	s_delay_alu instid0(VALU_DEP_3) | instskip(SKIP_2) | instid1(VALU_DEP_3)
	v_add3_u32 v66, v66, v79, v80
	v_mul_i32_i24_e32 v79, v23, v233
	v_mul_i32_i24_e32 v80, v22, v235
	v_add3_u32 v66, v66, v81, v82
	v_mul_i32_i24_e32 v81, v17, v236
	v_mul_i32_i24_e32 v82, v16, v248
	s_delay_alu instid0(VALU_DEP_3) | instskip(SKIP_2) | instid1(VALU_DEP_3)
	v_add3_u32 v66, v66, v83, v84
	v_mul_i32_i24_e32 v83, v10, v237
	v_mul_i32_i24_e32 v84, v15, v202
	v_add3_u32 v66, v66, v85, v86
	v_mul_i32_i24_e32 v85, v13, v203
	v_mul_i32_i24_e32 v86, v14, v210
	v_mul_i32_i24_e32 v14, v14, v114
	s_delay_alu instid0(VALU_DEP_4)
	v_add3_u32 v66, v66, v87, v88
	scratch_load_b32 v87, off, off offset:344 th:TH_LOAD_LU ; 4-byte Folded Reload
	v_mul_i32_i24_e32 v88, v9, v169
	v_add3_u32 v66, v66, v89, v90
	v_mul_i32_i24_e32 v89, v4, v238
	v_mul_i32_i24_e32 v90, v5, v244
	s_delay_alu instid0(VALU_DEP_3) | instskip(SKIP_2) | instid1(VALU_DEP_3)
	v_add3_u32 v66, v66, v91, v92
	v_mul_i32_i24_e32 v91, v6, v239
	v_mul_i32_i24_e32 v92, v2, v213
	v_add3_u32 v66, v66, v93, v94
	v_mul_i32_i24_e32 v93, v7, v247
	v_mul_i32_i24_e32 v94, v1, v205
	s_delay_alu instid0(VALU_DEP_3) | instskip(NEXT) | instid1(VALU_DEP_1)
	v_mul_lo_u32 v66, v66, v171
	v_cvt_f32_i32_e32 v66, v66
	s_delay_alu instid0(VALU_DEP_1)
	v_fma_mix_f32 v66, v11, v66, 0 op_sel_hi:[1,0,0]
	s_wait_loadcnt 0x2
	v_mul_i32_i24_e32 v68, v20, v68
	v_mul_i32_i24_e32 v20, v20, v125
	s_wait_loadcnt 0x1
	v_mul_i32_i24_e32 v69, v19, v69
	s_delay_alu instid0(VALU_DEP_3) | instskip(SKIP_3) | instid1(VALU_DEP_4)
	v_mad_i32_i24 v68, v21, v212, v68
	v_mul_i32_i24_e32 v19, v19, v126
	v_mad_i32_i24 v20, v21, v124, v20
	v_mul_i32_i24_e32 v21, v22, v225
	v_add3_u32 v68, v68, v69, v70
	v_mul_i32_i24_e32 v69, v33, v214
	v_mul_i32_i24_e32 v70, v32, v177
	s_delay_alu instid0(VALU_DEP_1) | instskip(NEXT) | instid1(VALU_DEP_1)
	v_add3_u32 v68, v68, v69, v70
	v_add3_u32 v68, v68, v71, v72
	scratch_load_b32 v72, off, off offset:1248 ; 4-byte Folded Reload
	v_add3_u32 v68, v68, v73, v74
	s_delay_alu instid0(VALU_DEP_1)
	v_add3_u32 v68, v68, v75, v76
	scratch_load_b32 v76, off, off offset:1280 ; 4-byte Folded Reload
	v_add3_u32 v68, v68, v77, v78
	s_clause 0x1
	scratch_load_b32 v78, off, off offset:1312
	scratch_load_b32 v77, off, off offset:1308
	v_add3_u32 v68, v68, v79, v80
	s_delay_alu instid0(VALU_DEP_1) | instskip(SKIP_2) | instid1(VALU_DEP_2)
	v_add3_u32 v68, v68, v81, v82
	s_wait_loadcnt 0x4
	v_mul_i32_i24_e32 v87, v8, v87
	v_add3_u32 v68, v68, v83, v84
	s_delay_alu instid0(VALU_DEP_1) | instskip(NEXT) | instid1(VALU_DEP_1)
	v_add3_u32 v68, v68, v85, v86
	v_add3_u32 v68, v68, v87, v88
	s_delay_alu instid0(VALU_DEP_1) | instskip(NEXT) | instid1(VALU_DEP_1)
	v_add3_u32 v68, v68, v89, v90
	;; [unrolled: 3-line block ×3, first 2 shown]
	v_add3_u32 v68, v68, v95, v96
	s_delay_alu instid0(VALU_DEP_1) | instskip(NEXT) | instid1(VALU_DEP_1)
	v_mul_lo_u32 v68, v68, v134
	v_cvt_f32_i32_e32 v68, v68
	s_delay_alu instid0(VALU_DEP_1) | instskip(NEXT) | instid1(VALU_DEP_1)
	v_fma_mix_f32 v66, v12, v68, v66 op_sel_hi:[1,0,0]
	v_fma_f32 v66, v66, v133, -v67
	scratch_load_b32 v67, off, off offset:8 ; 4-byte Folded Reload
	s_wait_loadcnt 0x0
	v_add_f32_e32 v67, v67, v66
	scratch_store_b32 off, v67, off offset:8 ; 4-byte Folded Spill
	s_clause 0x1
	scratch_load_b32 v66, off, off offset:8
	scratch_load_b32 v67, off, off offset:276 th:TH_LOAD_LU
	s_wait_loadcnt 0x0
	v_mad_i32_i24 v61, v65, v67, v61
	s_delay_alu instid0(VALU_DEP_1)
	v_add3_u32 v57, v61, v59, v57
	s_clause 0x1
	scratch_load_b32 v59, off, off offset:280 th:TH_LOAD_LU
	scratch_load_b32 v61, off, off offset:284 th:TH_LOAD_LU
	s_wait_loadcnt 0x1
	v_mul_i32_i24_e32 v59, v64, v59
	s_wait_loadcnt 0x0
	v_mul_i32_i24_e32 v61, v63, v61
	scratch_load_b32 v63, off, off offset:288 th:TH_LOAD_LU ; 4-byte Folded Reload
	v_add3_u32 v57, v57, v59, v61
	s_wait_loadcnt 0x0
	v_mul_i32_i24_e32 v62, v62, v63
	scratch_load_b32 v63, off, off offset:292 th:TH_LOAD_LU ; 4-byte Folded Reload
	s_wait_loadcnt 0x0
	v_mul_i32_i24_e32 v60, v60, v63
	scratch_load_b32 v63, off, off offset:296 th:TH_LOAD_LU ; 4-byte Folded Reload
	v_add3_u32 v57, v57, v62, v60
	s_delay_alu instid0(VALU_DEP_1) | instskip(NEXT) | instid1(VALU_DEP_1)
	v_add3_u32 v56, v57, v58, v56
	v_add3_u32 v54, v56, v55, v54
	s_delay_alu instid0(VALU_DEP_1) | instskip(NEXT) | instid1(VALU_DEP_1)
	v_add3_u32 v52, v54, v53, v52
	;; [unrolled: 3-line block ×3, first 2 shown]
	v_add3_u32 v46, v48, v47, v46
	s_delay_alu instid0(VALU_DEP_1)
	v_add3_u32 v44, v46, v45, v44
	scratch_load_b32 v45, off, off offset:816 th:TH_LOAD_LU ; 4-byte Folded Reload
	v_add3_u32 v42, v44, v43, v42
	s_wait_loadcnt 0x1
	v_mul_i32_i24_e32 v40, v40, v63
	scratch_load_b32 v63, off, off offset:32 th:TH_LOAD_LU ; 4-byte Folded Reload
	v_add3_u32 v40, v42, v41, v40
	s_wait_loadcnt 0x0
	v_mul_i32_i24_e32 v38, v38, v63
	s_delay_alu instid0(VALU_DEP_1) | instskip(NEXT) | instid1(VALU_DEP_1)
	v_add3_u32 v38, v40, v39, v38
	v_add3_u32 v36, v38, v37, v36
	s_delay_alu instid0(VALU_DEP_1)
	v_add3_u32 v34, v36, v35, v34
	scratch_load_b32 v35, off, off offset:300 th:TH_LOAD_LU ; 4-byte Folded Reload
	s_wait_loadcnt 0x0
	v_mul_lo_u32 v34, v34, v35
	scratch_load_b32 v35, off, off offset:28 th:TH_LOAD_LU ; 4-byte Folded Reload
	v_cvt_f32_i32_e32 v34, v34
	s_delay_alu instid0(VALU_DEP_1) | instskip(SKIP_3) | instid1(VALU_DEP_1)
	v_fma_mix_f32 v34, v11, v34, 0 op_sel_hi:[1,0,0]
	v_fma_mix_f32 v11, v161, v11, 0 op_sel:[0,1,0] op_sel_hi:[0,1,0]
	s_wait_loadcnt 0x0
	v_mul_i32_i24_e32 v18, v18, v35
	v_add3_u32 v35, v20, v19, v18
	scratch_load_b32 v18, off, off offset:24 th:TH_LOAD_LU ; 4-byte Folded Reload
	v_mul_i32_i24_e32 v19, v16, v110
	v_mul_i32_i24_e32 v16, v10, v102
	;; [unrolled: 1-line block ×6, first 2 shown]
	s_wait_loadcnt 0x0
	v_mul_i32_i24_e32 v36, v33, v18
	scratch_load_b32 v18, off, off offset:240 th:TH_LOAD_LU ; 4-byte Folded Reload
	s_wait_loadcnt 0x0
	v_mul_i32_i24_e32 v37, v32, v18
	scratch_load_b32 v18, off, off offset:236 th:TH_LOAD_LU ; 4-byte Folded Reload
	v_add3_u32 v3, v35, v36, v37
	s_wait_loadcnt 0x0
	v_mul_i32_i24_e32 v32, v28, v18
	scratch_load_b32 v18, off, off offset:244 th:TH_LOAD_LU ; 4-byte Folded Reload
	s_wait_loadcnt 0x0
	v_mul_i32_i24_e32 v33, v29, v18
	scratch_load_b32 v18, off, off offset:248 th:TH_LOAD_LU ; 4-byte Folded Reload
	v_add3_u32 v3, v3, v32, v33
	;; [unrolled: 7-line block ×5, first 2 shown]
	s_wait_loadcnt 0x0
	v_mul_i32_i24_e32 v20, v23, v18
	v_mul_i32_i24_e32 v18, v17, v101
	;; [unrolled: 1-line block ×5, first 2 shown]
	v_add3_u32 v3, v3, v20, v21
	v_mul_i32_i24_e32 v9, v5, v118
	v_mul_i32_i24_e32 v5, v6, v117
	;; [unrolled: 1-line block ×4, first 2 shown]
	v_add3_u32 v3, v3, v18, v19
	s_delay_alu instid0(VALU_DEP_1) | instskip(NEXT) | instid1(VALU_DEP_1)
	v_add3_u32 v3, v3, v16, v17
	v_add3_u32 v3, v3, v15, v14
	s_delay_alu instid0(VALU_DEP_1) | instskip(NEXT) | instid1(VALU_DEP_1)
	v_add3_u32 v3, v3, v10, v13
	;; [unrolled: 3-line block ×3, first 2 shown]
	v_add3_u32 v2, v3, v2, v4
	s_delay_alu instid0(VALU_DEP_1)
	v_add3_u32 v0, v2, v0, v1
	s_clause 0x1
	scratch_load_b32 v1, off, off offset:152 th:TH_LOAD_LU
	scratch_load_b32 v2, off, off
	s_wait_loadcnt 0x1
	v_mul_lo_u32 v0, v0, v1
	scratch_load_b32 v1, off, off offset:676 th:TH_LOAD_LU ; 4-byte Folded Reload
	v_cvt_f32_i32_e32 v0, v0
	s_delay_alu instid0(VALU_DEP_1) | instskip(SKIP_2) | instid1(VALU_DEP_1)
	v_fma_mix_f32 v0, v12, v0, v34 op_sel_hi:[1,0,0]
	s_wait_loadcnt 0x0
	v_fma_mix_f32 v1, v1, v12, v11 op_sel:[0,1,0] op_sel_hi:[0,1,0]
	v_mul_f32_e32 v1, v1, v243
	s_delay_alu instid0(VALU_DEP_1) | instskip(NEXT) | instid1(VALU_DEP_1)
	v_fma_f32 v0, v0, v2, -v1
	v_add_f32_e32 v45, v45, v0
	s_cbranch_scc1 .LBB171_8
; %bb.9:                                ;   in Loop: Header=BB171_5 Depth=1
	s_clause 0x19
	scratch_load_b32 v73, off, off offset:800
	scratch_load_b32 v71, off, off offset:796
	;; [unrolled: 1-line block ×26, first 2 shown]
	s_add_co_i32 s10, s10, 1
	s_wait_loadcnt 0x0
	s_wait_storecnt 0x0
	s_cmp_eq_u32 s10, s15
	s_barrier_signal -1
	s_barrier_wait -1
	global_inv scope:SCOPE_SE
	s_cbranch_scc0 .LBB171_5
; %bb.10:
	s_clause 0x2
	scratch_load_b32 v1, off, off offset:1424 th:TH_LOAD_LU
	scratch_load_b32 v2, off, off offset:1556 th:TH_LOAD_LU
	scratch_load_b32 v3, off, off offset:1560
.LBB171_11:
	s_mov_b32 s0, exec_lo
	s_wait_loadcnt 0x0
	v_cmpx_gt_u32_e64 s4, v3
	s_cbranch_execz .LBB171_62
; %bb.12:
	v_add_nc_u32_e32 v0, s14, v2
	v_mul_lo_u32 v5, v3, s6
	s_delay_alu instid0(VALU_DEP_2)
	v_cmp_gt_u32_e32 vcc_lo, s6, v0
	s_and_saveexec_b32 s1, vcc_lo
	s_cbranch_execz .LBB171_14
; %bb.13:
	v_bfe_u32 v3, v127, 16, 1
	s_delay_alu instid0(VALU_DEP_3) | instskip(SKIP_1) | instid1(VALU_DEP_3)
	v_add_nc_u32_e32 v2, v0, v5
	v_cmp_o_f32_e64 s0, v127, v127
	v_add3_u32 v4, v127, v3, 0x7fff
	v_mov_b32_e32 v3, 0
	s_delay_alu instid0(VALU_DEP_2) | instskip(NEXT) | instid1(VALU_DEP_2)
	v_lshrrev_b32_e32 v4, 16, v4
	v_lshlrev_b64_e32 v[2:3], 1, v[2:3]
	s_delay_alu instid0(VALU_DEP_2) | instskip(SKIP_1) | instid1(VALU_DEP_2)
	v_cndmask_b32_e64 v4, 0x7fc0, v4, s0
	s_wait_kmcnt 0x0
	v_add_co_u32 v2, s0, s8, v2
	s_wait_alu 0xf1ff
	s_delay_alu instid0(VALU_DEP_3)
	v_add_co_ci_u32_e64 v3, null, s9, v3, s0
	global_store_b16 v[2:3], v4, off
.LBB171_14:
	s_or_b32 exec_lo, exec_lo, s1
	v_add_nc_u32_e32 v2, 32, v0
	s_delay_alu instid0(VALU_DEP_1)
	v_cmp_gt_u32_e64 s0, s6, v2
	s_and_saveexec_b32 s2, s0
	s_cbranch_execz .LBB171_16
; %bb.15:
	v_bfe_u32 v4, v240, 16, 1
	v_add_nc_u32_e32 v3, v2, v5
	v_cmp_o_f32_e64 s1, v240, v240
	s_delay_alu instid0(VALU_DEP_3) | instskip(SKIP_1) | instid1(VALU_DEP_2)
	v_add3_u32 v6, v240, v4, 0x7fff
	v_mov_b32_e32 v4, 0
	v_lshrrev_b32_e32 v6, 16, v6
	s_delay_alu instid0(VALU_DEP_2) | instskip(SKIP_1) | instid1(VALU_DEP_2)
	v_lshlrev_b64_e32 v[3:4], 1, v[3:4]
	s_wait_alu 0xf1ff
	v_cndmask_b32_e64 v6, 0x7fc0, v6, s1
	s_wait_kmcnt 0x0
	s_delay_alu instid0(VALU_DEP_2)
	v_add_co_u32 v3, s1, s8, v3
	s_wait_alu 0xf1ff
	v_add_co_ci_u32_e64 v4, null, s9, v4, s1
	global_store_b16 v[3:4], v6, off
.LBB171_16:
	s_wait_alu 0xfffe
	s_or_b32 exec_lo, exec_lo, s2
	v_add_nc_u32_e32 v3, 64, v0
	s_delay_alu instid0(VALU_DEP_1)
	v_cmp_gt_u32_e64 s1, s6, v3
	s_and_saveexec_b32 s3, s1
	s_cbranch_execz .LBB171_18
; %bb.17:
	v_bfe_u32 v4, v73, 16, 1
	v_dual_mov_b32 v7, 0 :: v_dual_add_nc_u32 v6, v3, v5
	v_cmp_o_f32_e64 s2, v73, v73
	s_delay_alu instid0(VALU_DEP_3) | instskip(NEXT) | instid1(VALU_DEP_3)
	v_add3_u32 v4, v73, v4, 0x7fff
	v_lshlrev_b64_e32 v[6:7], 1, v[6:7]
	s_delay_alu instid0(VALU_DEP_2) | instskip(SKIP_1) | instid1(VALU_DEP_1)
	v_lshrrev_b32_e32 v4, 16, v4
	s_wait_alu 0xf1ff
	v_cndmask_b32_e64 v4, 0x7fc0, v4, s2
	s_wait_kmcnt 0x0
	s_delay_alu instid0(VALU_DEP_3)
	v_add_co_u32 v6, s2, s8, v6
	s_wait_alu 0xf1ff
	v_add_co_ci_u32_e64 v7, null, s9, v7, s2
	global_store_b16 v[6:7], v4, off
.LBB171_18:
	s_wait_alu 0xfffe
	s_or_b32 exec_lo, exec_lo, s3
	v_add_nc_u32_e32 v4, 0x60, v0
	s_delay_alu instid0(VALU_DEP_1)
	v_cmp_gt_u32_e64 s2, s6, v4
	s_and_saveexec_b32 s5, s2
	s_cbranch_execz .LBB171_20
; %bb.19:
	v_bfe_u32 v6, v71, 16, 1
	v_add_nc_u32_e32 v5, v4, v5
	v_cmp_o_f32_e64 s3, v71, v71
	s_delay_alu instid0(VALU_DEP_3) | instskip(SKIP_1) | instid1(VALU_DEP_2)
	v_add3_u32 v7, v71, v6, 0x7fff
	v_mov_b32_e32 v6, 0
	v_lshrrev_b32_e32 v7, 16, v7
	s_delay_alu instid0(VALU_DEP_2) | instskip(SKIP_1) | instid1(VALU_DEP_2)
	v_lshlrev_b64_e32 v[5:6], 1, v[5:6]
	s_wait_alu 0xf1ff
	v_cndmask_b32_e64 v7, 0x7fc0, v7, s3
	s_wait_kmcnt 0x0
	s_delay_alu instid0(VALU_DEP_2)
	v_add_co_u32 v5, s3, s8, v5
	s_wait_alu 0xf1ff
	v_add_co_ci_u32_e64 v6, null, s9, v6, s3
	global_store_b16 v[5:6], v7, off
.LBB171_20:
	s_wait_alu 0xfffe
	s_or_b32 exec_lo, exec_lo, s5
	v_add3_u32 v5, v1, s7, 8
	s_delay_alu instid0(VALU_DEP_1)
	v_cmp_gt_u32_e64 s3, s4, v5
	s_and_b32 exec_lo, exec_lo, s3
	s_cbranch_execz .LBB171_62
; %bb.21:
	v_mul_lo_u32 v5, v5, s6
	s_and_saveexec_b32 s5, vcc_lo
	s_cbranch_execnz .LBB171_63
; %bb.22:
	s_wait_alu 0xfffe
	s_or_b32 exec_lo, exec_lo, s5
	s_and_saveexec_b32 s5, s0
	s_cbranch_execnz .LBB171_64
.LBB171_23:
	s_wait_alu 0xfffe
	s_or_b32 exec_lo, exec_lo, s5
	s_and_saveexec_b32 s5, s1
	s_cbranch_execnz .LBB171_65
.LBB171_24:
	s_wait_alu 0xfffe
	s_or_b32 exec_lo, exec_lo, s5
	s_and_saveexec_b32 s5, s2
	s_cbranch_execz .LBB171_26
.LBB171_25:
	v_bfe_u32 v6, v67, 16, 1
	v_add_nc_u32_e32 v5, v5, v4
	v_cmp_o_f32_e64 s3, v67, v67
	s_delay_alu instid0(VALU_DEP_3) | instskip(SKIP_1) | instid1(VALU_DEP_2)
	v_add3_u32 v7, v67, v6, 0x7fff
	v_mov_b32_e32 v6, 0
	v_lshrrev_b32_e32 v7, 16, v7
	s_delay_alu instid0(VALU_DEP_2) | instskip(SKIP_1) | instid1(VALU_DEP_2)
	v_lshlrev_b64_e32 v[5:6], 1, v[5:6]
	s_wait_alu 0xf1ff
	v_cndmask_b32_e64 v7, 0x7fc0, v7, s3
	s_wait_kmcnt 0x0
	s_delay_alu instid0(VALU_DEP_2)
	v_add_co_u32 v5, s3, s8, v5
	s_wait_alu 0xf1ff
	v_add_co_ci_u32_e64 v6, null, s9, v6, s3
	global_store_b16 v[5:6], v7, off
.LBB171_26:
	s_wait_alu 0xfffe
	s_or_b32 exec_lo, exec_lo, s5
	v_add3_u32 v5, v1, s7, 16
	s_delay_alu instid0(VALU_DEP_1)
	v_cmp_gt_u32_e64 s3, s4, v5
	s_and_b32 exec_lo, exec_lo, s3
	s_cbranch_execz .LBB171_62
; %bb.27:
	v_mul_lo_u32 v5, v5, s6
	s_and_saveexec_b32 s5, vcc_lo
	s_cbranch_execnz .LBB171_66
; %bb.28:
	s_wait_alu 0xfffe
	s_or_b32 exec_lo, exec_lo, s5
	s_and_saveexec_b32 s5, s0
	s_cbranch_execnz .LBB171_67
.LBB171_29:
	s_wait_alu 0xfffe
	s_or_b32 exec_lo, exec_lo, s5
	s_and_saveexec_b32 s5, s1
	s_cbranch_execnz .LBB171_68
.LBB171_30:
	s_wait_alu 0xfffe
	s_or_b32 exec_lo, exec_lo, s5
	s_and_saveexec_b32 s5, s2
	s_cbranch_execz .LBB171_32
.LBB171_31:
	v_bfe_u32 v6, v62, 16, 1
	v_add_nc_u32_e32 v5, v5, v4
	v_cmp_o_f32_e64 s3, v62, v62
	s_delay_alu instid0(VALU_DEP_3) | instskip(SKIP_1) | instid1(VALU_DEP_2)
	v_add3_u32 v7, v62, v6, 0x7fff
	v_mov_b32_e32 v6, 0
	v_lshrrev_b32_e32 v7, 16, v7
	s_delay_alu instid0(VALU_DEP_2) | instskip(SKIP_1) | instid1(VALU_DEP_2)
	v_lshlrev_b64_e32 v[5:6], 1, v[5:6]
	s_wait_alu 0xf1ff
	v_cndmask_b32_e64 v7, 0x7fc0, v7, s3
	s_wait_kmcnt 0x0
	s_delay_alu instid0(VALU_DEP_2)
	v_add_co_u32 v5, s3, s8, v5
	s_wait_alu 0xf1ff
	v_add_co_ci_u32_e64 v6, null, s9, v6, s3
	global_store_b16 v[5:6], v7, off
.LBB171_32:
	s_wait_alu 0xfffe
	s_or_b32 exec_lo, exec_lo, s5
	v_add3_u32 v5, v1, s7, 24
	s_delay_alu instid0(VALU_DEP_1)
	v_cmp_gt_u32_e64 s3, s4, v5
	s_and_b32 exec_lo, exec_lo, s3
	s_cbranch_execz .LBB171_62
; %bb.33:
	v_mul_lo_u32 v5, v5, s6
	s_and_saveexec_b32 s5, vcc_lo
	s_cbranch_execnz .LBB171_69
; %bb.34:
	s_wait_alu 0xfffe
	s_or_b32 exec_lo, exec_lo, s5
	s_and_saveexec_b32 s5, s0
	s_cbranch_execnz .LBB171_70
.LBB171_35:
	s_wait_alu 0xfffe
	s_or_b32 exec_lo, exec_lo, s5
	s_and_saveexec_b32 s5, s1
	s_cbranch_execnz .LBB171_71
.LBB171_36:
	s_wait_alu 0xfffe
	s_or_b32 exec_lo, exec_lo, s5
	s_and_saveexec_b32 s5, s2
	s_cbranch_execz .LBB171_38
.LBB171_37:
	v_bfe_u32 v6, v58, 16, 1
	v_add_nc_u32_e32 v5, v5, v4
	v_cmp_o_f32_e64 s3, v58, v58
	s_delay_alu instid0(VALU_DEP_3) | instskip(SKIP_1) | instid1(VALU_DEP_2)
	v_add3_u32 v7, v58, v6, 0x7fff
	v_mov_b32_e32 v6, 0
	v_lshrrev_b32_e32 v7, 16, v7
	s_delay_alu instid0(VALU_DEP_2) | instskip(SKIP_1) | instid1(VALU_DEP_2)
	v_lshlrev_b64_e32 v[5:6], 1, v[5:6]
	s_wait_alu 0xf1ff
	v_cndmask_b32_e64 v7, 0x7fc0, v7, s3
	s_wait_kmcnt 0x0
	s_delay_alu instid0(VALU_DEP_2)
	v_add_co_u32 v5, s3, s8, v5
	s_wait_alu 0xf1ff
	v_add_co_ci_u32_e64 v6, null, s9, v6, s3
	global_store_b16 v[5:6], v7, off
.LBB171_38:
	s_wait_alu 0xfffe
	s_or_b32 exec_lo, exec_lo, s5
	v_add3_u32 v5, v1, s7, 32
	s_delay_alu instid0(VALU_DEP_1)
	v_cmp_gt_u32_e64 s3, s4, v5
	s_and_b32 exec_lo, exec_lo, s3
	s_cbranch_execz .LBB171_62
; %bb.39:
	v_mul_lo_u32 v5, v5, s6
	s_and_saveexec_b32 s5, vcc_lo
	s_cbranch_execnz .LBB171_72
; %bb.40:
	s_wait_alu 0xfffe
	s_or_b32 exec_lo, exec_lo, s5
	s_and_saveexec_b32 s5, s0
	s_cbranch_execnz .LBB171_73
.LBB171_41:
	s_wait_alu 0xfffe
	s_or_b32 exec_lo, exec_lo, s5
	s_and_saveexec_b32 s5, s1
	s_cbranch_execnz .LBB171_74
.LBB171_42:
	s_wait_alu 0xfffe
	s_or_b32 exec_lo, exec_lo, s5
	s_and_saveexec_b32 s5, s2
	s_cbranch_execz .LBB171_44
.LBB171_43:
	v_bfe_u32 v6, v17, 16, 1
	v_add_nc_u32_e32 v5, v5, v4
	v_cmp_o_f32_e64 s3, v17, v17
	s_delay_alu instid0(VALU_DEP_3) | instskip(SKIP_1) | instid1(VALU_DEP_2)
	v_add3_u32 v7, v17, v6, 0x7fff
	v_mov_b32_e32 v6, 0
	v_lshrrev_b32_e32 v7, 16, v7
	s_delay_alu instid0(VALU_DEP_2) | instskip(SKIP_1) | instid1(VALU_DEP_2)
	v_lshlrev_b64_e32 v[5:6], 1, v[5:6]
	s_wait_alu 0xf1ff
	v_cndmask_b32_e64 v7, 0x7fc0, v7, s3
	s_wait_kmcnt 0x0
	s_delay_alu instid0(VALU_DEP_2)
	v_add_co_u32 v5, s3, s8, v5
	s_wait_alu 0xf1ff
	v_add_co_ci_u32_e64 v6, null, s9, v6, s3
	global_store_b16 v[5:6], v7, off
.LBB171_44:
	s_wait_alu 0xfffe
	s_or_b32 exec_lo, exec_lo, s5
	v_add3_u32 v5, v1, s7, 40
	s_delay_alu instid0(VALU_DEP_1)
	v_cmp_gt_u32_e64 s3, s4, v5
	s_and_b32 exec_lo, exec_lo, s3
	s_cbranch_execz .LBB171_62
; %bb.45:
	v_mul_lo_u32 v5, v5, s6
	s_and_saveexec_b32 s5, vcc_lo
	s_cbranch_execnz .LBB171_75
; %bb.46:
	s_wait_alu 0xfffe
	s_or_b32 exec_lo, exec_lo, s5
	s_and_saveexec_b32 s5, s0
	s_cbranch_execnz .LBB171_76
.LBB171_47:
	s_wait_alu 0xfffe
	s_or_b32 exec_lo, exec_lo, s5
	s_and_saveexec_b32 s5, s1
	s_cbranch_execnz .LBB171_77
.LBB171_48:
	s_wait_alu 0xfffe
	s_or_b32 exec_lo, exec_lo, s5
	s_and_saveexec_b32 s5, s2
	s_cbranch_execz .LBB171_50
.LBB171_49:
	v_bfe_u32 v6, v13, 16, 1
	v_add_nc_u32_e32 v5, v5, v4
	v_cmp_o_f32_e64 s3, v13, v13
	s_delay_alu instid0(VALU_DEP_3) | instskip(SKIP_1) | instid1(VALU_DEP_2)
	v_add3_u32 v7, v13, v6, 0x7fff
	v_mov_b32_e32 v6, 0
	v_lshrrev_b32_e32 v7, 16, v7
	s_delay_alu instid0(VALU_DEP_2) | instskip(SKIP_1) | instid1(VALU_DEP_2)
	v_lshlrev_b64_e32 v[5:6], 1, v[5:6]
	s_wait_alu 0xf1ff
	v_cndmask_b32_e64 v7, 0x7fc0, v7, s3
	s_wait_kmcnt 0x0
	s_delay_alu instid0(VALU_DEP_2)
	v_add_co_u32 v5, s3, s8, v5
	s_wait_alu 0xf1ff
	v_add_co_ci_u32_e64 v6, null, s9, v6, s3
	global_store_b16 v[5:6], v7, off
.LBB171_50:
	s_wait_alu 0xfffe
	s_or_b32 exec_lo, exec_lo, s5
	v_add3_u32 v5, v1, s7, 48
	s_delay_alu instid0(VALU_DEP_1)
	v_cmp_gt_u32_e64 s3, s4, v5
	s_and_b32 exec_lo, exec_lo, s3
	s_cbranch_execz .LBB171_62
; %bb.51:
	v_mul_lo_u32 v5, v5, s6
	s_and_saveexec_b32 s5, vcc_lo
	s_cbranch_execnz .LBB171_78
; %bb.52:
	s_wait_alu 0xfffe
	s_or_b32 exec_lo, exec_lo, s5
	s_and_saveexec_b32 s5, s0
	s_cbranch_execnz .LBB171_79
.LBB171_53:
	s_wait_alu 0xfffe
	s_or_b32 exec_lo, exec_lo, s5
	s_and_saveexec_b32 s5, s1
	s_cbranch_execnz .LBB171_80
.LBB171_54:
	s_wait_alu 0xfffe
	s_or_b32 exec_lo, exec_lo, s5
	s_and_saveexec_b32 s5, s2
	s_cbranch_execz .LBB171_56
.LBB171_55:
	v_bfe_u32 v6, v9, 16, 1
	v_add_nc_u32_e32 v5, v5, v4
	v_cmp_o_f32_e64 s3, v9, v9
	s_delay_alu instid0(VALU_DEP_3) | instskip(SKIP_1) | instid1(VALU_DEP_2)
	v_add3_u32 v7, v9, v6, 0x7fff
	v_mov_b32_e32 v6, 0
	v_lshrrev_b32_e32 v7, 16, v7
	s_delay_alu instid0(VALU_DEP_2) | instskip(SKIP_1) | instid1(VALU_DEP_2)
	v_lshlrev_b64_e32 v[5:6], 1, v[5:6]
	s_wait_alu 0xf1ff
	v_cndmask_b32_e64 v7, 0x7fc0, v7, s3
	s_wait_kmcnt 0x0
	s_delay_alu instid0(VALU_DEP_2)
	v_add_co_u32 v5, s3, s8, v5
	s_wait_alu 0xf1ff
	v_add_co_ci_u32_e64 v6, null, s9, v6, s3
	global_store_b16 v[5:6], v7, off
.LBB171_56:
	s_wait_alu 0xfffe
	s_or_b32 exec_lo, exec_lo, s5
	v_add3_u32 v1, v1, s7, 56
	s_delay_alu instid0(VALU_DEP_1)
	v_cmp_gt_u32_e64 s3, s4, v1
	s_and_b32 exec_lo, exec_lo, s3
	s_cbranch_execz .LBB171_62
; %bb.57:
	v_mul_lo_u32 v1, v1, s6
	s_and_saveexec_b32 s3, vcc_lo
	s_cbranch_execnz .LBB171_81
; %bb.58:
	s_wait_alu 0xfffe
	s_or_b32 exec_lo, exec_lo, s3
	s_and_saveexec_b32 s3, s0
	s_cbranch_execnz .LBB171_82
.LBB171_59:
	s_wait_alu 0xfffe
	s_or_b32 exec_lo, exec_lo, s3
	s_and_saveexec_b32 s0, s1
	s_cbranch_execnz .LBB171_83
.LBB171_60:
	s_wait_alu 0xfffe
	s_or_b32 exec_lo, exec_lo, s0
	s_delay_alu instid0(SALU_CYCLE_1)
	s_and_b32 exec_lo, exec_lo, s2
	s_cbranch_execz .LBB171_62
.LBB171_61:
	v_bfe_u32 v2, v45, 16, 1
	v_dual_mov_b32 v1, 0 :: v_dual_add_nc_u32 v0, v1, v4
	v_cmp_o_f32_e32 vcc_lo, v45, v45
	s_delay_alu instid0(VALU_DEP_3) | instskip(NEXT) | instid1(VALU_DEP_3)
	v_add3_u32 v2, v45, v2, 0x7fff
	v_lshlrev_b64_e32 v[0:1], 1, v[0:1]
	s_delay_alu instid0(VALU_DEP_2) | instskip(SKIP_1) | instid1(VALU_DEP_1)
	v_lshrrev_b32_e32 v2, 16, v2
	s_wait_alu 0xfffd
	v_cndmask_b32_e32 v2, 0x7fc0, v2, vcc_lo
	s_wait_kmcnt 0x0
	s_delay_alu instid0(VALU_DEP_3)
	v_add_co_u32 v0, vcc_lo, s8, v0
	s_wait_alu 0xfffd
	v_add_co_ci_u32_e64 v1, null, s9, v1, vcc_lo
	global_store_b16 v[0:1], v2, off
.LBB171_62:
	s_nop 0
	s_sendmsg sendmsg(MSG_DEALLOC_VGPRS)
	s_endpgm
.LBB171_63:
	v_bfe_u32 v7, v70, 16, 1
	s_delay_alu instid0(VALU_DEP_2) | instskip(SKIP_1) | instid1(VALU_DEP_3)
	v_add_nc_u32_e32 v6, v5, v0
	v_cmp_o_f32_e64 s3, v70, v70
	v_add3_u32 v8, v70, v7, 0x7fff
	v_mov_b32_e32 v7, 0
	s_delay_alu instid0(VALU_DEP_2) | instskip(NEXT) | instid1(VALU_DEP_2)
	v_lshrrev_b32_e32 v8, 16, v8
	v_lshlrev_b64_e32 v[6:7], 1, v[6:7]
	s_wait_alu 0xf1ff
	s_delay_alu instid0(VALU_DEP_2) | instskip(SKIP_1) | instid1(VALU_DEP_2)
	v_cndmask_b32_e64 v8, 0x7fc0, v8, s3
	s_wait_kmcnt 0x0
	v_add_co_u32 v6, s3, s8, v6
	s_wait_alu 0xf1ff
	v_add_co_ci_u32_e64 v7, null, s9, v7, s3
	global_store_b16 v[6:7], v8, off
	s_wait_alu 0xfffe
	s_or_b32 exec_lo, exec_lo, s5
	s_and_saveexec_b32 s5, s0
	s_cbranch_execz .LBB171_23
.LBB171_64:
	v_bfe_u32 v7, v69, 16, 1
	v_add_nc_u32_e32 v6, v5, v2
	v_cmp_o_f32_e64 s3, v69, v69
	s_delay_alu instid0(VALU_DEP_3) | instskip(SKIP_1) | instid1(VALU_DEP_2)
	v_add3_u32 v8, v69, v7, 0x7fff
	v_mov_b32_e32 v7, 0
	v_lshrrev_b32_e32 v8, 16, v8
	s_delay_alu instid0(VALU_DEP_2) | instskip(SKIP_1) | instid1(VALU_DEP_2)
	v_lshlrev_b64_e32 v[6:7], 1, v[6:7]
	s_wait_alu 0xf1ff
	v_cndmask_b32_e64 v8, 0x7fc0, v8, s3
	s_wait_kmcnt 0x0
	s_delay_alu instid0(VALU_DEP_2)
	v_add_co_u32 v6, s3, s8, v6
	s_wait_alu 0xf1ff
	v_add_co_ci_u32_e64 v7, null, s9, v7, s3
	global_store_b16 v[6:7], v8, off
	s_wait_alu 0xfffe
	s_or_b32 exec_lo, exec_lo, s5
	s_and_saveexec_b32 s5, s1
	s_cbranch_execz .LBB171_24
.LBB171_65:
	v_bfe_u32 v7, v68, 16, 1
	v_add_nc_u32_e32 v6, v5, v3
	v_cmp_o_f32_e64 s3, v68, v68
	s_delay_alu instid0(VALU_DEP_3) | instskip(SKIP_1) | instid1(VALU_DEP_2)
	v_add3_u32 v8, v68, v7, 0x7fff
	v_mov_b32_e32 v7, 0
	v_lshrrev_b32_e32 v8, 16, v8
	s_delay_alu instid0(VALU_DEP_2) | instskip(SKIP_1) | instid1(VALU_DEP_2)
	v_lshlrev_b64_e32 v[6:7], 1, v[6:7]
	s_wait_alu 0xf1ff
	v_cndmask_b32_e64 v8, 0x7fc0, v8, s3
	s_wait_kmcnt 0x0
	s_delay_alu instid0(VALU_DEP_2)
	v_add_co_u32 v6, s3, s8, v6
	s_wait_alu 0xf1ff
	v_add_co_ci_u32_e64 v7, null, s9, v7, s3
	global_store_b16 v[6:7], v8, off
	s_wait_alu 0xfffe
	s_or_b32 exec_lo, exec_lo, s5
	s_and_saveexec_b32 s5, s2
	s_cbranch_execnz .LBB171_25
	s_branch .LBB171_26
.LBB171_66:
	v_bfe_u32 v7, v65, 16, 1
	s_delay_alu instid0(VALU_DEP_2) | instskip(SKIP_1) | instid1(VALU_DEP_3)
	v_add_nc_u32_e32 v6, v5, v0
	v_cmp_o_f32_e64 s3, v65, v65
	v_add3_u32 v8, v65, v7, 0x7fff
	v_mov_b32_e32 v7, 0
	s_delay_alu instid0(VALU_DEP_2) | instskip(NEXT) | instid1(VALU_DEP_2)
	v_lshrrev_b32_e32 v8, 16, v8
	v_lshlrev_b64_e32 v[6:7], 1, v[6:7]
	s_wait_alu 0xf1ff
	s_delay_alu instid0(VALU_DEP_2) | instskip(SKIP_1) | instid1(VALU_DEP_2)
	v_cndmask_b32_e64 v8, 0x7fc0, v8, s3
	s_wait_kmcnt 0x0
	v_add_co_u32 v6, s3, s8, v6
	s_wait_alu 0xf1ff
	v_add_co_ci_u32_e64 v7, null, s9, v7, s3
	global_store_b16 v[6:7], v8, off
	s_wait_alu 0xfffe
	s_or_b32 exec_lo, exec_lo, s5
	s_and_saveexec_b32 s5, s0
	s_cbranch_execz .LBB171_29
.LBB171_67:
	v_bfe_u32 v7, v64, 16, 1
	v_add_nc_u32_e32 v6, v5, v2
	v_cmp_o_f32_e64 s3, v64, v64
	s_delay_alu instid0(VALU_DEP_3) | instskip(SKIP_1) | instid1(VALU_DEP_2)
	v_add3_u32 v8, v64, v7, 0x7fff
	v_mov_b32_e32 v7, 0
	v_lshrrev_b32_e32 v8, 16, v8
	s_delay_alu instid0(VALU_DEP_2) | instskip(SKIP_1) | instid1(VALU_DEP_2)
	v_lshlrev_b64_e32 v[6:7], 1, v[6:7]
	s_wait_alu 0xf1ff
	v_cndmask_b32_e64 v8, 0x7fc0, v8, s3
	s_wait_kmcnt 0x0
	s_delay_alu instid0(VALU_DEP_2)
	v_add_co_u32 v6, s3, s8, v6
	s_wait_alu 0xf1ff
	v_add_co_ci_u32_e64 v7, null, s9, v7, s3
	global_store_b16 v[6:7], v8, off
	s_wait_alu 0xfffe
	s_or_b32 exec_lo, exec_lo, s5
	s_and_saveexec_b32 s5, s1
	s_cbranch_execz .LBB171_30
.LBB171_68:
	v_bfe_u32 v7, v63, 16, 1
	v_add_nc_u32_e32 v6, v5, v3
	v_cmp_o_f32_e64 s3, v63, v63
	s_delay_alu instid0(VALU_DEP_3) | instskip(SKIP_1) | instid1(VALU_DEP_2)
	v_add3_u32 v8, v63, v7, 0x7fff
	v_mov_b32_e32 v7, 0
	v_lshrrev_b32_e32 v8, 16, v8
	s_delay_alu instid0(VALU_DEP_2) | instskip(SKIP_1) | instid1(VALU_DEP_2)
	v_lshlrev_b64_e32 v[6:7], 1, v[6:7]
	s_wait_alu 0xf1ff
	v_cndmask_b32_e64 v8, 0x7fc0, v8, s3
	s_wait_kmcnt 0x0
	s_delay_alu instid0(VALU_DEP_2)
	v_add_co_u32 v6, s3, s8, v6
	s_wait_alu 0xf1ff
	v_add_co_ci_u32_e64 v7, null, s9, v7, s3
	global_store_b16 v[6:7], v8, off
	s_wait_alu 0xfffe
	s_or_b32 exec_lo, exec_lo, s5
	s_and_saveexec_b32 s5, s2
	s_cbranch_execnz .LBB171_31
	s_branch .LBB171_32
.LBB171_69:
	v_bfe_u32 v7, v61, 16, 1
	s_delay_alu instid0(VALU_DEP_2) | instskip(SKIP_1) | instid1(VALU_DEP_3)
	v_add_nc_u32_e32 v6, v5, v0
	v_cmp_o_f32_e64 s3, v61, v61
	v_add3_u32 v8, v61, v7, 0x7fff
	v_mov_b32_e32 v7, 0
	s_delay_alu instid0(VALU_DEP_2) | instskip(NEXT) | instid1(VALU_DEP_2)
	v_lshrrev_b32_e32 v8, 16, v8
	v_lshlrev_b64_e32 v[6:7], 1, v[6:7]
	s_wait_alu 0xf1ff
	s_delay_alu instid0(VALU_DEP_2) | instskip(SKIP_1) | instid1(VALU_DEP_2)
	v_cndmask_b32_e64 v8, 0x7fc0, v8, s3
	s_wait_kmcnt 0x0
	v_add_co_u32 v6, s3, s8, v6
	s_wait_alu 0xf1ff
	v_add_co_ci_u32_e64 v7, null, s9, v7, s3
	global_store_b16 v[6:7], v8, off
	s_wait_alu 0xfffe
	s_or_b32 exec_lo, exec_lo, s5
	s_and_saveexec_b32 s5, s0
	s_cbranch_execz .LBB171_35
.LBB171_70:
	v_bfe_u32 v7, v60, 16, 1
	v_add_nc_u32_e32 v6, v5, v2
	v_cmp_o_f32_e64 s3, v60, v60
	s_delay_alu instid0(VALU_DEP_3) | instskip(SKIP_1) | instid1(VALU_DEP_2)
	v_add3_u32 v8, v60, v7, 0x7fff
	v_mov_b32_e32 v7, 0
	v_lshrrev_b32_e32 v8, 16, v8
	s_delay_alu instid0(VALU_DEP_2) | instskip(SKIP_1) | instid1(VALU_DEP_2)
	v_lshlrev_b64_e32 v[6:7], 1, v[6:7]
	s_wait_alu 0xf1ff
	v_cndmask_b32_e64 v8, 0x7fc0, v8, s3
	s_wait_kmcnt 0x0
	s_delay_alu instid0(VALU_DEP_2)
	v_add_co_u32 v6, s3, s8, v6
	s_wait_alu 0xf1ff
	v_add_co_ci_u32_e64 v7, null, s9, v7, s3
	global_store_b16 v[6:7], v8, off
	s_wait_alu 0xfffe
	s_or_b32 exec_lo, exec_lo, s5
	s_and_saveexec_b32 s5, s1
	s_cbranch_execz .LBB171_36
.LBB171_71:
	v_bfe_u32 v7, v59, 16, 1
	v_add_nc_u32_e32 v6, v5, v3
	v_cmp_o_f32_e64 s3, v59, v59
	s_delay_alu instid0(VALU_DEP_3) | instskip(SKIP_1) | instid1(VALU_DEP_2)
	v_add3_u32 v8, v59, v7, 0x7fff
	v_mov_b32_e32 v7, 0
	v_lshrrev_b32_e32 v8, 16, v8
	s_delay_alu instid0(VALU_DEP_2) | instskip(SKIP_1) | instid1(VALU_DEP_2)
	v_lshlrev_b64_e32 v[6:7], 1, v[6:7]
	s_wait_alu 0xf1ff
	v_cndmask_b32_e64 v8, 0x7fc0, v8, s3
	s_wait_kmcnt 0x0
	s_delay_alu instid0(VALU_DEP_2)
	v_add_co_u32 v6, s3, s8, v6
	s_wait_alu 0xf1ff
	v_add_co_ci_u32_e64 v7, null, s9, v7, s3
	global_store_b16 v[6:7], v8, off
	s_wait_alu 0xfffe
	s_or_b32 exec_lo, exec_lo, s5
	s_and_saveexec_b32 s5, s2
	s_cbranch_execnz .LBB171_37
	s_branch .LBB171_38
.LBB171_72:
	v_bfe_u32 v7, v57, 16, 1
	s_delay_alu instid0(VALU_DEP_2) | instskip(SKIP_1) | instid1(VALU_DEP_3)
	v_add_nc_u32_e32 v6, v5, v0
	v_cmp_o_f32_e64 s3, v57, v57
	v_add3_u32 v8, v57, v7, 0x7fff
	v_mov_b32_e32 v7, 0
	s_delay_alu instid0(VALU_DEP_2) | instskip(NEXT) | instid1(VALU_DEP_2)
	v_lshrrev_b32_e32 v8, 16, v8
	v_lshlrev_b64_e32 v[6:7], 1, v[6:7]
	s_wait_alu 0xf1ff
	s_delay_alu instid0(VALU_DEP_2) | instskip(SKIP_1) | instid1(VALU_DEP_2)
	v_cndmask_b32_e64 v8, 0x7fc0, v8, s3
	s_wait_kmcnt 0x0
	v_add_co_u32 v6, s3, s8, v6
	s_wait_alu 0xf1ff
	v_add_co_ci_u32_e64 v7, null, s9, v7, s3
	global_store_b16 v[6:7], v8, off
	s_wait_alu 0xfffe
	s_or_b32 exec_lo, exec_lo, s5
	s_and_saveexec_b32 s5, s0
	s_cbranch_execz .LBB171_41
.LBB171_73:
	v_bfe_u32 v7, v19, 16, 1
	v_add_nc_u32_e32 v6, v5, v2
	v_cmp_o_f32_e64 s3, v19, v19
	s_delay_alu instid0(VALU_DEP_3) | instskip(SKIP_1) | instid1(VALU_DEP_2)
	v_add3_u32 v8, v19, v7, 0x7fff
	v_mov_b32_e32 v7, 0
	v_lshrrev_b32_e32 v8, 16, v8
	s_delay_alu instid0(VALU_DEP_2) | instskip(SKIP_1) | instid1(VALU_DEP_2)
	v_lshlrev_b64_e32 v[6:7], 1, v[6:7]
	s_wait_alu 0xf1ff
	v_cndmask_b32_e64 v8, 0x7fc0, v8, s3
	s_wait_kmcnt 0x0
	s_delay_alu instid0(VALU_DEP_2)
	v_add_co_u32 v6, s3, s8, v6
	s_wait_alu 0xf1ff
	v_add_co_ci_u32_e64 v7, null, s9, v7, s3
	global_store_b16 v[6:7], v8, off
	s_wait_alu 0xfffe
	s_or_b32 exec_lo, exec_lo, s5
	s_and_saveexec_b32 s5, s1
	s_cbranch_execz .LBB171_42
.LBB171_74:
	v_bfe_u32 v7, v18, 16, 1
	v_add_nc_u32_e32 v6, v5, v3
	v_cmp_o_f32_e64 s3, v18, v18
	s_delay_alu instid0(VALU_DEP_3) | instskip(SKIP_1) | instid1(VALU_DEP_2)
	v_add3_u32 v8, v18, v7, 0x7fff
	v_mov_b32_e32 v7, 0
	v_lshrrev_b32_e32 v8, 16, v8
	s_delay_alu instid0(VALU_DEP_2) | instskip(SKIP_1) | instid1(VALU_DEP_2)
	v_lshlrev_b64_e32 v[6:7], 1, v[6:7]
	s_wait_alu 0xf1ff
	v_cndmask_b32_e64 v8, 0x7fc0, v8, s3
	s_wait_kmcnt 0x0
	s_delay_alu instid0(VALU_DEP_2)
	v_add_co_u32 v6, s3, s8, v6
	s_wait_alu 0xf1ff
	v_add_co_ci_u32_e64 v7, null, s9, v7, s3
	global_store_b16 v[6:7], v8, off
	s_wait_alu 0xfffe
	s_or_b32 exec_lo, exec_lo, s5
	s_and_saveexec_b32 s5, s2
	s_cbranch_execnz .LBB171_43
	s_branch .LBB171_44
.LBB171_75:
	v_bfe_u32 v7, v16, 16, 1
	s_delay_alu instid0(VALU_DEP_2) | instskip(SKIP_1) | instid1(VALU_DEP_3)
	v_add_nc_u32_e32 v6, v5, v0
	v_cmp_o_f32_e64 s3, v16, v16
	v_add3_u32 v8, v16, v7, 0x7fff
	v_mov_b32_e32 v7, 0
	s_delay_alu instid0(VALU_DEP_2) | instskip(NEXT) | instid1(VALU_DEP_2)
	v_lshrrev_b32_e32 v8, 16, v8
	v_lshlrev_b64_e32 v[6:7], 1, v[6:7]
	s_wait_alu 0xf1ff
	s_delay_alu instid0(VALU_DEP_2) | instskip(SKIP_1) | instid1(VALU_DEP_2)
	v_cndmask_b32_e64 v8, 0x7fc0, v8, s3
	s_wait_kmcnt 0x0
	v_add_co_u32 v6, s3, s8, v6
	s_wait_alu 0xf1ff
	v_add_co_ci_u32_e64 v7, null, s9, v7, s3
	global_store_b16 v[6:7], v8, off
	s_wait_alu 0xfffe
	s_or_b32 exec_lo, exec_lo, s5
	s_and_saveexec_b32 s5, s0
	s_cbranch_execz .LBB171_47
.LBB171_76:
	v_bfe_u32 v7, v15, 16, 1
	v_add_nc_u32_e32 v6, v5, v2
	v_cmp_o_f32_e64 s3, v15, v15
	s_delay_alu instid0(VALU_DEP_3) | instskip(SKIP_1) | instid1(VALU_DEP_2)
	v_add3_u32 v8, v15, v7, 0x7fff
	v_mov_b32_e32 v7, 0
	v_lshrrev_b32_e32 v8, 16, v8
	s_delay_alu instid0(VALU_DEP_2) | instskip(SKIP_1) | instid1(VALU_DEP_2)
	v_lshlrev_b64_e32 v[6:7], 1, v[6:7]
	s_wait_alu 0xf1ff
	v_cndmask_b32_e64 v8, 0x7fc0, v8, s3
	s_wait_kmcnt 0x0
	s_delay_alu instid0(VALU_DEP_2)
	v_add_co_u32 v6, s3, s8, v6
	s_wait_alu 0xf1ff
	v_add_co_ci_u32_e64 v7, null, s9, v7, s3
	global_store_b16 v[6:7], v8, off
	s_wait_alu 0xfffe
	s_or_b32 exec_lo, exec_lo, s5
	s_and_saveexec_b32 s5, s1
	s_cbranch_execz .LBB171_48
.LBB171_77:
	v_bfe_u32 v7, v14, 16, 1
	v_add_nc_u32_e32 v6, v5, v3
	v_cmp_o_f32_e64 s3, v14, v14
	s_delay_alu instid0(VALU_DEP_3) | instskip(SKIP_1) | instid1(VALU_DEP_2)
	v_add3_u32 v8, v14, v7, 0x7fff
	v_mov_b32_e32 v7, 0
	v_lshrrev_b32_e32 v8, 16, v8
	s_delay_alu instid0(VALU_DEP_2) | instskip(SKIP_1) | instid1(VALU_DEP_2)
	v_lshlrev_b64_e32 v[6:7], 1, v[6:7]
	s_wait_alu 0xf1ff
	v_cndmask_b32_e64 v8, 0x7fc0, v8, s3
	s_wait_kmcnt 0x0
	s_delay_alu instid0(VALU_DEP_2)
	v_add_co_u32 v6, s3, s8, v6
	s_wait_alu 0xf1ff
	v_add_co_ci_u32_e64 v7, null, s9, v7, s3
	global_store_b16 v[6:7], v8, off
	s_wait_alu 0xfffe
	s_or_b32 exec_lo, exec_lo, s5
	s_and_saveexec_b32 s5, s2
	s_cbranch_execnz .LBB171_49
	s_branch .LBB171_50
.LBB171_78:
	v_bfe_u32 v7, v12, 16, 1
	s_delay_alu instid0(VALU_DEP_2) | instskip(SKIP_1) | instid1(VALU_DEP_3)
	v_add_nc_u32_e32 v6, v5, v0
	v_cmp_o_f32_e64 s3, v12, v12
	v_add3_u32 v8, v12, v7, 0x7fff
	v_mov_b32_e32 v7, 0
	s_delay_alu instid0(VALU_DEP_2) | instskip(NEXT) | instid1(VALU_DEP_2)
	v_lshrrev_b32_e32 v8, 16, v8
	v_lshlrev_b64_e32 v[6:7], 1, v[6:7]
	s_wait_alu 0xf1ff
	s_delay_alu instid0(VALU_DEP_2) | instskip(SKIP_1) | instid1(VALU_DEP_2)
	v_cndmask_b32_e64 v8, 0x7fc0, v8, s3
	s_wait_kmcnt 0x0
	v_add_co_u32 v6, s3, s8, v6
	s_wait_alu 0xf1ff
	v_add_co_ci_u32_e64 v7, null, s9, v7, s3
	global_store_b16 v[6:7], v8, off
	s_wait_alu 0xfffe
	s_or_b32 exec_lo, exec_lo, s5
	s_and_saveexec_b32 s5, s0
	s_cbranch_execz .LBB171_53
.LBB171_79:
	v_bfe_u32 v7, v11, 16, 1
	v_add_nc_u32_e32 v6, v5, v2
	v_cmp_o_f32_e64 s3, v11, v11
	s_delay_alu instid0(VALU_DEP_3) | instskip(SKIP_1) | instid1(VALU_DEP_2)
	v_add3_u32 v8, v11, v7, 0x7fff
	v_mov_b32_e32 v7, 0
	v_lshrrev_b32_e32 v8, 16, v8
	s_delay_alu instid0(VALU_DEP_2) | instskip(SKIP_1) | instid1(VALU_DEP_2)
	v_lshlrev_b64_e32 v[6:7], 1, v[6:7]
	s_wait_alu 0xf1ff
	v_cndmask_b32_e64 v8, 0x7fc0, v8, s3
	s_wait_kmcnt 0x0
	s_delay_alu instid0(VALU_DEP_2)
	v_add_co_u32 v6, s3, s8, v6
	s_wait_alu 0xf1ff
	v_add_co_ci_u32_e64 v7, null, s9, v7, s3
	global_store_b16 v[6:7], v8, off
	s_wait_alu 0xfffe
	s_or_b32 exec_lo, exec_lo, s5
	s_and_saveexec_b32 s5, s1
	s_cbranch_execz .LBB171_54
.LBB171_80:
	v_bfe_u32 v7, v10, 16, 1
	v_add_nc_u32_e32 v6, v5, v3
	v_cmp_o_f32_e64 s3, v10, v10
	s_delay_alu instid0(VALU_DEP_3) | instskip(SKIP_1) | instid1(VALU_DEP_2)
	v_add3_u32 v8, v10, v7, 0x7fff
	v_mov_b32_e32 v7, 0
	v_lshrrev_b32_e32 v8, 16, v8
	s_delay_alu instid0(VALU_DEP_2) | instskip(SKIP_1) | instid1(VALU_DEP_2)
	v_lshlrev_b64_e32 v[6:7], 1, v[6:7]
	s_wait_alu 0xf1ff
	v_cndmask_b32_e64 v8, 0x7fc0, v8, s3
	s_wait_kmcnt 0x0
	s_delay_alu instid0(VALU_DEP_2)
	v_add_co_u32 v6, s3, s8, v6
	s_wait_alu 0xf1ff
	v_add_co_ci_u32_e64 v7, null, s9, v7, s3
	global_store_b16 v[6:7], v8, off
	s_wait_alu 0xfffe
	s_or_b32 exec_lo, exec_lo, s5
	s_and_saveexec_b32 s5, s2
	s_cbranch_execnz .LBB171_55
	s_branch .LBB171_56
.LBB171_81:
	v_bfe_u32 v6, v130, 16, 1
	s_delay_alu instid0(VALU_DEP_2) | instskip(SKIP_1) | instid1(VALU_DEP_3)
	v_add_nc_u32_e32 v5, v1, v0
	v_cmp_o_f32_e32 vcc_lo, v130, v130
	v_add3_u32 v0, v130, v6, 0x7fff
	v_mov_b32_e32 v6, 0
	s_delay_alu instid0(VALU_DEP_2) | instskip(NEXT) | instid1(VALU_DEP_2)
	v_lshrrev_b32_e32 v0, 16, v0
	v_lshlrev_b64_e32 v[5:6], 1, v[5:6]
	s_wait_alu 0xfffd
	s_delay_alu instid0(VALU_DEP_2) | instskip(SKIP_1) | instid1(VALU_DEP_2)
	v_cndmask_b32_e32 v0, 0x7fc0, v0, vcc_lo
	s_wait_kmcnt 0x0
	v_add_co_u32 v5, vcc_lo, s8, v5
	s_wait_alu 0xfffd
	v_add_co_ci_u32_e64 v6, null, s9, v6, vcc_lo
	global_store_b16 v[5:6], v0, off
	s_wait_alu 0xfffe
	s_or_b32 exec_lo, exec_lo, s3
	s_and_saveexec_b32 s3, s0
	s_cbranch_execz .LBB171_59
.LBB171_82:
	v_bfe_u32 v0, v97, 16, 1
	v_dual_mov_b32 v6, 0 :: v_dual_add_nc_u32 v5, v1, v2
	v_cmp_o_f32_e32 vcc_lo, v97, v97
	s_delay_alu instid0(VALU_DEP_3) | instskip(NEXT) | instid1(VALU_DEP_3)
	v_add3_u32 v0, v97, v0, 0x7fff
	v_lshlrev_b64_e32 v[5:6], 1, v[5:6]
	s_delay_alu instid0(VALU_DEP_2) | instskip(SKIP_1) | instid1(VALU_DEP_1)
	v_lshrrev_b32_e32 v0, 16, v0
	s_wait_alu 0xfffd
	v_cndmask_b32_e32 v0, 0x7fc0, v0, vcc_lo
	s_wait_kmcnt 0x0
	s_delay_alu instid0(VALU_DEP_3)
	v_add_co_u32 v5, vcc_lo, s8, v5
	s_wait_alu 0xfffd
	v_add_co_ci_u32_e64 v6, null, s9, v6, vcc_lo
	global_store_b16 v[5:6], v0, off
	s_wait_alu 0xfffe
	s_or_b32 exec_lo, exec_lo, s3
	s_and_saveexec_b32 s0, s1
	s_cbranch_execz .LBB171_60
.LBB171_83:
	v_bfe_u32 v0, v66, 16, 1
	v_dual_mov_b32 v3, 0 :: v_dual_add_nc_u32 v2, v1, v3
	v_cmp_o_f32_e32 vcc_lo, v66, v66
	s_delay_alu instid0(VALU_DEP_3) | instskip(NEXT) | instid1(VALU_DEP_3)
	v_add3_u32 v0, v66, v0, 0x7fff
	v_lshlrev_b64_e32 v[2:3], 1, v[2:3]
	s_delay_alu instid0(VALU_DEP_2) | instskip(SKIP_1) | instid1(VALU_DEP_1)
	v_lshrrev_b32_e32 v0, 16, v0
	s_wait_alu 0xfffd
	v_cndmask_b32_e32 v0, 0x7fc0, v0, vcc_lo
	s_wait_kmcnt 0x0
	s_delay_alu instid0(VALU_DEP_3)
	v_add_co_u32 v2, vcc_lo, s8, v2
	s_wait_alu 0xfffd
	v_add_co_ci_u32_e64 v3, null, s9, v3, vcc_lo
	global_store_b16 v[2:3], v0, off
	s_wait_alu 0xfffe
	s_or_b32 exec_lo, exec_lo, s0
	s_delay_alu instid0(SALU_CYCLE_1)
	s_and_b32 exec_lo, exec_lo, s2
	s_cbranch_execnz .LBB171_61
	s_branch .LBB171_62
	.section	.rodata,"a",@progbits
	.p2align	6, 0x0
	.amdhsa_kernel _ZL12mul_mat_q4_KIN3c108BFloat16ELb0EEvPKvS3_PT_iiiii
		.amdhsa_group_segment_fixed_size 28752
		.amdhsa_private_segment_fixed_size 1568
		.amdhsa_kernarg_size 44
		.amdhsa_user_sgpr_count 2
		.amdhsa_user_sgpr_dispatch_ptr 0
		.amdhsa_user_sgpr_queue_ptr 0
		.amdhsa_user_sgpr_kernarg_segment_ptr 1
		.amdhsa_user_sgpr_dispatch_id 0
		.amdhsa_user_sgpr_private_segment_size 0
		.amdhsa_wavefront_size32 1
		.amdhsa_uses_dynamic_stack 0
		.amdhsa_enable_private_segment 1
		.amdhsa_system_sgpr_workgroup_id_x 1
		.amdhsa_system_sgpr_workgroup_id_y 1
		.amdhsa_system_sgpr_workgroup_id_z 0
		.amdhsa_system_sgpr_workgroup_info 0
		.amdhsa_system_vgpr_workitem_id 1
		.amdhsa_next_free_vgpr 256
		.amdhsa_next_free_sgpr 21
		.amdhsa_reserve_vcc 1
		.amdhsa_float_round_mode_32 0
		.amdhsa_float_round_mode_16_64 0
		.amdhsa_float_denorm_mode_32 3
		.amdhsa_float_denorm_mode_16_64 3
		.amdhsa_fp16_overflow 0
		.amdhsa_workgroup_processor_mode 1
		.amdhsa_memory_ordered 1
		.amdhsa_forward_progress 1
		.amdhsa_inst_pref_size 255
		.amdhsa_round_robin_scheduling 0
		.amdhsa_exception_fp_ieee_invalid_op 0
		.amdhsa_exception_fp_denorm_src 0
		.amdhsa_exception_fp_ieee_div_zero 0
		.amdhsa_exception_fp_ieee_overflow 0
		.amdhsa_exception_fp_ieee_underflow 0
		.amdhsa_exception_fp_ieee_inexact 0
		.amdhsa_exception_int_div_zero 0
	.end_amdhsa_kernel
	.section	.text._ZL12mul_mat_q4_KIN3c108BFloat16ELb0EEvPKvS3_PT_iiiii,"axG",@progbits,_ZL12mul_mat_q4_KIN3c108BFloat16ELb0EEvPKvS3_PT_iiiii,comdat
.Lfunc_end171:
	.size	_ZL12mul_mat_q4_KIN3c108BFloat16ELb0EEvPKvS3_PT_iiiii, .Lfunc_end171-_ZL12mul_mat_q4_KIN3c108BFloat16ELb0EEvPKvS3_PT_iiiii
                                        ; -- End function
	.set _ZL12mul_mat_q4_KIN3c108BFloat16ELb0EEvPKvS3_PT_iiiii.num_vgpr, 256
	.set _ZL12mul_mat_q4_KIN3c108BFloat16ELb0EEvPKvS3_PT_iiiii.num_agpr, 0
	.set _ZL12mul_mat_q4_KIN3c108BFloat16ELb0EEvPKvS3_PT_iiiii.numbered_sgpr, 21
	.set _ZL12mul_mat_q4_KIN3c108BFloat16ELb0EEvPKvS3_PT_iiiii.num_named_barrier, 0
	.set _ZL12mul_mat_q4_KIN3c108BFloat16ELb0EEvPKvS3_PT_iiiii.private_seg_size, 1568
	.set _ZL12mul_mat_q4_KIN3c108BFloat16ELb0EEvPKvS3_PT_iiiii.uses_vcc, 1
	.set _ZL12mul_mat_q4_KIN3c108BFloat16ELb0EEvPKvS3_PT_iiiii.uses_flat_scratch, 1
	.set _ZL12mul_mat_q4_KIN3c108BFloat16ELb0EEvPKvS3_PT_iiiii.has_dyn_sized_stack, 0
	.set _ZL12mul_mat_q4_KIN3c108BFloat16ELb0EEvPKvS3_PT_iiiii.has_recursion, 0
	.set _ZL12mul_mat_q4_KIN3c108BFloat16ELb0EEvPKvS3_PT_iiiii.has_indirect_call, 0
	.section	.AMDGPU.csdata,"",@progbits
; Kernel info:
; codeLenInByte = 105988
; TotalNumSgprs: 23
; NumVgprs: 256
; ScratchSize: 1568
; MemoryBound: 0
; FloatMode: 240
; IeeeMode: 1
; LDSByteSize: 28752 bytes/workgroup (compile time only)
; SGPRBlocks: 0
; VGPRBlocks: 31
; NumSGPRsForWavesPerEU: 23
; NumVGPRsForWavesPerEU: 256
; Occupancy: 5
; WaveLimiterHint : 0
; COMPUTE_PGM_RSRC2:SCRATCH_EN: 1
; COMPUTE_PGM_RSRC2:USER_SGPR: 2
; COMPUTE_PGM_RSRC2:TRAP_HANDLER: 0
; COMPUTE_PGM_RSRC2:TGID_X_EN: 1
; COMPUTE_PGM_RSRC2:TGID_Y_EN: 1
; COMPUTE_PGM_RSRC2:TGID_Z_EN: 0
; COMPUTE_PGM_RSRC2:TIDIG_COMP_CNT: 1
	.section	.text._ZL12mul_mat_q4_KIN3c108BFloat16ELb1EEvPKvS3_PT_iiiii,"axG",@progbits,_ZL12mul_mat_q4_KIN3c108BFloat16ELb1EEvPKvS3_PT_iiiii,comdat
	.globl	_ZL12mul_mat_q4_KIN3c108BFloat16ELb1EEvPKvS3_PT_iiiii ; -- Begin function _ZL12mul_mat_q4_KIN3c108BFloat16ELb1EEvPKvS3_PT_iiiii
	.p2align	8
	.type	_ZL12mul_mat_q4_KIN3c108BFloat16ELb1EEvPKvS3_PT_iiiii,@function
_ZL12mul_mat_q4_KIN3c108BFloat16ELb1EEvPKvS3_PT_iiiii: ; @_ZL12mul_mat_q4_KIN3c108BFloat16ELb1EEvPKvS3_PT_iiiii
; %bb.0:
	s_clause 0x1
	s_load_b128 s[4:7], s[0:1], 0x18
	s_load_b32 s12, s[0:1], 0x28
	v_bfe_u32 v33, v0, 10, 10
	v_and_b32_e32 v34, 0x3ff, v0
	s_lshl_b32 s13, ttmp7, 6
	s_wait_kmcnt 0x0
	s_cmp_gt_i32 s4, 0xff
	s_cbranch_scc1 .LBB172_2
; %bb.1:
	v_bfe_u32 v1, v0, 10, 10
	v_and_b32_e32 v2, 0x3ff, v0
	s_mov_b32 s2, 0
	s_delay_alu instid0(VALU_DEP_2)
	v_add_nc_u32_e32 v3, s13, v1
	s_branch .LBB172_3
.LBB172_2:
	s_mov_b32 s2, -1
                                        ; implicit-def: $vgpr1
                                        ; implicit-def: $vgpr2
                                        ; implicit-def: $vgpr3
.LBB172_3:
	s_load_b64 s[8:9], s[0:1], 0x10
	v_dual_mov_b32 v40, 0 :: v_dual_mov_b32 v127, 0
	v_dual_mov_b32 v12, 0 :: v_dual_mov_b32 v9, 0
	;; [unrolled: 1-line block ×16, first 2 shown]
	s_and_not1_b32 vcc_lo, exec_lo, s2
	s_lshl_b32 s14, ttmp9, 7
	s_cbranch_vccnz .LBB172_11
; %bb.4:
	v_lshlrev_b32_e32 v1, 2, v34
	s_not_b32 s16, s14
	s_ashr_i32 s10, s4, 31
	s_add_co_i32 s5, s5, s16
	s_lshr_b32 s10, s10, 24
	v_min_i32_e32 v2, s5, v33
	v_dual_mov_b32 v68, 0 :: v_dual_and_b32 v3, 0x7c, v1
	s_add_co_i32 s4, s4, s10
	v_dual_mov_b32 v122, 0 :: v_dual_add_nc_u32 v21, 8, v33
	s_wait_alu 0xfffe
	s_ashr_i32 s15, s4, 8
	v_mad_co_u64_u32 v[4:5], null, 0x84, v2, v[1:2]
	scratch_store_b32 off, v3, off offset:1428 ; 4-byte Folded Spill
	v_mul_lo_u32 v3, v2, s15
	v_add_nc_u32_e32 v17, s13, v33
	v_dual_mov_b32 v153, 0 :: v_dual_add_nc_u32 v22, 16, v33
	v_dual_mov_b32 v62, 0 :: v_dual_add_nc_u32 v23, 24, v33
	;; [unrolled: 1-line block ×3, first 2 shown]
	s_clause 0x1
	scratch_store_b32 off, v3, off offset:1432
	scratch_store_b32 off, v17, off offset:1688
	v_min_i32_e32 v3, s5, v21
	v_dual_mov_b32 v58, 0 :: v_dual_add_nc_u32 v25, 40, v33
	v_dual_mov_b32 v59, 0 :: v_dual_add_nc_u32 v26, 48, v33
	s_delay_alu instid0(VALU_DEP_3)
	v_mul_lo_u32 v2, v3, s15
	scratch_store_b64 off, v[4:5], off offset:1436 ; 8-byte Folded Spill
	v_dual_mov_b32 v54, 0 :: v_dual_add_nc_u32 v27, 56, v33
	s_ashr_i32 s11, s7, 31
	v_dual_mov_b32 v61, 0 :: v_dual_add_nc_u32 v18, 0x58, v33
	s_lshr_b32 s4, s11, 27
	scratch_store_b32 off, v2, off offset:1444 ; 4-byte Folded Spill
	v_min_i32_e32 v2, s5, v22
	s_wait_alu 0xfffe
	s_add_co_i32 s4, s7, s4
	s_add_co_i32 s7, s6, -1
	v_add_nc_u32_e32 v8, 16, v17
	v_dual_mov_b32 v97, 0 :: v_dual_add_nc_u32 v10, 24, v17
	v_mad_co_u64_u32 v[3:4], null, 0x84, v3, v[1:2]
	v_dual_mov_b32 v67, 0 :: v_dual_add_nc_u32 v12, 32, v17
	v_dual_mov_b32 v57, 0 :: v_dual_add_nc_u32 v14, 40, v17
	;; [unrolled: 1-line block ×3, first 2 shown]
	scratch_store_b64 off, v[3:4], off offset:1448 ; 8-byte Folded Spill
	v_mul_lo_u32 v3, v2, s15
	v_mad_co_u64_u32 v[4:5], null, 0x84, v2, v[1:2]
	v_min_i32_e32 v2, s5, v24
	v_dual_mov_b32 v66, 0 :: v_dual_add_nc_u32 v19, 56, v17
	v_min_i32_e32 v28, s5, v18
	v_cvt_f64_u32_e32 v[8:9], v8
	s_clause 0x1
	scratch_store_b32 off, v3, off offset:1456
	scratch_store_b64 off, v[4:5], off offset:1460
	v_min_i32_e32 v3, s5, v23
	v_cvt_f64_u32_e32 v[10:11], v10
	v_cvt_f64_u32_e32 v[12:13], v12
	;; [unrolled: 1-line block ×4, first 2 shown]
	v_mul_lo_u32 v4, v3, s15
	v_dual_mov_b32 v64, 0 :: v_dual_add_nc_u32 v29, 0x60, v33
	v_lshlrev_b32_e32 v65, 5, v33
	s_wait_alu 0xfffe
	s_ashr_i32 s4, s4, 5
	v_bfe_u32 v35, v0, 5, 5
	s_load_b128 s[0:3], s[0:1], 0x0
	s_mul_i32 s10, s15, s14
	scratch_store_b32 off, v4, off offset:1468 ; 4-byte Folded Spill
	v_mad_co_u64_u32 v[3:4], null, 0x84, v3, v[1:2]
	v_add_nc_u32_e32 v30, v65, v34
	s_ashr_i32 s11, s10, 31
	v_mul_u32_u24_e32 v69, 0x84, v34
	s_mul_u64 s[10:11], s[10:11], 0x90
	s_delay_alu instid0(VALU_DEP_2)
	v_dual_mov_b32 v55, 0 :: v_dual_and_b32 v30, 0x7f, v30
	scratch_store_b64 off, v[3:4], off offset:1472 ; 8-byte Folded Spill
	v_mul_lo_u32 v3, v2, s15
	v_mad_co_u64_u32 v[4:5], null, 0x84, v2, v[1:2]
	v_min_i32_e32 v30, s5, v30
	v_mov_b32_e32 v60, 0
	v_dual_mov_b32 v56, 0 :: v_dual_mov_b32 v127, 0
	v_mov_b32_e32 v40, 0
	scratch_store_b32 off, v3, off offset:1480 ; 4-byte Folded Spill
	v_min_i32_e32 v3, s5, v25
	s_wait_kmcnt 0x0
	s_add_nc_u64 s[0:1], s[0:1], s[10:11]
	s_delay_alu instid0(VALU_DEP_1) | instskip(SKIP_4) | instid1(VALU_DEP_1)
	v_mul_lo_u32 v2, v3, s15
	s_clause 0x1
	scratch_store_b64 off, v[4:5], off offset:1484
	scratch_store_b32 off, v2, off offset:1492
	v_min_i32_e32 v2, s5, v26
	v_mad_co_u64_u32 v[3:4], null, 0x84, v3, v[1:2]
	v_mul_lo_u32 v5, v2, s15
	scratch_store_b64 off, v[3:4], off offset:1496 ; 8-byte Folded Spill
	v_min_i32_e32 v3, s5, v27
	scratch_store_b32 off, v5, off offset:1504 ; 4-byte Folded Spill
	v_mad_co_u64_u32 v[5:6], null, 0x84, v2, v[1:2]
	v_add_nc_u32_e32 v4, 64, v33
	v_mul_lo_u32 v2, v3, s15
	s_clause 0x1
	scratch_store_b64 off, v[5:6], off offset:1508
	scratch_store_b32 off, v2, off offset:1516
	v_min_i32_e32 v2, s5, v4
	v_add_nc_u32_e32 v4, 0x48, v33
	s_delay_alu instid0(VALU_DEP_2) | instskip(NEXT) | instid1(VALU_DEP_2)
	v_mad_co_u64_u32 v[5:6], null, 0x84, v3, v[1:2]
	v_min_i32_e32 v4, s5, v4
	v_add_nc_u32_e32 v3, 0x50, v33
	scratch_store_b64 off, v[5:6], off offset:1520 ; 8-byte Folded Spill
	v_mul_lo_u32 v5, v2, s15
	v_min_i32_e32 v20, s5, v3
	scratch_store_b32 off, v5, off offset:1528 ; 4-byte Folded Spill
	v_mad_co_u64_u32 v[5:6], null, 0x84, v2, v[1:2]
	v_mul_lo_u32 v2, v4, s15
	scratch_store_b64 off, v[5:6], off offset:1532 ; 8-byte Folded Spill
	v_add_nc_u32_e32 v6, 8, v17
	scratch_store_b32 off, v2, off offset:1540 ; 4-byte Folded Spill
	v_mad_co_u64_u32 v[2:3], null, 0x84, v4, v[1:2]
	v_cvt_f64_u32_e32 v[4:5], v17
	v_cvt_f64_u32_e32 v[6:7], v6
	;; [unrolled: 1-line block ×3, first 2 shown]
	scratch_store_b64 off, v[2:3], off offset:1544 ; 8-byte Folded Spill
	v_mul_lo_u32 v2, v20, s15
	scratch_store_b32 off, v2, off offset:1552 ; 4-byte Folded Spill
	v_cvt_f64_i32_e32 v[2:3], s7
	s_delay_alu instid0(VALU_DEP_1) | instskip(SKIP_1) | instid1(VALU_DEP_3)
	v_mad_co_u64_u32 v[31:32], null, 0x84, v20, v[1:2]
	v_mul_lo_u32 v20, v28, s15
	v_min_num_f64_e32 v[4:5], v[4:5], v[2:3]
	v_min_num_f64_e32 v[6:7], v[6:7], v[2:3]
	;; [unrolled: 1-line block ×5, first 2 shown]
	scratch_store_b64 off, v[31:32], off offset:1556 ; 8-byte Folded Spill
	v_mad_co_u64_u32 v[31:32], null, 0x84, v28, v[1:2]
	scratch_store_b32 off, v20, off offset:1564 ; 4-byte Folded Spill
	v_min_i32_e32 v20, s5, v29
	v_add_nc_u32_e32 v29, 0x68, v33
	v_min_num_f64_e32 v[14:15], v[14:15], v[2:3]
	v_min_num_f64_e32 v[16:17], v[16:17], v[2:3]
	s_delay_alu instid0(VALU_DEP_4)
	v_mul_lo_u32 v28, v20, s15
	scratch_store_b64 off, v[31:32], off offset:1568 ; 8-byte Folded Spill
	v_mad_co_u64_u32 v[31:32], null, 0x84, v20, v[1:2]
	v_min_i32_e32 v29, s5, v29
	scratch_store_b32 off, v28, off offset:1576 ; 4-byte Folded Spill
	v_add_nc_u32_e32 v28, 0x70, v33
	s_delay_alu instid0(VALU_DEP_1)
	v_min_i32_e32 v20, s5, v28
	v_mul_lo_u32 v28, v29, s15
	scratch_store_b64 off, v[31:32], off offset:1580 ; 8-byte Folded Spill
	v_mad_co_u64_u32 v[31:32], null, 0x84, v29, v[1:2]
	v_mul_lo_u32 v29, v20, s15
	scratch_store_b32 off, v28, off offset:1588 ; 4-byte Folded Spill
	v_ashrrev_i32_e32 v28, 31, v30
	scratch_store_b64 off, v[31:32], off offset:1592 ; 8-byte Folded Spill
	v_mad_co_u64_u32 v[31:32], null, 0x84, v20, v[1:2]
	v_min_num_f64_e32 v[2:3], v[18:19], v[2:3]
	scratch_store_b32 off, v29, off offset:1600 ; 4-byte Folded Spill
	v_add_nc_u32_e32 v29, 0x78, v33
	v_lshrrev_b32_e32 v28, 27, v28
	v_cvt_i32_f64_e32 v4, v[4:5]
	v_cvt_i32_f64_e32 v6, v[6:7]
	;; [unrolled: 1-line block ×3, first 2 shown]
	v_min_i32_e32 v29, s5, v29
	v_add_nc_u32_e32 v20, v30, v28
	v_bfe_u32 v28, v0, 2, 8
	v_cvt_i32_f64_e32 v10, v[10:11]
	v_cvt_i32_f64_e32 v11, v[12:13]
	v_cvt_i32_f64_e32 v12, v[14:15]
	v_cvt_i32_f64_e32 v13, v[16:17]
	v_lshl_add_u32 v28, v33, 3, v28
	v_and_b32_e32 v17, 31, v0
	v_mad_co_u64_u32 v[18:19], null, 0x84, v29, v[1:2]
	scratch_store_b64 off, v[31:32], off offset:1604 ; 8-byte Folded Spill
	v_mul_lo_u32 v31, v29, s15
	v_cvt_i32_f64_e32 v2, v[2:3]
	scratch_store_b32 off, v31, off offset:1612 ; 4-byte Folded Spill
	v_ashrrev_i32_e32 v31, 5, v20
	v_and_b32_e32 v20, 3, v0
	v_bfe_u32 v0, v0, 3, 7
	s_delay_alu instid0(VALU_DEP_3)
	v_lshlrev_b32_e32 v29, 2, v31
	v_lshlrev_b32_e32 v31, 2, v30
	v_mul_lo_u32 v30, v30, s15
	scratch_store_b64 off, v[18:19], off offset:1616 ; 8-byte Folded Spill
	v_and_b32_e32 v19, 0x7f, v28
	v_add_nc_u32_e32 v18, 0xfe, v20
	v_add3_u32 v29, v29, v31, 0x6e40
	v_cmp_gt_u32_e32 vcc_lo, 2, v20
	v_lshlrev_b32_e32 v3, 2, v20
	v_lshlrev_b32_e32 v70, 2, v0
	s_clause 0x1
	scratch_store_b32 off, v30, off offset:1624
	scratch_store_b32 off, v29, off offset:1628
	v_min_i32_e32 v30, s5, v19
	v_xor_b32_e32 v19, 64, v19
	v_and_b32_e32 v18, 0xff, v18
	s_delay_alu instid0(VALU_DEP_3) | instskip(NEXT) | instid1(VALU_DEP_3)
	v_ashrrev_i32_e32 v29, 31, v30
	v_min_i32_e32 v19, s5, v19
	s_delay_alu instid0(VALU_DEP_3)
	v_cndmask_b32_e32 v18, v18, v20, vcc_lo
	v_cmp_ne_u32_e32 vcc_lo, 0, v20
	v_and_b32_e32 v5, 4, v1
	v_lshrrev_b32_e32 v29, 29, v29
	v_ashrrev_i32_e32 v32, 31, v19
	v_lshlrev_b32_e32 v14, 1, v18
	s_wait_alu 0xfffd
	v_add_co_ci_u32_e64 v31, null, 0, v18, vcc_lo
	v_add_nc_u32_e32 v7, v30, v29
	v_lshrrev_b32_e32 v9, 29, v32
	scratch_store_b32 off, v14, off offset:1636 ; 4-byte Folded Spill
	v_mul_lo_u32 v14, v30, s15
	v_cmp_lt_u32_e32 vcc_lo, 1, v20
	v_ashrrev_i32_e32 v7, 3, v7
	v_add_nc_u32_e32 v9, v19, v9
	v_mul_lo_u32 v16, v19, s15
	v_mul_lo_u32 v2, s4, v2
	s_wait_alu 0xfffd
	v_cndmask_b32_e32 v5, 0, v5, vcc_lo
	v_lshlrev_b32_e32 v7, 2, v7
	v_ashrrev_i32_e32 v9, 3, v9
	scratch_store_b32 off, v14, off offset:1640 ; 4-byte Folded Spill
	v_and_b32_e32 v14, 63, v28
	v_lshlrev_b32_e32 v29, 2, v35
	v_add3_u32 v7, v7, v3, 0x6200
	v_lshlrev_b32_e32 v9, 2, v9
	scratch_store_b32 off, v16, off offset:1644 ; 4-byte Folded Spill
	v_or_b32_e32 v16, s13, v14
	v_lshlrev_b32_e32 v15, 4, v30
	v_add3_u32 v29, v29, v1, 0x6e40
	v_add3_u32 v9, v9, v3, 0x6200
	v_lshl_or_b32 v3, v14, 4, v3
	v_min_i32_e32 v16, s7, v16
	v_lshl_or_b32 v14, v17, 2, 0x4200
	v_lshlrev_b32_e32 v18, 4, v19
	v_and_b32_e32 v19, 28, v1
	v_add_nc_u32_e32 v3, 0x6a40, v3
	scratch_store_b32 off, v5, off offset:1632 ; 4-byte Folded Spill
	v_mad_co_u64_u32 v[16:17], null, v16, s4, v[20:21]
	v_cndmask_b32_e64 v5, 0, 1, vcc_lo
	scratch_store_b32 off, v3, off offset:1328 ; 4-byte Folded Spill
	v_mul_lo_u32 v3, s4, v4
	v_mul_lo_u32 v4, s4, v6
	;; [unrolled: 1-line block ×7, first 2 shown]
	s_clause 0x3
	scratch_store_b64 off, v[16:17], off offset:1648
	scratch_store_b32 off, v3, off offset:1332
	scratch_store_b32 off, v33, off offset:1680
	;; [unrolled: 1-line block ×3, first 2 shown]
	v_lshlrev_b32_e32 v4, 7, v21
	v_add_nc_u32_e32 v13, 64, v34
	v_lshlrev_b32_e32 v21, 5, v21
	s_movk_i32 s4, 0x1080
	scratch_store_b32 off, v12, off offset:1356 ; 4-byte Folded Spill
	v_add_nc_u32_e32 v12, 32, v34
	s_wait_alu 0xfffe
	v_mad_u32_u24 v158, 0x84, v34, s4
	s_movk_i32 s4, 0x2100
	v_add_nc_u32_e32 v16, 0x60, v34
	v_lshlrev_b32_e32 v3, 7, v33
	v_lshrrev_b32_e32 v36, 3, v12
	v_lshlrev_b32_e32 v133, 4, v12
	v_lshlrev_b32_e32 v12, 4, v13
	s_clause 0x2
	scratch_store_b32 off, v6, off offset:1340
	scratch_store_b32 off, v21, off offset:1260
	scratch_store_b32 off, v35, off offset:1424
	v_lshlrev_b32_e32 v21, 5, v22
	scratch_store_b32 off, v12, off offset:1248 ; 4-byte Folded Spill
	s_wait_alu 0xfffe
	v_mad_u32_u24 v12, 0x84, v34, s4
	scratch_store_b32 off, v8, off offset:1344 ; 4-byte Folded Spill
	v_and_b32_e32 v30, 60, v36
	scratch_store_b32 off, v21, off offset:1264 ; 4-byte Folded Spill
	v_lshlrev_b32_e32 v21, 5, v23
	scratch_store_b32 off, v10, off offset:1348 ; 4-byte Folded Spill
	v_lshrrev_b32_e32 v20, 3, v16
	scratch_store_b32 off, v12, off offset:1252 ; 4-byte Folded Spill
	v_lshlrev_b32_e32 v12, 4, v16
	scratch_store_b32 off, v21, off offset:1268 ; 4-byte Folded Spill
	v_lshlrev_b32_e32 v21, 5, v24
	scratch_store_b32 off, v11, off offset:1352 ; 4-byte Folded Spill
	v_and_b32_e32 v33, 60, v20
	s_movk_i32 s4, 0x3180
	v_add_nc_u32_e32 v3, v14, v3
	scratch_store_b32 off, v21, off offset:1272 ; 4-byte Folded Spill
	v_lshlrev_b32_e32 v21, 5, v25
	scratch_store_b32 off, v2, off offset:1360 ; 4-byte Folded Spill
	v_lshrrev_b32_e32 v2, 3, v13
	v_lshlrev_b32_e32 v5, 2, v5
	v_lshlrev_b32_e32 v6, 7, v22
	scratch_store_b32 off, v21, off offset:1276 ; 4-byte Folded Spill
	v_lshlrev_b32_e32 v21, 5, v26
	v_and_b32_e32 v32, 60, v2
	scratch_store_b32 off, v29, off offset:1364 ; 4-byte Folded Spill
	v_add3_u32 v29, v1, v30, 0x6e40
	v_lshlrev_b32_e32 v8, 7, v23
	scratch_store_b32 off, v21, off offset:1280 ; 4-byte Folded Spill
	v_lshlrev_b32_e32 v21, 5, v27
	v_lshlrev_b32_e32 v10, 7, v24
	scratch_store_b32 off, v29, off offset:1368 ; 4-byte Folded Spill
	v_add3_u32 v29, v1, v32, 0x6e40
	v_lshlrev_b32_e32 v11, 7, v25
	scratch_store_b32 off, v21, off offset:1284 ; 4-byte Folded Spill
	v_lshlrev_b32_e32 v17, 7, v26
	v_lshlrev_b32_e32 v28, 7, v27
	scratch_store_b32 off, v29, off offset:1372 ; 4-byte Folded Spill
	v_add3_u32 v29, v1, v33, 0x6e40
	v_lshlrev_b32_e32 v71, 2, v1
	v_dual_mov_b32 v16, 0 :: v_dual_lshlrev_b32 v179, 2, v36
	s_mov_b32 s5, 0
	s_clause 0x2
	scratch_store_b32 off, v29, off offset:1376
	scratch_store_b32 off, v12, off offset:1300
	;; [unrolled: 1-line block ×3, first 2 shown]
	s_wait_alu 0xfffe
	v_mad_u32_u24 v12, 0x84, v34, s4
	scratch_store_b32 off, v3, off offset:1388 ; 4-byte Folded Spill
	v_add_nc_u32_e32 v3, v14, v4
	s_clause 0x1
	scratch_store_b32 off, v12, off offset:1304
	scratch_store_b32 off, v5, off offset:1668
	v_add_co_u32 v12, s4, s2, v19
	s_wait_alu 0xf1ff
	v_add_co_ci_u32_e64 v13, null, s3, 0, s4
	v_add_nc_u32_e32 v5, v7, v15
	scratch_store_b32 off, v3, off offset:1392 ; 4-byte Folded Spill
	v_add_nc_u32_e32 v3, v14, v6
	scratch_store_b64 off, v[12:13], off offset:1380 ; 8-byte Folded Spill
	v_lshlrev_b32_e32 v12, 2, v31
	scratch_store_b32 off, v5, off offset:1672 ; 4-byte Folded Spill
	v_add_nc_u32_e32 v5, v9, v18
	scratch_store_b32 off, v3, off offset:1396 ; 4-byte Folded Spill
	v_add_nc_u32_e32 v3, v14, v8
	scratch_store_b32 off, v12, off offset:1664 ; 4-byte Folded Spill
	v_mov_b32_e32 v19, 0
	scratch_store_b32 off, v5, off offset:1676 ; 4-byte Folded Spill
	v_mov_b32_e32 v15, 0
	scratch_store_b32 off, v3, off offset:1400 ; 4-byte Folded Spill
	v_dual_mov_b32 v18, 0 :: v_dual_add_nc_u32 v3, v14, v10
	v_dual_mov_b32 v10, 0 :: v_dual_mov_b32 v13, 0
	v_mov_b32_e32 v9, 0
	scratch_store_b32 off, v3, off offset:1404 ; 4-byte Folded Spill
	v_add_nc_u32_e32 v3, v14, v11
	v_dual_mov_b32 v11, 0 :: v_dual_mov_b32 v12, 0
	s_mov_b32 s4, s5
	scratch_store_b32 off, v3, off offset:1408 ; 4-byte Folded Spill
	v_add_nc_u32_e32 v3, v14, v17
	v_mov_b32_e32 v17, 0
	scratch_store_b32 off, v3, off offset:1412 ; 4-byte Folded Spill
	v_add_nc_u32_e32 v3, v14, v28
	s_clause 0x1
	scratch_store_b32 off, v3, off offset:1416
	scratch_store_b32 off, v0, off offset:1660
	v_lshlrev_b32_e32 v0, 2, v2
	scratch_store_b32 off, v36, off offset:1656 ; 4-byte Folded Spill
	v_mov_b32_e32 v14, 0
	scratch_store_b32 off, v0, off offset:1320 ; 4-byte Folded Spill
	v_lshlrev_b32_e32 v0, 2, v20
	v_mov_b32_e32 v20, 0
	s_clause 0x7
	scratch_store_b32 off, v0, off offset:1324
	scratch_store_b32 off, v65, off offset:1256
	;; [unrolled: 1-line block ×8, first 2 shown]
.LBB172_5:                              ; =>This Loop Header: Depth=1
                                        ;     Child Loop BB172_6 Depth 2
                                        ;     Child Loop BB172_8 Depth 2
	s_clause 0x18
	scratch_store_b32 off, v67, off offset:772
	scratch_store_b32 off, v64, off offset:768
	;; [unrolled: 1-line block ×25, first 2 shown]
	s_clause 0xa
	scratch_load_b32 v0, off, off offset:1424
	scratch_load_b32 v2, off, off offset:1432
	;; [unrolled: 1-line block ×11, first 2 shown]
	s_wait_alu 0xfffe
	s_mul_u64 s[10:11], s[4:5], 0x90
	s_lshl_b32 s7, s4, 3
	s_wait_alu 0xfffe
	s_add_nc_u64 s[10:11], s[0:1], s[10:11]
	s_mov_b32 s17, 0
	s_wait_loadcnt 0xa
	s_wait_alu 0xfffe
	v_mad_co_u64_u32 v[0:1], null, 0x90, v0, s[10:11]
	s_wait_loadcnt 0x9
	s_delay_alu instid0(VALU_DEP_1)
	v_mad_co_i64_i32 v[2:3], null, 0x90, v2, v[0:1]
	s_wait_loadcnt 0x8
	v_mad_co_i64_i32 v[4:5], null, 0x90, v4, v[0:1]
	s_wait_loadcnt 0x7
	v_mad_co_i64_i32 v[6:7], null, 0x90, v6, v[0:1]
	s_wait_loadcnt 0x6
	v_mad_co_i64_i32 v[8:9], null, 0x90, v8, v[0:1]
	s_wait_loadcnt 0x3
	v_add_co_u32 v2, vcc_lo, v2, v28
	v_mad_co_i64_i32 v[10:11], null, 0x90, v10, v[0:1]
	s_wait_alu 0xfffd
	v_add_co_ci_u32_e64 v3, null, 0, v3, vcc_lo
	v_add_co_u32 v4, vcc_lo, v4, v28
	v_mad_co_i64_i32 v[12:13], null, 0x90, v12, v[0:1]
	s_wait_alu 0xfffd
	v_add_co_ci_u32_e64 v5, null, 0, v5, vcc_lo
	v_add_co_u32 v6, vcc_lo, v6, v28
	s_wait_loadcnt 0x2
	v_mad_co_i64_i32 v[14:15], null, 0x90, v14, v[0:1]
	s_wait_alu 0xfffd
	v_add_co_ci_u32_e64 v7, null, 0, v7, vcc_lo
	v_add_co_u32 v8, vcc_lo, v8, v28
	s_wait_loadcnt 0x1
	v_mad_co_i64_i32 v[16:17], null, 0x90, v16, v[0:1]
	s_wait_alu 0xfffd
	v_add_co_ci_u32_e64 v9, null, 0, v9, vcc_lo
	v_add_co_u32 v10, vcc_lo, v10, v28
	s_wait_alu 0xfffd
	v_add_co_ci_u32_e64 v11, null, 0, v11, vcc_lo
	v_add_co_u32 v12, vcc_lo, v12, v28
	;; [unrolled: 3-line block ×4, first 2 shown]
	s_wait_alu 0xfffd
	v_add_co_ci_u32_e64 v17, null, 0, v17, vcc_lo
	s_clause 0x7
	global_load_b32 v20, v[2:3], off offset:16
	global_load_b32 v21, v[4:5], off offset:16
	;; [unrolled: 1-line block ×8, first 2 shown]
	s_clause 0x6
	scratch_load_b32 v2, off, off offset:1540
	scratch_load_b32 v6, off, off offset:1552
	;; [unrolled: 1-line block ×7, first 2 shown]
	s_wait_loadcnt 0xf
	v_mad_co_i64_i32 v[18:19], null, 0x90, v18, v[0:1]
	s_delay_alu instid0(VALU_DEP_1) | instskip(SKIP_1) | instid1(VALU_DEP_2)
	v_add_co_u32 v4, vcc_lo, v18, v28
	s_wait_alu 0xfffd
	v_add_co_ci_u32_e64 v5, null, 0, v19, vcc_lo
	s_wait_loadcnt 0x6
	v_mad_co_i64_i32 v[2:3], null, 0x90, v2, v[0:1]
	s_wait_loadcnt 0x5
	v_mad_co_i64_i32 v[6:7], null, 0x90, v6, v[0:1]
	;; [unrolled: 2-line block ×4, first 2 shown]
	s_delay_alu instid0(VALU_DEP_4)
	v_add_co_u32 v2, vcc_lo, v2, v28
	s_wait_loadcnt 0x2
	v_mad_co_i64_i32 v[12:13], null, 0x90, v12, v[0:1]
	s_wait_alu 0xfffd
	v_add_co_ci_u32_e64 v3, null, 0, v3, vcc_lo
	v_add_co_u32 v6, vcc_lo, v6, v28
	s_wait_loadcnt 0x1
	v_mad_co_i64_i32 v[14:15], null, 0x90, v14, v[0:1]
	s_wait_alu 0xfffd
	v_add_co_ci_u32_e64 v7, null, 0, v7, vcc_lo
	;; [unrolled: 5-line block ×3, first 2 shown]
	v_add_co_u32 v10, vcc_lo, v10, v28
	s_wait_alu 0xfffd
	v_add_co_ci_u32_e64 v11, null, 0, v11, vcc_lo
	v_add_co_u32 v12, vcc_lo, v12, v28
	s_wait_alu 0xfffd
	v_add_co_ci_u32_e64 v13, null, 0, v13, vcc_lo
	v_add_co_u32 v14, vcc_lo, v14, v28
	scratch_load_b32 v16, off, off offset:1640 ; 4-byte Folded Reload
	s_wait_alu 0xfffd
	v_add_co_ci_u32_e64 v15, null, 0, v15, vcc_lo
	v_add_co_u32 v0, vcc_lo, v0, v28
	s_wait_alu 0xfffd
	v_add_co_ci_u32_e64 v1, null, 0, v1, vcc_lo
	s_clause 0x7
	global_load_b32 v28, v[4:5], off offset:16
	global_load_b32 v29, v[2:3], off offset:16
	;; [unrolled: 1-line block ×8, first 2 shown]
	s_clause 0x4
	scratch_load_b32 v0, off, off offset:1624
	scratch_load_b32 v2, off, off offset:1644
	;; [unrolled: 1-line block ×5, first 2 shown]
	s_wait_loadcnt 0xd
	v_mad_co_i64_i32 v[16:17], null, 0x90, v16, s[10:11]
	s_wait_loadcnt 0x4
	v_mad_co_i64_i32 v[0:1], null, 0x90, v0, s[10:11]
	s_wait_loadcnt 0x2
	s_delay_alu instid0(VALU_DEP_2)
	v_add_co_u32 v4, vcc_lo, v16, v8
	s_wait_loadcnt 0x0
	v_add_nc_u32_e32 v12, s7, v10
	scratch_load_b32 v10, off, off offset:1332 ; 4-byte Folded Reload
	v_mad_co_i64_i32 v[2:3], null, 0x90, v2, s[10:11]
	s_wait_alu 0xfffd
	v_add_co_ci_u32_e64 v5, null, 0, v17, vcc_lo
	v_add_co_u32 v6, vcc_lo, v16, v11
	s_wait_alu 0xfffd
	v_add_co_ci_u32_e64 v7, null, 0, v17, vcc_lo
	s_delay_alu instid0(VALU_DEP_4)
	v_add_co_u32 v8, vcc_lo, v2, v8
	s_wait_alu 0xfffd
	v_add_co_ci_u32_e64 v9, null, 0, v3, vcc_lo
	v_add_co_u32 v2, vcc_lo, v2, v11
	s_wait_alu 0xfffd
	v_add_co_ci_u32_e64 v3, null, 0, v3, vcc_lo
	s_clause 0x3
	global_load_b32 v36, v[4:5], off offset:4
	global_load_b32 v37, v[6:7], off offset:4
	;; [unrolled: 1-line block ×4, first 2 shown]
	s_clause 0x7
	scratch_load_b64 v[2:3], off, off offset:1648
	scratch_load_b64 v[17:18], off, off offset:1380
	scratch_load_b32 v5, off, off offset:1340
	scratch_load_b32 v7, off, off offset:1344
	;; [unrolled: 1-line block ×6, first 2 shown]
	s_mov_b32 s10, -1
	s_wait_loadcnt 0xc
	v_add_nc_u32_e32 v10, v12, v10
	s_wait_loadcnt 0x7
	v_add_nc_u32_e32 v19, s7, v2
	scratch_load_b32 v2, off, off offset:1336 ; 4-byte Folded Reload
	s_wait_loadcnt 0x6
	v_add_nc_u32_e32 v6, v12, v5
	s_wait_loadcnt 0x5
	v_add_nc_u32_e32 v8, v12, v7
	;; [unrolled: 2-line block ×5, first 2 shown]
	scratch_store_b32 off, v19, off offset:1420 ; 4-byte Folded Spill
	v_mad_co_i64_i32 v[6:7], null, v6, 36, v[17:18]
	v_mad_co_i64_i32 v[14:15], null, v14, 36, v[17:18]
	s_wait_loadcnt 0x0
	v_add_nc_u32_e32 v4, v12, v2
	v_mad_co_i64_i32 v[2:3], null, v10, 36, v[17:18]
	v_add_nc_u32_e32 v10, v12, v9
	v_mad_co_i64_i32 v[8:9], null, v8, 36, v[17:18]
	s_delay_alu instid0(VALU_DEP_4) | instskip(NEXT) | instid1(VALU_DEP_3)
	v_mad_co_i64_i32 v[4:5], null, v4, 36, v[17:18]
	v_mad_co_i64_i32 v[10:11], null, v10, 36, v[17:18]
	;; [unrolled: 1-line block ×4, first 2 shown]
	v_mad_co_u64_u32 v[18:19], null, v19, 36, s[2:3]
	s_clause 0x7
	global_load_b32 v2, v[2:3], off offset:4
	global_load_b32 v3, v[4:5], off offset:4
	;; [unrolled: 1-line block ×8, first 2 shown]
	global_load_b32 v0, v[0:1], off
	global_load_b32 v1, v[18:19], off
	s_clause 0x2
	scratch_load_b32 v11, off, off offset:1632
	scratch_load_b64 v[14:15], off, off offset:1436
	scratch_load_b32 v13, off, off offset:1636
	s_wait_loadcnt 0x2
	v_ashrrev_i32_e32 v10, v11, v36
	s_wait_loadcnt 0x1
	ds_store_b32 v14, v20
	scratch_load_b64 v[14:15], off, off offset:1448 ; 8-byte Folded Reload
	v_ashrrev_i32_e32 v11, v11, v38
	v_and_b32_e32 v10, 0xf0f0f0f, v10
	s_delay_alu instid0(VALU_DEP_2)
	v_and_b32_e32 v11, 0xf0f0f0f, v11
	s_wait_loadcnt 0x0
	ds_store_b32 v14, v21
	scratch_load_b64 v[14:15], off, off offset:1460 ; 8-byte Folded Reload
	s_wait_loadcnt 0x0
	ds_store_b32 v14, v22
	scratch_load_b64 v[14:15], off, off offset:1472 ; 8-byte Folded Reload
	;; [unrolled: 3-line block ×3, first 2 shown]
	v_mov_b32_e32 v23, v68
	s_wait_loadcnt 0x0
	ds_store_b32 v14, v24
	scratch_load_b64 v[14:15], off, off offset:1496 ; 8-byte Folded Reload
	s_wait_loadcnt 0x0
	ds_store_b32 v14, v25
	scratch_load_b64 v[14:15], off, off offset:1508 ; 8-byte Folded Reload
	;; [unrolled: 3-line block ×11, first 2 shown]
	s_wait_loadcnt 0x0
	ds_store_b32 v14, v35
	scratch_load_b32 v14, off, off offset:1388 ; 4-byte Folded Reload
	v_ashrrev_i32_e32 v12, v13, v37
	v_ashrrev_i32_e32 v13, v13, v39
	s_wait_loadcnt 0x0
	ds_store_b32 v14, v2
	scratch_load_b32 v2, off, off offset:1392 ; 4-byte Folded Reload
	s_wait_loadcnt 0x0
	ds_store_b32 v2, v3
	scratch_load_b32 v2, off, off offset:1396 ; 4-byte Folded Reload
	v_and_or_b32 v3, 0x30303030, v13, v11
	s_wait_loadcnt 0x0
	ds_store_b32 v2, v4
	s_clause 0x1
	scratch_load_b32 v2, off, off offset:1400
	scratch_load_b32 v4, off, off offset:1412
	s_wait_loadcnt 0x1
	ds_store_b32 v2, v5
	s_wait_loadcnt 0x0
	ds_store_b32 v4, v8
	s_clause 0x1
	scratch_load_b32 v2, off, off offset:1404
	scratch_load_b32 v4, off, off offset:1416
	s_wait_loadcnt 0x1
	ds_store_b32 v2, v6
	;; [unrolled: 7-line block ×3, first 2 shown]
	s_wait_loadcnt 0x0
	ds_store_b32 v4, v0
	scratch_load_b32 v0, off, off offset:1672 ; 4-byte Folded Reload
	v_and_or_b32 v2, 0x30303030, v12, v10
	s_wait_loadcnt 0x0
	ds_store_b32 v0, v2
	scratch_load_b32 v0, off, off offset:1676 ; 4-byte Folded Reload
	s_wait_loadcnt 0x0
	ds_store_b32 v0, v3
	scratch_load_b32 v0, off, off offset:1328 ; 4-byte Folded Reload
	s_wait_loadcnt 0x0
	ds_store_b32 v0, v1
	s_wait_storecnt_dscnt 0x0
	s_barrier_signal -1
	s_barrier_wait -1
	global_inv scope:SCOPE_SE
	s_clause 0x3
	scratch_load_b32 v0, off, off offset:1364
	scratch_load_b32 v1, off, off offset:1368
	;; [unrolled: 1-line block ×4, first 2 shown]
	s_wait_loadcnt 0x3
	ds_load_b32 v0, v0
	s_wait_loadcnt 0x2
	ds_load_b32 v1, v1 offset:128
	s_wait_loadcnt 0x1
	ds_load_b32 v2, v2 offset:256
	;; [unrolled: 2-line block ×3, first 2 shown]
	s_wait_dscnt 0x3
	v_lshrrev_b32_e32 v4, 16, v0
	v_cvt_f32_f16_e32 v0, v0
	scratch_store_b32 off, v0, off offset:8 ; 4-byte Folded Spill
	s_wait_dscnt 0x2
	v_cvt_f32_f16_e32 v0, v1
	scratch_store_b32 off, v0, off offset:644 ; 4-byte Folded Spill
	v_lshrrev_b32_e32 v0, 16, v1
	s_wait_dscnt 0x1
	v_cvt_f32_f16_e32 v1, v2
	s_delay_alu instid0(VALU_DEP_2)
	v_cvt_f32_f16_e32 v0, v0
	scratch_store_b32 off, v1, off offset:160 ; 4-byte Folded Spill
	v_lshrrev_b32_e32 v1, 16, v2
	s_wait_dscnt 0x0
	v_lshrrev_b32_e32 v2, 16, v3
	v_cvt_f32_f16_e32 v3, v3
	scratch_store_b32 off, v0, off offset:652 ; 4-byte Folded Spill
	v_cvt_f32_f16_e32 v0, v1
	scratch_store_b32 off, v0, off offset:164 ; 4-byte Folded Spill
	;; [unrolled: 2-line block ×3, first 2 shown]
	v_cvt_f32_f16_e32 v3, v4
	s_clause 0x1
	scratch_store_b32 off, v0, off offset:4
	scratch_store_b32 off, v3, off offset:648
	s_clause 0x1
	scratch_load_b32 v25, off, off offset:1248
	scratch_load_b32 v27, off, off offset:1252
.LBB172_6:                              ;   Parent Loop BB172_5 Depth=1
                                        ; =>  This Inner Loop Header: Depth=2
	s_wait_alu 0xfffe
	s_lshr_b32 s16, s17, 2
	s_lshl_b32 s11, s17, 1
	s_lshl_b32 s17, s17, 2
	s_clause 0x4
	scratch_store_b32 off, v127, off offset:800
	scratch_store_b32 off, v122, off offset:796
	scratch_store_b32 off, v97, off offset:792
	scratch_store_b32 off, v66, off
	scratch_store_b32 off, v40, off offset:788
	s_wait_alu 0xfffe
	v_add_nc_u32_e32 v5, s17, v69
	v_or_b32_e32 v0, s11, v65
	s_addk_co_i32 s16, 0x6200
	s_and_b32 vcc_lo, exec_lo, s10
	s_wait_alu 0xfffe
	v_add3_u32 v4, s16, v70, v71
	ds_load_2addr_b32 v[43:44], v5 offset1:1
	v_lshlrev_b32_e32 v1, 2, v0
	v_lshrrev_b32_e32 v83, 1, v0
	s_mov_b32 s10, 0
	s_wait_dscnt 0x0
	v_and_b32_e32 v0, 0xf0f0f0f, v43
	v_bfe_u32 v7, v43, 24, 4
	v_bfe_u32 v9, v43, 16, 4
	v_and_b32_e32 v131, 15, v44
	v_bfe_u32 v214, v43, 4, 4
	v_lshrrev_b16 v8, 8, v0
	ds_load_b128 v[16:19], v1 offset:16896
	ds_load_b128 v[32:35], v1 offset:16912
	;; [unrolled: 1-line block ×4, first 2 shown]
	v_mov_b32_e32 v212, v9
	v_bfe_u32 v13, v44, 4, 4
	v_bfe_u32 v220, v43, 20, 4
	v_lshrrev_b32_e32 v221, 28, v43
	v_mov_b32_e32 v211, v7
	s_wait_dscnt 0x3
	v_lshrrev_b16 v6, 8, v16
	v_lshrrev_b16 v10, 8, v17
	v_lshrrev_b16 v20, 8, v19
	v_bfe_i32 v228, v16, 16, 8
	v_bfe_i32 v126, v16, 0, 8
	v_bfe_i32 v127, v6, 0, 8
	v_and_b32_e32 v6, 0xffff, v8
	v_bfe_i32 v115, v10, 0, 8
	v_bfe_i32 v97, v20, 0, 8
	v_ashrrev_i32_e32 v229, 24, v16
	v_lshrrev_b16 v14, 8, v18
	v_mul_i32_i24_e32 v36, v6, v127
	v_mov_b32_e32 v206, v6
	v_bfe_u32 v6, v44, 24, 4
	v_and_b32_e32 v11, 15, v43
	v_ashrrev_i32_e32 v123, 24, v17
	v_bfe_i32 v122, v17, 16, 8
	v_bfe_i32 v114, v17, 0, 8
	v_mov_b32_e32 v208, v6
	v_dual_mov_b32 v213, v11 :: v_dual_and_b32 v8, 0xf0f0f0f, v44
	v_mul_i32_i24_e32 v40, v6, v123
	s_delay_alu instid0(VALU_DEP_4) | instskip(SKIP_1) | instid1(VALU_DEP_4)
	v_mul_i32_i24_e32 v37, v131, v114
	v_ashrrev_i32_e32 v112, 24, v18
	v_lshrrev_b16 v12, 8, v8
	v_bfe_u32 v8, v44, 16, 4
	v_bfe_i32 v109, v18, 16, 8
	v_bfe_i32 v101, v14, 0, 8
	;; [unrolled: 1-line block ×3, first 2 shown]
	v_and_b32_e32 v10, 0xffff, v12
	v_mul_i32_i24_e32 v39, v8, v122
	v_ashrrev_i32_e32 v99, 24, v19
	v_bfe_i32 v98, v19, 16, 8
	v_bfe_i32 v96, v19, 0, 8
	v_mov_b32_e32 v210, v10
	ds_load_2addr_b32 v[53:54], v5 offset0:2 offset1:3
	ds_load_2addr_b32 v[60:61], v5 offset0:4 offset1:5
	;; [unrolled: 1-line block ×3, first 2 shown]
	s_wait_dscnt 0x5
	v_lshrrev_b16 v22, 8, v32
	v_bfe_i32 v82, v32, 0, 8
	v_mul_i32_i24_e32 v38, v10, v115
	v_lshrrev_b16 v26, 8, v33
	v_lshrrev_b16 v30, 8, v34
	v_ashrrev_i32_e32 v95, 24, v32
	v_bfe_i32 v94, v32, 16, 8
	v_bfe_i32 v92, v22, 0, 8
	v_ashrrev_i32_e32 v81, 24, v33
	v_bfe_i32 v78, v33, 0, 8
	v_mad_i32_i24 v40, v7, v229, v40
	v_mad_i32_i24 v37, v11, v126, v37
	;; [unrolled: 1-line block ×3, first 2 shown]
	v_mov_b32_e32 v207, v8
	v_lshrrev_b16 v57, 8, v35
	v_bfe_i32 v80, v33, 16, 8
	v_bfe_i32 v79, v26, 0, 8
	s_wait_dscnt 0x2
	v_and_b32_e32 v12, 0xf0f0f0f, v53
	s_wait_dscnt 0x1
	v_and_b32_e32 v20, 0xf0f0f0f, v60
	v_bfe_u32 v177, v53, 24, 4
	v_bfe_u32 v218, v53, 16, 4
	v_and_b32_e32 v178, 15, v53
	v_lshrrev_b16 v16, 8, v12
	v_lshrrev_b16 v24, 8, v20
	v_bfe_u32 v173, v54, 24, 4
	v_bfe_u32 v176, v54, 16, 4
	s_wait_dscnt 0x0
	v_and_b32_e32 v5, 0xf0f0f0f, v65
	v_and_b32_e32 v250, 0xffff, v16
	;; [unrolled: 1-line block ×5, first 2 shown]
	v_bfe_u32 v14, v54, 4, 4
	v_and_b32_e32 v175, 15, v54
	v_mul_i32_i24_e32 v41, v178, v100
	v_lshrrev_b16 v28, 8, v24
	v_lshrrev_b16 v21, 8, v16
	v_mul_i32_i24_e32 v42, v250, v101
	v_mul_i32_i24_e32 v45, v218, v109
	;; [unrolled: 1-line block ×3, first 2 shown]
	v_and_b32_e32 v246, 0xffff, v28
	v_and_b32_e32 v12, 15, v60
	s_clause 0x2
	scratch_store_b32 off, v250, off offset:32
	scratch_store_b32 off, v218, off offset:28
	;; [unrolled: 1-line block ×3, first 2 shown]
	v_and_b32_e32 v174, 0xffff, v21
	v_mul_i32_i24_e32 v55, v176, v98
	v_mul_i32_i24_e32 v56, v173, v99
	v_bfe_u32 v134, v60, 24, 4
	s_clause 0x1
	scratch_store_b32 off, v178, off offset:36
	scratch_store_b32 off, v12, off offset:20
	v_bfe_u32 v142, v60, 16, 4
	v_mul_i32_i24_e32 v58, v12, v82
	v_bfe_u32 v141, v61, 24, 4
	v_and_b32_e32 v12, 15, v61
	v_lshrrev_b16 v5, 8, v5
	v_and_b32_e32 v32, 0xf0f0f0f, v66
	v_mov_b32_e32 v236, v14
	v_mul_i32_i24_e32 v47, v175, v96
	v_mul_i32_i24_e32 v48, v174, v97
	;; [unrolled: 1-line block ×3, first 2 shown]
	s_clause 0x1
	scratch_store_b32 off, v142, off offset:44
	scratch_store_b32 off, v12, off offset:48
	v_mul_i32_i24_e32 v63, v134, v95
	v_bfe_u32 v8, v61, 16, 4
	v_mul_i32_i24_e32 v64, v12, v78
	v_mul_i32_i24_e32 v69, v141, v81
	v_bfe_u32 v6, v65, 24, 4
	v_ashrrev_i32_e32 v77, 24, v34
	v_bfe_i32 v30, v30, 0, 8
	v_bfe_i32 v31, v34, 0, 8
	v_and_b32_e32 v135, 0xffff, v5
	v_and_b32_e32 v140, 15, v65
	v_bfe_u32 v139, v66, 24, 4
	v_lshrrev_b16 v73, 8, v32
	v_ashrrev_i32_e32 v32, 24, v35
	v_bfe_i32 v33, v35, 16, 8
	v_bfe_i32 v35, v35, 0, 8
	v_and_b32_e32 v12, 15, v66
	v_add3_u32 v36, v36, v38, v42
	v_add3_u32 v38, v39, v45, v55
	;; [unrolled: 1-line block ×4, first 2 shown]
	v_mul_i32_i24_e32 v62, v142, v94
	s_clause 0x2
	scratch_store_b32 off, v8, off offset:168
	scratch_store_b32 off, v140, off offset:176
	;; [unrolled: 1-line block ×3, first 2 shown]
	v_mul_i32_i24_e32 v67, v246, v79
	v_mul_i32_i24_e32 v68, v8, v80
	v_bfe_i32 v76, v34, 16, 8
	v_bfe_u32 v8, v65, 16, 4
	v_mul_i32_i24_e32 v5, v140, v31
	v_mul_i32_i24_e32 v70, v135, v30
	;; [unrolled: 1-line block ×3, first 2 shown]
	v_bfe_i32 v34, v57, 0, 8
	v_bfe_u32 v138, v66, 16, 4
	v_and_b32_e32 v10, 0xffff, v73
	v_mul_i32_i24_e32 v57, v12, v35
	v_mul_i32_i24_e32 v75, v139, v32
	v_add3_u32 v36, v36, v48, v59
	v_add3_u32 v39, v39, v63, v69
	;; [unrolled: 1-line block ×3, first 2 shown]
	v_mul_i32_i24_e32 v71, v8, v76
	v_mul_i32_i24_e32 v73, v10, v34
	;; [unrolled: 1-line block ×3, first 2 shown]
	v_add3_u32 v38, v38, v62, v68
	v_add3_u32 v36, v36, v67, v70
	;; [unrolled: 1-line block ×4, first 2 shown]
	s_clause 0x4
	scratch_store_b32 off, v175, off offset:584
	scratch_store_b32 off, v174, off offset:580
	;; [unrolled: 1-line block ×5, first 2 shown]
	v_add3_u32 v38, v38, v71, v74
	v_add3_u32 v36, v36, v73, v37
	s_clause 0x7
	scratch_store_b32 off, v134, off offset:40
	scratch_store_b32 off, v141, off offset:656
	scratch_store_b32 off, v139, off offset:664
	scratch_store_b32 off, v6, off offset:180
	scratch_store_b32 off, v8, off offset:184
	scratch_store_b32 off, v10, off offset:192
	scratch_store_b32 off, v12, off offset:196
	scratch_store_b32 off, v138, off offset:188
	v_add3_u32 v5, v5, v38, v36
	ds_load_u16 v36, v4
	ds_load_u16 v4, v4 offset:8
	v_lshrrev_b32_e32 v74, 28, v44
	v_bfe_u32 v75, v44, 20, 4
	v_lshrrev_b16 v42, 8, v50
	v_lshrrev_b16 v38, 8, v49
	v_bfe_i32 v39, v49, 0, 8
	v_ashrrev_i32_e32 v37, 24, v49
	v_lshrrev_b16 v47, 8, v52
	v_bfe_i32 v42, v42, 0, 8
	v_lshrrev_b32_e32 v11, 28, v53
	v_lshrrev_b16 v46, 8, v51
	v_bfe_i32 v48, v51, 0, 8
	v_bfe_u32 v6, v53, 20, 4
	scratch_store_b32 off, v13, off offset:52 ; 4-byte Folded Spill
	v_lshrrev_b16 v55, 8, v0
	v_bfe_i32 v46, v46, 0, 8
	v_bfe_i32 v41, v50, 16, 8
	scratch_store_b32 off, v11, off offset:1148 ; 4-byte Folded Spill
	v_bfe_i32 v56, v0, 0, 8
	s_wait_dscnt 0x1
	v_lshrrev_b16 v67, 8, v36
	v_and_b32_e32 v137, 0xff, v36
	v_lshrrev_b32_e32 v36, 4, v43
	v_bfe_i32 v43, v50, 0, 8
	v_bfe_i32 v55, v55, 0, 8
	;; [unrolled: 1-line block ×4, first 2 shown]
	v_lshrrev_b16 v36, 8, v36
	v_mul_i32_i24_e32 v85, v13, v43
	v_bfe_u32 v13, v53, 4, 4
	v_mul_i32_i24_e32 v87, v75, v41
	v_lshrrev_b16 v59, 8, v1
	v_and_b32_e32 v40, 15, v36
	v_bfe_i32 v36, v49, 16, 8
	scratch_store_b32 off, v13, off offset:64 ; 4-byte Folded Spill
	v_mul_i32_i24_e32 v89, v13, v48
	v_lshrrev_b16 v63, 8, v2
	v_and_b32_e32 v136, 0xffff, v40
	v_lshrrev_b32_e32 v40, 4, v44
	v_lshrrev_b32_e32 v44, 4, v53
	v_ashrrev_i32_e32 v57, 24, v1
	v_bfe_i32 v59, v59, 0, 8
	v_mul_i32_i24_e32 v84, v136, v38
	v_lshrrev_b16 v40, 8, v40
	v_lshrrev_b16 v44, 8, v44
	v_bfe_i32 v63, v63, 0, 8
	v_mad_i32_i24 v85, v214, v39, v85
	v_mad_i32_i24 v87, v220, v36, v87
	v_and_b32_e32 v45, 15, v40
	v_and_b32_e32 v49, 15, v44
	v_ashrrev_i32_e32 v44, 24, v51
	v_ashrrev_i32_e32 v40, 24, v50
	v_bfe_i32 v50, v52, 16, 8
	v_and_b32_e32 v12, 0xffff, v45
	v_bfe_i32 v45, v51, 16, 8
	v_bfe_i32 v51, v47, 0, 8
	v_lshrrev_b32_e32 v47, 4, v60
	v_mul_i32_i24_e32 v88, v74, v40
	scratch_store_b32 off, v12, off offset:1144 ; 4-byte Folded Spill
	v_mul_i32_i24_e32 v86, v12, v42
	v_and_b32_e32 v12, 0xffff, v49
	v_lshrrev_b32_e32 v49, 4, v54
	v_lshrrev_b16 v47, 8, v47
	scratch_store_b32 off, v6, off offset:56 ; 4-byte Folded Spill
	v_mul_i32_i24_e32 v91, v6, v45
	scratch_store_b32 off, v12, off offset:60 ; 4-byte Folded Spill
	v_lshrrev_b16 v49, 8, v49
	v_and_b32_e32 v47, 15, v47
	v_mul_i32_i24_e32 v90, v12, v46
	v_mul_i32_i24_e32 v6, v11, v44
	v_lshrrev_b32_e32 v11, 28, v54
	v_and_b32_e32 v53, 15, v49
	v_ashrrev_i32_e32 v49, 24, v52
	v_bfe_u32 v12, v54, 20, 4
	v_bfe_i32 v54, v0, 16, 8
	v_mov_b32_e32 v233, v11
	v_and_b32_e32 v13, 0xffff, v53
	v_ashrrev_i32_e32 v53, 24, v0
	v_bfe_u32 v0, v60, 4, 4
	v_mul_i32_i24_e32 v103, v12, v50
	v_mov_b32_e32 v234, v12
	v_mul_i32_i24_e32 v102, v13, v51
	v_mov_b32_e32 v235, v13
	v_and_b32_e32 v13, 0xffff, v47
	v_lshrrev_b32_e32 v47, 4, v61
	v_mul_i32_i24_e32 v104, v11, v49
	v_lshrrev_b32_e32 v11, 28, v60
	v_bfe_u32 v12, v60, 20, 4
	scratch_store_b32 off, v13, off offset:404 ; 4-byte Folded Spill
	v_lshrrev_b16 v47, 8, v47
	v_mul_i32_i24_e32 v105, v13, v55
	v_mul_i32_i24_e32 v107, v11, v53
	;; [unrolled: 1-line block ×3, first 2 shown]
	s_delay_alu instid0(VALU_DEP_4)
	v_dual_mov_b32 v238, v12 :: v_dual_and_b32 v47, 15, v47
	v_mov_b32_e32 v237, v11
	v_lshrrev_b32_e32 v11, 28, v61
	v_bfe_u32 v12, v61, 20, 4
	scratch_store_b32 off, v0, off offset:408 ; 4-byte Folded Spill
	v_and_b32_e32 v13, 0xffff, v47
	v_lshrrev_b32_e32 v47, 4, v65
	s_clause 0x1
	scratch_store_b32 off, v11, off offset:412
	scratch_store_b32 off, v12, off offset:416
	v_mul_i32_i24_e32 v110, v12, v58
	v_bfe_i32 v52, v52, 0, 8
	v_lshrrev_b16 v47, 8, v47
	v_bfe_i32 v60, v1, 0, 8
	v_bfe_u32 v1, v61, 4, 4
	v_mul_i32_i24_e32 v111, v11, v57
	v_mul_i32_i24_e32 v93, v14, v52
	v_and_b32_e32 v47, 15, v47
	v_lshrrev_b32_e32 v11, 28, v65
	v_ashrrev_i32_e32 v61, 24, v2
	v_mad_i32_i24 v88, v221, v37, v88
	v_mul_i32_i24_e32 v0, v0, v56
	v_and_b32_e32 v12, 0xffff, v47
	v_lshrrev_b32_e32 v47, 4, v66
	s_clause 0x1
	scratch_store_b32 off, v13, off offset:420
	scratch_store_b32 off, v1, off offset:424
	v_mul_i32_i24_e32 v1, v1, v60
	v_mul_i32_i24_e32 v108, v13, v59
	v_lshrrev_b16 v47, 8, v47
	v_bfe_i32 v62, v2, 16, 8
	v_bfe_i32 v29, v2, 0, 8
	v_bfe_u32 v13, v65, 4, 4
	scratch_store_b32 off, v11, off offset:428 ; 4-byte Folded Spill
	v_and_b32_e32 v69, 15, v47
	v_mul_i32_i24_e32 v116, v12, v63
	v_mul_i32_i24_e32 v118, v11, v61
	v_lshrrev_b32_e32 v2, 28, v66
	v_ashrrev_i32_e32 v64, 24, v3
	v_bfe_i32 v28, v3, 0, 8
	v_and_b32_e32 v11, 0xffff, v69
	scratch_store_b32 off, v12, off offset:108 ; 4-byte Folded Spill
	v_bfe_u32 v12, v66, 4, 4
	v_add3_u32 v84, v84, v86, v90
	v_add3_u32 v86, v87, v91, v103
	;; [unrolled: 1-line block ×4, first 2 shown]
	v_lshrrev_b16 v68, 8, v3
	v_bfe_u32 v251, v65, 20, 4
	v_mul_i32_i24_e32 v113, v13, v29
	v_bfe_i32 v65, v3, 16, 8
	v_bfe_u32 v3, v66, 20, 4
	v_mul_i32_i24_e32 v66, v12, v28
	v_mul_i32_i24_e32 v121, v2, v64
	v_add3_u32 v87, v87, v107, v111
	v_add3_u32 v0, v85, v0, v1
	s_clause 0x1
	scratch_store_b32 off, v2, off offset:436
	scratch_store_b32 off, v3, off offset:440
	scratch_load_b32 v2, off, off offset:8  ; 4-byte Folded Reload
	v_bfe_i32 v47, v68, 0, 8
	v_add3_u32 v0, v0, v113, v66
	v_add3_u32 v66, v87, v118, v121
	scratch_load_b32 v121, off, off offset:648 ; 4-byte Folded Reload
	v_add3_u32 v84, v84, v102, v105
	v_mul_i32_i24_e32 v117, v251, v62
	v_mul_i32_i24_e32 v119, v11, v47
	;; [unrolled: 1-line block ×3, first 2 shown]
	v_add3_u32 v1, v86, v106, v110
	v_add3_u32 v84, v84, v108, v116
	v_mul_lo_u32 v5, v5, v137
	s_wait_dscnt 0x0
	v_cvt_f32_ubyte0_e32 v8, v4
	scratch_store_b32 off, v137, off offset:200 ; 4-byte Folded Spill
	v_add3_u32 v1, v1, v117, v120
	v_add3_u32 v66, v84, v119, v66
	v_and_b32_e32 v119, 0xffff, v67
	v_cvt_f32_ubyte1_e32 v120, v4
	s_clause 0x1
	scratch_store_b32 off, v136, off offset:1212
	scratch_store_b32 off, v75, off offset:1208
	v_add3_u32 v0, v0, v1, v66
	v_cvt_f32_i32_e32 v5, v5
	s_clause 0x2
	scratch_store_b32 off, v74, off offset:1244
	scratch_store_b32 off, v13, off offset:432
	;; [unrolled: 1-line block ×3, first 2 shown]
	v_mul_lo_u32 v0, v0, v119
	scratch_store_b32 off, v12, off offset:444 ; 4-byte Folded Spill
	v_mov_b32_e32 v93, v8
	v_cvt_f32_i32_e32 v84, v0
	ds_load_b64 v[0:1], v83 offset:27200
	s_wait_dscnt 0x0
	v_fma_mix_f32 v4, v5, v0, 0 op_sel_hi:[0,1,0]
	v_fma_mix_f32 v5, v8, v0, 0 op_sel:[0,1,0] op_sel_hi:[0,1,0]
	s_delay_alu instid0(VALU_DEP_2) | instskip(NEXT) | instid1(VALU_DEP_2)
	v_fma_mix_f32 v4, v84, v1, v4 op_sel_hi:[0,1,0]
	v_fma_mix_f32 v5, v120, v1, v5 op_sel:[0,1,0] op_sel_hi:[0,1,0]
	s_wait_loadcnt 0x0
	s_delay_alu instid0(VALU_DEP_1) | instskip(NEXT) | instid1(VALU_DEP_1)
	v_mul_f32_e32 v5, v5, v121
	v_fma_f32 v4, v4, v2, -v5
	v_add_nc_u32_e32 v5, s17, v158
	s_delay_alu instid0(VALU_DEP_2)
	v_add_f32_e32 v153, v153, v4
	ds_load_2addr_b32 v[83:84], v5 offset1:1
	v_add3_u32 v4, s16, v179, v133
	ds_load_2addr_b32 v[144:145], v5 offset0:6 offset1:7
	scratch_store_b32 off, v153, off offset:804 ; 4-byte Folded Spill
	s_wait_dscnt 0x1
	v_and_b32_e32 v2, 15, v83
	v_bfe_u32 v223, v83, 16, 4
	v_bfe_u32 v222, v83, 24, 4
	v_and_b32_e32 v224, 15, v84
	v_bfe_u32 v225, v84, 8, 4
	scratch_store_b32 off, v2, off offset:592 ; 4-byte Folded Spill
	v_mul_i32_i24_e32 v85, v126, v2
	v_bfe_u32 v2, v83, 8, 4
	v_mul_i32_i24_e32 v86, v228, v223
	v_mul_i32_i24_e32 v87, v229, v222
	v_bfe_u32 v239, v84, 16, 4
	v_bfe_u32 v240, v84, 24, 4
	v_mad_i32_i24 v85, v127, v2, v85
	scratch_store_b32 off, v2, off offset:596 ; 4-byte Folded Spill
	s_wait_dscnt 0x0
	v_bfe_u32 v219, v144, 8, 4
	v_mul_i32_i24_e32 v88, v122, v239
	v_mul_i32_i24_e32 v89, v123, v240
	v_add3_u32 v85, v85, v86, v87
	v_mul_i32_i24_e32 v86, v114, v224
	v_mul_i32_i24_e32 v87, v115, v225
	v_bfe_u32 v103, v144, 16, 4
	v_bfe_u32 v105, v144, 24, 4
	v_and_b32_e32 v106, 15, v145
	v_bfe_u32 v107, v145, 8, 4
	v_add3_u32 v85, v85, v87, v86
	v_bfe_u32 v182, v83, 4, 4
	v_mul_i32_i24_e32 v130, v77, v105
	v_bfe_u32 v108, v145, 24, 4
	v_bfe_u32 v183, v83, 12, 4
	v_add3_u32 v87, v85, v88, v89
	ds_load_2addr_b32 v[85:86], v5 offset0:2 offset1:3
	v_lshrrev_b32_e32 v184, 28, v83
	v_bfe_u32 v185, v84, 12, 4
	v_bfe_u32 v110, v145, 4, 4
	;; [unrolled: 1-line block ×4, first 2 shown]
	v_lshrrev_b32_e32 v116, 28, v145
	v_mul_i32_i24_e32 v149, v42, v185
	v_mul_i32_i24_e32 v170, v28, v110
	;; [unrolled: 1-line block ×4, first 2 shown]
	s_wait_dscnt 0x0
	v_and_b32_e32 v241, 15, v85
	v_bfe_u32 v242, v85, 8, 4
	v_bfe_u32 v243, v85, 16, 4
	;; [unrolled: 1-line block ×3, first 2 shown]
	v_and_b32_e32 v245, 15, v86
	v_mul_i32_i24_e32 v88, v100, v241
	v_mul_i32_i24_e32 v89, v101, v242
	;; [unrolled: 1-line block ×4, first 2 shown]
	v_bfe_u32 v247, v86, 8, 4
	v_bfe_u32 v248, v86, 16, 4
	v_add3_u32 v87, v87, v89, v88
	v_mul_i32_i24_e32 v88, v96, v245
	v_bfe_u32 v249, v86, 24, 4
	v_mul_i32_i24_e32 v89, v97, v247
	v_bfe_u32 v3, v85, 4, 4
	v_add3_u32 v87, v87, v90, v91
	v_mul_i32_i24_e32 v90, v98, v248
	v_mul_i32_i24_e32 v91, v99, v249
	v_bfe_u32 v186, v85, 20, 4
	v_mul_i32_i24_e32 v151, v48, v3
	v_add3_u32 v87, v87, v89, v88
	v_lshrrev_b32_e32 v187, 28, v85
	v_bfe_u32 v188, v86, 4, 4
	v_mul_i32_i24_e32 v153, v45, v186
	v_bfe_u32 v190, v86, 12, 4
	v_add3_u32 v89, v87, v90, v91
	ds_load_2addr_b32 v[87:88], v5 offset0:4 offset1:5
	v_mul_i32_i24_e32 v154, v44, v187
	v_bfe_u32 v189, v86, 20, 4
	v_mul_i32_i24_e32 v155, v52, v188
	v_mul_i32_i24_e32 v156, v51, v190
	v_lshrrev_b32_e32 v191, 28, v86
	v_bfe_u32 v86, v144, 20, 4
	v_mul_i32_i24_e32 v157, v50, v189
	s_delay_alu instid0(VALU_DEP_3) | instskip(NEXT) | instid1(VALU_DEP_3)
	v_mul_i32_i24_e32 v158, v49, v191
	v_mul_i32_i24_e32 v169, v62, v86
	s_wait_dscnt 0x0
	v_and_b32_e32 v2, 15, v87
	v_bfe_u32 v179, v87, 16, 4
	v_bfe_u32 v180, v87, 24, 4
	;; [unrolled: 1-line block ×4, first 2 shown]
	scratch_store_b32 off, v2, off offset:292 ; 4-byte Folded Spill
	v_mul_i32_i24_e32 v90, v82, v2
	v_bfe_u32 v2, v87, 8, 4
	v_mul_i32_i24_e32 v124, v94, v179
	v_mul_i32_i24_e32 v125, v95, v180
	;; [unrolled: 1-line block ×3, first 2 shown]
	v_bfe_u32 v192, v87, 4, 4
	v_mul_i32_i24_e32 v91, v92, v2
	scratch_store_b32 off, v2, off offset:296 ; 4-byte Folded Spill
	v_bfe_u32 v194, v87, 12, 4
	v_bfe_u32 v193, v87, 20, 4
	v_mul_i32_i24_e32 v159, v56, v192
	v_add3_u32 v89, v89, v91, v90
	v_mul_i32_i24_e32 v91, v79, v102
	v_mul_i32_i24_e32 v160, v55, v194
	v_lshrrev_b32_e32 v195, 28, v87
	v_mul_i32_i24_e32 v161, v54, v193
	v_add3_u32 v89, v89, v124, v125
	v_and_b32_e32 v124, 15, v88
	v_bfe_u32 v125, v88, 16, 4
	v_mul_i32_i24_e32 v162, v53, v195
	v_bfe_u32 v196, v88, 4, 4
	v_bfe_u32 v197, v88, 20, 4
	v_mul_i32_i24_e32 v90, v78, v124
	v_mul_i32_i24_e32 v128, v80, v125
	v_bfe_u32 v87, v144, 12, 4
	v_mul_i32_i24_e32 v163, v60, v196
	v_mul_i32_i24_e32 v165, v58, v197
	v_add3_u32 v89, v89, v91, v90
	v_mul_i32_i24_e32 v90, v30, v219
	v_mul_i32_i24_e32 v91, v76, v103
	;; [unrolled: 1-line block ×3, first 2 shown]
	s_delay_alu instid0(VALU_DEP_4) | instskip(SKIP_3) | instid1(VALU_DEP_3)
	v_add3_u32 v89, v89, v128, v129
	v_and_b32_e32 v128, 15, v144
	v_bfe_u32 v129, v145, 16, 4
	v_mul_i32_i24_e32 v145, v64, v116
	v_mul_i32_i24_e32 v5, v31, v128
	s_delay_alu instid0(VALU_DEP_1) | instskip(SKIP_2) | instid1(VALU_DEP_3)
	v_add3_u32 v5, v89, v90, v5
	v_mul_i32_i24_e32 v89, v35, v106
	v_mul_i32_i24_e32 v90, v34, v107
	v_add3_u32 v5, v5, v91, v130
	v_mul_i32_i24_e32 v91, v33, v129
	v_mul_i32_i24_e32 v130, v32, v108
	s_delay_alu instid0(VALU_DEP_3)
	v_add3_u32 v5, v5, v90, v89
	ds_load_u16 v89, v4
	ds_load_u16 v4, v4 offset:8
	s_clause 0x1
	scratch_load_b32 v117, off, off offset:652
	scratch_load_b32 v118, off, off offset:644
	scratch_store_b32 off, v3, off offset:100 ; 4-byte Folded Spill
	v_add3_u32 v5, v5, v91, v130
	v_bfe_u32 v91, v83, 20, 4
	v_mul_i32_i24_e32 v83, v37, v184
	v_bfe_u32 v3, v85, 12, 4
	v_bfe_u32 v85, v144, 4, 4
	s_delay_alu instid0(VALU_DEP_4) | instskip(NEXT) | instid1(VALU_DEP_3)
	v_mul_i32_i24_e32 v90, v36, v91
	v_mul_i32_i24_e32 v152, v46, v3
	scratch_store_b32 off, v3, off offset:104 ; 4-byte Folded Spill
	v_bfe_u32 v3, v88, 12, 4
	v_mul_i32_i24_e32 v167, v29, v85
	s_wait_dscnt 0x1
	v_lshrrev_b16 v146, 8, v89
	s_wait_dscnt 0x0
	v_cvt_f32_ubyte0_e32 v2, v4
	v_and_b32_e32 v181, 0xff, v89
	v_mul_i32_i24_e32 v89, v39, v182
	v_mul_i32_i24_e32 v164, v59, v3
	s_clause 0x1
	scratch_store_b32 off, v3, off offset:560
	scratch_store_b32 off, v2, off offset:92
	v_fma_mix_f32 v147, v0, v2, 0 op_sel:[1,0,0] op_sel_hi:[1,0,0]
	v_bfe_u32 v2, v84, 20, 4
	v_mad_i32_i24 v89, v38, v183, v89
	v_mul_lo_u32 v5, v5, v181
	scratch_store_b32 off, v2, off offset:96 ; 4-byte Folded Spill
	v_mul_i32_i24_e32 v150, v41, v2
	v_lshrrev_b32_e32 v2, 28, v88
	v_add3_u32 v83, v89, v90, v83
	v_bfe_u32 v89, v84, 4, 4
	v_lshrrev_b32_e32 v90, 28, v84
	v_lshrrev_b32_e32 v88, 28, v144
	scratch_store_b32 off, v2, off offset:564 ; 4-byte Folded Spill
	v_mul_i32_i24_e32 v166, v57, v2
	scratch_load_b32 v2, off, off offset:1320 ; 4-byte Folded Reload
	v_mul_i32_i24_e32 v148, v43, v89
	v_mul_i32_i24_e32 v84, v40, v90
	;; [unrolled: 1-line block ×3, first 2 shown]
	v_cvt_f32_i32_e32 v5, v5
	s_delay_alu instid0(VALU_DEP_4) | instskip(NEXT) | instid1(VALU_DEP_2)
	v_add3_u32 v83, v83, v148, v149
	v_fma_mix_f32 v5, v0, v5, 0 op_sel_hi:[1,0,0]
	s_delay_alu instid0(VALU_DEP_2) | instskip(SKIP_1) | instid1(VALU_DEP_2)
	v_add3_u32 v83, v83, v150, v84
	v_and_b32_e32 v84, 0xffff, v146
	v_add3_u32 v83, v83, v151, v152
	s_delay_alu instid0(VALU_DEP_1) | instskip(NEXT) | instid1(VALU_DEP_1)
	v_add3_u32 v83, v83, v153, v154
	v_add3_u32 v83, v83, v155, v156
	s_delay_alu instid0(VALU_DEP_1) | instskip(NEXT) | instid1(VALU_DEP_1)
	v_add3_u32 v83, v83, v157, v158
	;; [unrolled: 3-line block ×6, first 2 shown]
	v_mul_lo_u32 v83, v83, v84
	s_delay_alu instid0(VALU_DEP_1) | instskip(NEXT) | instid1(VALU_DEP_1)
	v_cvt_f32_i32_e32 v83, v83
	v_fma_mix_f32 v5, v1, v83, v5 op_sel_hi:[1,0,0]
	v_cvt_f32_ubyte1_e32 v83, v4
	s_delay_alu instid0(VALU_DEP_1) | instskip(SKIP_1) | instid1(VALU_DEP_1)
	v_fma_mix_f32 v4, v1, v83, v147 op_sel:[1,0,0] op_sel_hi:[1,0,0]
	s_wait_loadcnt 0x2
	v_mul_f32_e32 v4, v4, v117
	s_wait_loadcnt 0x1
	s_delay_alu instid0(VALU_DEP_1) | instskip(SKIP_1) | instid1(VALU_DEP_2)
	v_fma_f32 v4, v5, v118, -v4
	v_add_nc_u32_e32 v5, s17, v27
	v_add_f32_e32 v23, v23, v4
	ds_load_2addr_b32 v[144:145], v5 offset1:1
	ds_load_2addr_b32 v[226:227], v5 offset0:6 offset1:7
	s_wait_dscnt 0x1
	v_and_b32_e32 v167, 15, v144
	v_bfe_u32 v169, v144, 8, 4
	v_bfe_u32 v168, v144, 16, 4
	;; [unrolled: 1-line block ×3, first 2 shown]
	v_and_b32_e32 v171, 15, v145
	v_mul_i32_i24_e32 v146, v126, v167
	v_bfe_u32 v172, v145, 8, 4
	v_mul_i32_i24_e32 v147, v228, v168
	v_mul_i32_i24_e32 v148, v229, v170
	v_bfe_u32 v165, v145, 16, 4
	v_mad_i32_i24 v146, v127, v169, v146
	v_bfe_u32 v166, v145, 24, 4
	s_wait_loadcnt 0x0
	v_add3_u32 v4, s16, v2, v25
	s_wait_dscnt 0x0
	v_and_b32_e32 v209, 15, v226
	v_mul_i32_i24_e32 v149, v122, v165
	v_add3_u32 v146, v146, v147, v148
	v_mul_i32_i24_e32 v147, v114, v171
	v_mul_i32_i24_e32 v148, v115, v172
	;; [unrolled: 1-line block ×3, first 2 shown]
	v_bfe_u32 v204, v226, 8, 4
	v_bfe_u32 v202, v226, 16, 4
	;; [unrolled: 1-line block ×3, first 2 shown]
	v_add3_u32 v146, v146, v148, v147
	v_and_b32_e32 v155, 15, v227
	v_lshrrev_b32_e32 v199, 28, v144
	s_clause 0x1
	scratch_store_b32 off, v23, off offset:808
	scratch_store_b32 off, v198, off offset:260
	v_add3_u32 v148, v146, v149, v150
	ds_load_2addr_b32 v[146:147], v5 offset0:2 offset1:3
	s_clause 0x2
	scratch_store_b32 off, v155, off offset:264
	scratch_store_b32 off, v209, off offset:780
	;; [unrolled: 1-line block ×3, first 2 shown]
	v_bfe_u32 v201, v144, 4, 4
	v_bfe_u32 v200, v144, 20, 4
	;; [unrolled: 1-line block ×4, first 2 shown]
	s_delay_alu instid0(VALU_DEP_2)
	v_mul_i32_i24_e32 v232, v43, v3
	s_wait_dscnt 0x0
	v_and_b32_e32 v252, 15, v146
	v_bfe_u32 v253, v146, 8, 4
	v_and_b32_e32 v2, 15, v147
	v_bfe_u32 v254, v146, 16, 4
	v_bfe_u32 v255, v146, 24, 4
	v_mul_i32_i24_e32 v149, v100, v252
	v_mul_i32_i24_e32 v150, v101, v253
	scratch_store_b32 off, v2, off offset:636 ; 4-byte Folded Spill
	v_mul_i32_i24_e32 v151, v109, v254
	v_mul_i32_i24_e32 v152, v112, v255
	v_bfe_u32 v133, v147, 12, 4
	v_add3_u32 v148, v148, v150, v149
	v_mul_i32_i24_e32 v149, v96, v2
	v_bfe_u32 v2, v147, 8, 4
	s_delay_alu instid0(VALU_DEP_4) | instskip(NEXT) | instid1(VALU_DEP_4)
	v_mul_i32_i24_e32 v20, v51, v133
	v_add3_u32 v148, v148, v151, v152
	scratch_store_b32 off, v2, off offset:140 ; 4-byte Folded Spill
	v_mul_i32_i24_e32 v150, v97, v2
	v_bfe_u32 v2, v147, 16, 4
	s_delay_alu instid0(VALU_DEP_2) | instskip(SKIP_3) | instid1(VALU_DEP_1)
	v_add3_u32 v148, v148, v150, v149
	scratch_store_b32 off, v2, off offset:144 ; 4-byte Folded Spill
	v_mul_i32_i24_e32 v151, v98, v2
	v_bfe_u32 v2, v147, 24, 4
	v_mul_i32_i24_e32 v152, v99, v2
	scratch_store_b32 off, v2, off offset:148 ; 4-byte Folded Spill
	v_add3_u32 v150, v148, v151, v152
	ds_load_2addr_b32 v[148:149], v5 offset0:4 offset1:5
	v_mul_i32_i24_e32 v5, v31, v209
	s_wait_dscnt 0x0
	v_and_b32_e32 v2, 15, v148
	v_bfe_u32 v217, v149, 8, 4
	v_bfe_u32 v216, v149, 16, 4
	;; [unrolled: 1-line block ×3, first 2 shown]
	v_lshrrev_b32_e32 v130, 28, v148
	scratch_store_b32 off, v2, off offset:152 ; 4-byte Folded Spill
	v_mul_i32_i24_e32 v151, v82, v2
	v_bfe_u32 v2, v148, 8, 4
	s_clause 0x2
	scratch_store_b32 off, v217, off offset:668
	scratch_store_b32 off, v216, off offset:672
	;; [unrolled: 1-line block ×3, first 2 shown]
	v_mul_i32_i24_e32 v14, v53, v130
	scratch_store_b32 off, v2, off offset:156 ; 4-byte Folded Spill
	v_mul_i32_i24_e32 v152, v92, v2
	v_bfe_u32 v2, v148, 16, 4
	v_bfe_u32 v132, v149, 12, 4
	s_delay_alu instid0(VALU_DEP_3)
	v_add3_u32 v150, v150, v152, v151
	scratch_store_b32 off, v2, off offset:248 ; 4-byte Folded Spill
	v_mul_i32_i24_e32 v153, v94, v2
	v_bfe_u32 v2, v148, 24, 4
	v_mul_i32_i24_e32 v152, v79, v217
	v_mul_i32_i24_e32 v11, v59, v132
	scratch_store_b32 off, v2, off offset:252 ; 4-byte Folded Spill
	v_mul_i32_i24_e32 v154, v95, v2
	v_and_b32_e32 v2, 15, v149
	s_delay_alu instid0(VALU_DEP_2) | instskip(NEXT) | instid1(VALU_DEP_2)
	v_add3_u32 v150, v150, v153, v154
	v_mul_i32_i24_e32 v151, v78, v2
	v_mul_i32_i24_e32 v153, v80, v216
	;; [unrolled: 1-line block ×3, first 2 shown]
	scratch_store_b32 off, v2, off offset:256 ; 4-byte Folded Spill
	v_bfe_u32 v2, v227, 8, 4
	v_add3_u32 v150, v150, v152, v151
	v_mul_i32_i24_e32 v151, v30, v204
	v_mul_i32_i24_e32 v152, v76, v202
	scratch_store_b32 off, v2, off offset:76 ; 4-byte Folded Spill
	v_add3_u32 v150, v150, v153, v154
	v_mul_i32_i24_e32 v153, v77, v198
	s_delay_alu instid0(VALU_DEP_2) | instskip(SKIP_3) | instid1(VALU_DEP_4)
	v_add3_u32 v5, v150, v151, v5
	v_mul_i32_i24_e32 v151, v34, v2
	v_bfe_u32 v2, v227, 16, 4
	v_mul_i32_i24_e32 v150, v35, v155
	v_add3_u32 v5, v5, v152, v153
	scratch_store_b32 off, v2, off offset:272 ; 4-byte Folded Spill
	v_mul_i32_i24_e32 v152, v33, v2
	v_bfe_u32 v2, v227, 24, 4
	v_add3_u32 v5, v5, v151, v150
	v_mul_i32_i24_e32 v151, v36, v200
	s_delay_alu instid0(VALU_DEP_3)
	v_mul_i32_i24_e32 v153, v32, v2
	scratch_store_b32 off, v2, off offset:276 ; 4-byte Folded Spill
	v_bfe_u32 v2, v145, 20, 4
	v_add3_u32 v5, v5, v152, v153
	v_bfe_u32 v153, v144, 12, 4
	scratch_store_b32 off, v202, off offset:812 ; 4-byte Folded Spill
	ds_load_u16 v150, v4
	ds_load_u16 v4, v4 offset:8
	v_mul_i32_i24_e32 v144, v37, v199
	scratch_store_b32 off, v3, off offset:1224 ; 4-byte Folded Spill
	v_bfe_u32 v3, v145, 12, 4
	scratch_store_b32 off, v2, off offset:1168 ; 4-byte Folded Spill
	v_mul_i32_i24_e32 v27, v41, v2
	v_lshrrev_b32_e32 v2, 28, v145
	v_bfe_u32 v152, v147, 4, 4
	scratch_store_b32 off, v3, off offset:1164 ; 4-byte Folded Spill
	v_mul_i32_i24_e32 v26, v42, v3
	v_bfe_u32 v3, v146, 4, 4
	scratch_store_b32 off, v2, off offset:1172 ; 4-byte Folded Spill
	v_mul_i32_i24_e32 v145, v40, v2
	v_bfe_u32 v2, v146, 20, 4
	v_mul_i32_i24_e32 v21, v52, v152
	scratch_store_b32 off, v3, off offset:1176 ; 4-byte Folded Spill
	v_mul_i32_i24_e32 v25, v48, v3
	v_bfe_u32 v3, v146, 12, 4
	scratch_store_b32 off, v2, off offset:1184 ; 4-byte Folded Spill
	s_wait_dscnt 0x1
	v_lshrrev_b16 v230, 8, v150
	v_and_b32_e32 v205, 0xff, v150
	v_mul_i32_i24_e32 v150, v39, v201
	v_mul_i32_i24_e32 v24, v46, v3
	;; [unrolled: 1-line block ×3, first 2 shown]
	v_lshrrev_b32_e32 v2, 28, v146
	scratch_store_b32 off, v3, off offset:1180 ; 4-byte Folded Spill
	v_mad_i32_i24 v150, v38, v153, v150
	v_bfe_u32 v3, v148, 4, 4
	v_mul_lo_u32 v5, v5, v205
	v_mul_i32_i24_e32 v22, v44, v2
	scratch_store_b32 off, v2, off offset:1188 ; 4-byte Folded Spill
	v_add3_u32 v144, v150, v151, v144
	v_bfe_u32 v151, v147, 20, 4
	v_lshrrev_b32_e32 v2, 28, v147
	scratch_store_b32 off, v3, off offset:1192 ; 4-byte Folded Spill
	v_mul_i32_i24_e32 v17, v56, v3
	v_add3_u32 v26, v144, v232, v26
	v_mul_i32_i24_e32 v19, v50, v151
	scratch_store_b32 off, v2, off offset:928 ; 4-byte Folded Spill
	v_mul_i32_i24_e32 v18, v49, v2
	v_bfe_u32 v2, v148, 20, 4
	v_add3_u32 v26, v26, v27, v145
	v_bfe_u32 v3, v148, 12, 4
	v_bfe_u32 v148, v226, 4, 4
	v_cvt_f32_i32_e32 v5, v5
	scratch_store_b32 off, v2, off offset:932 ; 4-byte Folded Spill
	v_add3_u32 v24, v26, v25, v24
	v_mul_i32_i24_e32 v16, v55, v3
	v_mul_i32_i24_e32 v15, v54, v2
	v_bfe_u32 v2, v149, 20, 4
	scratch_store_b32 off, v3, off offset:1160 ; 4-byte Folded Spill
	v_add3_u32 v22, v24, v23, v22
	v_bfe_u32 v3, v149, 4, 4
	v_mul_i32_i24_e32 v8, v29, v148
	scratch_store_b32 off, v2, off offset:1020 ; 4-byte Folded Spill
	v_mul_i32_i24_e32 v10, v58, v2
	v_add3_u32 v20, v22, v21, v20
	v_lshrrev_b32_e32 v2, 28, v149
	scratch_store_b32 off, v3, off offset:1196 ; 4-byte Folded Spill
	v_mul_i32_i24_e32 v12, v60, v3
	v_bfe_u32 v3, v226, 12, 4
	v_add3_u32 v18, v20, v19, v18
	scratch_store_b32 off, v2, off offset:1200 ; 4-byte Folded Spill
	v_mul_i32_i24_e32 v9, v57, v2
	v_bfe_u32 v2, v226, 20, 4
	v_mul_i32_i24_e32 v7, v63, v3
	v_add3_u32 v16, v18, v17, v16
	v_fma_mix_f32 v13, v0, v5, 0 op_sel_hi:[1,0,0]
	s_clause 0x2
	scratch_store_b32 off, v3, off offset:1204
	scratch_store_b32 off, v2, off offset:280
	;; [unrolled: 1-line block ×3, first 2 shown]
	v_add3_u32 v14, v16, v15, v14
	v_mul_i32_i24_e32 v6, v62, v2
	v_lshrrev_b32_e32 v2, 28, v226
	v_mul_i32_i24_e32 v3, v65, v66
	v_lshrrev_b32_e32 v66, 28, v227
	v_add3_u32 v11, v14, v12, v11
	s_wait_dscnt 0x0
	v_cvt_f32_ubyte0_e32 v203, v4
	scratch_store_b32 off, v2, off offset:80 ; 4-byte Folded Spill
	v_mul_i32_i24_e32 v226, v61, v2
	v_bfe_u32 v2, v227, 4, 4
	v_add3_u32 v9, v11, v10, v9
	v_fma_mix_f32 v231, v0, v203, 0 op_sel:[1,0,0] op_sel_hi:[1,0,0]
	v_and_b32_e32 v144, 0xffff, v230
	s_clause 0x4
	scratch_store_b32 off, v205, off offset:1228
	scratch_store_b32 off, v203, off offset:1232
	scratch_store_b32 off, v130, off offset:1236
	scratch_store_b32 off, v2, off offset:84
	scratch_store_b32 off, v66, off offset:88
	v_mul_i32_i24_e32 v5, v28, v2
	v_bfe_u32 v2, v227, 12, 4
	v_add3_u32 v7, v9, v8, v7
	v_mul_i32_i24_e32 v227, v64, v66
	s_clause 0x2
	scratch_store_b32 off, v200, off offset:924
	scratch_store_b32 off, v199, off offset:268
	;; [unrolled: 1-line block ×3, first 2 shown]
	v_mul_i32_i24_e32 v2, v47, v2
	v_add3_u32 v6, v7, v6, v226
	s_clause 0x3
	scratch_store_b32 off, v153, off offset:816
	scratch_store_b32 off, v152, off offset:820
	;; [unrolled: 1-line block ×4, first 2 shown]
	v_add3_u32 v2, v6, v5, v2
	v_mov_b32_e32 v226, v220
	s_delay_alu instid0(VALU_DEP_2)
	v_add3_u32 v2, v2, v3, v227
	v_cvt_f32_ubyte1_e32 v3, v4
	scratch_load_b32 v4, off, off offset:164 ; 4-byte Folded Reload
	v_mov_b32_e32 v227, v214
	s_clause 0x2
	scratch_store_b32 off, v201, off offset:920
	scratch_store_b32 off, v133, off offset:916
	;; [unrolled: 1-line block ×3, first 2 shown]
	v_fma_mix_f32 v3, v1, v3, v231 op_sel:[1,0,0] op_sel_hi:[1,0,0]
	v_mul_lo_u32 v2, v2, v144
	v_mov_b32_e32 v157, v246
	s_delay_alu instid0(VALU_DEP_2) | instskip(NEXT) | instid1(VALU_DEP_1)
	v_cvt_f32_i32_e32 v2, v2
	v_fma_mix_f32 v2, v1, v2, v13 op_sel_hi:[1,0,0]
	s_wait_loadcnt 0x0
	v_mul_f32_e32 v3, v3, v4
	scratch_load_b32 v4, off, off offset:160 ; 4-byte Folded Reload
	s_wait_loadcnt 0x0
	v_fma_f32 v2, v2, v4, -v3
	scratch_load_b32 v3, off, off offset:772 ; 4-byte Folded Reload
	s_wait_loadcnt 0x0
	v_add_f32_e32 v3, v3, v2
	scratch_store_b32 off, v3, off offset:772 ; 4-byte Folded Spill
	s_clause 0x1
	scratch_load_b32 v2, off, off offset:1300
	scratch_load_b32 v3, off, off offset:1324
	s_wait_loadcnt 0x0
	v_add3_u32 v2, s16, v3, v2
	scratch_load_b32 v3, off, off offset:1304 ; 4-byte Folded Reload
	s_wait_loadcnt 0x0
	v_add_nc_u32_e32 v3, s17, v3
	s_mov_b32 s17, 8
	ds_load_2addr_b32 v[4:5], v3 offset1:1
	s_wait_dscnt 0x0
	v_and_b32_e32 v6, 15, v4
	v_bfe_u32 v9, v4, 8, 4
	v_bfe_u32 v7, v4, 16, 4
	;; [unrolled: 1-line block ×4, first 2 shown]
	scratch_store_b32 off, v6, off offset:488 ; 4-byte Folded Spill
	v_mul_i32_i24_e32 v6, v126, v6
	s_clause 0x1
	scratch_store_b32 off, v7, off offset:516
	scratch_store_b32 off, v8, off offset:520
	v_mul_i32_i24_e32 v7, v228, v7
	v_mul_i32_i24_e32 v8, v229, v8
	v_mad_i32_i24 v6, v127, v9, v6
	scratch_store_b32 off, v10, off offset:492 ; 4-byte Folded Spill
	v_mul_i32_i24_e32 v10, v123, v10
	v_bfe_u32 v16, v5, 20, 4
	v_mov_b32_e32 v228, v93
	v_add3_u32 v6, v6, v7, v8
	v_and_b32_e32 v7, 15, v5
	v_bfe_u32 v8, v5, 8, 4
	scratch_store_b32 off, v9, off offset:936 ; 4-byte Folded Spill
	v_bfe_u32 v9, v5, 16, 4
	scratch_store_b32 off, v7, off offset:940 ; 4-byte Folded Spill
	v_mul_i32_i24_e32 v7, v114, v7
	s_clause 0x1
	scratch_store_b32 off, v8, off offset:524
	scratch_store_b32 off, v9, off offset:528
	v_mul_i32_i24_e32 v8, v115, v8
	v_mul_i32_i24_e32 v9, v122, v9
	s_delay_alu instid0(VALU_DEP_2) | instskip(NEXT) | instid1(VALU_DEP_1)
	v_add3_u32 v6, v6, v8, v7
	v_add3_u32 v8, v6, v9, v10
	ds_load_2addr_b32 v[6:7], v3 offset0:2 offset1:3
	s_wait_dscnt 0x0
	v_and_b32_e32 v9, 15, v6
	v_bfe_u32 v10, v6, 8, 4
	v_bfe_u32 v11, v6, 16, 4
	;; [unrolled: 1-line block ×4, first 2 shown]
	scratch_store_b32 off, v9, off offset:496 ; 4-byte Folded Spill
	v_mul_i32_i24_e32 v9, v100, v9
	s_clause 0x1
	scratch_store_b32 off, v10, off offset:500
	scratch_store_b32 off, v11, off offset:504
	v_mul_i32_i24_e32 v10, v101, v10
	v_mul_i32_i24_e32 v11, v109, v11
	v_bfe_u32 v19, v6, 20, 4
	v_bfe_u32 v17, v6, 12, 4
	;; [unrolled: 1-line block ×3, first 2 shown]
	v_add3_u32 v8, v8, v10, v9
	v_and_b32_e32 v9, 15, v7
	scratch_store_b32 off, v12, off offset:508 ; 4-byte Folded Spill
	v_mul_i32_i24_e32 v12, v112, v12
	v_bfe_u32 v10, v7, 8, 4
	v_mul_i32_i24_e32 v18, v45, v19
	scratch_store_b32 off, v9, off offset:512 ; 4-byte Folded Spill
	v_mul_i32_i24_e32 v9, v96, v9
	v_add3_u32 v8, v8, v11, v12
	scratch_store_b32 off, v10, off offset:944 ; 4-byte Folded Spill
	v_mul_i32_i24_e32 v10, v97, v10
	v_bfe_u32 v11, v7, 16, 4
	v_bfe_u32 v12, v7, 24, 4
	v_mul_i32_i24_e32 v21, v50, v22
	s_delay_alu instid0(VALU_DEP_4)
	v_add3_u32 v8, v8, v10, v9
	s_clause 0x1
	scratch_store_b32 off, v11, off offset:532
	scratch_store_b32 off, v12, off offset:536
	v_mul_i32_i24_e32 v11, v98, v11
	v_mul_i32_i24_e32 v12, v99, v12
	s_delay_alu instid0(VALU_DEP_1)
	v_add3_u32 v10, v8, v11, v12
	ds_load_2addr_b32 v[8:9], v3 offset0:4 offset1:5
	s_wait_dscnt 0x0
	v_and_b32_e32 v11, 15, v8
	v_bfe_u32 v12, v8, 8, 4
	v_bfe_u32 v13, v8, 16, 4
	;; [unrolled: 1-line block ×4, first 2 shown]
	s_clause 0x2
	scratch_store_b32 off, v11, off offset:120
	scratch_store_b32 off, v12, off offset:124
	;; [unrolled: 1-line block ×3, first 2 shown]
	v_mul_i32_i24_e32 v11, v82, v11
	v_mul_i32_i24_e32 v12, v92, v12
	;; [unrolled: 1-line block ×3, first 2 shown]
	v_bfe_u32 v23, v8, 12, 4
	v_mul_i32_i24_e32 v24, v54, v25
	v_bfe_u32 v26, v9, 12, 4
	v_add3_u32 v10, v10, v12, v11
	v_and_b32_e32 v11, 15, v9
	scratch_store_b32 off, v14, off offset:132 ; 4-byte Folded Spill
	v_mul_i32_i24_e32 v14, v95, v14
	v_bfe_u32 v12, v9, 8, 4
	scratch_store_b32 off, v11, off offset:136 ; 4-byte Folded Spill
	v_mul_i32_i24_e32 v11, v78, v11
	v_add3_u32 v10, v10, v13, v14
	v_bfe_u32 v13, v9, 16, 4
	scratch_store_b32 off, v12, off offset:948 ; 4-byte Folded Spill
	v_mul_i32_i24_e32 v12, v79, v12
	v_bfe_u32 v14, v9, 24, 4
	scratch_store_b32 off, v13, off offset:952 ; 4-byte Folded Spill
	v_mul_i32_i24_e32 v13, v80, v13
	v_add3_u32 v10, v10, v12, v11
	scratch_store_b32 off, v14, off offset:956 ; 4-byte Folded Spill
	v_mul_i32_i24_e32 v14, v81, v14
	s_delay_alu instid0(VALU_DEP_1)
	v_add3_u32 v12, v10, v13, v14
	ds_load_2addr_b32 v[10:11], v3 offset0:6 offset1:7
	s_wait_dscnt 0x0
	v_and_b32_e32 v3, 15, v10
	v_bfe_u32 v13, v10, 8, 4
	v_bfe_u32 v14, v10, 16, 4
	;; [unrolled: 1-line block ×3, first 2 shown]
	s_clause 0x1
	scratch_store_b32 off, v3, off offset:960
	scratch_store_b32 off, v13, off offset:964
	v_mul_i32_i24_e32 v3, v31, v3
	v_mul_i32_i24_e32 v13, v30, v13
	scratch_store_b32 off, v14, off offset:544 ; 4-byte Folded Spill
	v_mul_i32_i24_e32 v14, v76, v14
	v_bfe_u32 v30, v9, 20, 4
	v_add3_u32 v3, v12, v13, v3
	v_and_b32_e32 v12, 15, v11
	scratch_store_b32 off, v15, off offset:236 ; 4-byte Folded Spill
	v_mul_i32_i24_e32 v15, v77, v15
	v_bfe_u32 v13, v11, 8, 4
	v_mul_i32_i24_e32 v27, v58, v30
	scratch_store_b32 off, v12, off offset:240 ; 4-byte Folded Spill
	v_mul_i32_i24_e32 v12, v35, v12
	v_add3_u32 v3, v3, v14, v15
	v_bfe_u32 v14, v11, 16, 4
	v_bfe_u32 v15, v11, 24, 4
	scratch_store_b32 off, v13, off offset:972 ; 4-byte Folded Spill
	v_mul_i32_i24_e32 v13, v34, v13
	v_bfe_u32 v34, v11, 20, 4
	s_clause 0x1
	scratch_store_b32 off, v14, off offset:244
	scratch_store_b32 off, v15, off offset:976
	v_mul_i32_i24_e32 v14, v33, v14
	v_add3_u32 v3, v3, v13, v12
	ds_load_u16 v12, v2
	ds_load_u16 v2, v2 offset:8
	v_mul_i32_i24_e32 v15, v32, v15
	scratch_store_b32 off, v19, off offset:72 ; 4-byte Folded Spill
	v_bfe_u32 v19, v7, 4, 4
	v_lshrrev_b32_e32 v7, 28, v7
	scratch_store_b32 off, v20, off offset:980 ; 4-byte Folded Spill
	v_add3_u32 v3, v3, v14, v15
	v_bfe_u32 v14, v4, 20, 4
	v_bfe_u32 v15, v4, 12, 4
	s_clause 0x1
	scratch_store_b32 off, v19, off offset:228
	scratch_store_b32 off, v30, off offset:232
	v_mul_i32_i24_e32 v19, v52, v19
	scratch_store_b32 off, v14, off offset:548 ; 4-byte Folded Spill
	v_mul_i32_i24_e32 v14, v36, v14
	v_mul_i32_i24_e32 v20, v51, v20
	scratch_store_b32 off, v22, off offset:452 ; 4-byte Folded Spill
	v_bfe_u32 v22, v8, 4, 4
	scratch_store_b32 off, v7, off offset:984 ; 4-byte Folded Spill
	v_mul_i32_i24_e32 v7, v49, v7
	s_wait_dscnt 0x1
	v_lshrrev_b16 v13, 8, v12
	v_and_b32_e32 v12, 0xff, v12
	scratch_store_b32 off, v22, off offset:988 ; 4-byte Folded Spill
	v_mul_i32_i24_e32 v22, v56, v22
	v_lshrrev_b32_e32 v8, 28, v8
	scratch_store_b32 off, v25, off offset:456 ; 4-byte Folded Spill
	v_mul_lo_u32 v3, v3, v12
	scratch_store_b32 off, v12, off offset:540 ; 4-byte Folded Spill
	s_wait_dscnt 0x0
	v_cvt_f32_ubyte0_e32 v12, v2
	v_bfe_u32 v25, v9, 4, 4
	scratch_store_b32 off, v23, off offset:992 ; 4-byte Folded Spill
	v_mul_i32_i24_e32 v23, v55, v23
	v_lshrrev_b32_e32 v9, 28, v9
	scratch_store_b32 off, v12, off offset:116 ; 4-byte Folded Spill
	v_cvt_f32_i32_e32 v3, v3
	scratch_store_b32 off, v8, off offset:460 ; 4-byte Folded Spill
	v_mul_i32_i24_e32 v8, v53, v8
	scratch_store_b32 off, v25, off offset:996 ; 4-byte Folded Spill
	v_mul_i32_i24_e32 v25, v60, v25
	v_fma_mix_f32 v3, v0, v3, 0 op_sel_hi:[1,0,0]
	v_fma_mix_f32 v0, v0, v12, 0 op_sel:[1,0,0] op_sel_hi:[1,0,0]
	v_bfe_u32 v12, v4, 4, 4
	v_lshrrev_b32_e32 v4, 28, v4
	scratch_store_b32 off, v15, off offset:552 ; 4-byte Folded Spill
	v_bfe_u32 v30, v10, 4, 4
	s_clause 0x1
	scratch_store_b32 off, v26, off offset:1000
	scratch_store_b32 off, v12, off offset:968
	v_mul_i32_i24_e32 v12, v39, v12
	scratch_store_b32 off, v4, off offset:556 ; 4-byte Folded Spill
	v_mul_i32_i24_e32 v4, v37, v4
	v_mul_i32_i24_e32 v26, v59, v26
	scratch_store_b32 off, v9, off offset:464 ; 4-byte Folded Spill
	v_mad_i32_i24 v12, v38, v15, v12
	v_mul_i32_i24_e32 v15, v41, v16
	v_mul_i32_i24_e32 v9, v57, v9
	v_bfe_u32 v32, v10, 20, 4
	scratch_store_b32 off, v30, off offset:1004 ; 4-byte Folded Spill
	v_add3_u32 v4, v12, v14, v4
	v_bfe_u32 v12, v5, 4, 4
	v_bfe_u32 v14, v5, 12, 4
	scratch_store_b32 off, v16, off offset:208 ; 4-byte Folded Spill
	v_lshrrev_b32_e32 v5, 28, v5
	v_bfe_u32 v16, v6, 4, 4
	scratch_store_b32 off, v12, off offset:204 ; 4-byte Folded Spill
	v_mul_i32_i24_e32 v12, v43, v12
	scratch_store_b32 off, v14, off offset:212 ; 4-byte Folded Spill
	v_mul_i32_i24_e32 v14, v42, v14
	;; [unrolled: 2-line block ×4, first 2 shown]
	v_add3_u32 v4, v4, v12, v14
	v_lshrrev_b32_e32 v6, 28, v6
	scratch_store_b32 off, v17, off offset:220 ; 4-byte Folded Spill
	v_mul_i32_i24_e32 v17, v46, v17
	v_mul_i32_i24_e32 v29, v29, v30
	v_add3_u32 v4, v4, v15, v5
	scratch_store_b32 off, v6, off offset:224 ; 4-byte Folded Spill
	v_mul_i32_i24_e32 v6, v44, v6
	v_bfe_u32 v30, v10, 12, 4
	scratch_store_b32 off, v32, off offset:468 ; 4-byte Folded Spill
	v_add3_u32 v4, v4, v16, v17
	v_mul_i32_i24_e32 v31, v62, v32
	v_lshrrev_b32_e32 v10, 28, v10
	scratch_store_b32 off, v30, off offset:1008 ; 4-byte Folded Spill
	v_mul_i32_i24_e32 v30, v63, v30
	v_add3_u32 v4, v4, v18, v6
	v_bfe_u32 v32, v11, 4, 4
	scratch_store_b32 off, v10, off offset:1012 ; 4-byte Folded Spill
	v_mul_i32_i24_e32 v10, v61, v10
	v_mul_i32_i24_e32 v33, v65, v34
	v_add3_u32 v4, v4, v19, v20
	scratch_store_b32 off, v32, off offset:1016 ; 4-byte Folded Spill
	v_mul_i32_i24_e32 v28, v28, v32
	v_bfe_u32 v32, v11, 12, 4
	scratch_store_b32 off, v34, off offset:480 ; 4-byte Folded Spill
	v_add3_u32 v4, v4, v21, v7
	v_lshrrev_b32_e32 v11, 28, v11
	v_and_b32_e32 v5, 0xffff, v13
	scratch_store_b32 off, v32, off offset:484 ; 4-byte Folded Spill
	v_mul_i32_i24_e32 v32, v47, v32
	v_add3_u32 v4, v4, v22, v23
	scratch_store_b32 off, v11, off offset:472 ; 4-byte Folded Spill
	v_mul_i32_i24_e32 v11, v64, v11
	v_cvt_f32_ubyte1_e32 v2, v2
	scratch_store_b32 off, v5, off offset:16 ; 4-byte Folded Spill
	v_add3_u32 v4, v4, v24, v8
	v_fma_mix_f32 v0, v1, v2, v0 op_sel:[1,0,0] op_sel_hi:[1,0,0]
	scratch_store_b32 off, v2, off offset:568 ; 4-byte Folded Spill
	v_add3_u32 v4, v4, v25, v26
	s_delay_alu instid0(VALU_DEP_1) | instskip(NEXT) | instid1(VALU_DEP_1)
	v_add3_u32 v4, v4, v27, v9
	v_add3_u32 v4, v4, v29, v30
	s_delay_alu instid0(VALU_DEP_1) | instskip(NEXT) | instid1(VALU_DEP_1)
	v_add3_u32 v4, v4, v31, v10
	v_add3_u32 v4, v4, v28, v32
	s_delay_alu instid0(VALU_DEP_1) | instskip(NEXT) | instid1(VALU_DEP_1)
	v_add3_u32 v4, v4, v33, v11
	v_mul_lo_u32 v4, v4, v5
	s_delay_alu instid0(VALU_DEP_1) | instskip(NEXT) | instid1(VALU_DEP_1)
	v_cvt_f32_i32_e32 v4, v4
	v_fma_mix_f32 v3, v1, v4, v3 op_sel_hi:[1,0,0]
	scratch_load_b32 v1, off, off offset:4  ; 4-byte Folded Reload
	s_wait_loadcnt 0x0
	v_mul_f32_e32 v0, v0, v1
	scratch_load_b32 v1, off, off offset:12 ; 4-byte Folded Reload
	s_wait_loadcnt 0x0
	v_fma_f32 v0, v3, v1, -v0
	scratch_load_b32 v1, off, off offset:768 ; 4-byte Folded Reload
	s_wait_loadcnt 0x0
	v_add_f32_e32 v1, v1, v0
	scratch_load_b32 v0, off, off offset:1260 ; 4-byte Folded Reload
	scratch_store_b32 off, v1, off offset:768 ; 4-byte Folded Spill
	s_wait_loadcnt 0x0
	v_or_b32_e32 v0, s11, v0
	s_delay_alu instid0(VALU_DEP_1)
	v_lshlrev_b32_e32 v1, 2, v0
	ds_load_b128 v[11:14], v1 offset:16896
	ds_load_b128 v[30:33], v1 offset:16912
	;; [unrolled: 1-line block ×4, first 2 shown]
	s_clause 0x11
	scratch_load_b32 v158, off, off offset:20
	scratch_load_b32 v156, off, off offset:184
	;; [unrolled: 1-line block ×18, first 2 shown]
	s_wait_dscnt 0x2
	v_ashrrev_i32_e32 v21, 24, v30
	v_bfe_i32 v27, v32, 8, 8
	v_ashrrev_i32_e32 v25, 24, v31
	scratch_load_b32 v214, off, off offset:412 ; 4-byte Folded Reload
	v_bfe_i32 v19, v30, 8, 8
	v_mul_i32_i24_e32 v109, v134, v21
	scratch_load_b32 v134, off, off offset:48 ; 4-byte Folded Reload
	v_mul_i32_i24_e32 v126, v135, v27
	scratch_load_b32 v135, off, off offset:180 ; 4-byte Folded Reload
	;; [unrolled: 2-line block ×3, first 2 shown]
	v_bfe_i32 v15, v11, 0, 8
	v_bfe_i32 v72, v11, 8, 8
	;; [unrolled: 1-line block ×3, first 2 shown]
	v_ashrrev_i32_e32 v17, 24, v11
	v_bfe_i32 v66, v12, 0, 8
	v_bfe_i32 v67, v12, 8, 8
	;; [unrolled: 1-line block ×3, first 2 shown]
	v_ashrrev_i32_e32 v69, 24, v12
	v_bfe_i32 v11, v14, 0, 8
	v_bfe_i32 v12, v14, 8, 8
	v_mul_i32_i24_e32 v100, v143, v19
	scratch_load_b32 v143, off, off offset:428 ; 4-byte Folded Reload
	v_bfe_i32 v70, v13, 0, 8
	v_bfe_i32 v71, v13, 8, 8
	v_bfe_i32 v9, v13, 16, 8
	v_ashrrev_i32_e32 v10, 24, v13
	v_bfe_i32 v13, v14, 16, 8
	v_ashrrev_i32_e32 v14, 24, v14
	v_bfe_i32 v26, v32, 0, 8
	v_mul_i32_i24_e32 v95, v175, v11
	v_mul_i32_i24_e32 v96, v174, v12
	s_clause 0x1
	scratch_load_b32 v175, off, off offset:444
	scratch_load_b32 v174, off, off offset:112
	v_mul_i32_i24_e32 v98, v173, v14
	v_mul_i32_i24_e32 v123, v140, v26
	s_clause 0x1
	scratch_load_b32 v173, off, off offset:440
	scratch_load_b32 v140, off, off offset:436
	v_mul_i32_i24_e32 v97, v176, v13
	scratch_load_b32 v176, off, off offset:8 ; 4-byte Folded Reload
	v_mul_i32_i24_e32 v76, v213, v15
	v_mul_i32_i24_e32 v77, v212, v16
	;; [unrolled: 1-line block ×5, first 2 shown]
	v_mad_i32_i24 v76, v206, v72, v76
	v_mul_i32_i24_e32 v81, v178, v70
	v_mul_i32_i24_e32 v82, v250, v71
	;; [unrolled: 1-line block ×4, first 2 shown]
	v_add3_u32 v76, v76, v77, v78
	v_mul_i32_i24_e32 v77, v131, v66
	v_mul_i32_i24_e32 v78, v210, v67
	v_bfe_i32 v18, v30, 0, 8
	v_bfe_i32 v20, v30, 16, 8
	;; [unrolled: 1-line block ×4, first 2 shown]
	v_add3_u32 v76, v76, v77, v78
	v_bfe_i32 v24, v31, 16, 8
	v_mul_i32_i24_e32 v101, v142, v20
	v_bfe_i32 v28, v32, 16, 8
	v_mul_i32_i24_e32 v114, v157, v23
	v_add3_u32 v76, v76, v79, v80
	v_ashrrev_i32_e32 v29, 24, v32
	v_bfe_i32 v30, v33, 0, 8
	v_bfe_i32 v31, v33, 8, 8
	;; [unrolled: 1-line block ×3, first 2 shown]
	v_add3_u32 v76, v76, v81, v82
	v_ashrrev_i32_e32 v33, 24, v33
	s_wait_dscnt 0x1
	v_bfe_i32 v42, v34, 0, 8
	v_bfe_i32 v43, v34, 8, 8
	v_mul_i32_i24_e32 v3, v138, v32
	v_add3_u32 v76, v76, v92, v94
	v_mul_i32_i24_e32 v2, v139, v33
	v_bfe_i32 v44, v34, 16, 8
	v_ashrrev_i32_e32 v34, 24, v34
	v_mov_b32_e32 v142, v221
	v_add3_u32 v76, v76, v95, v96
	v_bfe_i32 v45, v35, 0, 8
	v_bfe_i32 v46, v35, 8, 8
	;; [unrolled: 1-line block ×3, first 2 shown]
	v_ashrrev_i32_e32 v35, 24, v35
	v_add3_u32 v76, v76, v97, v98
	v_bfe_i32 v48, v36, 0, 8
	v_bfe_i32 v49, v36, 8, 8
	;; [unrolled: 1-line block ×3, first 2 shown]
	v_mul_i32_i24_e32 v77, v74, v35
	v_ashrrev_i32_e32 v36, 24, v36
	v_bfe_i32 v51, v37, 0, 8
	v_bfe_i32 v52, v37, 8, 8
	;; [unrolled: 1-line block ×3, first 2 shown]
	v_ashrrev_i32_e32 v37, 24, v37
	s_wait_dscnt 0x0
	v_bfe_i32 v54, v38, 0, 8
	v_mul_i32_i24_e32 v82, v236, v51
	v_mul_i32_i24_e32 v92, v235, v52
	v_bfe_i32 v55, v38, 8, 8
	v_mul_i32_i24_e32 v94, v234, v53
	v_mul_i32_i24_e32 v95, v233, v37
	v_bfe_i32 v56, v38, 16, 8
	v_ashrrev_i32_e32 v38, 24, v38
	v_bfe_i32 v57, v39, 0, 8
	v_bfe_i32 v58, v39, 8, 8
	;; [unrolled: 1-line block ×3, first 2 shown]
	v_mul_i32_i24_e32 v98, v238, v56
	v_ashrrev_i32_e32 v39, 24, v39
	v_bfe_i32 v60, v40, 0, 8
	v_bfe_i32 v61, v40, 8, 8
	;; [unrolled: 1-line block ×3, first 2 shown]
	v_ashrrev_i32_e32 v40, 24, v40
	v_bfe_i32 v63, v41, 0, 8
	v_bfe_i32 v64, v41, 8, 8
	v_lshrrev_b32_e32 v0, 1, v0
	v_bfe_i32 v65, v41, 16, 8
	v_ashrrev_i32_e32 v41, 24, v41
	scratch_load_b32 v220, off, off offset:592 ; 4-byte Folded Reload
	v_mov_b32_e32 v221, v223
	ds_load_b64 v[0:1], v0 offset:27200
	v_mov_b32_e32 v223, v222
	s_clause 0x4
	scratch_load_b32 v222, off, off offset:596
	scratch_load_b32 v138, off, off offset:100
	;; [unrolled: 1-line block ×5, first 2 shown]
	s_clause 0x10
	scratch_store_b32 off, v212, off offset:876
	scratch_store_b32 off, v210, off offset:872
	scratch_store_b32 off, v236, off offset:888
	scratch_store_b32 off, v235, off offset:884
	scratch_store_b32 off, v233, off offset:880
	scratch_store_b32 off, v251, off offset:892
	scratch_store_b32 off, v142, off offset:900
	scratch_store_b32 off, v120, off offset:896
	scratch_store_b32 off, v131, off offset:1240
	scratch_store_b32 off, v207, off offset:864
	scratch_store_b32 off, v208, off offset:868
	scratch_store_b32 off, v124, off offset:840
	scratch_store_b32 off, v125, off offset:844
	scratch_store_b32 off, v128, off offset:848
	scratch_store_b32 off, v206, off offset:860
	scratch_store_b32 off, v103, off offset:856
	scratch_store_b32 off, v183, off offset:852
	s_wait_dscnt 0x0
	v_fma_mix_f32 v8, v228, v0, 0 op_sel:[0,1,0] op_sel_hi:[0,1,0]
	s_clause 0x1f
	scratch_store_b32 off, v157, off offset:660
	scratch_store_b32 off, v228, off offset:912
	;; [unrolled: 1-line block ×32, first 2 shown]
	s_clause 0x1d
	scratch_store_b32 off, v90, off offset:1036
	scratch_store_b32 off, v85, off offset:1040
	;; [unrolled: 1-line block ×30, first 2 shown]
	v_mov_b32_e32 v218, v165
	v_mov_b32_e32 v250, v166
	s_wait_loadcnt 0x21
	v_mul_i32_i24_e32 v99, v158, v18
	s_wait_loadcnt 0x20
	v_mul_i32_i24_e32 v127, v156, v28
	;; [unrolled: 2-line block ×5, first 2 shown]
	v_add3_u32 v76, v76, v99, v100
	s_wait_loadcnt 0x1c
	v_mul_i32_i24_e32 v78, v164, v48
	s_wait_loadcnt 0x1b
	v_mul_i32_i24_e32 v79, v163, v49
	;; [unrolled: 2-line block ×3, first 2 shown]
	v_mul_i32_i24_e32 v80, v162, v50
	v_add3_u32 v76, v76, v101, v109
	s_wait_loadcnt 0x17
	v_mul_i32_i24_e32 v81, v161, v36
	s_wait_loadcnt 0x16
	v_mul_i32_i24_e32 v96, v146, v54
	v_mul_i32_i24_e32 v99, v237, v38
	s_wait_loadcnt 0x13
	v_mul_i32_i24_e32 v97, v145, v55
	v_mul_i32_i24_e32 v100, v150, v57
	;; [unrolled: 1-line block ×3, first 2 shown]
	s_wait_loadcnt 0x10
	v_mul_i32_i24_e32 v101, v149, v58
	s_wait_loadcnt 0xe
	v_mul_i32_i24_e32 v112, v134, v22
	;; [unrolled: 2-line block ×3, first 2 shown]
	s_delay_alu instid0(VALU_DEP_2) | instskip(SKIP_2) | instid1(VALU_DEP_3)
	v_add3_u32 v76, v76, v112, v114
	v_mul_i32_i24_e32 v112, v214, v39
	v_mul_i32_i24_e32 v114, v154, v60
	v_add3_u32 v76, v76, v115, v122
	s_wait_loadcnt 0xc
	v_mul_i32_i24_e32 v115, v141, v61
	v_mul_i32_i24_e32 v122, v251, v62
	s_delay_alu instid0(VALU_DEP_3) | instskip(SKIP_2) | instid1(VALU_DEP_2)
	v_add3_u32 v76, v76, v123, v126
	s_wait_loadcnt 0xb
	v_mul_i32_i24_e32 v123, v143, v40
	v_add3_u32 v6, v76, v127, v6
	v_mul_i32_i24_e32 v76, v75, v47
	scratch_load_b32 v75, off, off offset:564 ; 4-byte Folded Reload
	v_add3_u32 v4, v6, v5, v4
	v_mul_i32_i24_e32 v5, v226, v44
	v_mul_i32_i24_e32 v6, v142, v34
	s_wait_loadcnt 0xb
	v_mul_i32_i24_e32 v126, v175, v63
	s_wait_loadcnt 0xa
	v_mul_i32_i24_e32 v127, v174, v64
	v_add3_u32 v2, v4, v3, v2
	v_mul_i32_i24_e32 v4, v227, v42
	s_wait_loadcnt 0x8
	v_mul_i32_i24_e32 v3, v140, v41
	s_delay_alu instid0(VALU_DEP_3) | instskip(NEXT) | instid1(VALU_DEP_3)
	v_mul_lo_u32 v2, v2, v137
	v_mad_i32_i24 v4, v136, v43, v4
	scratch_load_b32 v137, off, off offset:96 ; 4-byte Folded Reload
	v_mov_b32_e32 v136, v129
	scratch_load_b32 v129, off, off offset:92 ; 4-byte Folded Reload
	v_add3_u32 v4, v4, v5, v6
	v_mul_i32_i24_e32 v6, v93, v46
	v_mul_i32_i24_e32 v5, v173, v65
	v_cvt_f32_i32_e32 v2, v2
	scratch_store_b32 off, v136, off offset:1216 ; 4-byte Folded Spill
	v_add3_u32 v4, v4, v7, v6
	v_mul_i32_i24_e32 v6, v69, v240
	v_fma_mix_f32 v2, v0, v2, 0 op_sel_hi:[1,0,0]
	v_mul_i32_i24_e32 v7, v70, v241
	s_delay_alu instid0(VALU_DEP_4) | instskip(SKIP_2) | instid1(VALU_DEP_3)
	v_add3_u32 v4, v4, v76, v77
	v_mul_i32_i24_e32 v76, v9, v243
	v_mul_i32_i24_e32 v77, v10, v244
	v_add3_u32 v4, v4, v78, v79
	v_mul_i32_i24_e32 v78, v11, v245
	v_mul_i32_i24_e32 v79, v12, v247
	s_delay_alu instid0(VALU_DEP_3) | instskip(SKIP_2) | instid1(VALU_DEP_3)
	v_add3_u32 v4, v4, v80, v81
	v_mul_i32_i24_e32 v80, v13, v248
	v_mul_i32_i24_e32 v81, v14, v249
	v_add3_u32 v4, v4, v82, v92
	s_delay_alu instid0(VALU_DEP_1) | instskip(SKIP_2) | instid1(VALU_DEP_3)
	v_add3_u32 v4, v4, v94, v95
	v_mul_i32_i24_e32 v94, v20, v179
	v_mul_i32_i24_e32 v95, v21, v180
	v_add3_u32 v4, v4, v96, v97
	v_mul_i32_i24_e32 v96, v22, v124
	v_mul_i32_i24_e32 v97, v23, v102
	s_delay_alu instid0(VALU_DEP_3) | instskip(SKIP_2) | instid1(VALU_DEP_3)
	v_add3_u32 v4, v4, v98, v99
	v_mul_i32_i24_e32 v98, v24, v125
	v_mul_i32_i24_e32 v99, v25, v104
	v_add3_u32 v4, v4, v100, v101
	v_mul_i32_i24_e32 v100, v26, v128
	v_mul_i32_i24_e32 v101, v27, v219
	s_delay_alu instid0(VALU_DEP_3) | instskip(SKIP_2) | instid1(VALU_DEP_3)
	;; [unrolled: 7-line block ×3, first 2 shown]
	v_add3_u32 v4, v4, v122, v123
	v_mul_i32_i24_e32 v122, v32, v136
	v_mul_i32_i24_e32 v123, v33, v108
	v_add3_u32 v4, v4, v126, v127
	v_mul_i32_i24_e32 v126, v65, v111
	v_mul_i32_i24_e32 v127, v41, v116
	s_delay_alu instid0(VALU_DEP_3)
	v_add3_u32 v3, v4, v5, v3
	v_mul_i32_i24_e32 v4, v17, v223
	v_mul_i32_i24_e32 v5, v68, v239
	s_wait_loadcnt 0x4
	v_mul_i32_i24_e32 v82, v18, v177
	s_wait_loadcnt 0x3
	v_mul_i32_i24_e32 v92, v19, v178
	v_mul_lo_u32 v3, v3, v119
	s_delay_alu instid0(VALU_DEP_1) | instskip(NEXT) | instid1(VALU_DEP_1)
	v_cvt_f32_i32_e32 v3, v3
	v_fma_mix_f32 v2, v1, v3, v2 op_sel_hi:[1,0,0]
	v_fma_mix_f32 v3, v120, v1, v8 op_sel:[0,1,0] op_sel_hi:[0,1,0]
	v_mul_i32_i24_e32 v8, v71, v242
	s_delay_alu instid0(VALU_DEP_2) | instskip(NEXT) | instid1(VALU_DEP_1)
	v_mul_f32_e32 v3, v3, v121
	v_fma_f32 v2, v2, v176, -v3
	scratch_load_b32 v3, off, off offset:764 ; 4-byte Folded Reload
	s_wait_loadcnt 0x0
	v_add_f32_e32 v3, v3, v2
	v_mul_i32_i24_e32 v2, v15, v220
	scratch_store_b32 off, v3, off offset:764 ; 4-byte Folded Spill
	v_mul_i32_i24_e32 v3, v16, v221
	v_mad_i32_i24 v2, v72, v222, v2
	s_delay_alu instid0(VALU_DEP_1) | instskip(SKIP_2) | instid1(VALU_DEP_1)
	v_add3_u32 v2, v2, v3, v4
	v_mul_i32_i24_e32 v3, v66, v224
	v_mul_i32_i24_e32 v4, v67, v225
	v_add3_u32 v2, v2, v3, v4
	v_mul_i32_i24_e32 v4, v42, v182
	v_fma_mix_f32 v3, v129, v0, 0 op_sel:[0,1,0] op_sel_hi:[0,1,0]
	s_delay_alu instid0(VALU_DEP_3)
	v_add3_u32 v2, v2, v5, v6
	v_mul_i32_i24_e32 v5, v44, v91
	v_mul_i32_i24_e32 v6, v34, v184
	v_mad_i32_i24 v4, v43, v183, v4
	v_fma_mix_f32 v3, v83, v1, v3 op_sel:[0,1,0] op_sel_hi:[0,1,0]
	v_add3_u32 v2, v2, v7, v8
	v_mul_i32_i24_e32 v7, v47, v137
	v_mul_i32_i24_e32 v8, v35, v90
	v_add3_u32 v4, v4, v5, v6
	v_mul_i32_i24_e32 v5, v45, v89
	v_mul_i32_i24_e32 v6, v46, v185
	;; [unrolled: 3-line block ×3, first 2 shown]
	v_mul_f32_e32 v3, v3, v117
	v_add3_u32 v4, v4, v5, v6
	v_add3_u32 v2, v2, v78, v79
	v_mul_i32_i24_e32 v78, v50, v186
	v_mul_i32_i24_e32 v79, v36, v187
	v_mul_i32_i24_e32 v5, v68, v218
	v_add3_u32 v4, v4, v7, v8
	v_add3_u32 v2, v2, v80, v81
	v_mul_i32_i24_e32 v80, v51, v188
	v_mul_i32_i24_e32 v81, v52, v190
	v_mul_i32_i24_e32 v6, v69, v250
	;; [unrolled: 5-line block ×6, first 2 shown]
	v_add3_u32 v4, v4, v94, v95
	v_add3_u32 v2, v2, v100, v101
	v_mul_i32_i24_e32 v100, v59, v197
	v_mul_i32_i24_e32 v101, v39, v75
	s_delay_alu instid0(VALU_DEP_4) | instskip(NEXT) | instid1(VALU_DEP_4)
	v_add3_u32 v4, v4, v96, v97
	v_add3_u32 v2, v2, v109, v112
	v_mul_i32_i24_e32 v109, v60, v85
	v_mul_i32_i24_e32 v112, v61, v87
	v_mul_i32_i24_e32 v97, v23, v217
	v_add3_u32 v4, v4, v98, v99
	v_add3_u32 v2, v2, v114, v115
	v_mul_i32_i24_e32 v114, v62, v86
	v_mul_i32_i24_e32 v115, v40, v88
	v_mul_i32_i24_e32 v98, v24, v216
	;; [unrolled: 5-line block ×3, first 2 shown]
	v_add3_u32 v4, v4, v109, v112
	v_mul_lo_u32 v2, v2, v181
	v_mul_i32_i24_e32 v109, v28, v202
	v_mul_i32_i24_e32 v112, v29, v198
	;; [unrolled: 1-line block ×3, first 2 shown]
	v_add3_u32 v4, v4, v114, v115
	v_mul_i32_i24_e32 v101, v27, v204
	v_mul_i32_i24_e32 v114, v30, v155
	v_cvt_f32_i32_e32 v2, v2
	s_delay_alu instid0(VALU_DEP_4) | instskip(NEXT) | instid1(VALU_DEP_2)
	v_add3_u32 v4, v4, v122, v123
	v_fma_mix_f32 v2, v0, v2, 0 op_sel_hi:[1,0,0]
	s_delay_alu instid0(VALU_DEP_2) | instskip(NEXT) | instid1(VALU_DEP_1)
	v_add3_u32 v4, v4, v126, v127
	v_mul_lo_u32 v4, v4, v84
	s_delay_alu instid0(VALU_DEP_1) | instskip(NEXT) | instid1(VALU_DEP_1)
	v_cvt_f32_i32_e32 v4, v4
	v_fma_mix_f32 v2, v1, v4, v2 op_sel_hi:[1,0,0]
	v_mul_i32_i24_e32 v4, v17, v170
	s_delay_alu instid0(VALU_DEP_2)
	v_fma_f32 v2, v2, v118, -v3
	scratch_load_b32 v3, off, off offset:760 ; 4-byte Folded Reload
	s_wait_loadcnt 0x0
	v_add_f32_e32 v3, v3, v2
	s_clause 0x1
	scratch_store_b32 off, v3, off offset:760
	scratch_store_b32 off, v167, off offset:1152
	s_clause 0xc
	scratch_load_b32 v165, off, off offset:636
	scratch_load_b32 v166, off, off offset:140
	;; [unrolled: 1-line block ×13, first 2 shown]
	v_mul_i32_i24_e32 v2, v15, v167
	v_mul_i32_i24_e32 v3, v16, v168
	s_clause 0x2
	scratch_load_b32 v204, off, off offset:1176
	scratch_load_b32 v209, off, off offset:1184
	;; [unrolled: 1-line block ×3, first 2 shown]
	v_mad_i32_i24 v2, v72, v169, v2
	s_clause 0x2
	scratch_load_b32 v216, off, off offset:1192
	scratch_load_b32 v217, off, off offset:1160
	;; [unrolled: 1-line block ×3, first 2 shown]
	s_clause 0x7
	scratch_store_b32 off, v168, off offset:600
	scratch_store_b32 off, v170, off offset:608
	;; [unrolled: 1-line block ×8, first 2 shown]
	v_add3_u32 v2, v2, v3, v4
	v_mul_i32_i24_e32 v3, v66, v171
	v_mul_i32_i24_e32 v4, v67, v172
	s_clause 0x1
	scratch_store_b32 off, v144, off offset:1220
	scratch_store_b32 off, v254, off offset:632
	v_add3_u32 v2, v2, v3, v4
	v_fma_mix_f32 v3, v203, v0, 0 op_sel:[0,1,0] op_sel_hi:[0,1,0]
	v_mul_i32_i24_e32 v4, v42, v201
	s_clause 0x1
	scratch_load_b32 v201, off, off offset:1168
	scratch_load_b32 v203, off, off offset:1172
	v_add3_u32 v2, v2, v5, v6
	v_mul_i32_i24_e32 v5, v44, v200
	v_mul_i32_i24_e32 v6, v34, v199
	s_clause 0x1
	scratch_load_b32 v199, off, off offset:1224
	scratch_load_b32 v200, off, off offset:1164
	v_add3_u32 v2, v2, v7, v8
	v_mad_i32_i24 v4, v43, v153, v4
	scratch_load_b32 v153, off, off offset:284 ; 4-byte Folded Reload
	v_add3_u32 v2, v2, v76, v77
	v_add3_u32 v4, v4, v5, v6
	s_wait_loadcnt 0x17
	v_mul_i32_i24_e32 v78, v11, v165
	s_wait_loadcnt 0x16
	v_mul_i32_i24_e32 v79, v12, v166
	;; [unrolled: 2-line block ×6, first 2 shown]
	v_add3_u32 v2, v2, v78, v79
	s_wait_loadcnt 0x11
	v_mul_i32_i24_e32 v94, v20, v94
	s_wait_loadcnt 0x10
	v_mul_i32_i24_e32 v95, v21, v95
	;; [unrolled: 2-line block ×4, first 2 shown]
	v_add3_u32 v2, v2, v80, v81
	s_wait_loadcnt 0xc
	v_mul_i32_i24_e32 v122, v32, v198
	s_wait_loadcnt 0xb
	v_mul_i32_i24_e32 v123, v33, v202
	v_mul_i32_i24_e32 v81, v52, v133
	scratch_load_b32 v133, off, off offset:1200 ; 4-byte Folded Reload
	v_add3_u32 v2, v2, v82, v92
	scratch_load_b32 v92, off, off offset:928 ; 4-byte Folded Reload
	v_mul_i32_i24_e32 v80, v51, v152
	scratch_load_b32 v152, off, off offset:1204 ; 4-byte Folded Reload
	v_mul_i32_i24_e32 v82, v53, v151
	v_add3_u32 v2, v2, v94, v95
	scratch_load_b32 v151, off, off offset:280 ; 4-byte Folded Reload
	s_wait_loadcnt 0xe
	v_mul_i32_i24_e32 v76, v48, v204
	s_wait_loadcnt 0xd
	v_mul_i32_i24_e32 v78, v50, v209
	;; [unrolled: 2-line block ×3, first 2 shown]
	v_add3_u32 v2, v2, v96, v97
	scratch_load_b32 v96, off, off offset:932 ; 4-byte Folded Reload
	v_mul_i32_i24_e32 v97, v38, v130
	scratch_load_b32 v130, off, off offset:1196 ; 4-byte Folded Reload
	s_wait_loadcnt 0xd
	v_mul_i32_i24_e32 v94, v54, v216
	v_add3_u32 v2, v2, v98, v99
	v_mul_i32_i24_e32 v99, v58, v132
	scratch_load_b32 v132, off, off offset:1020 ; 4-byte Folded Reload
	s_wait_loadcnt 0xd
	v_mul_i32_i24_e32 v95, v55, v217
	v_mul_i32_i24_e32 v127, v41, v127
	v_add3_u32 v2, v2, v100, v101
	s_wait_loadcnt 0xb
	v_mul_i32_i24_e32 v7, v47, v201
	s_delay_alu instid0(VALU_DEP_2)
	v_add3_u32 v2, v2, v109, v112
	s_wait_loadcnt 0xa
	v_mul_i32_i24_e32 v8, v35, v203
	v_mul_i32_i24_e32 v109, v60, v148
	s_wait_loadcnt 0x9
	v_mul_i32_i24_e32 v5, v45, v199
	v_add3_u32 v2, v2, v114, v115
	scratch_load_b32 v115, off, off offset:80 ; 4-byte Folded Reload
	s_wait_loadcnt 0x9
	v_mul_i32_i24_e32 v6, v46, v200
	s_wait_loadcnt 0x8
	v_mul_i32_i24_e32 v126, v65, v153
	v_add3_u32 v2, v2, v122, v123
	scratch_load_b32 v122, off, off offset:84 ; 4-byte Folded Reload
	v_add3_u32 v4, v4, v5, v6
	v_mul_i32_i24_e32 v123, v64, v155
	s_clause 0x1
	scratch_load_b32 v5, off, off offset:936
	scratch_load_b32 v6, off, off offset:492
	v_mul_lo_u32 v2, v2, v205
	scratch_load_b32 v205, off, off offset:1180 ; 4-byte Folded Reload
	v_add3_u32 v4, v4, v7, v8
	s_clause 0x1
	scratch_load_b32 v7, off, off offset:496
	scratch_load_b32 v8, off, off offset:500
	v_cvt_f32_i32_e32 v2, v2
	s_delay_alu instid0(VALU_DEP_1)
	v_fma_mix_f32 v2, v0, v2, 0 op_sel_hi:[1,0,0]
	s_wait_loadcnt 0xd
	v_mul_i32_i24_e32 v101, v39, v133
	s_wait_loadcnt 0xc
	v_mul_i32_i24_e32 v92, v37, v92
	;; [unrolled: 2-line block ×13, first 2 shown]
	v_add3_u32 v4, v4, v76, v77
	s_delay_alu instid0(VALU_DEP_1) | instskip(NEXT) | instid1(VALU_DEP_1)
	v_add3_u32 v4, v4, v78, v79
	v_add3_u32 v4, v4, v80, v81
	s_delay_alu instid0(VALU_DEP_1) | instskip(NEXT) | instid1(VALU_DEP_1)
	v_add3_u32 v4, v4, v82, v92
	;; [unrolled: 3-line block ×6, first 2 shown]
	v_mul_lo_u32 v4, v4, v144
	s_delay_alu instid0(VALU_DEP_1) | instskip(NEXT) | instid1(VALU_DEP_1)
	v_cvt_f32_i32_e32 v4, v4
	v_fma_mix_f32 v2, v1, v4, v2 op_sel_hi:[1,0,0]
	scratch_load_b32 v4, off, off offset:476 ; 4-byte Folded Reload
	s_wait_loadcnt 0x0
	v_fma_mix_f32 v3, v4, v1, v3 op_sel:[0,1,0] op_sel_hi:[0,1,0]
	scratch_load_b32 v4, off, off offset:164 ; 4-byte Folded Reload
	s_wait_loadcnt 0x0
	v_mul_f32_e32 v3, v3, v4
	scratch_load_b32 v4, off, off offset:160 ; 4-byte Folded Reload
	s_wait_loadcnt 0x0
	v_fma_f32 v2, v2, v4, -v3
	s_clause 0x1
	scratch_load_b32 v3, off, off offset:756
	scratch_load_b32 v4, off, off offset:520
	s_wait_loadcnt 0x1
	v_add_f32_e32 v3, v3, v2
	scratch_load_b32 v2, off, off offset:488 ; 4-byte Folded Reload
	s_clause 0x1
	scratch_store_b32 off, v255, off offset:1156
	scratch_store_b32 off, v148, off offset:828
	s_wait_loadcnt 0x1
	v_mul_i32_i24_e32 v4, v17, v4
	scratch_store_b32 off, v3, off offset:756 ; 4-byte Folded Spill
	s_clause 0x1
	scratch_load_b32 v3, off, off offset:516
	scratch_load_b32 v17, off, off offset:128
	s_wait_loadcnt 0x2
	v_mul_i32_i24_e32 v2, v15, v2
	scratch_load_b32 v15, off, off offset:504 ; 4-byte Folded Reload
	s_wait_loadcnt 0x2
	v_mul_i32_i24_e32 v3, v16, v3
	scratch_load_b32 v16, off, off offset:124 ; 4-byte Folded Reload
	;; [unrolled: 3-line block ×3, first 2 shown]
	v_mad_i32_i24 v2, v72, v5, v2
	scratch_load_b32 v5, off, off offset:528 ; 4-byte Folded Reload
	v_add3_u32 v2, v2, v3, v4
	s_clause 0x1
	scratch_load_b32 v3, off, off offset:940
	scratch_load_b32 v4, off, off offset:524
	s_wait_loadcnt 0x5
	v_mul_i32_i24_e32 v9, v9, v15
	scratch_load_b32 v15, off, off offset:508 ; 4-byte Folded Reload
	s_wait_loadcnt 0x5
	v_mul_i32_i24_e32 v16, v19, v16
	scratch_load_b32 v19, off, off offset:136 ; 4-byte Folded Reload
	;; [unrolled: 3-line block ×3, first 2 shown]
	s_wait_loadcnt 0x5
	v_mul_i32_i24_e32 v5, v68, v5
	s_wait_loadcnt 0x4
	v_mul_i32_i24_e32 v3, v66, v3
	;; [unrolled: 2-line block ×3, first 2 shown]
	s_delay_alu instid0(VALU_DEP_1)
	v_add3_u32 v2, v2, v3, v4
	s_clause 0x1
	scratch_load_b32 v3, off, off offset:540
	scratch_load_b32 v4, off, off offset:548
	v_add3_u32 v2, v2, v5, v6
	s_clause 0x1
	scratch_load_b32 v5, off, off offset:556
	scratch_load_b32 v6, off, off offset:552
	;; [unrolled: 4-line block ×3, first 2 shown]
	s_wait_loadcnt 0x8
	v_mul_i32_i24_e32 v10, v10, v15
	scratch_load_b32 v15, off, off offset:512 ; 4-byte Folded Reload
	s_wait_loadcnt 0x8
	v_mul_i32_i24_e32 v19, v22, v19
	scratch_load_b32 v22, off, off offset:956 ; 4-byte Folded Reload
	;; [unrolled: 3-line block ×3, first 2 shown]
	v_add3_u32 v2, v2, v9, v10
	s_clause 0x1
	scratch_load_b32 v9, off, off offset:220
	scratch_load_b32 v10, off, off offset:72
	s_wait_loadcnt 0x9
	v_mul_i32_i24_e32 v4, v44, v4
	s_wait_loadcnt 0x8
	v_mul_i32_i24_e32 v5, v34, v5
	;; [unrolled: 2-line block ×5, first 2 shown]
	scratch_load_b32 v15, off, off offset:944 ; 4-byte Folded Reload
	s_wait_loadcnt 0x4
	v_mul_i32_i24_e32 v22, v25, v22
	scratch_load_b32 v25, off, off offset:544 ; 4-byte Folded Reload
	s_wait_loadcnt 0x4
	v_mul_i32_i24_e32 v26, v29, v26
	;; [unrolled: 3-line block ×3, first 2 shown]
	s_wait_loadcnt 0x3
	v_mul_i32_i24_e32 v10, v50, v10
	s_wait_loadcnt 0x2
	v_mul_i32_i24_e32 v12, v12, v15
	scratch_load_b32 v15, off, off offset:532 ; 4-byte Folded Reload
	s_wait_loadcnt 0x2
	v_mul_i32_i24_e32 v25, v28, v25
	scratch_load_b32 v28, off, off offset:972 ; 4-byte Folded Reload
	v_add3_u32 v2, v2, v11, v12
	s_wait_loadcnt 0x2
	v_mul_i32_i24_e32 v29, v32, v29
	s_clause 0x1
	scratch_load_b32 v11, off, off offset:224
	scratch_load_b32 v12, off, off offset:228
	s_wait_loadcnt 0x3
	v_mul_i32_i24_e32 v13, v13, v15
	scratch_load_b32 v15, off, off offset:536 ; 4-byte Folded Reload
	s_wait_loadcnt 0x3
	v_mul_i32_i24_e32 v28, v31, v28
	scratch_load_b32 v31, off, off offset:472 ; 4-byte Folded Reload
	s_wait_loadcnt 0x3
	v_mul_i32_i24_e32 v11, v36, v11
	s_wait_loadcnt 0x2
	v_mul_i32_i24_e32 v12, v51, v12
	;; [unrolled: 2-line block ×3, first 2 shown]
	scratch_load_b32 v15, off, off offset:120 ; 4-byte Folded Reload
	v_add3_u32 v2, v2, v13, v14
	s_clause 0x1
	scratch_load_b32 v13, off, off offset:980
	scratch_load_b32 v14, off, off offset:452
	s_wait_loadcnt 0x3
	v_mul_i32_i24_e32 v31, v41, v31
	s_wait_loadcnt 0x2
	v_mul_i32_i24_e32 v15, v18, v15
	scratch_load_b32 v18, off, off offset:132 ; 4-byte Folded Reload
	v_add3_u32 v2, v2, v15, v16
	s_clause 0x1
	scratch_load_b32 v15, off, off offset:984
	scratch_load_b32 v16, off, off offset:988
	s_wait_loadcnt 0x4
	v_mul_i32_i24_e32 v13, v52, v13
	s_wait_loadcnt 0x3
	v_mul_i32_i24_e32 v14, v53, v14
	;; [unrolled: 2-line block ×3, first 2 shown]
	scratch_load_b32 v21, off, off offset:952 ; 4-byte Folded Reload
	v_add3_u32 v2, v2, v17, v18
	s_clause 0x1
	scratch_load_b32 v17, off, off offset:992
	scratch_load_b32 v18, off, off offset:456
	s_wait_loadcnt 0x4
	v_mul_i32_i24_e32 v15, v37, v15
	s_wait_loadcnt 0x3
	v_mul_i32_i24_e32 v16, v54, v16
	v_add3_u32 v2, v2, v19, v20
	s_clause 0x1
	scratch_load_b32 v19, off, off offset:460
	scratch_load_b32 v20, off, off offset:996
	s_wait_loadcnt 0x4
	v_mul_i32_i24_e32 v21, v24, v21
	scratch_load_b32 v24, off, off offset:964 ; 4-byte Folded Reload
	v_add3_u32 v2, v2, v21, v22
	s_clause 0x1
	scratch_load_b32 v21, off, off offset:1000
	scratch_load_b32 v22, off, off offset:232
	s_wait_loadcnt 0x6
	v_mul_i32_i24_e32 v17, v55, v17
	s_wait_loadcnt 0x5
	v_mul_i32_i24_e32 v18, v56, v18
	;; [unrolled: 2-line block ×5, first 2 shown]
	scratch_load_b32 v27, off, off offset:240 ; 4-byte Folded Reload
	v_add3_u32 v2, v2, v23, v24
	s_clause 0x1
	scratch_load_b32 v23, off, off offset:464
	scratch_load_b32 v24, off, off offset:1004
	s_wait_loadcnt 0x4
	v_mul_i32_i24_e32 v21, v58, v21
	s_wait_loadcnt 0x3
	v_mul_i32_i24_e32 v22, v59, v22
	v_add3_u32 v2, v2, v25, v26
	s_clause 0x1
	scratch_load_b32 v25, off, off offset:1008
	scratch_load_b32 v26, off, off offset:468
	s_wait_loadcnt 0x4
	v_mul_i32_i24_e32 v27, v30, v27
	scratch_load_b32 v30, off, off offset:976 ; 4-byte Folded Reload
	v_add3_u32 v2, v2, v27, v28
	s_clause 0x1
	scratch_load_b32 v27, off, off offset:1012
	scratch_load_b32 v28, off, off offset:1016
	s_wait_loadcnt 0x6
	v_mul_i32_i24_e32 v23, v39, v23
	s_wait_loadcnt 0x5
	v_mul_i32_i24_e32 v24, v60, v24
	;; [unrolled: 2-line block ×5, first 2 shown]
	s_delay_alu instid0(VALU_DEP_1)
	v_add3_u32 v2, v2, v29, v30
	s_clause 0x1
	scratch_load_b32 v29, off, off offset:484
	scratch_load_b32 v30, off, off offset:480
	s_wait_loadcnt 0x3
	v_mul_i32_i24_e32 v27, v40, v27
	s_wait_loadcnt 0x2
	v_mul_i32_i24_e32 v28, v63, v28
	v_mul_lo_u32 v2, v2, v3
	scratch_load_b32 v3, off, off offset:116 ; 4-byte Folded Reload
	v_cvt_f32_i32_e32 v2, v2
	s_delay_alu instid0(VALU_DEP_1)
	v_fma_mix_f32 v2, v0, v2, 0 op_sel_hi:[1,0,0]
	s_wait_loadcnt 0x2
	v_mul_i32_i24_e32 v29, v64, v29
	s_wait_loadcnt 0x1
	v_mul_i32_i24_e32 v30, v65, v30
	s_wait_loadcnt 0x0
	v_fma_mix_f32 v0, v3, v0, 0 op_sel:[0,1,0] op_sel_hi:[0,1,0]
	scratch_load_b32 v3, off, off offset:968 ; 4-byte Folded Reload
	s_wait_loadcnt 0x0
	v_mul_i32_i24_e32 v3, v42, v3
	s_delay_alu instid0(VALU_DEP_1)
	v_mad_i32_i24 v3, v43, v6, v3
	scratch_load_b32 v6, off, off offset:208 ; 4-byte Folded Reload
	v_add3_u32 v3, v3, v4, v5
	s_clause 0x1
	scratch_load_b32 v4, off, off offset:204
	scratch_load_b32 v5, off, off offset:212
	s_wait_loadcnt 0x2
	v_mul_i32_i24_e32 v6, v47, v6
	s_wait_loadcnt 0x1
	v_mul_i32_i24_e32 v4, v45, v4
	;; [unrolled: 2-line block ×3, first 2 shown]
	s_delay_alu instid0(VALU_DEP_1) | instskip(SKIP_2) | instid1(VALU_DEP_1)
	v_add3_u32 v3, v3, v4, v5
	scratch_load_b32 v4, off, off offset:16 ; 4-byte Folded Reload
	v_add3_u32 v3, v3, v6, v7
	v_add3_u32 v3, v3, v8, v9
	s_delay_alu instid0(VALU_DEP_1) | instskip(NEXT) | instid1(VALU_DEP_1)
	v_add3_u32 v3, v3, v10, v11
	v_add3_u32 v3, v3, v12, v13
	s_delay_alu instid0(VALU_DEP_1) | instskip(NEXT) | instid1(VALU_DEP_1)
	;; [unrolled: 3-line block ×5, first 2 shown]
	v_add3_u32 v3, v3, v26, v27
	v_add3_u32 v3, v3, v28, v29
	s_delay_alu instid0(VALU_DEP_1) | instskip(SKIP_1) | instid1(VALU_DEP_1)
	v_add3_u32 v3, v3, v30, v31
	s_wait_loadcnt 0x0
	v_mul_lo_u32 v3, v3, v4
	s_delay_alu instid0(VALU_DEP_1) | instskip(NEXT) | instid1(VALU_DEP_1)
	v_cvt_f32_i32_e32 v3, v3
	v_fma_mix_f32 v2, v1, v3, v2 op_sel_hi:[1,0,0]
	scratch_load_b32 v3, off, off offset:568 ; 4-byte Folded Reload
	s_wait_loadcnt 0x0
	v_fma_mix_f32 v0, v3, v1, v0 op_sel:[0,1,0] op_sel_hi:[0,1,0]
	scratch_load_b32 v1, off, off offset:4  ; 4-byte Folded Reload
	s_wait_loadcnt 0x0
	v_mul_f32_e32 v0, v0, v1
	scratch_load_b32 v1, off, off offset:12 ; 4-byte Folded Reload
	s_wait_loadcnt 0x0
	v_fma_f32 v0, v2, v1, -v0
	scratch_load_b32 v1, off, off offset:752 ; 4-byte Folded Reload
	s_wait_loadcnt 0x0
	v_add_f32_e32 v1, v1, v0
	scratch_load_b32 v0, off, off offset:1264 ; 4-byte Folded Reload
	s_clause 0x1
	scratch_store_b32 off, v171, off offset:640
	scratch_store_b32 off, v1, off offset:752
	s_wait_loadcnt 0x0
	v_or_b32_e32 v0, s11, v0
	s_delay_alu instid0(VALU_DEP_1)
	v_lshlrev_b32_e32 v12, 2, v0
	v_lshrrev_b32_e32 v16, 1, v0
	ds_load_b128 v[0:3], v12 offset:16896
	ds_load_b128 v[4:7], v12 offset:16912
	;; [unrolled: 1-line block ×4, first 2 shown]
	s_clause 0x8
	scratch_load_b32 v78, off, off offset:584
	scratch_load_b32 v79, off, off offset:580
	;; [unrolled: 1-line block ×9, first 2 shown]
	s_wait_dscnt 0x3
	v_bfe_i32 v17, v0, 0, 8
	v_bfe_i32 v18, v0, 8, 8
	;; [unrolled: 1-line block ×4, first 2 shown]
	v_ashrrev_i32_e32 v20, 24, v0
	v_mul_i32_i24_e32 v66, v213, v17
	v_bfe_i32 v21, v1, 0, 8
	v_mul_i32_i24_e32 v69, v207, v23
	scratch_load_b32 v207, off, off offset:36 ; 4-byte Folded Reload
	v_bfe_i32 v22, v1, 8, 8
	v_mad_i32_i24 v66, v206, v18, v66
	scratch_load_b32 v206, off, off offset:32 ; 4-byte Folded Reload
	v_mul_i32_i24_e32 v67, v212, v19
	v_mul_i32_i24_e32 v68, v211, v20
	v_ashrrev_i32_e32 v24, 24, v1
	v_bfe_i32 v25, v2, 0, 8
	v_bfe_i32 v26, v2, 8, 8
	ds_load_b64 v[0:1], v16 offset:27200
	v_add3_u32 v66, v66, v67, v68
	v_mul_i32_i24_e32 v67, v131, v21
	v_mul_i32_i24_e32 v68, v210, v22
	;; [unrolled: 1-line block ×3, first 2 shown]
	s_wait_dscnt 0x2
	v_bfe_i32 v16, v8, 0, 8
	v_bfe_i32 v43, v8, 8, 8
	;; [unrolled: 1-line block ×3, first 2 shown]
	v_add3_u32 v66, v66, v67, v68
	v_ashrrev_i32_e32 v8, 24, v8
	v_mul_i32_i24_e32 v68, v227, v16
	v_bfe_i32 v46, v9, 8, 8
	scratch_load_b32 v208, off, off offset:28 ; 4-byte Folded Reload
	v_add3_u32 v66, v66, v69, v70
	v_mul_i32_i24_e32 v69, v226, v44
	v_mul_i32_i24_e32 v70, v142, v8
	scratch_load_b32 v210, off, off offset:24 ; 4-byte Folded Reload
	v_bfe_i32 v34, v5, 0, 8
	v_bfe_i32 v37, v6, 0, 8
	;; [unrolled: 1-line block ×4, first 2 shown]
	v_ashrrev_i32_e32 v6, 24, v6
	v_mul_i32_i24_e32 v96, v134, v34
	scratch_load_b32 v134, off, off offset:656 ; 4-byte Folded Reload
	v_bfe_i32 v41, v7, 8, 8
	scratch_load_b32 v67, off, off offset:200 ; 4-byte Folded Reload
	v_mul_i32_i24_e32 v112, v135, v6
	scratch_load_b32 v135, off, off offset:664 ; 4-byte Folded Reload
	v_bfe_i32 v45, v9, 0, 8
	v_mul_i32_i24_e32 v115, v73, v41
	scratch_load_b32 v73, off, off offset:188 ; 4-byte Folded Reload
	v_bfe_i32 v27, v2, 16, 8
	v_ashrrev_i32_e32 v2, 24, v2
	v_bfe_i32 v47, v9, 16, 8
	v_ashrrev_i32_e32 v9, 24, v9
	v_bfe_i32 v28, v3, 0, 8
	v_bfe_i32 v29, v3, 8, 8
	;; [unrolled: 1-line block ×5, first 2 shown]
	v_ashrrev_i32_e32 v3, 24, v3
	v_bfe_i32 v50, v10, 16, 8
	v_ashrrev_i32_e32 v10, 24, v10
	v_bfe_i32 v31, v4, 0, 8
	v_bfe_i32 v32, v4, 8, 8
	;; [unrolled: 1-line block ×5, first 2 shown]
	v_ashrrev_i32_e32 v4, 24, v4
	v_bfe_i32 v53, v11, 16, 8
	v_ashrrev_i32_e32 v11, 24, v11
	v_mul_i32_i24_e32 v82, v158, v31
	v_bfe_i32 v35, v5, 8, 8
	s_wait_dscnt 0x1
	v_bfe_i32 v54, v12, 0, 8
	v_bfe_i32 v55, v12, 8, 8
	v_bfe_i32 v36, v5, 16, 8
	v_ashrrev_i32_e32 v5, 24, v5
	v_bfe_i32 v56, v12, 16, 8
	v_ashrrev_i32_e32 v12, 24, v12
	v_mul_i32_i24_e32 v97, v157, v35
	v_bfe_i32 v57, v13, 0, 8
	v_bfe_i32 v58, v13, 8, 8
	v_mul_i32_i24_e32 v98, v246, v36
	v_bfe_i32 v59, v13, 16, 8
	v_ashrrev_i32_e32 v13, 24, v13
	v_bfe_i32 v40, v7, 0, 8
	v_bfe_i32 v60, v14, 0, 8
	;; [unrolled: 1-line block ×3, first 2 shown]
	v_mul_i32_i24_e32 v109, v156, v39
	v_bfe_i32 v42, v7, 16, 8
	v_ashrrev_i32_e32 v7, 24, v7
	v_bfe_i32 v62, v14, 16, 8
	v_ashrrev_i32_e32 v14, 24, v14
	v_mul_i32_i24_e32 v114, v159, v40
	v_bfe_i32 v63, v15, 0, 8
	v_bfe_i32 v64, v15, 8, 8
	;; [unrolled: 1-line block ×3, first 2 shown]
	v_ashrrev_i32_e32 v15, 24, v15
	s_clause 0x2
	scratch_load_b32 v227, off, off offset:516
	scratch_load_b32 v157, off, off offset:936
	;; [unrolled: 1-line block ×3, first 2 shown]
	v_mul_i32_i24_e32 v126, v173, v65
	v_mul_i32_i24_e32 v127, v140, v15
	s_clause 0x7
	scratch_load_b32 v226, off, off offset:496
	scratch_load_b32 v212, off, off offset:528
	scratch_load_b32 v158, off, off offset:940
	scratch_load_b32 v213, off, off offset:492
	scratch_load_b32 v246, off, off offset:536
	scratch_load_b32 v131, off, off offset:544
	scratch_load_b32 v156, off, off offset:556
	scratch_load_b32 v159, off, off offset:216
	s_wait_loadcnt 0x1b
	v_mul_i32_i24_e32 v78, v78, v28
	s_wait_loadcnt 0x1a
	v_mul_i32_i24_e32 v79, v79, v29
	;; [unrolled: 2-line block ×11, first 2 shown]
	s_delay_alu instid0(VALU_DEP_1)
	v_add3_u32 v66, v66, v71, v72
	scratch_load_b32 v71, off, off offset:1212 ; 4-byte Folded Reload
	s_wait_loadcnt 0x11
	v_mul_i32_i24_e32 v76, v208, v27
	s_wait_loadcnt 0x10
	v_mul_i32_i24_e32 v77, v210, v2
	s_delay_alu instid0(VALU_DEP_1)
	v_add3_u32 v66, v66, v76, v77
	v_mul_i32_i24_e32 v76, v164, v48
	v_mul_i32_i24_e32 v77, v163, v49
	s_wait_loadcnt 0xf
	v_mul_i32_i24_e32 v99, v134, v5
	scratch_load_b32 v163, off, off offset:224 ; 4-byte Folded Reload
	v_add3_u32 v66, v66, v78, v79
	v_mul_i32_i24_e32 v78, v162, v50
	v_mul_i32_i24_e32 v79, v161, v10
	s_wait_loadcnt 0xe
	v_mul_i32_i24_e32 v123, v135, v7
	s_wait_loadcnt 0xd
	v_mul_i32_i24_e32 v122, v73, v42
	v_add3_u32 v66, v66, v80, v81
	v_mul_i32_i24_e32 v80, v236, v51
	v_mul_i32_i24_e32 v81, v235, v52
	s_clause 0x1
	scratch_load_b32 v236, off, off offset:512
	scratch_load_b32 v235, off, off offset:508
	v_add3_u32 v66, v66, v82, v92
	v_mul_i32_i24_e32 v82, v234, v53
	v_mul_i32_i24_e32 v92, v233, v11
	s_clause 0x1
	scratch_load_b32 v233, off, off offset:520
	scratch_load_b32 v234, off, off offset:504
	;; [unrolled: 6-line block ×8, first 2 shown]
	v_add3_u32 v66, v66, v122, v123
	v_mul_i32_i24_e32 v122, v175, v63
	v_mul_i32_i24_e32 v123, v174, v64
	scratch_load_b32 v145, off, off offset:164 ; 4-byte Folded Reload
	v_mov_b32_e32 v174, v134
	v_mul_lo_u32 v66, v66, v67
	s_wait_dscnt 0x0
	v_fma_mix_f32 v67, v228, v0, 0 op_sel:[0,1,0] op_sel_hi:[0,1,0]
	scratch_load_b32 v228, off, off offset:500 ; 4-byte Folded Reload
	v_fma_mix_f32 v67, v120, v1, v67 op_sel:[0,1,0] op_sel_hi:[0,1,0]
	scratch_load_b32 v120, off, off offset:948 ; 4-byte Folded Reload
	v_cvt_f32_i32_e32 v66, v66
	v_mul_f32_e32 v67, v67, v121
	scratch_load_b32 v121, off, off offset:952 ; 4-byte Folded Reload
	v_fma_mix_f32 v66, v0, v66, 0 op_sel_hi:[1,0,0]
	s_wait_loadcnt 0x15
	v_mad_i32_i24 v68, v71, v43, v68
	scratch_load_b32 v71, off, off offset:1208 ; 4-byte Folded Reload
	v_add3_u32 v68, v68, v69, v70
	v_mul_i32_i24_e32 v70, v93, v46
	scratch_load_b32 v93, off, off offset:1244 ; 4-byte Folded Reload
	v_mul_i32_i24_e32 v69, v160, v45
	scratch_load_b32 v160, off, off offset:212 ; 4-byte Folded Reload
	v_add3_u32 v68, v68, v69, v70
	v_mul_i32_i24_e32 v69, v23, v239
	v_mul_i32_i24_e32 v70, v24, v240
	s_clause 0x1
	scratch_load_b32 v239, off, off offset:1228
	scratch_load_b32 v240, off, off offset:1232
	s_wait_loadcnt 0x4
	v_mul_i32_i24_e32 v71, v71, v47
	s_wait_loadcnt 0x3
	v_mul_i32_i24_e32 v72, v93, v9
	s_delay_alu instid0(VALU_DEP_1)
	v_add3_u32 v68, v68, v71, v72
	v_mul_i32_i24_e32 v71, v25, v241
	v_mul_i32_i24_e32 v72, v26, v242
	s_clause 0x1
	scratch_load_b32 v241, off, off offset:920
	scratch_load_b32 v242, off, off offset:924
	v_add3_u32 v68, v68, v76, v77
	v_mul_i32_i24_e32 v76, v27, v243
	v_mul_i32_i24_e32 v77, v2, v244
	s_clause 0x1
	scratch_load_b32 v244, off, off offset:268
	scratch_load_b32 v243, off, off offset:816
	;; [unrolled: 6-line block ×4, first 2 shown]
	v_add3_u32 v68, v68, v82, v92
	v_mul_i32_i24_e32 v82, v31, v177
	v_mul_i32_i24_e32 v92, v32, v178
	s_delay_alu instid0(VALU_DEP_3) | instskip(SKIP_2) | instid1(VALU_DEP_3)
	v_add3_u32 v68, v68, v94, v95
	v_mul_i32_i24_e32 v94, v33, v179
	v_mul_i32_i24_e32 v95, v4, v180
	v_add3_u32 v68, v68, v96, v97
	v_mul_i32_i24_e32 v97, v35, v102
	s_delay_alu instid0(VALU_DEP_2)
	v_add3_u32 v68, v68, v98, v99
	v_mul_i32_i24_e32 v98, v36, v125
	v_mul_i32_i24_e32 v99, v5, v104
	scratch_load_b32 v125, off, off offset:960 ; 4-byte Folded Reload
	v_add3_u32 v68, v68, v100, v101
	v_mul_i32_i24_e32 v100, v37, v128
	v_mul_i32_i24_e32 v101, v38, v219
	s_clause 0x1
	scratch_load_b32 v219, off, off offset:252
	scratch_load_b32 v128, off, off offset:964
	v_add3_u32 v68, v68, v109, v112
	v_mul_i32_i24_e32 v109, v39, v103
	v_mul_i32_i24_e32 v112, v6, v105
	s_delay_alu instid0(VALU_DEP_3) | instskip(SKIP_2) | instid1(VALU_DEP_3)
	v_add3_u32 v68, v68, v114, v115
	v_mul_i32_i24_e32 v114, v40, v106
	v_mul_i32_i24_e32 v115, v41, v107
	v_add3_u32 v68, v68, v122, v123
	v_mul_i32_i24_e32 v122, v42, v136
	v_mul_i32_i24_e32 v123, v7, v108
	s_delay_alu instid0(VALU_DEP_3) | instskip(SKIP_2) | instid1(VALU_DEP_3)
	v_add3_u32 v68, v68, v126, v127
	v_mul_i32_i24_e32 v126, v65, v111
	v_mul_i32_i24_e32 v127, v15, v116
	v_mul_lo_u32 v68, v68, v119
	scratch_load_b32 v119, off, off offset:488 ; 4-byte Folded Reload
	v_cvt_f32_i32_e32 v68, v68
	s_delay_alu instid0(VALU_DEP_1)
	v_fma_mix_f32 v66, v1, v68, v66 op_sel_hi:[1,0,0]
	v_mul_i32_i24_e32 v68, v20, v223
	scratch_load_b32 v223, off, off offset:776 ; 4-byte Folded Reload
	v_fma_f32 v66, v66, v176, -v67
	s_clause 0x1
	scratch_load_b32 v67, off, off offset:748
	scratch_load_b32 v176, off, off offset:264
	s_wait_loadcnt 0x1
	v_add_f32_e32 v67, v67, v66
	v_mul_i32_i24_e32 v66, v17, v220
	scratch_load_b32 v220, off, off offset:256 ; 4-byte Folded Reload
	scratch_store_b32 off, v67, off offset:748 ; 4-byte Folded Spill
	v_mul_i32_i24_e32 v67, v19, v221
	v_mad_i32_i24 v66, v18, v222, v66
	s_clause 0x1
	scratch_load_b32 v221, off, off offset:668
	scratch_load_b32 v222, off, off offset:672
	v_add3_u32 v66, v66, v67, v68
	v_mul_i32_i24_e32 v67, v21, v224
	v_mul_i32_i24_e32 v68, v22, v225
	s_clause 0x1
	scratch_load_b32 v224, off, off offset:780
	scratch_load_b32 v225, off, off offset:784
	v_add3_u32 v66, v66, v67, v68
	v_mul_i32_i24_e32 v68, v16, v182
	v_fma_mix_f32 v67, v129, v0, 0 op_sel:[0,1,0] op_sel_hi:[0,1,0]
	scratch_load_b32 v129, off, off offset:540 ; 4-byte Folded Reload
	v_add3_u32 v66, v66, v69, v70
	v_mul_i32_i24_e32 v69, v44, v91
	v_mul_i32_i24_e32 v70, v8, v184
	v_mad_i32_i24 v68, v43, v183, v68
	v_fma_mix_f32 v67, v83, v1, v67 op_sel:[0,1,0] op_sel_hi:[0,1,0]
	v_add3_u32 v66, v66, v71, v72
	v_mul_i32_i24_e32 v71, v47, v137
	v_mul_i32_i24_e32 v72, v9, v90
	v_add3_u32 v68, v68, v69, v70
	v_mul_i32_i24_e32 v69, v45, v89
	v_mul_i32_i24_e32 v70, v46, v185
	;; [unrolled: 3-line block ×3, first 2 shown]
	v_mul_f32_e32 v67, v67, v117
	v_add3_u32 v68, v68, v69, v70
	v_add3_u32 v66, v66, v78, v79
	v_mul_i32_i24_e32 v78, v50, v186
	v_mul_i32_i24_e32 v79, v10, v187
	v_mul_i32_i24_e32 v96, v34, v124
	v_add3_u32 v68, v68, v71, v72
	v_add3_u32 v66, v66, v80, v81
	v_mul_i32_i24_e32 v80, v51, v188
	v_mul_i32_i24_e32 v81, v52, v190
	v_mul_i32_i24_e32 v71, v25, v252
	;; [unrolled: 5-line block ×4, first 2 shown]
	v_add3_u32 v68, v68, v80, v81
	v_add3_u32 v66, v66, v96, v97
	v_mul_i32_i24_e32 v96, v56, v193
	v_mul_i32_i24_e32 v97, v12, v195
	scratch_load_b32 v218, off, off offset:248 ; 4-byte Folded Reload
	v_add3_u32 v68, v68, v82, v92
	v_add3_u32 v66, v66, v98, v99
	v_mul_i32_i24_e32 v98, v57, v196
	v_mul_i32_i24_e32 v99, v58, v232
	v_mul_i32_i24_e32 v82, v31, v231
	v_add3_u32 v68, v68, v94, v95
	v_add3_u32 v66, v66, v100, v101
	v_mul_i32_i24_e32 v100, v59, v197
	v_mul_i32_i24_e32 v101, v13, v75
	v_mul_i32_i24_e32 v72, v26, v253
	;; [unrolled: 5-line block ×5, first 2 shown]
	v_add3_u32 v68, v68, v109, v112
	v_mul_lo_u32 v66, v66, v181
	v_mul_i32_i24_e32 v80, v30, v229
	v_mul_i32_i24_e32 v95, v4, v219
	;; [unrolled: 1-line block ×3, first 2 shown]
	v_add3_u32 v68, v68, v114, v115
	scratch_load_b32 v124, off, off offset:956 ; 4-byte Folded Reload
	v_mul_i32_i24_e32 v81, v3, v230
	v_mul_i32_i24_e32 v92, v32, v74
	v_cvt_f32_i32_e32 v66, v66
	v_add3_u32 v68, v68, v122, v123
	v_mul_i32_i24_e32 v99, v5, v223
	v_mul_i32_i24_e32 v2, v2, v235
	scratch_load_b32 v253, off, off offset:820 ; 4-byte Folded Reload
	v_fma_mix_f32 v66, v0, v66, 0 op_sel_hi:[1,0,0]
	v_add3_u32 v68, v68, v126, v127
	scratch_load_b32 v255, off, off offset:916 ; 4-byte Folded Reload
	v_mul_i32_i24_e32 v109, v39, v149
	v_mul_i32_i24_e32 v112, v6, v154
	scratch_load_b32 v254, off, off offset:824 ; 4-byte Folded Reload
	v_mul_lo_u32 v68, v68, v84
	v_mul_i32_i24_e32 v3, v3, v246
	s_wait_loadcnt 0xb
	v_mul_i32_i24_e32 v114, v40, v176
	v_mul_i32_i24_e32 v115, v41, v214
	;; [unrolled: 1-line block ×3, first 2 shown]
	scratch_load_b32 v153, off, off offset:88 ; 4-byte Folded Reload
	v_mul_i32_i24_e32 v122, v42, v198
	v_mul_i32_i24_e32 v123, v7, v202
	v_cvt_f32_i32_e32 v68, v68
	scratch_load_b32 v250, off, off offset:204 ; 4-byte Folded Reload
	v_mul_i32_i24_e32 v6, v6, v247
	v_mul_i32_i24_e32 v7, v7, v161
	scratch_load_b32 v252, off, off offset:208 ; 4-byte Folded Reload
	v_fma_mix_f32 v66, v1, v68, v66 op_sel_hi:[1,0,0]
	v_mul_i32_i24_e32 v68, v20, v170
	v_mul_i32_i24_e32 v20, v20, v233
	s_clause 0x1
	scratch_load_b32 v165, off, off offset:980
	scratch_load_b32 v166, off, off offset:984
	v_fma_f32 v66, v66, v118, -v67
	s_clause 0x4
	scratch_load_b32 v67, off, off offset:744
	scratch_load_b32 v229, off, off offset:1000
	;; [unrolled: 1-line block ×5, first 2 shown]
	v_dual_mov_b32 v196, v93 :: v_dual_mov_b32 v181, v135
	s_wait_loadcnt 0x14
	v_mul_i32_i24_e32 v96, v34, v220
	s_wait_loadcnt 0x13
	v_mul_i32_i24_e32 v97, v35, v221
	;; [unrolled: 2-line block ×8, first 2 shown]
	s_wait_loadcnt 0x4
	v_add_f32_e32 v67, v67, v66
	v_mul_i32_i24_e32 v66, v17, v167
	v_mul_i32_i24_e32 v17, v17, v119
	scratch_load_b32 v167, off, off offset:988 ; 4-byte Folded Reload
	scratch_store_b32 off, v67, off offset:744 ; 4-byte Folded Spill
	v_mul_i32_i24_e32 v67, v19, v168
	v_mad_i32_i24 v66, v18, v169, v66
	v_mul_i32_i24_e32 v19, v19, v227
	v_mad_i32_i24 v17, v18, v157, v17
	v_mul_i32_i24_e32 v18, v21, v158
	scratch_load_b32 v168, off, off offset:992 ; 4-byte Folded Reload
	v_add3_u32 v66, v66, v67, v68
	v_mul_i32_i24_e32 v68, v22, v172
	v_add3_u32 v17, v17, v19, v20
	v_mul_i32_i24_e32 v19, v22, v211
	v_mul_i32_i24_e32 v22, v25, v226
	;; [unrolled: 1-line block ×3, first 2 shown]
	scratch_load_b32 v28, off, off offset:120 ; 4-byte Folded Reload
	v_mul_i32_i24_e32 v67, v21, v171
	v_mul_i32_i24_e32 v20, v23, v212
	;; [unrolled: 1-line block ×4, first 2 shown]
	scratch_load_b32 v29, off, off offset:124 ; 4-byte Folded Reload
	v_add3_u32 v66, v66, v67, v68
	v_mul_i32_i24_e32 v21, v24, v213
	v_mul_i32_i24_e32 v24, v27, v234
	;; [unrolled: 1-line block ×3, first 2 shown]
	scratch_load_b32 v30, off, off offset:128 ; 4-byte Folded Reload
	v_add3_u32 v66, v66, v69, v70
	v_add3_u32 v17, v17, v18, v19
	v_mul_i32_i24_e32 v68, v16, v241
	v_mul_i32_i24_e32 v69, v44, v242
	;; [unrolled: 1-line block ×3, first 2 shown]
	v_add3_u32 v66, v66, v71, v72
	v_add3_u32 v17, v17, v20, v21
	v_mad_i32_i24 v68, v43, v243, v68
	v_mul_i32_i24_e32 v71, v47, v201
	v_mul_i32_i24_e32 v72, v9, v203
	v_add3_u32 v66, v66, v76, v77
	v_add3_u32 v17, v17, v22, v23
	;; [unrolled: 1-line block ×3, first 2 shown]
	v_mul_i32_i24_e32 v69, v45, v199
	v_mul_i32_i24_e32 v70, v46, v200
	v_add3_u32 v66, v66, v78, v79
	v_add3_u32 v2, v17, v24, v2
	v_mul_i32_i24_e32 v79, v10, v215
	scratch_load_b32 v215, off, off offset:928 ; 4-byte Folded Reload
	v_add3_u32 v68, v68, v69, v70
	v_add3_u32 v66, v66, v80, v81
	;; [unrolled: 1-line block ×3, first 2 shown]
	v_mul_i32_i24_e32 v76, v48, v204
	v_mul_i32_i24_e32 v77, v49, v205
	v_add3_u32 v68, v68, v71, v72
	v_add3_u32 v66, v66, v82, v92
	;; [unrolled: 1-line block ×3, first 2 shown]
	scratch_load_b32 v3, off, off offset:116 ; 4-byte Folded Reload
	v_mul_i32_i24_e32 v78, v50, v209
	v_add3_u32 v68, v68, v76, v77
	v_add3_u32 v66, v66, v94, v95
	v_mul_i32_i24_e32 v94, v54, v216
	v_mul_i32_i24_e32 v95, v55, v217
	s_clause 0x1
	scratch_load_b32 v216, off, off offset:932
	scratch_load_b32 v217, off, off offset:1236
	v_add3_u32 v66, v66, v96, v97
	v_mul_i32_i24_e32 v80, v51, v253
	v_mul_i32_i24_e32 v81, v52, v255
	v_add3_u32 v68, v68, v78, v79
	v_mul_i32_i24_e32 v82, v53, v254
	v_add3_u32 v66, v66, v98, v99
	v_fma_mix_f32 v67, v240, v0, 0 op_sel:[0,1,0] op_sel_hi:[0,1,0]
	v_mul_i32_i24_e32 v98, v57, v130
	v_add3_u32 v68, v68, v80, v81
	v_mul_i32_i24_e32 v99, v58, v73
	v_add3_u32 v66, v66, v100, v101
	scratch_load_b32 v19, off, off offset:452 ; 4-byte Folded Reload
	v_mul_i32_i24_e32 v100, v59, v132
	v_mul_i32_i24_e32 v101, v13, v133
	s_clause 0x1
	scratch_load_b32 v22, off, off offset:456
	scratch_load_b32 v23, off, off offset:460
	v_add3_u32 v66, v66, v109, v112
	v_mul_i32_i24_e32 v109, v60, v148
	scratch_load_b32 v148, off, off offset:968 ; 4-byte Folded Reload
	v_mul_i32_i24_e32 v112, v61, v152
	scratch_load_b32 v152, off, off offset:84 ; 4-byte Folded Reload
	v_add3_u32 v66, v66, v114, v115
	v_mul_i32_i24_e32 v114, v62, v151
	s_clause 0x2
	scratch_load_b32 v151, off, off offset:80
	scratch_load_b32 v169, off, off offset:996
	;; [unrolled: 1-line block ×3, first 2 shown]
	v_add3_u32 v66, v66, v122, v123
	v_mul_i32_i24_e32 v123, v64, v155
	s_clause 0x2
	scratch_load_b32 v155, off, off offset:548
	scratch_load_b32 v171, off, off offset:1004
	;; [unrolled: 1-line block ×3, first 2 shown]
	v_mul_lo_u32 v66, v66, v239
	v_mul_i32_i24_e32 v10, v10, v163
	v_mul_i32_i24_e32 v17, v51, v164
	;; [unrolled: 1-line block ×3, first 2 shown]
	s_wait_loadcnt 0x17
	v_mul_i32_i24_e32 v24, v58, v229
	s_wait_loadcnt 0x16
	v_mul_i32_i24_e32 v25, v59, v170
	v_fma_mix_f32 v67, v146, v1, v67 op_sel:[0,1,0] op_sel_hi:[0,1,0]
	v_cvt_f32_i32_e32 v66, v66
	s_delay_alu instid0(VALU_DEP_2) | instskip(NEXT) | instid1(VALU_DEP_2)
	v_mul_f32_e32 v67, v67, v145
	v_fma_mix_f32 v66, v0, v66, 0 op_sel_hi:[1,0,0]
	s_wait_loadcnt 0x13
	v_mul_i32_i24_e32 v20, v54, v167
	s_wait_loadcnt 0x12
	v_mul_i32_i24_e32 v21, v55, v168
	;; [unrolled: 2-line block ×3, first 2 shown]
	scratch_load_b32 v31, off, off offset:132 ; 4-byte Folded Reload
	s_wait_loadcnt 0x11
	v_mul_i32_i24_e32 v29, v32, v29
	v_mul_i32_i24_e32 v32, v35, v120
	;; [unrolled: 1-line block ×4, first 2 shown]
	s_wait_loadcnt 0x10
	v_mul_i32_i24_e32 v30, v33, v30
	v_add3_u32 v2, v2, v28, v29
	v_mul_i32_i24_e32 v33, v36, v121
	v_mul_i32_i24_e32 v36, v39, v131
	;; [unrolled: 1-line block ×3, first 2 shown]
	scratch_load_b32 v28, off, off offset:468 ; 4-byte Folded Reload
	v_mul_i32_i24_e32 v29, v63, v232
	s_wait_loadcnt 0x10
	v_mul_i32_i24_e32 v92, v11, v215
	v_mul_i32_i24_e32 v11, v11, v166
	s_delay_alu instid0(VALU_DEP_2) | instskip(NEXT) | instid1(VALU_DEP_1)
	v_add3_u32 v68, v68, v82, v92
	v_add3_u32 v68, v68, v94, v95
	s_wait_loadcnt 0xe
	v_mul_i32_i24_e32 v96, v56, v216
	s_wait_loadcnt 0xd
	v_mul_i32_i24_e32 v97, v12, v217
	s_delay_alu instid0(VALU_DEP_1) | instskip(NEXT) | instid1(VALU_DEP_1)
	v_add3_u32 v68, v68, v96, v97
	v_add3_u32 v68, v68, v98, v99
	s_wait_loadcnt 0xc
	v_mul_i32_i24_e32 v19, v53, v19
	s_delay_alu instid0(VALU_DEP_2)
	v_add3_u32 v68, v68, v100, v101
	s_wait_loadcnt 0xb
	v_mul_i32_i24_e32 v22, v56, v22
	s_wait_loadcnt 0xa
	v_mul_i32_i24_e32 v12, v12, v23
	v_add3_u32 v68, v68, v109, v112
	s_wait_loadcnt 0x8
	v_mul_i32_i24_e32 v122, v63, v152
	s_wait_loadcnt 0x7
	v_mul_i32_i24_e32 v115, v14, v151
	;; [unrolled: 2-line block ×4, first 2 shown]
	v_mul_i32_i24_e32 v14, v14, v231
	v_add3_u32 v68, v68, v114, v115
	s_wait_loadcnt 0x3
	v_mul_i32_i24_e32 v26, v60, v171
	s_wait_loadcnt 0x2
	v_mul_i32_i24_e32 v27, v61, v172
	v_add3_u32 v68, v68, v122, v123
	s_delay_alu instid0(VALU_DEP_1) | instskip(NEXT) | instid1(VALU_DEP_1)
	v_add3_u32 v68, v68, v126, v127
	v_mul_lo_u32 v68, v68, v144
	scratch_load_b32 v144, off, off offset:484 ; 4-byte Folded Reload
	v_cvt_f32_i32_e32 v68, v68
	s_delay_alu instid0(VALU_DEP_1)
	v_fma_mix_f32 v66, v1, v68, v66 op_sel_hi:[1,0,0]
	scratch_load_b32 v68, off, off offset:160 ; 4-byte Folded Reload
	s_wait_loadcnt 0x3
	v_mul_i32_i24_e32 v4, v4, v31
	scratch_load_b32 v31, off, off offset:136 ; 4-byte Folded Reload
	v_add3_u32 v2, v2, v30, v4
	v_mul_i32_i24_e32 v4, v44, v155
	s_wait_loadcnt 0x3
	v_mul_i32_i24_e32 v28, v62, v28
	s_wait_loadcnt 0x2
	;; [unrolled: 2-line block ×3, first 2 shown]
	v_fma_f32 v66, v66, v68, -v67
	scratch_load_b32 v67, off, off offset:740 ; 4-byte Folded Reload
	s_wait_loadcnt 0x1
	v_mul_i32_i24_e32 v31, v34, v31
	v_mul_i32_i24_e32 v34, v37, v125
	;; [unrolled: 1-line block ×3, first 2 shown]
	s_delay_alu instid0(VALU_DEP_3)
	v_add3_u32 v2, v2, v31, v32
	scratch_load_b32 v32, off, off offset:472 ; 4-byte Folded Reload
	v_mul_i32_i24_e32 v31, v65, v245
	v_add3_u32 v2, v2, v33, v5
	v_mul_i32_i24_e32 v5, v8, v156
	v_mul_i32_i24_e32 v8, v48, v159
	s_delay_alu instid0(VALU_DEP_3) | instskip(NEXT) | instid1(VALU_DEP_1)
	v_add3_u32 v2, v2, v34, v35
	v_add3_u32 v2, v2, v36, v6
	v_mul_i32_i24_e32 v6, v47, v252
	s_delay_alu instid0(VALU_DEP_2) | instskip(NEXT) | instid1(VALU_DEP_1)
	v_add3_u32 v2, v2, v37, v38
	v_add3_u32 v2, v2, v39, v7
	scratch_load_b32 v7, off, off offset:68 ; 4-byte Folded Reload
	v_mul_lo_u32 v2, v2, v129
	s_delay_alu instid0(VALU_DEP_1) | instskip(NEXT) | instid1(VALU_DEP_1)
	v_cvt_f32_i32_e32 v2, v2
	v_fma_mix_f32 v2, v0, v2, 0 op_sel_hi:[1,0,0]
	v_fma_mix_f32 v0, v3, v0, 0 op_sel:[0,1,0] op_sel_hi:[0,1,0]
	v_mul_i32_i24_e32 v3, v16, v148
	scratch_load_b32 v16, off, off offset:72 ; 4-byte Folded Reload
	v_mad_i32_i24 v3, v43, v147, v3
	s_delay_alu instid0(VALU_DEP_1) | instskip(SKIP_2) | instid1(VALU_DEP_1)
	v_add3_u32 v3, v3, v4, v5
	v_mul_i32_i24_e32 v4, v45, v250
	v_mul_i32_i24_e32 v5, v46, v160
	v_add3_u32 v3, v3, v4, v5
	scratch_load_b32 v4, off, off offset:16 ; 4-byte Folded Reload
	s_wait_loadcnt 0x4
	v_add_f32_e32 v67, v67, v66
	s_wait_loadcnt 0x3
	v_mul_i32_i24_e32 v15, v15, v32
	s_wait_loadcnt 0x2
	v_mul_i32_i24_e32 v7, v9, v7
	v_mul_i32_i24_e32 v9, v49, v162
	s_delay_alu instid0(VALU_DEP_2) | instskip(NEXT) | instid1(VALU_DEP_1)
	v_add3_u32 v3, v3, v6, v7
	v_add3_u32 v3, v3, v8, v9
	s_wait_loadcnt 0x1
	v_mul_i32_i24_e32 v16, v50, v16
	s_delay_alu instid0(VALU_DEP_1) | instskip(NEXT) | instid1(VALU_DEP_1)
	v_add3_u32 v3, v3, v16, v10
	v_add3_u32 v3, v3, v17, v18
	s_delay_alu instid0(VALU_DEP_1) | instskip(NEXT) | instid1(VALU_DEP_1)
	v_add3_u32 v3, v3, v19, v11
	v_add3_u32 v3, v3, v20, v21
	;; [unrolled: 3-line block ×5, first 2 shown]
	s_delay_alu instid0(VALU_DEP_1) | instskip(SKIP_1) | instid1(VALU_DEP_1)
	v_add3_u32 v3, v3, v31, v15
	s_wait_loadcnt 0x0
	v_mul_lo_u32 v3, v3, v4
	s_delay_alu instid0(VALU_DEP_1) | instskip(NEXT) | instid1(VALU_DEP_1)
	v_cvt_f32_i32_e32 v3, v3
	v_fma_mix_f32 v2, v1, v3, v2 op_sel_hi:[1,0,0]
	scratch_load_b32 v3, off, off offset:568 ; 4-byte Folded Reload
	s_wait_loadcnt 0x0
	v_fma_mix_f32 v0, v3, v1, v0 op_sel:[0,1,0] op_sel_hi:[0,1,0]
	scratch_load_b32 v1, off, off offset:4  ; 4-byte Folded Reload
	s_wait_loadcnt 0x0
	v_mul_f32_e32 v0, v0, v1
	scratch_load_b32 v1, off, off offset:12 ; 4-byte Folded Reload
	s_wait_loadcnt 0x0
	v_fma_f32 v0, v2, v1, -v0
	scratch_load_b32 v1, off, off offset:736 ; 4-byte Folded Reload
	s_wait_loadcnt 0x0
	v_add_f32_e32 v1, v1, v0
	scratch_load_b32 v0, off, off offset:1268 ; 4-byte Folded Reload
	s_clause 0x1
	scratch_store_b32 off, v67, off offset:740
	scratch_store_b32 off, v1, off offset:736
	s_wait_loadcnt 0x0
	v_or_b32_e32 v0, s11, v0
	s_delay_alu instid0(VALU_DEP_1)
	v_lshlrev_b32_e32 v12, 2, v0
	v_lshrrev_b32_e32 v16, 1, v0
	ds_load_b128 v[0:3], v12 offset:16896
	ds_load_b128 v[4:7], v12 offset:16912
	ds_load_b128 v[8:11], v12 offset:16928
	ds_load_b128 v[12:15], v12 offset:16944
	s_clause 0x1f
	scratch_load_b32 v66, off, off offset:388
	scratch_load_b32 v86, off, off offset:400
	;; [unrolled: 1-line block ×32, first 2 shown]
	s_clause 0x5
	scratch_load_b32 v175, off, off offset:48
	scratch_load_b32 v189, off, off offset:52
	;; [unrolled: 1-line block ×6, first 2 shown]
	s_wait_dscnt 0x3
	v_bfe_i32 v17, v0, 0, 8
	v_bfe_i32 v18, v0, 8, 8
	v_bfe_i32 v19, v0, 16, 8
	v_ashrrev_i32_e32 v20, 24, v0
	v_bfe_i32 v21, v1, 0, 8
	v_bfe_i32 v22, v1, 8, 8
	v_bfe_i32 v23, v1, 16, 8
	v_ashrrev_i32_e32 v24, 24, v1
	;; [unrolled: 4-line block ×3, first 2 shown]
	v_bfe_i32 v28, v3, 0, 8
	v_mul_i32_i24_e32 v71, v207, v25
	v_mul_i32_i24_e32 v72, v206, v26
	v_bfe_i32 v29, v3, 8, 8
	v_mul_i32_i24_e32 v76, v208, v27
	v_mul_i32_i24_e32 v77, v210, v2
	v_bfe_i32 v30, v3, 16, 8
	v_ashrrev_i32_e32 v3, 24, v3
	s_wait_dscnt 0x2
	v_bfe_i32 v31, v4, 0, 8
	v_bfe_i32 v32, v4, 8, 8
	;; [unrolled: 1-line block ×3, first 2 shown]
	v_ashrrev_i32_e32 v4, 24, v4
	v_bfe_i32 v34, v5, 0, 8
	v_bfe_i32 v35, v5, 8, 8
	s_wait_dscnt 0x0
	v_bfe_i32 v56, v12, 16, 8
	s_clause 0x18
	scratch_load_b32 v173, off, off offset:168
	scratch_load_b32 v178, off, off offset:176
	;; [unrolled: 1-line block ×25, first 2 shown]
	v_bfe_i32 v36, v5, 16, 8
	v_ashrrev_i32_e32 v5, 24, v5
	v_bfe_i32 v54, v12, 0, 8
	v_bfe_i32 v55, v12, 8, 8
	v_ashrrev_i32_e32 v12, 24, v12
	v_bfe_i32 v37, v6, 0, 8
	v_bfe_i32 v38, v6, 8, 8
	v_mul_i32_i24_e32 v99, v174, v5
	v_bfe_i32 v39, v6, 16, 8
	v_ashrrev_i32_e32 v6, 24, v6
	v_bfe_i32 v40, v7, 0, 8
	v_bfe_i32 v41, v7, 8, 8
	v_bfe_i32 v42, v7, 16, 8
	v_ashrrev_i32_e32 v7, 24, v7
	ds_load_b64 v[0:1], v16 offset:27200
	v_bfe_i32 v16, v8, 0, 8
	v_bfe_i32 v61, v14, 8, 8
	;; [unrolled: 1-line block ×4, first 2 shown]
	v_ashrrev_i32_e32 v8, 24, v8
	v_bfe_i32 v64, v15, 8, 8
	v_mul_i32_i24_e32 v123, v181, v7
	v_bfe_i32 v45, v9, 0, 8
	v_bfe_i32 v46, v9, 8, 8
	v_bfe_i32 v47, v9, 16, 8
	v_ashrrev_i32_e32 v9, 24, v9
	v_bfe_i32 v48, v10, 0, 8
	v_bfe_i32 v49, v10, 8, 8
	v_bfe_i32 v50, v10, 16, 8
	v_ashrrev_i32_e32 v10, 24, v10
	;; [unrolled: 4-line block ×4, first 2 shown]
	v_bfe_i32 v60, v14, 0, 8
	v_bfe_i32 v62, v14, 16, 8
	v_ashrrev_i32_e32 v14, 24, v14
	v_bfe_i32 v63, v15, 0, 8
	v_bfe_i32 v65, v15, 16, 8
	v_ashrrev_i32_e32 v15, 24, v15
	s_clause 0xd
	scratch_load_b32 v197, off, off offset:1100
	scratch_load_b32 v198, off, off offset:1104
	;; [unrolled: 1-line block ×14, first 2 shown]
	s_wait_loadcnt 0x3e
	v_mul_i32_i24_e32 v66, v66, v17
	v_mul_i32_i24_e32 v68, v68, v20
	;; [unrolled: 1-line block ×5, first 2 shown]
	v_mad_i32_i24 v66, v74, v18, v66
	v_mul_i32_i24_e32 v69, v75, v23
	s_delay_alu instid0(VALU_DEP_2)
	v_add3_u32 v66, v66, v67, v68
	v_mul_i32_i24_e32 v68, v83, v22
	s_wait_loadcnt 0x3c
	v_mul_i32_i24_e32 v67, v230, v21
	v_mul_i32_i24_e32 v70, v84, v24
	;; [unrolled: 1-line block ×3, first 2 shown]
	s_delay_alu instid0(VALU_DEP_3)
	v_add3_u32 v66, v66, v67, v68
	s_wait_loadcnt 0x36
	v_mul_i32_i24_e32 v78, v139, v28
	s_wait_loadcnt 0x35
	v_mul_i32_i24_e32 v92, v142, v32
	v_add3_u32 v66, v66, v69, v70
	s_wait_loadcnt 0x31
	v_mul_i32_i24_e32 v79, v138, v29
	s_wait_loadcnt 0x30
	v_mul_i32_i24_e32 v80, v137, v30
	;; [unrolled: 2-line block ×4, first 2 shown]
	v_add3_u32 v66, v66, v71, v72
	s_wait_loadcnt 0x2d
	v_mul_i32_i24_e32 v94, v141, v33
	s_wait_loadcnt 0x2c
	v_mul_i32_i24_e32 v96, v175, v34
	v_mul_i32_i24_e32 v71, v187, v47
	;; [unrolled: 1-line block ×3, first 2 shown]
	v_add3_u32 v66, v66, v76, v77
	s_wait_loadcnt 0x27
	v_mul_i32_i24_e32 v95, v140, v4
	v_mul_i32_i24_e32 v76, v205, v48
	;; [unrolled: 1-line block ×3, first 2 shown]
	v_add3_u32 v66, v66, v78, v79
	v_mul_i32_i24_e32 v78, v130, v50
	v_mul_i32_i24_e32 v79, v203, v10
	s_delay_alu instid0(VALU_DEP_3)
	v_add3_u32 v66, v66, v80, v81
	scratch_load_b32 v80, off, off offset:888 ; 4-byte Folded Reload
	v_mul_i32_i24_e32 v81, v85, v52
	v_add3_u32 v66, v66, v82, v92
	scratch_load_b32 v82, off, off offset:392 ; 4-byte Folded Reload
	v_add3_u32 v66, v66, v94, v95
	s_delay_alu instid0(VALU_DEP_1)
	v_add3_u32 v66, v66, v96, v97
	v_mul_i32_i24_e32 v96, v86, v56
	scratch_load_b32 v86, off, off offset:396 ; 4-byte Folded Reload
	s_wait_loadcnt 0x29
	v_mul_i32_i24_e32 v98, v173, v36
	s_wait_loadcnt 0x28
	v_mul_i32_i24_e32 v100, v178, v37
	;; [unrolled: 2-line block ×6, first 2 shown]
	v_add3_u32 v66, v66, v98, v99
	s_wait_loadcnt_dscnt 0x2100
	v_fma_mix_f32 v67, v118, v0, 0 op_sel:[0,1,0] op_sel_hi:[0,1,0]
	s_delay_alu instid0(VALU_DEP_2)
	v_add3_u32 v66, v66, v100, v101
	s_wait_loadcnt 0x1d
	v_mul_i32_i24_e32 v68, v113, v16
	s_wait_loadcnt 0x1c
	v_mul_i32_i24_e32 v69, v111, v44
	;; [unrolled: 2-line block ×3, first 2 shown]
	s_wait_loadcnt 0x1a
	v_fma_mix_f32 v67, v108, v1, v67 op_sel:[0,1,0] op_sel_hi:[0,1,0]
	v_add3_u32 v66, v66, v109, v112
	v_mul_i32_i24_e32 v112, v88, v61
	scratch_load_b32 v88, off, off offset:444 ; 4-byte Folded Reload
	v_mad_i32_i24 v68, v186, v43, v68
	s_wait_loadcnt 0x1a
	v_mul_i32_i24_e32 v92, v93, v11
	v_add3_u32 v66, v66, v114, v115
	s_wait_loadcnt 0x19
	v_mul_i32_i24_e32 v94, v107, v54
	s_wait_loadcnt 0x16
	v_mul_i32_i24_e32 v95, v104, v55
	v_add3_u32 v68, v68, v69, v70
	v_mul_i32_i24_e32 v69, v189, v45
	v_add3_u32 v66, v66, v122, v123
	v_mul_i32_i24_e32 v123, v105, v64
	scratch_load_b32 v105, off, off offset:436 ; 4-byte Folded Reload
	v_mul_i32_i24_e32 v70, v188, v46
	v_mul_i32_i24_e32 v99, v91, v58
	s_wait_loadcnt 0x13
	v_mul_i32_i24_e32 v100, v90, v59
	v_mul_i32_i24_e32 v101, v89, v13
	;; [unrolled: 1-line block ×3, first 2 shown]
	v_add3_u32 v68, v68, v69, v70
	scratch_load_b32 v69, off, off offset:448 ; 4-byte Folded Reload
	v_mul_i32_i24_e32 v114, v103, v62
	v_mul_i32_i24_e32 v115, v102, v14
	;; [unrolled: 1-line block ×3, first 2 shown]
	v_add3_u32 v68, v68, v71, v72
	v_mul_lo_u32 v66, v66, v185
	v_mul_f32_e32 v67, v67, v110
	s_delay_alu instid0(VALU_DEP_3) | instskip(NEXT) | instid1(VALU_DEP_3)
	v_add3_u32 v68, v68, v76, v77
	v_cvt_f32_i32_e32 v66, v66
	s_delay_alu instid0(VALU_DEP_2) | instskip(NEXT) | instid1(VALU_DEP_2)
	v_add3_u32 v68, v68, v78, v79
	v_fma_mix_f32 v66, v0, v66, 0 op_sel_hi:[1,0,0]
	s_wait_loadcnt 0x12
	v_mul_i32_i24_e32 v70, v24, v198
	s_wait_loadcnt 0x11
	v_mul_i32_i24_e32 v71, v25, v199
	;; [unrolled: 2-line block ×9, first 2 shown]
	s_delay_alu instid0(VALU_DEP_2) | instskip(SKIP_2) | instid1(VALU_DEP_3)
	v_add3_u32 v68, v68, v80, v81
	v_mul_i32_i24_e32 v80, v30, v209
	v_mul_i32_i24_e32 v81, v3, v135
	v_add3_u32 v68, v68, v82, v92
	v_mul_i32_i24_e32 v82, v31, v116
	v_mul_i32_i24_e32 v92, v32, v117
	s_wait_loadcnt 0x3
	v_mul_i32_i24_e32 v97, v86, v12
	scratch_load_b32 v86, off, off offset:424 ; 4-byte Folded Reload
	v_add3_u32 v68, v68, v94, v95
	s_clause 0x1
	scratch_load_b32 v94, off, off offset:832
	scratch_load_b32 v95, off, off offset:836
	v_add3_u32 v68, v68, v96, v97
	s_clause 0x1
	scratch_load_b32 v96, off, off offset:840
	scratch_load_b32 v97, off, off offset:1024
	s_wait_loadcnt 0x7
	v_mul_i32_i24_e32 v122, v88, v63
	s_wait_loadcnt 0x6
	v_mul_i32_i24_e32 v127, v105, v15
	;; [unrolled: 2-line block ×5, first 2 shown]
	v_add3_u32 v68, v68, v98, v99
	s_clause 0x1
	scratch_load_b32 v98, off, off offset:844
	scratch_load_b32 v99, off, off offset:360
	s_wait_loadcnt 0x3
	v_mul_i32_i24_e32 v96, v34, v96
	s_wait_loadcnt 0x2
	v_mul_i32_i24_e32 v97, v35, v97
	v_add3_u32 v68, v68, v100, v101
	s_clause 0x1
	scratch_load_b32 v100, off, off offset:848
	scratch_load_b32 v101, off, off offset:364
	v_add3_u32 v68, v68, v109, v112
	scratch_load_b32 v112, off, off offset:368 ; 4-byte Folded Reload
	v_mul_i32_i24_e32 v109, v39, v207
	v_add3_u32 v68, v68, v114, v115
	s_clause 0x1
	scratch_load_b32 v114, off, off offset:1032
	scratch_load_b32 v115, off, off offset:372
	v_add3_u32 v68, v68, v122, v123
	s_clause 0x1
	scratch_load_b32 v122, off, off offset:1216
	scratch_load_b32 v123, off, off offset:380
	;; [unrolled: 4-line block ×3, first 2 shown]
	v_mul_lo_u32 v68, v68, v69
	v_mul_i32_i24_e32 v69, v23, v197
	s_delay_alu instid0(VALU_DEP_2) | instskip(NEXT) | instid1(VALU_DEP_1)
	v_cvt_f32_i32_e32 v68, v68
	v_fma_mix_f32 v66, v1, v68, v66 op_sel_hi:[1,0,0]
	scratch_load_b32 v68, off, off offset:8 ; 4-byte Folded Reload
	s_wait_loadcnt 0xb
	v_mul_i32_i24_e32 v98, v36, v98
	s_wait_loadcnt 0xa
	v_mul_i32_i24_e32 v99, v5, v99
	;; [unrolled: 2-line block ×11, first 2 shown]
	s_wait_loadcnt 0x0
	v_fma_f32 v66, v66, v68, -v67
	scratch_load_b32 v67, off, off offset:732 ; 4-byte Folded Reload
	v_mul_i32_i24_e32 v68, v20, v193
	s_wait_loadcnt 0x0
	v_add_f32_e32 v67, v67, v66
	v_mul_i32_i24_e32 v66, v17, v190
	scratch_store_b32 off, v67, off offset:732 ; 4-byte Folded Spill
	v_mul_i32_i24_e32 v67, v19, v191
	v_mad_i32_i24 v66, v18, v192, v66
	s_delay_alu instid0(VALU_DEP_1) | instskip(SKIP_2) | instid1(VALU_DEP_1)
	v_add3_u32 v66, v66, v67, v68
	v_mul_i32_i24_e32 v67, v21, v194
	v_mul_i32_i24_e32 v68, v22, v195
	v_add3_u32 v66, v66, v67, v68
	s_clause 0x1
	scratch_load_b32 v67, off, off offset:1080
	scratch_load_b32 v68, off, off offset:300
	v_add3_u32 v66, v66, v69, v70
	s_clause 0x1
	scratch_load_b32 v69, off, off offset:1028
	scratch_load_b32 v70, off, off offset:304
	;; [unrolled: 4-line block ×14, first 2 shown]
	s_wait_loadcnt 0x1b
	v_mul_lo_u32 v66, v66, v67
	s_wait_loadcnt 0x1a
	v_mul_i32_i24_e32 v68, v16, v68
	scratch_load_b32 v67, off, off offset:92 ; 4-byte Folded Reload
	s_wait_loadcnt 0x1a
	v_mul_i32_i24_e32 v69, v44, v69
	s_wait_loadcnt 0x19
	v_mul_i32_i24_e32 v70, v8, v70
	v_cvt_f32_i32_e32 v66, v66
	s_wait_loadcnt 0x18
	v_mad_i32_i24 v68, v43, v71, v68
	scratch_load_b32 v71, off, off offset:96 ; 4-byte Folded Reload
	s_wait_loadcnt 0x18
	v_mul_i32_i24_e32 v72, v9, v72
	v_fma_mix_f32 v66, v0, v66, 0 op_sel_hi:[1,0,0]
	v_add3_u32 v68, v68, v69, v70
	s_clause 0x1
	scratch_load_b32 v69, off, off offset:376
	scratch_load_b32 v70, off, off offset:308
	s_wait_loadcnt 0x19
	v_mul_i32_i24_e32 v76, v48, v76
	s_wait_loadcnt 0x18
	v_mul_i32_i24_e32 v77, v49, v77
	;; [unrolled: 2-line block ×22, first 2 shown]
	s_wait_loadcnt 0x3
	v_fma_mix_f32 v67, v67, v0, 0 op_sel:[0,1,0] op_sel_hi:[0,1,0]
	s_wait_loadcnt 0x2
	v_mul_i32_i24_e32 v71, v47, v71
	s_wait_loadcnt 0x1
	v_mul_i32_i24_e32 v69, v45, v69
	;; [unrolled: 2-line block ×3, first 2 shown]
	s_delay_alu instid0(VALU_DEP_1)
	v_add3_u32 v68, v68, v69, v70
	s_clause 0x1
	scratch_load_b32 v69, off, off offset:1072
	scratch_load_b32 v70, off, off offset:620
	v_add3_u32 v68, v68, v71, v72
	s_clause 0x1
	scratch_load_b32 v71, off, off offset:624
	scratch_load_b32 v72, off, off offset:628
	v_add3_u32 v68, v68, v76, v77
	scratch_load_b32 v76, off, off offset:632 ; 4-byte Folded Reload
	v_mul_i32_i24_e32 v77, v2, v208
	v_mul_i32_i24_e32 v2, v2, v235
	v_add3_u32 v68, v68, v78, v79
	v_mul_i32_i24_e32 v78, v28, v210
	scratch_load_b32 v79, off, off offset:140 ; 4-byte Folded Reload
	v_add3_u32 v68, v68, v80, v81
	s_clause 0x1
	scratch_load_b32 v80, off, off offset:144
	scratch_load_b32 v81, off, off offset:148
	v_add3_u32 v68, v68, v82, v92
	s_clause 0x1
	scratch_load_b32 v82, off, off offset:152
	scratch_load_b32 v92, off, off offset:156
	v_add3_u32 v68, v68, v94, v95
	v_mul_i32_i24_e32 v95, v4, v219
	scratch_load_b32 v219, off, off offset:276 ; 4-byte Folded Reload
	v_mul_i32_i24_e32 v94, v33, v218
	scratch_load_b32 v218, off, off offset:1168 ; 4-byte Folded Reload
	v_add3_u32 v68, v68, v96, v97
	v_mul_i32_i24_e32 v96, v34, v220
	v_mul_i32_i24_e32 v97, v35, v221
	s_clause 0x1
	scratch_load_b32 v220, off, off offset:1172
	scratch_load_b32 v221, off, off offset:1176
	v_add3_u32 v68, v68, v98, v99
	v_mul_i32_i24_e32 v99, v5, v223
	v_mul_i32_i24_e32 v5, v5, v124
	;; [unrolled: 1-line block ×3, first 2 shown]
	scratch_load_b32 v222, off, off offset:1180 ; 4-byte Folded Reload
	v_add3_u32 v68, v68, v100, v101
	v_mul_i32_i24_e32 v100, v37, v224
	v_mul_i32_i24_e32 v101, v38, v225
	s_clause 0x1
	scratch_load_b32 v225, off, off offset:1224 th:TH_LOAD_LU
	scratch_load_b32 v223, off, off offset:1184
	v_add3_u32 v68, v68, v109, v112
	v_mul_i32_i24_e32 v109, v39, v149
	scratch_load_b32 v149, off, off offset:272 ; 4-byte Folded Reload
	v_mul_i32_i24_e32 v112, v6, v154
	v_mul_i32_i24_e32 v6, v6, v247
	v_add3_u32 v68, v68, v114, v115
	v_mul_i32_i24_e32 v115, v41, v214
	s_clause 0x2
	scratch_load_b32 v214, off, off offset:1164
	scratch_load_b32 v224, off, off offset:1188
	;; [unrolled: 1-line block ×3, first 2 shown]
	v_add3_u32 v68, v68, v122, v123
	v_mov_b32_e32 v247, v168
	v_mul_i32_i24_e32 v114, v40, v176
	scratch_load_b32 v176, off, off offset:1196 ; 4-byte Folded Reload
	v_add3_u32 v68, v68, v126, v127
	v_mul_i32_i24_e32 v127, v15, v153
	scratch_load_b32 v153, off, off offset:160 ; 4-byte Folded Reload
	s_wait_loadcnt 0x16
	v_mul_lo_u32 v68, v68, v69
	scratch_load_b32 v69, off, off offset:604 ; 4-byte Folded Reload
	s_wait_loadcnt 0x16
	v_mul_i32_i24_e32 v70, v24, v70
	s_wait_loadcnt 0x15
	v_mul_i32_i24_e32 v71, v25, v71
	;; [unrolled: 2-line block ×3, first 2 shown]
	v_cvt_f32_i32_e32 v68, v68
	s_wait_loadcnt 0x13
	v_mul_i32_i24_e32 v76, v27, v76
	s_delay_alu instid0(VALU_DEP_2)
	v_fma_mix_f32 v66, v1, v68, v66 op_sel_hi:[1,0,0]
	scratch_load_b32 v68, off, off offset:1076 ; 4-byte Folded Reload
	s_wait_loadcnt 0x13
	v_mul_i32_i24_e32 v79, v29, v79
	s_wait_loadcnt 0x12
	v_mul_i32_i24_e32 v80, v30, v80
	;; [unrolled: 2-line block ×3, first 2 shown]
	v_mul_i32_i24_e32 v3, v3, v246
	s_wait_loadcnt 0x10
	v_mul_i32_i24_e32 v82, v31, v82
	s_wait_loadcnt 0xf
	;; [unrolled: 2-line block ×3, first 2 shown]
	v_mul_i32_i24_e32 v123, v7, v219
	v_mul_i32_i24_e32 v7, v7, v161
	s_wait_loadcnt 0x7
	v_mul_i32_i24_e32 v122, v42, v149
	s_wait_loadcnt 0x0
	v_fma_mix_f32 v67, v68, v1, v67 op_sel:[0,1,0] op_sel_hi:[0,1,0]
	scratch_load_b32 v68, off, off offset:652 ; 4-byte Folded Reload
	s_wait_loadcnt 0x0
	v_mul_f32_e32 v67, v67, v68
	scratch_load_b32 v68, off, off offset:644 ; 4-byte Folded Reload
	s_wait_loadcnt 0x0
	v_fma_f32 v66, v66, v68, -v67
	s_clause 0x1
	scratch_load_b32 v67, off, off offset:728
	scratch_load_b32 v68, off, off offset:608
	s_wait_loadcnt 0x1
	v_add_f32_e32 v67, v67, v66
	v_mul_i32_i24_e32 v66, v17, v206
	s_wait_loadcnt 0x0
	v_mul_i32_i24_e32 v68, v20, v68
	v_mul_i32_i24_e32 v17, v17, v119
	;; [unrolled: 1-line block ×3, first 2 shown]
	scratch_store_b32 off, v67, off offset:728 ; 4-byte Folded Spill
	scratch_load_b32 v67, off, off offset:600 ; 4-byte Folded Reload
	v_mad_i32_i24 v66, v18, v69, v66
	v_mad_i32_i24 v17, v18, v157, v17
	scratch_load_b32 v69, off, off offset:616 ; 4-byte Folded Reload
	v_mul_i32_i24_e32 v18, v21, v158
	s_wait_loadcnt 0x1
	v_mul_i32_i24_e32 v67, v19, v67
	v_mul_i32_i24_e32 v19, v19, v227
	s_wait_loadcnt 0x0
	v_mul_i32_i24_e32 v69, v23, v69
	s_delay_alu instid0(VALU_DEP_3)
	v_add3_u32 v66, v66, v67, v68
	s_clause 0x1
	scratch_load_b32 v67, off, off offset:640
	scratch_load_b32 v68, off, off offset:612
	v_add3_u32 v17, v17, v19, v20
	v_mul_i32_i24_e32 v19, v22, v211
	v_mul_i32_i24_e32 v20, v23, v212
	;; [unrolled: 1-line block ×4, first 2 shown]
	s_delay_alu instid0(VALU_DEP_4)
	v_add3_u32 v17, v17, v18, v19
	v_mul_i32_i24_e32 v18, v52, v165
	s_wait_loadcnt 0x1
	v_mul_i32_i24_e32 v67, v21, v67
	s_wait_loadcnt 0x0
	v_mul_i32_i24_e32 v68, v22, v68
	v_mul_i32_i24_e32 v22, v25, v226
	;; [unrolled: 1-line block ×5, first 2 shown]
	v_add3_u32 v66, v66, v67, v68
	v_fma_mix_f32 v67, v240, v0, 0 op_sel:[0,1,0] op_sel_hi:[0,1,0]
	v_mul_i32_i24_e32 v27, v30, v238
	scratch_load_b32 v30, off, off offset:128 ; 4-byte Folded Reload
	v_add3_u32 v17, v17, v20, v21
	v_add3_u32 v66, v66, v69, v70
	v_fma_mix_f32 v67, v146, v1, v67 op_sel:[0,1,0] op_sel_hi:[0,1,0]
	scratch_load_b32 v146, off, off offset:124 ; 4-byte Folded Reload
	v_mul_i32_i24_e32 v70, v8, v244
	v_add3_u32 v17, v17, v22, v23
	v_add3_u32 v66, v66, v71, v72
	v_mul_f32_e32 v67, v67, v145
	scratch_load_b32 v145, off, off offset:120 ; 4-byte Folded Reload
	v_mul_i32_i24_e32 v20, v54, v167
	v_add3_u32 v2, v17, v24, v2
	v_add3_u32 v66, v66, v76, v77
	v_mul_i32_i24_e32 v17, v51, v164
	v_mul_i32_i24_e32 v21, v55, v168
	scratch_load_b32 v168, off, off offset:460 ; 4-byte Folded Reload
	v_add3_u32 v2, v2, v25, v26
	v_add3_u32 v66, v66, v78, v79
	v_mul_i32_i24_e32 v24, v58, v229
	s_clause 0x1
	scratch_load_b32 v229, off, off offset:464
	scratch_load_b32 v240, off, off offset:1204
	v_add3_u32 v2, v2, v27, v3
	v_add3_u32 v66, v66, v80, v81
	v_mul_i32_i24_e32 v81, v52, v255
	scratch_load_b32 v255, off, off offset:1160 ; 4-byte Folded Reload
	v_mul_i32_i24_e32 v26, v60, v171
	scratch_load_b32 v171, off, off offset:468 ; 4-byte Folded Reload
	v_add3_u32 v66, v66, v82, v92
	v_mul_i32_i24_e32 v82, v53, v254
	v_mul_i32_i24_e32 v92, v11, v215
	v_mov_b32_e32 v254, v215
	scratch_load_b32 v215, off, off offset:1084 ; 4-byte Folded Reload
	v_add3_u32 v66, v66, v94, v95
	v_mul_i32_i24_e32 v68, v16, v241
	s_clause 0x1
	scratch_load_b32 v241, off, off offset:1220
	scratch_load_b32 v244, off, off offset:16
	v_mul_i32_i24_e32 v69, v44, v242
	v_add3_u32 v66, v66, v96, v97
	v_mul_i32_i24_e32 v96, v56, v216
	scratch_load_b32 v216, off, off offset:1200 ; 4-byte Folded Reload
	v_mul_i32_i24_e32 v97, v12, v217
	scratch_load_b32 v217, off, off offset:828 ; 4-byte Folded Reload
	v_add3_u32 v66, v66, v98, v99
	v_mov_b32_e32 v242, v119
	scratch_load_b32 v119, off, off offset:116 ; 4-byte Folded Reload
	v_mul_i32_i24_e32 v3, v16, v148
	v_mad_i32_i24 v68, v43, v243, v68
	v_add3_u32 v66, v66, v100, v101
	scratch_load_b32 v100, off, off offset:1020 ; 4-byte Folded Reload
	v_mul_i32_i24_e32 v71, v47, v218
	v_mad_i32_i24 v3, v43, v147, v3
	v_add3_u32 v68, v68, v69, v70
	v_add3_u32 v66, v66, v109, v112
	v_mul_i32_i24_e32 v69, v45, v225
	v_mul_i32_i24_e32 v70, v46, v214
	;; [unrolled: 1-line block ×4, first 2 shown]
	v_add3_u32 v66, v66, v114, v115
	v_mul_i32_i24_e32 v115, v14, v151
	scratch_load_b32 v151, off, off offset:288 ; 4-byte Folded Reload
	v_add3_u32 v68, v68, v69, v70
	v_mul_i32_i24_e32 v77, v49, v222
	v_add3_u32 v66, v66, v122, v123
	v_mul_i32_i24_e32 v122, v63, v152
	scratch_load_b32 v152, off, off offset:284 ; 4-byte Folded Reload
	v_add3_u32 v68, v68, v71, v72
	v_mul_i32_i24_e32 v78, v50, v223
	v_mul_lo_u32 v66, v66, v239
	scratch_load_b32 v239, off, off offset:280 ; 4-byte Folded Reload
	v_mul_i32_i24_e32 v79, v10, v224
	v_add3_u32 v68, v68, v76, v77
	v_mul_i32_i24_e32 v10, v10, v163
	v_mul_i32_i24_e32 v80, v51, v253
	;; [unrolled: 1-line block ×4, first 2 shown]
	v_add3_u32 v68, v68, v78, v79
	v_mul_i32_i24_e32 v98, v57, v176
	v_mul_i32_i24_e32 v23, v57, v169
	;; [unrolled: 1-line block ×4, first 2 shown]
	v_add3_u32 v68, v68, v80, v81
	v_mul_i32_i24_e32 v14, v14, v231
	v_cvt_f32_i32_e32 v66, v66
	scratch_load_b32 v169, off, off offset:12 ; 4-byte Folded Reload
	v_add3_u32 v68, v68, v82, v92
	v_fma_mix_f32 v66, v0, v66, 0 op_sel_hi:[1,0,0]
	s_wait_loadcnt 0x12
	v_mul_i32_i24_e32 v30, v33, v30
	v_mul_i32_i24_e32 v33, v36, v121
	;; [unrolled: 1-line block ×4, first 2 shown]
	s_wait_loadcnt 0x11
	v_mul_i32_i24_e32 v29, v32, v146
	v_mul_i32_i24_e32 v32, v35, v120
	;; [unrolled: 1-line block ×4, first 2 shown]
	v_mov_b32_e32 v131, v161
	s_wait_loadcnt 0x10
	v_mul_i32_i24_e32 v28, v31, v145
	s_clause 0x1
	scratch_load_b32 v31, off, off offset:132
	scratch_load_b32 v161, off, off offset:68
	v_add3_u32 v2, v2, v28, v29
	s_wait_loadcnt 0x11
	v_mul_i32_i24_e32 v12, v12, v168
	v_mul_i32_i24_e32 v29, v63, v232
	s_wait_loadcnt 0xf
	v_mul_i32_i24_e32 v112, v61, v240
	s_wait_loadcnt 0xe
	;; [unrolled: 2-line block ×3, first 2 shown]
	v_mul_i32_i24_e32 v28, v62, v171
	s_delay_alu instid0(VALU_DEP_2) | instskip(SKIP_2) | instid1(VALU_DEP_2)
	v_add3_u32 v68, v68, v94, v95
	s_wait_loadcnt 0xc
	v_mul_i32_i24_e32 v99, v58, v215
	v_add3_u32 v68, v68, v96, v97
	s_wait_loadcnt 0x9
	v_mul_i32_i24_e32 v101, v13, v216
	s_delay_alu instid0(VALU_DEP_2)
	v_add3_u32 v68, v68, v98, v99
	v_mul_i32_i24_e32 v13, v13, v229
	s_wait_loadcnt 0x8
	v_mul_i32_i24_e32 v109, v60, v217
	s_wait_loadcnt 0x6
	v_mul_i32_i24_e32 v100, v59, v100
	s_delay_alu instid0(VALU_DEP_1) | instskip(NEXT) | instid1(VALU_DEP_1)
	v_add3_u32 v68, v68, v100, v101
	v_add3_u32 v68, v68, v109, v112
	s_wait_loadcnt 0x5
	v_mul_i32_i24_e32 v123, v64, v151
	s_wait_loadcnt 0x4
	v_mul_i32_i24_e32 v126, v65, v152
	;; [unrolled: 2-line block ×3, first 2 shown]
	s_delay_alu instid0(VALU_DEP_1) | instskip(NEXT) | instid1(VALU_DEP_1)
	v_add3_u32 v68, v68, v114, v115
	v_add3_u32 v68, v68, v122, v123
	s_delay_alu instid0(VALU_DEP_1) | instskip(NEXT) | instid1(VALU_DEP_1)
	v_add3_u32 v68, v68, v126, v127
	v_mul_lo_u32 v68, v68, v241
	s_delay_alu instid0(VALU_DEP_1) | instskip(NEXT) | instid1(VALU_DEP_1)
	v_cvt_f32_i32_e32 v68, v68
	v_fma_mix_f32 v66, v1, v68, v66 op_sel_hi:[1,0,0]
	s_delay_alu instid0(VALU_DEP_1)
	v_fma_f32 v66, v66, v153, -v67
	scratch_load_b32 v67, off, off offset:724 ; 4-byte Folded Reload
	s_wait_loadcnt 0x2
	v_mul_i32_i24_e32 v4, v4, v31
	scratch_load_b32 v31, off, off offset:136 ; 4-byte Folded Reload
	v_add3_u32 v2, v2, v30, v4
	v_mul_i32_i24_e32 v4, v44, v155
	v_mov_b32_e32 v155, v164
	scratch_load_b32 v164, off, off offset:452 ; 4-byte Folded Reload
	v_mul_i32_i24_e32 v30, v64, v144
	scratch_load_b32 v144, off, off offset:472 ; 4-byte Folded Reload
	s_wait_loadcnt 0x3
	v_add_f32_e32 v67, v67, v66
	s_wait_loadcnt 0x2
	v_mul_i32_i24_e32 v31, v34, v31
	v_mul_i32_i24_e32 v34, v37, v125
	;; [unrolled: 1-line block ×3, first 2 shown]
	s_delay_alu instid0(VALU_DEP_3)
	v_add3_u32 v2, v2, v31, v32
	v_mul_i32_i24_e32 v31, v65, v245
	scratch_load_b32 v245, off, off offset:568 ; 4-byte Folded Reload
	s_wait_loadcnt 0x2
	v_mul_i32_i24_e32 v19, v53, v164
	s_wait_loadcnt 0x1
	v_mul_i32_i24_e32 v15, v15, v144
	v_add3_u32 v2, v2, v33, v5
	v_mul_i32_i24_e32 v5, v8, v156
	v_mul_i32_i24_e32 v8, v48, v159
	v_mov_b32_e32 v156, v167
	scratch_load_b32 v167, off, off offset:456 ; 4-byte Folded Reload
	v_add3_u32 v2, v2, v34, v35
	v_add3_u32 v3, v3, v4, v5
	v_mul_i32_i24_e32 v4, v45, v250
	v_mul_i32_i24_e32 v5, v46, v160
	s_delay_alu instid0(VALU_DEP_4) | instskip(SKIP_1) | instid1(VALU_DEP_3)
	v_add3_u32 v2, v2, v36, v6
	v_mul_i32_i24_e32 v6, v47, v252
	v_add3_u32 v3, v3, v4, v5
	s_delay_alu instid0(VALU_DEP_3) | instskip(NEXT) | instid1(VALU_DEP_1)
	v_add3_u32 v2, v2, v37, v38
	v_add3_u32 v2, v2, v39, v7
	v_mul_i32_i24_e32 v7, v9, v161
	v_mul_i32_i24_e32 v9, v49, v162
	s_delay_alu instid0(VALU_DEP_3) | instskip(SKIP_3) | instid1(VALU_DEP_1)
	v_mul_lo_u32 v2, v2, v129
	v_mov_b32_e32 v129, v159
	scratch_load_b32 v159, off, off offset:72 ; 4-byte Folded Reload
	v_add3_u32 v3, v3, v6, v7
	v_add3_u32 v3, v3, v8, v9
	v_cvt_f32_i32_e32 v2, v2
	s_delay_alu instid0(VALU_DEP_1) | instskip(SKIP_2) | instid1(VALU_DEP_1)
	v_fma_mix_f32 v2, v0, v2, 0 op_sel_hi:[1,0,0]
	v_fma_mix_f32 v0, v119, v0, 0 op_sel:[0,1,0] op_sel_hi:[0,1,0]
	s_wait_loadcnt 0x2
	v_fma_mix_f32 v0, v245, v1, v0 op_sel:[0,1,0] op_sel_hi:[0,1,0]
	s_wait_loadcnt 0x1
	v_mul_i32_i24_e32 v22, v56, v167
	s_wait_loadcnt 0x0
	v_mul_i32_i24_e32 v16, v50, v159
	s_delay_alu instid0(VALU_DEP_1) | instskip(NEXT) | instid1(VALU_DEP_1)
	v_add3_u32 v3, v3, v16, v10
	v_add3_u32 v3, v3, v17, v18
	s_delay_alu instid0(VALU_DEP_1) | instskip(NEXT) | instid1(VALU_DEP_1)
	v_add3_u32 v3, v3, v19, v11
	v_add3_u32 v3, v3, v20, v21
	;; [unrolled: 3-line block ×5, first 2 shown]
	s_delay_alu instid0(VALU_DEP_1) | instskip(NEXT) | instid1(VALU_DEP_1)
	v_add3_u32 v3, v3, v31, v15
	v_mul_lo_u32 v3, v3, v244
	s_delay_alu instid0(VALU_DEP_1) | instskip(NEXT) | instid1(VALU_DEP_1)
	v_cvt_f32_i32_e32 v3, v3
	v_fma_mix_f32 v2, v1, v3, v2 op_sel_hi:[1,0,0]
	scratch_load_b32 v1, off, off offset:4  ; 4-byte Folded Reload
	s_wait_loadcnt 0x0
	v_mul_f32_e32 v0, v0, v1
	scratch_load_b32 v1, off, off offset:720 ; 4-byte Folded Reload
	v_fma_f32 v0, v2, v169, -v0
	s_wait_loadcnt 0x0
	s_delay_alu instid0(VALU_DEP_1)
	v_add_f32_e32 v1, v1, v0
	scratch_load_b32 v0, off, off offset:1272 ; 4-byte Folded Reload
	s_clause 0x1
	scratch_store_b32 off, v67, off offset:724
	scratch_store_b32 off, v1, off offset:720
	s_wait_loadcnt 0x0
	v_or_b32_e32 v0, s11, v0
	s_delay_alu instid0(VALU_DEP_1)
	v_lshlrev_b32_e32 v12, 2, v0
	v_lshrrev_b32_e32 v16, 1, v0
	ds_load_b128 v[0:3], v12 offset:16896
	ds_load_b128 v[4:7], v12 offset:16912
	;; [unrolled: 1-line block ×4, first 2 shown]
	s_clause 0x4
	scratch_load_b32 v66, off, off offset:388
	scratch_load_b32 v231, off, off offset:1064
	;; [unrolled: 1-line block ×5, first 2 shown]
	s_wait_dscnt 0x3
	v_bfe_i32 v64, v0, 16, 8
	v_bfe_i32 v55, v2, 16, 8
	v_ashrrev_i32_e32 v56, 24, v2
	v_bfe_i32 v63, v0, 0, 8
	v_bfe_i32 v48, v0, 8, 8
	v_mul_i32_i24_e32 v67, v73, v64
	scratch_load_b32 v73, off, off offset:28 ; 4-byte Folded Reload
	v_ashrrev_i32_e32 v65, 24, v0
	v_bfe_i32 v49, v1, 0, 8
	v_bfe_i32 v50, v1, 8, 8
	;; [unrolled: 1-line block ×3, first 2 shown]
	v_ashrrev_i32_e32 v52, 24, v1
	v_bfe_i32 v53, v2, 0, 8
	v_bfe_i32 v54, v2, 8, 8
	;; [unrolled: 1-line block ×3, first 2 shown]
	v_mul_i32_i24_e32 v69, v75, v51
	v_mul_i32_i24_e32 v70, v84, v52
	v_bfe_i32 v58, v3, 8, 8
	v_bfe_i32 v59, v3, 16, 8
	v_ashrrev_i32_e32 v60, 24, v3
	v_mul_i32_i24_e32 v78, v139, v57
	s_wait_dscnt 0x2
	v_bfe_i32 v61, v4, 0, 8
	v_mul_i32_i24_e32 v79, v138, v58
	v_bfe_i32 v62, v4, 8, 8
	v_mul_i32_i24_e32 v80, v137, v59
	v_mul_i32_i24_e32 v81, v136, v60
	s_wait_dscnt 0x1
	v_bfe_i32 v27, v11, 16, 8
	v_mul_i32_i24_e32 v82, v143, v61
	v_mul_i32_i24_e32 v92, v142, v62
	v_bfe_i32 v47, v4, 16, 8
	v_ashrrev_i32_e32 v34, 24, v4
	v_bfe_i32 v35, v5, 0, 8
	v_bfe_i32 v36, v5, 8, 8
	s_wait_dscnt 0x0
	v_bfe_i32 v2, v12, 16, 8
	v_mul_i32_i24_e32 v94, v141, v47
	v_mul_i32_i24_e32 v95, v140, v34
	;; [unrolled: 1-line block ×4, first 2 shown]
	v_ashrrev_i32_e32 v3, 24, v12
	v_bfe_i32 v37, v5, 16, 8
	v_ashrrev_i32_e32 v38, 24, v5
	v_bfe_i32 v39, v6, 0, 8
	v_bfe_i32 v40, v6, 8, 8
	;; [unrolled: 1-line block ×3, first 2 shown]
	v_mul_i32_i24_e32 v98, v173, v37
	v_mul_i32_i24_e32 v99, v174, v38
	v_ashrrev_i32_e32 v42, 24, v6
	v_mul_i32_i24_e32 v100, v178, v39
	v_mul_i32_i24_e32 v101, v177, v40
	v_bfe_i32 v17, v9, 0, 8
	v_bfe_i32 v18, v9, 8, 8
	;; [unrolled: 1-line block ×3, first 2 shown]
	v_ashrrev_i32_e32 v20, 24, v9
	v_bfe_i32 v9, v14, 8, 8
	v_mul_i32_i24_e32 v109, v180, v41
	v_mul_i32_i24_e32 v112, v179, v42
	scratch_load_b32 v142, off, off offset:888 ; 4-byte Folded Reload
	v_bfe_i32 v43, v7, 0, 8
	v_bfe_i32 v44, v7, 8, 8
	;; [unrolled: 1-line block ×3, first 2 shown]
	v_ashrrev_i32_e32 v46, 24, v7
	v_bfe_i32 v4, v13, 0, 8
	v_mul_i32_i24_e32 v114, v184, v43
	v_mul_i32_i24_e32 v115, v183, v44
	v_bfe_i32 v5, v13, 8, 8
	v_bfe_i32 v6, v13, 16, 8
	v_ashrrev_i32_e32 v7, 24, v13
	v_bfe_i32 v13, v15, 8, 8
	v_mul_i32_i24_e32 v122, v182, v45
	v_mul_i32_i24_e32 v123, v181, v46
	v_bfe_i32 v31, v8, 0, 8
	ds_load_b64 v[0:1], v16 offset:27200
	v_bfe_i32 v16, v8, 8, 8
	v_bfe_i32 v32, v8, 16, 8
	v_ashrrev_i32_e32 v33, 24, v8
	v_bfe_i32 v21, v10, 0, 8
	v_bfe_i32 v22, v10, 8, 8
	;; [unrolled: 1-line block ×3, first 2 shown]
	v_ashrrev_i32_e32 v24, 24, v10
	v_bfe_i32 v25, v11, 0, 8
	v_bfe_i32 v26, v11, 8, 8
	v_ashrrev_i32_e32 v28, 24, v11
	v_bfe_i32 v29, v12, 0, 8
	v_bfe_i32 v30, v12, 8, 8
	;; [unrolled: 1-line block ×4, first 2 shown]
	v_ashrrev_i32_e32 v11, 24, v14
	v_bfe_i32 v12, v15, 0, 8
	v_bfe_i32 v14, v15, 16, 8
	v_ashrrev_i32_e32 v15, 24, v15
	s_clause 0x2
	scratch_load_b32 v143, off, off offset:832
	scratch_load_b32 v84, off, off offset:1036
	;; [unrolled: 1-line block ×3, first 2 shown]
	v_mul_i32_i24_e32 v126, v106, v14
	v_mul_i32_i24_e32 v127, v105, v15
	s_clause 0x5
	scratch_load_b32 v136, off, off offset:668
	scratch_load_b32 v137, off, off offset:672
	;; [unrolled: 1-line block ×6, first 2 shown]
	v_mov_b32_e32 v141, v203
	scratch_load_b32 v105, off, off offset:556 ; 4-byte Folded Reload
	s_wait_loadcnt 0x10
	v_mul_i32_i24_e32 v66, v66, v63
	s_wait_loadcnt 0xe
	v_mul_i32_i24_e32 v68, v68, v65
	;; [unrolled: 2-line block ×4, first 2 shown]
	v_mad_i32_i24 v66, v74, v48, v66
	v_mov_b32_e32 v74, v230
	s_delay_alu instid0(VALU_DEP_2)
	v_add3_u32 v66, v66, v67, v68
	v_mul_i32_i24_e32 v67, v230, v49
	v_mul_i32_i24_e32 v68, v83, v50
	s_clause 0x1
	scratch_load_b32 v83, off, off offset:1028
	scratch_load_b32 v230, off, off offset:1216 th:TH_LOAD_LU
	v_add3_u32 v66, v66, v67, v68
	v_mul_i32_i24_e32 v68, v113, v31
	s_wait_dscnt 0x0
	v_fma_mix_f32 v67, v118, v0, 0 op_sel:[0,1,0] op_sel_hi:[0,1,0]
	s_clause 0x1
	scratch_load_b32 v118, off, off offset:132
	scratch_load_b32 v113, off, off offset:1000 th:TH_LOAD_LU
	s_wait_loadcnt 0xf
	v_mul_i32_i24_e32 v76, v73, v55
	scratch_load_b32 v73, off, off offset:24 ; 4-byte Folded Reload
	v_add3_u32 v66, v66, v69, v70
	v_mul_i32_i24_e32 v69, v111, v32
	v_mul_i32_i24_e32 v70, v150, v33
	v_mad_i32_i24 v68, v186, v16, v68
	v_fma_mix_f32 v67, v108, v1, v67 op_sel:[0,1,0] op_sel_hi:[0,1,0]
	v_add3_u32 v66, v66, v71, v72
	v_mul_i32_i24_e32 v71, v187, v19
	v_mul_i32_i24_e32 v72, v196, v20
	v_add3_u32 v68, v68, v69, v70
	v_mul_i32_i24_e32 v69, v189, v17
	v_mul_i32_i24_e32 v70, v188, v18
	v_mul_f32_e32 v67, v67, v110
	s_clause 0x2
	scratch_load_b32 v150, off, off offset:840
	scratch_load_b32 v108, off, off offset:1068
	;; [unrolled: 1-line block ×3, first 2 shown]
	v_add3_u32 v68, v68, v69, v70
	scratch_load_b32 v69, off, off offset:448 ; 4-byte Folded Reload
	v_mul_i32_i24_e32 v70, v52, v198
	scratch_load_b32 v198, off, off offset:844 ; 4-byte Folded Reload
	v_mov_b32_e32 v189, v188
	v_add3_u32 v68, v68, v71, v72
	v_mul_i32_i24_e32 v71, v53, v199
	v_mul_i32_i24_e32 v72, v54, v200
	scratch_load_b32 v200, off, off offset:836 ; 4-byte Folded Reload
	v_dual_mov_b32 v188, v187 :: v_dual_mov_b32 v187, v196
	s_clause 0x2
	scratch_load_b32 v196, off, off offset:812
	scratch_load_b32 v111, off, off offset:996 th:TH_LOAD_LU
	scratch_load_b32 v199, off, off offset:1012 th:TH_LOAD_LU
	v_mov_b32_e32 v175, v132
	s_wait_loadcnt 0x9
	v_mul_i32_i24_e32 v77, v73, v56
	scratch_load_b32 v73, off, off offset:392 ; 4-byte Folded Reload
	v_add3_u32 v66, v66, v76, v77
	v_mul_i32_i24_e32 v76, v205, v21
	v_mul_i32_i24_e32 v77, v204, v22
	scratch_load_b32 v205, off, off offset:852 ; 4-byte Folded Reload
	v_add3_u32 v66, v66, v78, v79
	v_mul_i32_i24_e32 v78, v130, v23
	v_mul_i32_i24_e32 v79, v203, v24
	v_add3_u32 v68, v68, v76, v77
	v_mul_i32_i24_e32 v76, v55, v201
	v_add3_u32 v66, v66, v80, v81
	v_mul_i32_i24_e32 v80, v142, v25
	v_mul_i32_i24_e32 v81, v85, v26
	v_add3_u32 v68, v68, v78, v79
	v_mul_i32_i24_e32 v77, v56, v202
	;; [unrolled: 5-line block ×3, first 2 shown]
	v_add3_u32 v66, v66, v94, v95
	v_mul_i32_i24_e32 v94, v107, v29
	v_mul_i32_i24_e32 v95, v104, v30
	;; [unrolled: 1-line block ×4, first 2 shown]
	v_add3_u32 v66, v66, v96, v97
	s_clause 0x3
	scratch_load_b32 v202, off, off offset:1024
	scratch_load_b32 v201, off, off offset:848
	;; [unrolled: 1-line block ×4, first 2 shown]
	v_add3_u32 v66, v66, v98, v99
	v_mul_i32_i24_e32 v98, v86, v4
	v_mul_i32_i24_e32 v99, v91, v5
	s_clause 0x1
	scratch_load_b32 v86, off, off offset:564
	scratch_load_b32 v91, off, off offset:1056
	v_add3_u32 v66, v66, v100, v101
	v_mul_i32_i24_e32 v100, v90, v6
	v_mul_i32_i24_e32 v101, v89, v7
	s_clause 0x1
	scratch_load_b32 v89, off, off offset:1048
	scratch_load_b32 v90, off, off offset:1052
	v_add3_u32 v66, v66, v109, v112
	v_mul_i32_i24_e32 v109, v87, v8
	s_clause 0x2
	scratch_load_b32 v87, off, off offset:1040
	scratch_load_b32 v93, off, off offset:1060
	;; [unrolled: 1-line block ×3, first 2 shown]
	v_add3_u32 v66, v66, v114, v115
	v_mul_i32_i24_e32 v114, v103, v10
	v_mul_i32_i24_e32 v115, v102, v11
	s_clause 0x1
	scratch_load_b32 v103, off, off offset:652
	scratch_load_b32 v130, off, off offset:252
	v_add3_u32 v66, v66, v122, v123
	v_mul_i32_i24_e32 v122, v88, v12
	s_clause 0x2
	scratch_load_b32 v88, off, off offset:1044
	scratch_load_b32 v135, off, off offset:256
	;; [unrolled: 1-line block ×3, first 2 shown]
	v_mul_lo_u32 v66, v66, v185
	s_clause 0x2
	scratch_load_b32 v107, off, off offset:544
	scratch_load_b32 v203, off, off offset:1232 th:TH_LOAD_LU
	scratch_load_b32 v104, off, off offset:548
	v_cvt_f32_i32_e32 v66, v66
	s_delay_alu instid0(VALU_DEP_1)
	v_fma_mix_f32 v66, v0, v66, 0 op_sel_hi:[1,0,0]
	s_wait_loadcnt 0x14
	v_mul_i32_i24_e32 v82, v73, v27
	scratch_load_b32 v73, off, off offset:400 ; 4-byte Folded Reload
	v_add3_u32 v68, v68, v82, v92
	v_mul_i32_i24_e32 v82, v61, v116
	v_mul_i32_i24_e32 v92, v62, v117
	scratch_load_b32 v117, off, off offset:128 ; 4-byte Folded Reload
	v_mov_b32_e32 v116, v148
	v_add3_u32 v68, v68, v94, v95
	v_mul_i32_i24_e32 v94, v47, v143
	v_mul_i32_i24_e32 v95, v34, v200
	s_wait_loadcnt 0x1
	v_mul_i32_i24_e32 v96, v73, v2
	scratch_load_b32 v73, off, off offset:396 ; 4-byte Folded Reload
	s_wait_loadcnt 0x0
	v_mul_i32_i24_e32 v97, v73, v3
	scratch_load_b32 v73, off, off offset:108 ; 4-byte Folded Reload
	v_add3_u32 v68, v68, v96, v97
	v_mul_i32_i24_e32 v96, v35, v150
	v_mul_i32_i24_e32 v97, v36, v202
	s_delay_alu instid0(VALU_DEP_3) | instskip(SKIP_1) | instid1(VALU_DEP_2)
	v_add3_u32 v68, v68, v98, v99
	v_mul_i32_i24_e32 v98, v37, v198
	v_add3_u32 v68, v68, v100, v101
	v_mul_i32_i24_e32 v100, v39, v201
	s_wait_loadcnt 0x0
	v_mul_i32_i24_e32 v112, v73, v9
	scratch_load_b32 v73, off, off offset:112 ; 4-byte Folded Reload
	v_add3_u32 v68, v68, v109, v112
	v_mul_i32_i24_e32 v109, v41, v207
	s_delay_alu instid0(VALU_DEP_2)
	v_add3_u32 v68, v68, v114, v115
	v_mul_i32_i24_e32 v114, v43, v209
	s_wait_loadcnt 0x0
	v_mul_i32_i24_e32 v123, v73, v13
	scratch_load_b32 v73, off, off offset:360 ; 4-byte Folded Reload
	v_add3_u32 v68, v68, v122, v123
	v_mul_i32_i24_e32 v122, v45, v230
	s_delay_alu instid0(VALU_DEP_2) | instskip(SKIP_2) | instid1(VALU_DEP_3)
	v_add3_u32 v68, v68, v126, v127
	v_mul_i32_i24_e32 v126, v14, v93
	v_mul_i32_i24_e32 v127, v15, v108
	v_mul_lo_u32 v68, v68, v69
	v_mul_i32_i24_e32 v69, v51, v197
	s_delay_alu instid0(VALU_DEP_2) | instskip(NEXT) | instid1(VALU_DEP_1)
	v_cvt_f32_i32_e32 v68, v68
	v_fma_mix_f32 v66, v1, v68, v66 op_sel_hi:[1,0,0]
	scratch_load_b32 v68, off, off offset:8 ; 4-byte Folded Reload
	s_wait_loadcnt 0x1
	v_mul_i32_i24_e32 v99, v38, v73
	scratch_load_b32 v73, off, off offset:364 ; 4-byte Folded Reload
	s_wait_loadcnt 0x1
	v_fma_f32 v66, v66, v68, -v67
	scratch_load_b32 v67, off, off offset:716 ; 4-byte Folded Reload
	v_mul_i32_i24_e32 v68, v65, v193
	s_wait_loadcnt 0x1
	v_mul_i32_i24_e32 v101, v40, v73
	scratch_load_b32 v73, off, off offset:368 ; 4-byte Folded Reload
	s_wait_loadcnt 0x1
	v_add_f32_e32 v67, v67, v66
	v_mul_i32_i24_e32 v66, v63, v190
	scratch_store_b32 off, v67, off offset:716 ; 4-byte Folded Spill
	v_mul_i32_i24_e32 v67, v64, v191
	v_mad_i32_i24 v66, v48, v192, v66
	s_delay_alu instid0(VALU_DEP_1) | instskip(SKIP_2) | instid1(VALU_DEP_1)
	v_add3_u32 v66, v66, v67, v68
	v_mul_i32_i24_e32 v67, v49, v194
	v_mul_i32_i24_e32 v68, v50, v195
	v_add3_u32 v66, v66, v67, v68
	s_clause 0x1
	scratch_load_b32 v67, off, off offset:1080
	scratch_load_b32 v68, off, off offset:300
	v_add3_u32 v66, v66, v69, v70
	scratch_load_b32 v70, off, off offset:304 ; 4-byte Folded Reload
	v_mul_i32_i24_e32 v69, v32, v83
	v_add3_u32 v66, v66, v71, v72
	scratch_load_b32 v71, off, off offset:96 ; 4-byte Folded Reload
	v_mul_i32_i24_e32 v72, v20, v84
	v_add3_u32 v66, v66, v76, v77
	s_delay_alu instid0(VALU_DEP_1) | instskip(NEXT) | instid1(VALU_DEP_1)
	v_add3_u32 v66, v66, v78, v79
	v_add3_u32 v66, v66, v80, v81
	s_delay_alu instid0(VALU_DEP_1) | instskip(NEXT) | instid1(VALU_DEP_1)
	v_add3_u32 v66, v66, v82, v92
	;; [unrolled: 3-line block ×3, first 2 shown]
	v_add3_u32 v66, v66, v98, v99
	v_mul_i32_i24_e32 v99, v5, v85
	s_delay_alu instid0(VALU_DEP_2)
	v_add3_u32 v66, v66, v100, v101
	v_mul_i32_i24_e32 v101, v7, v86
	s_wait_loadcnt 0x4
	v_mul_i32_i24_e32 v112, v42, v73
	scratch_load_b32 v73, off, off offset:372 ; 4-byte Folded Reload
	v_add3_u32 v66, v66, v109, v112
	v_mul_i32_i24_e32 v109, v8, v87
	v_mul_i32_i24_e32 v112, v9, v89
	s_wait_loadcnt 0x3
	v_mul_i32_i24_e32 v68, v31, v68
	s_wait_loadcnt 0x2
	v_mul_i32_i24_e32 v70, v33, v70
	s_delay_alu instid0(VALU_DEP_2) | instskip(SKIP_2) | instid1(VALU_DEP_2)
	v_mad_i32_i24 v68, v16, v205, v68
	s_wait_loadcnt 0x1
	v_mul_i32_i24_e32 v71, v19, v71
	v_add3_u32 v68, v68, v69, v70
	s_clause 0x1
	scratch_load_b32 v69, off, off offset:376
	scratch_load_b32 v70, off, off offset:308
	s_wait_loadcnt 0x2
	v_mul_i32_i24_e32 v115, v44, v73
	scratch_load_b32 v73, off, off offset:380 ; 4-byte Folded Reload
	v_add3_u32 v66, v66, v114, v115
	v_mul_i32_i24_e32 v114, v10, v88
	v_mul_i32_i24_e32 v115, v11, v90
	s_wait_loadcnt 0x2
	v_mul_i32_i24_e32 v69, v17, v69
	s_wait_loadcnt 0x1
	v_mul_i32_i24_e32 v70, v18, v70
	s_delay_alu instid0(VALU_DEP_1)
	v_add3_u32 v68, v68, v69, v70
	s_clause 0x1
	scratch_load_b32 v69, off, off offset:604
	scratch_load_b32 v70, off, off offset:620
	v_add3_u32 v68, v68, v71, v72
	s_clause 0x1
	scratch_load_b32 v71, off, off offset:624
	scratch_load_b32 v72, off, off offset:628
	s_wait_loadcnt 0x4
	v_mul_i32_i24_e32 v123, v46, v73
	scratch_load_b32 v73, off, off offset:100 ; 4-byte Folded Reload
	v_add3_u32 v66, v66, v122, v123
	v_mul_i32_i24_e32 v122, v12, v91
	v_mul_i32_i24_e32 v123, v13, v231
	s_delay_alu instid0(VALU_DEP_3) | instskip(SKIP_2) | instid1(VALU_DEP_1)
	v_mul_lo_u32 v66, v66, v67
	scratch_load_b32 v67, off, off offset:92 ; 4-byte Folded Reload
	v_cvt_f32_i32_e32 v66, v66
	v_fma_mix_f32 v66, v0, v66, 0 op_sel_hi:[1,0,0]
	s_wait_loadcnt 0x4
	v_mul_i32_i24_e32 v70, v52, v70
	v_mul_i32_i24_e32 v52, v52, v213
	v_mov_b32_e32 v213, v136
	s_wait_loadcnt 0x3
	v_mul_i32_i24_e32 v71, v53, v71
	s_wait_loadcnt 0x2
	v_mul_i32_i24_e32 v72, v54, v72
	v_mul_i32_i24_e32 v54, v54, v228
	scratch_load_b32 v228, off, off offset:236 ; 4-byte Folded Reload
	v_mul_i32_i24_e32 v53, v53, v226
	v_mov_b32_e32 v226, v237
	s_wait_loadcnt 0x2
	v_mul_i32_i24_e32 v76, v21, v73
	scratch_load_b32 v73, off, off offset:104 ; 4-byte Folded Reload
	s_wait_loadcnt 0x2
	v_fma_mix_f32 v67, v67, v0, 0 op_sel:[0,1,0] op_sel_hi:[0,1,0]
	s_delay_alu instid0(VALU_DEP_1) | instskip(NEXT) | instid1(VALU_DEP_1)
	v_fma_mix_f32 v67, v134, v1, v67 op_sel:[0,1,0] op_sel_hi:[0,1,0]
	v_mul_f32_e32 v67, v67, v103
	s_wait_loadcnt 0x0
	v_mul_i32_i24_e32 v77, v22, v73
	scratch_load_b32 v73, off, off offset:312 ; 4-byte Folded Reload
	v_add3_u32 v68, v68, v76, v77
	v_mul_i32_i24_e32 v77, v56, v208
	v_mul_i32_i24_e32 v56, v56, v235
	v_mov_b32_e32 v208, v158
	s_wait_loadcnt 0x0
	v_mul_i32_i24_e32 v78, v23, v73
	scratch_load_b32 v73, off, off offset:316 ; 4-byte Folded Reload
	s_wait_loadcnt 0x0
	v_mul_i32_i24_e32 v79, v24, v73
	scratch_load_b32 v73, off, off offset:320 ; 4-byte Folded Reload
	v_add3_u32 v68, v68, v78, v79
	v_mul_i32_i24_e32 v78, v57, v210
	scratch_load_b32 v210, off, off offset:248 ; 4-byte Folded Reload
	v_mul_i32_i24_e32 v57, v57, v236
	s_wait_loadcnt 0x1
	v_mul_i32_i24_e32 v80, v25, v73
	scratch_load_b32 v73, off, off offset:328 ; 4-byte Folded Reload
	s_wait_loadcnt 0x0
	v_mul_i32_i24_e32 v81, v26, v73
	scratch_load_b32 v73, off, off offset:324 ; 4-byte Folded Reload
	v_add3_u32 v68, v68, v80, v81
	s_wait_loadcnt 0x0
	v_mul_i32_i24_e32 v82, v27, v73
	scratch_load_b32 v73, off, off offset:332 ; 4-byte Folded Reload
	s_wait_loadcnt 0x0
	v_mul_i32_i24_e32 v92, v28, v73
	scratch_load_b32 v73, off, off offset:336 ; 4-byte Folded Reload
	v_add3_u32 v68, v68, v82, v92
	;; [unrolled: 7-line block ×3, first 2 shown]
	v_mul_i32_i24_e32 v94, v47, v210
	v_mul_i32_i24_e32 v95, v34, v130
	;; [unrolled: 1-line block ×4, first 2 shown]
	s_wait_loadcnt 0x0
	v_mul_i32_i24_e32 v96, v2, v73
	scratch_load_b32 v73, off, off offset:348 ; 4-byte Folded Reload
	s_wait_loadcnt 0x0
	v_mul_i32_i24_e32 v97, v3, v73
	scratch_load_b32 v73, off, off offset:352 ; 4-byte Folded Reload
	v_add3_u32 v68, v68, v96, v97
	v_mul_i32_i24_e32 v96, v35, v135
	v_mul_i32_i24_e32 v97, v36, v136
	v_mul_i32_i24_e32 v35, v35, v102
	v_mul_i32_i24_e32 v36, v36, v120
	s_wait_loadcnt 0x0
	v_mul_i32_i24_e32 v98, v4, v73
	scratch_load_b32 v73, off, off offset:356 ; 4-byte Folded Reload
	v_add3_u32 v68, v68, v98, v99
	v_mul_i32_i24_e32 v98, v37, v137
	v_mul_i32_i24_e32 v99, v38, v138
	v_mul_i32_i24_e32 v37, v37, v121
	v_mul_i32_i24_e32 v38, v38, v124
	;; [unrolled: 8-line block ×3, first 2 shown]
	v_add3_u32 v68, v68, v109, v112
	v_mul_i32_i24_e32 v109, v41, v196
	v_mul_i32_i24_e32 v41, v41, v107
	s_delay_alu instid0(VALU_DEP_3) | instskip(NEXT) | instid1(VALU_DEP_1)
	v_add3_u32 v68, v68, v114, v115
	v_add3_u32 v68, v68, v122, v123
	v_mul_i32_i24_e32 v123, v46, v219
	scratch_load_b32 v219, off, off offset:1228 th:TH_LOAD_LU ; 4-byte Folded Reload
	v_mul_i32_i24_e32 v122, v45, v149
	v_mul_i32_i24_e32 v45, v45, v251
	v_add3_u32 v68, v68, v126, v127
	v_mul_i32_i24_e32 v46, v46, v131
	v_mul_i32_i24_e32 v126, v14, v152
	s_delay_alu instid0(VALU_DEP_3) | instskip(NEXT) | instid1(VALU_DEP_1)
	v_mul_lo_u32 v68, v68, v110
	v_cvt_f32_i32_e32 v68, v68
	s_delay_alu instid0(VALU_DEP_1)
	v_fma_mix_f32 v66, v1, v68, v66 op_sel_hi:[1,0,0]
	scratch_load_b32 v68, off, off offset:608 ; 4-byte Folded Reload
	v_fma_f32 v66, v66, v75, -v67
	scratch_load_b32 v67, off, off offset:712 ; 4-byte Folded Reload
	s_wait_loadcnt 0x3
	v_mul_i32_i24_e32 v76, v55, v73
	scratch_load_b32 v73, off, off offset:140 ; 4-byte Folded Reload
	v_mul_i32_i24_e32 v55, v55, v234
	s_wait_loadcnt 0x2
	v_mul_i32_i24_e32 v68, v65, v68
	v_mul_i32_i24_e32 v65, v65, v233
	s_wait_loadcnt 0x1
	v_add_f32_e32 v67, v67, v66
	v_mul_i32_i24_e32 v66, v63, v206
	v_mul_i32_i24_e32 v63, v63, v242
	scratch_store_b32 off, v67, off offset:712 ; 4-byte Folded Spill
	scratch_load_b32 v67, off, off offset:600 ; 4-byte Folded Reload
	v_mad_i32_i24 v66, v48, v69, v66
	scratch_load_b32 v69, off, off offset:616 ; 4-byte Folded Reload
	v_mad_i32_i24 v48, v48, v157, v63
	s_wait_loadcnt 0x2
	v_mul_i32_i24_e32 v79, v58, v73
	scratch_load_b32 v73, off, off offset:144 ; 4-byte Folded Reload
	v_mul_i32_i24_e32 v58, v58, v237
	s_wait_loadcnt 0x2
	v_mul_i32_i24_e32 v67, v64, v67
	v_mul_i32_i24_e32 v64, v64, v227
	s_wait_loadcnt 0x1
	v_mul_i32_i24_e32 v69, v51, v69
	v_mul_i32_i24_e32 v51, v51, v212
	v_mov_b32_e32 v212, v135
	v_add3_u32 v66, v66, v67, v68
	s_clause 0x1
	scratch_load_b32 v67, off, off offset:640
	scratch_load_b32 v68, off, off offset:612
	v_add3_u32 v48, v48, v64, v65
	s_wait_loadcnt 0x2
	v_mul_i32_i24_e32 v80, v59, v73
	scratch_load_b32 v73, off, off offset:148 ; 4-byte Folded Reload
	v_mul_i32_i24_e32 v59, v59, v238
	s_wait_loadcnt 0x2
	v_mul_i32_i24_e32 v67, v49, v67
	s_wait_loadcnt 0x1
	v_mul_i32_i24_e32 v68, v50, v68
	v_mul_i32_i24_e32 v49, v49, v158
	;; [unrolled: 1-line block ×3, first 2 shown]
	v_mov_b32_e32 v211, v130
	s_delay_alu instid0(VALU_DEP_4)
	v_add3_u32 v66, v66, v67, v68
	scratch_load_b32 v68, off, off offset:920 ; 4-byte Folded Reload
	v_add3_u32 v48, v48, v49, v50
	v_fma_mix_f32 v67, v203, v0, 0 op_sel:[0,1,0] op_sel_hi:[0,1,0]
	v_add3_u32 v66, v66, v69, v70
	s_clause 0x1
	scratch_load_b32 v69, off, off offset:924
	scratch_load_b32 v70, off, off offset:268
	v_add3_u32 v48, v48, v51, v52
	v_add3_u32 v66, v66, v71, v72
	v_mul_i32_i24_e32 v71, v19, v218
	v_mul_i32_i24_e32 v72, v20, v220
	s_delay_alu instid0(VALU_DEP_4)
	v_add3_u32 v48, v48, v53, v54
	v_mul_i32_i24_e32 v19, v19, v252
	v_add3_u32 v66, v66, v76, v77
	v_mul_i32_i24_e32 v76, v21, v221
	v_mul_i32_i24_e32 v77, v22, v222
	v_add3_u32 v48, v48, v55, v56
	v_mul_i32_i24_e32 v20, v20, v161
	v_add3_u32 v66, v66, v78, v79
	v_mul_i32_i24_e32 v78, v23, v223
	v_mul_i32_i24_e32 v79, v24, v224
	v_add3_u32 v48, v48, v57, v58
	v_mul_i32_i24_e32 v21, v21, v129
	v_mul_i32_i24_e32 v22, v22, v162
	;; [unrolled: 1-line block ×4, first 2 shown]
	v_mov_b32_e32 v220, v196
	v_mov_b32_e32 v218, v219
	s_wait_loadcnt 0x3
	v_mul_i32_i24_e32 v81, v60, v73
	scratch_load_b32 v73, off, off offset:152 ; 4-byte Folded Reload
	v_mul_i32_i24_e32 v60, v60, v246
	v_add3_u32 v66, v66, v80, v81
	v_mul_i32_i24_e32 v80, v25, v253
	scratch_load_b32 v253, off, off offset:824 ; 4-byte Folded Reload
	v_add3_u32 v48, v48, v59, v60
	v_mul_i32_i24_e32 v25, v25, v155
	s_wait_loadcnt 0x4
	v_mul_i32_i24_e32 v68, v31, v68
	v_mul_i32_i24_e32 v31, v31, v148
	s_wait_loadcnt 0x3
	v_mul_i32_i24_e32 v69, v32, v69
	s_wait_loadcnt 0x2
	v_mul_i32_i24_e32 v70, v33, v70
	v_mad_i32_i24 v68, v16, v243, v68
	v_mov_b32_e32 v243, v225
	v_mad_i32_i24 v16, v16, v147, v31
	scratch_load_b32 v31, off, off offset:484 ; 4-byte Folded Reload
	v_mul_i32_i24_e32 v32, v32, v104
	v_add3_u32 v68, v68, v69, v70
	v_mul_i32_i24_e32 v69, v17, v225
	scratch_load_b32 v225, off, off offset:1020 th:TH_LOAD_LU ; 4-byte Folded Reload
	v_mul_i32_i24_e32 v70, v18, v214
	v_mul_i32_i24_e32 v33, v33, v105
	;; [unrolled: 1-line block ×4, first 2 shown]
	v_mov_b32_e32 v147, v201
	v_add3_u32 v68, v68, v69, v70
	v_add3_u32 v16, v16, v32, v33
	v_mov_b32_e32 v234, v243
	v_mov_b32_e32 v214, v137
	s_delay_alu instid0(VALU_DEP_4) | instskip(NEXT) | instid1(VALU_DEP_4)
	v_add3_u32 v68, v68, v71, v72
	v_add3_u32 v16, v16, v17, v18
	s_delay_alu instid0(VALU_DEP_2) | instskip(NEXT) | instid1(VALU_DEP_2)
	v_add3_u32 v68, v68, v76, v77
	v_add3_u32 v16, v16, v19, v20
	s_delay_alu instid0(VALU_DEP_2) | instskip(NEXT) | instid1(VALU_DEP_2)
	v_add3_u32 v68, v68, v78, v79
	v_add3_u32 v16, v16, v21, v22
	s_delay_alu instid0(VALU_DEP_1)
	v_add3_u32 v16, v16, v23, v24
	s_wait_loadcnt 0x3
	v_mul_i32_i24_e32 v82, v61, v73
	scratch_load_b32 v73, off, off offset:156 ; 4-byte Folded Reload
	v_mul_i32_i24_e32 v61, v61, v145
	s_wait_loadcnt 0x3
	v_dual_mov_b32 v145, v150 :: v_dual_mov_b32 v246, v253
	s_wait_loadcnt 0x0
	v_mul_i32_i24_e32 v92, v62, v73
	scratch_load_b32 v73, off, off offset:260 ; 4-byte Folded Reload
	v_mul_i32_i24_e32 v62, v62, v146
	v_mov_b32_e32 v146, v198
	v_add3_u32 v66, v66, v82, v92
	v_mul_i32_i24_e32 v92, v28, v254
	scratch_load_b32 v254, off, off offset:932 th:TH_LOAD_LU ; 4-byte Folded Reload
	v_add3_u32 v48, v48, v61, v62
	v_mul_i32_i24_e32 v82, v27, v253
	v_add3_u32 v66, v66, v94, v95
	v_mul_i32_i24_e32 v95, v30, v255
	scratch_load_b32 v255, off, off offset:1236 th:TH_LOAD_LU ; 4-byte Folded Reload
	v_add3_u32 v34, v48, v47, v34
	v_mul_i32_i24_e32 v94, v29, v154
	v_add3_u32 v66, v66, v96, v97
	v_mul_i32_i24_e32 v27, v27, v164
	v_mul_i32_i24_e32 v28, v28, v166
	v_add3_u32 v34, v34, v35, v36
	v_mul_i32_i24_e32 v29, v29, v156
	v_add3_u32 v66, v66, v98, v99
	v_mul_i32_i24_e32 v98, v4, v176
	v_mul_i32_i24_e32 v99, v5, v215
	;; [unrolled: 5-line block ×3, first 2 shown]
	v_add3_u32 v34, v34, v39, v40
	v_mul_i32_i24_e32 v5, v5, v113
	v_mul_i32_i24_e32 v6, v6, v170
	;; [unrolled: 1-line block ×3, first 2 shown]
	v_dual_mov_b32 v216, v139 :: v_dual_mov_b32 v215, v138
	s_wait_loadcnt 0x2
	v_mul_i32_i24_e32 v112, v42, v73
	scratch_load_b32 v73, off, off offset:264 ; 4-byte Folded Reload
	v_mul_i32_i24_e32 v42, v42, v228
	v_add3_u32 v66, v66, v109, v112
	s_wait_loadcnt 0x2
	v_mul_i32_i24_e32 v96, v2, v254
	s_delay_alu instid0(VALU_DEP_3)
	v_add3_u32 v34, v34, v41, v42
	v_mul_i32_i24_e32 v109, v8, v217
	v_mul_i32_i24_e32 v112, v9, v240
	v_mov_b32_e32 v250, v254
	s_wait_loadcnt 0x1
	v_mul_i32_i24_e32 v97, v3, v255
	v_mov_b32_e32 v254, v225
	v_mul_i32_i24_e32 v30, v30, v247
	v_mul_i32_i24_e32 v2, v2, v167
	;; [unrolled: 1-line block ×4, first 2 shown]
	v_dual_mov_b32 v252, v255 :: v_dual_mov_b32 v217, v140
	s_wait_loadcnt 0x0
	v_mul_i32_i24_e32 v114, v43, v73
	scratch_load_b32 v73, off, off offset:76 ; 4-byte Folded Reload
	v_mul_i32_i24_e32 v43, v43, v248
	s_wait_loadcnt 0x0
	v_mul_i32_i24_e32 v115, v44, v73
	scratch_load_b32 v73, off, off offset:916 ; 4-byte Folded Reload
	v_mul_i32_i24_e32 v44, v44, v249
	v_add3_u32 v66, v66, v114, v115
	v_mul_i32_i24_e32 v114, v10, v239
	s_delay_alu instid0(VALU_DEP_3) | instskip(SKIP_1) | instid1(VALU_DEP_4)
	v_add3_u32 v34, v34, v43, v44
	v_mul_i32_i24_e32 v10, v10, v171
	v_add3_u32 v66, v66, v122, v123
	v_mul_i32_i24_e32 v123, v13, v151
	s_delay_alu instid0(VALU_DEP_4)
	v_add3_u32 v34, v34, v45, v46
	v_mul_i32_i24_e32 v13, v13, v31
	scratch_load_b32 v31, off, off offset:480 ; 4-byte Folded Reload
	v_mul_lo_u32 v66, v66, v219
	v_mov_b32_e32 v151, v205
	v_mul_lo_u32 v34, v34, v106
	v_mov_b32_e32 v219, v203
	s_delay_alu instid0(VALU_DEP_4) | instskip(NEXT) | instid1(VALU_DEP_3)
	v_cvt_f32_i32_e32 v66, v66
	v_cvt_f32_i32_e32 v34, v34
	s_delay_alu instid0(VALU_DEP_2) | instskip(NEXT) | instid1(VALU_DEP_2)
	v_fma_mix_f32 v66, v0, v66, 0 op_sel_hi:[1,0,0]
	v_fma_mix_f32 v34, v0, v34, 0 op_sel_hi:[1,0,0]
	v_fma_mix_f32 v0, v119, v0, 0 op_sel:[0,1,0] op_sel_hi:[0,1,0]
	scratch_load_b32 v119, off, off offset:1004 th:TH_LOAD_LU ; 4-byte Folded Reload
	v_fma_mix_f32 v0, v245, v1, v0 op_sel:[0,1,0] op_sel_hi:[0,1,0]
	s_wait_loadcnt 0x2
	v_mul_i32_i24_e32 v81, v26, v73
	scratch_load_b32 v73, off, off offset:80 ; 4-byte Folded Reload
	v_mul_i32_i24_e32 v26, v26, v165
	v_add3_u32 v68, v68, v80, v81
	s_delay_alu instid0(VALU_DEP_2) | instskip(NEXT) | instid1(VALU_DEP_2)
	v_add3_u32 v16, v16, v25, v26
	v_add3_u32 v68, v68, v82, v92
	s_delay_alu instid0(VALU_DEP_2) | instskip(SKIP_2) | instid1(VALU_DEP_3)
	v_add3_u32 v16, v16, v27, v28
	s_wait_loadcnt 0x2
	v_mul_i32_i24_e32 v14, v14, v31
	v_add3_u32 v68, v68, v94, v95
	s_delay_alu instid0(VALU_DEP_3) | instskip(NEXT) | instid1(VALU_DEP_2)
	v_add3_u32 v16, v16, v29, v30
	v_add3_u32 v68, v68, v96, v97
	s_delay_alu instid0(VALU_DEP_2) | instskip(NEXT) | instid1(VALU_DEP_2)
	v_add3_u32 v2, v16, v2, v3
	v_add3_u32 v68, v68, v98, v99
	s_delay_alu instid0(VALU_DEP_2) | instskip(NEXT) | instid1(VALU_DEP_2)
	v_add3_u32 v2, v2, v4, v5
	v_add3_u32 v68, v68, v100, v101
	s_wait_loadcnt 0x1
	v_mul_i32_i24_e32 v8, v8, v119
	s_delay_alu instid0(VALU_DEP_3) | instskip(NEXT) | instid1(VALU_DEP_3)
	v_add3_u32 v2, v2, v6, v7
	v_add3_u32 v68, v68, v109, v112
	s_delay_alu instid0(VALU_DEP_2)
	v_add3_u32 v2, v2, v8, v9
	s_wait_loadcnt 0x0
	v_mul_i32_i24_e32 v115, v11, v73
	scratch_load_b32 v73, off, off offset:84 ; 4-byte Folded Reload
	v_mul_i32_i24_e32 v11, v11, v199
	v_add3_u32 v68, v68, v114, v115
	s_delay_alu instid0(VALU_DEP_2)
	v_add3_u32 v2, v2, v10, v11
	s_wait_loadcnt 0x0
	v_mul_i32_i24_e32 v122, v12, v73
	scratch_load_b32 v73, off, off offset:88 ; 4-byte Folded Reload
	v_mul_i32_i24_e32 v12, v12, v232
	v_add3_u32 v68, v68, v122, v123
	s_delay_alu instid0(VALU_DEP_2) | instskip(SKIP_4) | instid1(VALU_DEP_3)
	v_add3_u32 v2, v2, v12, v13
	s_wait_loadcnt 0x0
	v_mul_i32_i24_e32 v127, v15, v73
	v_mul_i32_i24_e32 v15, v15, v144
	v_mov_b32_e32 v144, v200
	v_add3_u32 v68, v68, v126, v127
	s_delay_alu instid0(VALU_DEP_3) | instskip(NEXT) | instid1(VALU_DEP_2)
	v_add3_u32 v2, v2, v14, v15
	v_mul_lo_u32 v68, v68, v241
	s_delay_alu instid0(VALU_DEP_2) | instskip(NEXT) | instid1(VALU_DEP_2)
	v_mul_lo_u32 v2, v2, v244
	v_cvt_f32_i32_e32 v68, v68
	s_delay_alu instid0(VALU_DEP_2) | instskip(NEXT) | instid1(VALU_DEP_2)
	v_cvt_f32_i32_e32 v2, v2
	v_fma_mix_f32 v66, v1, v68, v66 op_sel_hi:[1,0,0]
	scratch_load_b32 v68, off, off offset:476 ; 4-byte Folded Reload
	v_fma_mix_f32 v2, v1, v2, v34 op_sel_hi:[1,0,0]
	s_wait_loadcnt 0x0
	v_fma_mix_f32 v67, v68, v1, v67 op_sel:[0,1,0] op_sel_hi:[0,1,0]
	s_clause 0x1
	scratch_load_b32 v1, off, off offset:4
	scratch_load_b32 v68, off, off offset:164
	s_wait_loadcnt 0x1
	v_mul_f32_e32 v0, v0, v1
	scratch_load_b32 v1, off, off offset:704 ; 4-byte Folded Reload
	s_wait_loadcnt 0x1
	v_mul_f32_e32 v67, v67, v68
	v_fma_f32 v0, v2, v169, -v0
	s_delay_alu instid0(VALU_DEP_2)
	v_fma_f32 v66, v66, v153, -v67
	scratch_load_b32 v67, off, off offset:708 ; 4-byte Folded Reload
	s_wait_loadcnt 0x1
	v_add_f32_e32 v1, v1, v0
	scratch_load_b32 v0, off, off offset:1276 ; 4-byte Folded Reload
	scratch_store_b32 off, v1, off offset:704 ; 4-byte Folded Spill
	s_wait_loadcnt 0x1
	v_add_f32_e32 v67, v67, v66
	scratch_store_b32 off, v67, off offset:708 ; 4-byte Folded Spill
	s_wait_loadcnt 0x0
	v_or_b32_e32 v0, s11, v0
	s_delay_alu instid0(VALU_DEP_1)
	v_lshlrev_b32_e32 v1, 2, v0
	ds_load_b128 v[13:16], v1 offset:16896
	ds_load_b128 v[17:20], v1 offset:16912
	ds_load_b128 v[21:24], v1 offset:16928
	ds_load_b128 v[25:28], v1 offset:16944
	s_clause 0x17
	scratch_load_b32 v206, off, off offset:388
	scratch_load_b32 v81, off, off offset:572
	;; [unrolled: 1-line block ×24, first 2 shown]
	s_wait_dscnt 0x3
	v_bfe_i32 v2, v13, 0, 8
	v_bfe_i32 v3, v13, 8, 8
	;; [unrolled: 1-line block ×3, first 2 shown]
	v_ashrrev_i32_e32 v6, 24, v13
	v_bfe_i32 v4, v14, 0, 8
	s_clause 0xf
	scratch_load_b32 v71, off, off offset:36
	scratch_load_b32 v94, off, off offset:44
	;; [unrolled: 1-line block ×16, first 2 shown]
	v_bfe_i32 v7, v14, 8, 8
	v_bfe_i32 v8, v14, 16, 8
	v_ashrrev_i32_e32 v9, 24, v14
	s_wait_dscnt 0x1
	v_bfe_i32 v42, v21, 0, 8
	v_bfe_i32 v43, v21, 8, 8
	v_bfe_i32 v44, v21, 16, 8
	v_ashrrev_i32_e32 v21, 24, v21
	v_bfe_i32 v10, v15, 0, 8
	v_bfe_i32 v11, v15, 8, 8
	v_bfe_i32 v12, v15, 16, 8
	v_ashrrev_i32_e32 v13, 24, v15
	;; [unrolled: 4-line block ×5, first 2 shown]
	v_bfe_i32 v36, v19, 0, 8
	v_bfe_i32 v37, v19, 8, 8
	v_mul_i32_i24_e32 v97, v175, v34
	scratch_load_b32 v175, off, off offset:408 ; 4-byte Folded Reload
	v_mul_i32_i24_e32 v99, v174, v18
	scratch_load_b32 v174, off, off offset:404 ; 4-byte Folded Reload
	v_bfe_i32 v38, v19, 16, 8
	v_ashrrev_i32_e32 v19, 24, v19
	v_mul_i32_i24_e32 v98, v173, v35
	scratch_load_b32 v173, off, off offset:400 ; 4-byte Folded Reload
	v_mul_i32_i24_e32 v100, v178, v36
	v_mul_i32_i24_e32 v101, v177, v37
	;; [unrolled: 1-line block ×4, first 2 shown]
	s_clause 0x1
	scratch_load_b32 v180, off, off offset:424
	scratch_load_b32 v179, off, off offset:420
	v_bfe_i32 v39, v20, 0, 8
	v_bfe_i32 v40, v20, 8, 8
	s_clause 0x1
	scratch_load_b32 v178, off, off offset:416
	scratch_load_b32 v177, off, off offset:412
	v_bfe_i32 v41, v20, 16, 8
	v_ashrrev_i32_e32 v20, 24, v20
	v_mul_i32_i24_e32 v114, v184, v39
	v_mul_i32_i24_e32 v115, v183, v40
	s_clause 0x1
	scratch_load_b32 v184, off, off offset:432
	scratch_load_b32 v183, off, off offset:108
	v_bfe_i32 v45, v22, 0, 8
	v_bfe_i32 v46, v22, 8, 8
	;; [unrolled: 1-line block ×3, first 2 shown]
	v_ashrrev_i32_e32 v22, 24, v22
	v_mul_i32_i24_e32 v122, v182, v41
	v_mul_i32_i24_e32 v123, v181, v20
	s_clause 0x9
	scratch_load_b32 v182, off, off offset:892
	scratch_load_b32 v181, off, off offset:428
	;; [unrolled: 1-line block ×3, first 2 shown]
	scratch_load_b32 v148, off, off offset:1080 th:TH_LOAD_LU
	scratch_load_b32 v221, off, off offset:920 th:TH_LOAD_LU
	;; [unrolled: 1-line block ×7, first 2 shown]
	v_bfe_i32 v48, v23, 0, 8
	v_bfe_i32 v49, v23, 8, 8
	;; [unrolled: 1-line block ×3, first 2 shown]
	v_ashrrev_i32_e32 v23, 24, v23
	v_mov_b32_e32 v207, v157
	v_bfe_i32 v51, v24, 0, 8
	v_bfe_i32 v52, v24, 8, 8
	s_clause 0x8
	scratch_load_b32 v152, off, off offset:304
	scratch_load_b32 v154, off, off offset:308
	;; [unrolled: 1-line block ×8, first 2 shown]
	scratch_load_b32 v135, off, off offset:1204 th:TH_LOAD_LU
	v_mov_b32_e32 v161, v142
	v_bfe_i32 v53, v24, 16, 8
	v_ashrrev_i32_e32 v24, 24, v24
	s_wait_dscnt 0x0
	v_bfe_i32 v54, v25, 0, 8
	v_bfe_i32 v55, v25, 8, 8
	v_bfe_i32 v56, v25, 16, 8
	v_ashrrev_i32_e32 v25, 24, v25
	v_bfe_i32 v57, v26, 0, 8
	v_bfe_i32 v58, v26, 8, 8
	v_bfe_i32 v59, v26, 16, 8
	v_ashrrev_i32_e32 v26, 24, v26
	;; [unrolled: 4-line block ×3, first 2 shown]
	v_lshrrev_b32_e32 v0, 1, v0
	v_bfe_i32 v63, v28, 0, 8
	v_bfe_i32 v64, v28, 8, 8
	;; [unrolled: 1-line block ×3, first 2 shown]
	v_ashrrev_i32_e32 v28, 24, v28
	ds_load_b64 v[0:1], v0 offset:27200
	s_clause 0x1f
	scratch_load_b32 v150, off, off offset:300
	scratch_load_b32 v205, off, off offset:376
	;; [unrolled: 1-line block ×16, first 2 shown]
	scratch_load_b32 v238, off, off offset:1168 th:TH_LOAD_LU
	scratch_load_b32 v239, off, off offset:1172 th:TH_LOAD_LU
	scratch_load_b32 v241, off, off offset:1176 th:TH_LOAD_LU
	scratch_load_b32 v242, off, off offset:1180 th:TH_LOAD_LU
	scratch_load_b32 v244, off, off offset:1188 th:TH_LOAD_LU
	scratch_load_b32 v249, off, off offset:1192 th:TH_LOAD_LU
	scratch_load_b32 v129, off, off offset:1200 th:TH_LOAD_LU
	scratch_load_b32 v227, off, off offset:1220 th:TH_LOAD_LU
	scratch_load_b32 v243, off, off offset:1184 th:TH_LOAD_LU
	scratch_load_b32 v253, off, off offset:1196 th:TH_LOAD_LU
	scratch_load_b32 v255, off, off offset:1084 th:TH_LOAD_LU
	scratch_load_b32 v130, off, off offset:828
	scratch_load_b32 v136, off, off offset:80
	;; [unrolled: 1-line block ×5, first 2 shown]
	s_clause 0x1
	scratch_load_b32 v140, off, off offset:88
	scratch_load_b32 v225, off, off offset:160
	s_wait_loadcnt 0x3e
	v_mul_i32_i24_e32 v66, v206, v2
	v_mul_i32_i24_e32 v81, v81, v16
	;; [unrolled: 1-line block ×5, first 2 shown]
	v_mad_i32_i24 v66, v131, v3, v66
	v_mul_i32_i24_e32 v69, v132, v8
	v_mul_i32_i24_e32 v78, v78, v14
	v_mul_i32_i24_e32 v92, v92, v31
	s_delay_alu instid0(VALU_DEP_4)
	v_add3_u32 v66, v66, v67, v68
	v_mul_i32_i24_e32 v67, v74, v4
	scratch_load_b32 v74, off, off offset:872 ; 4-byte Folded Reload
	v_mul_i32_i24_e32 v79, v79, v15
	v_mul_i32_i24_e32 v80, v80, v29
	;; [unrolled: 1-line block ×10, first 2 shown]
	s_wait_loadcnt 0x0
	v_mul_i32_i24_e32 v68, v74, v7
	s_delay_alu instid0(VALU_DEP_1) | instskip(SKIP_3) | instid1(VALU_DEP_3)
	v_add3_u32 v66, v66, v67, v68
	v_mul_i32_i24_e32 v68, v195, v42
	s_wait_dscnt 0x0
	v_fma_mix_f32 v67, v197, v0, 0 op_sel:[0,1,0] op_sel_hi:[0,1,0]
	v_add3_u32 v66, v66, v69, v70
	v_mul_i32_i24_e32 v69, v194, v44
	v_mul_i32_i24_e32 v70, v193, v21
	v_mad_i32_i24 v68, v186, v43, v68
	scratch_load_b32 v186, off, off offset:440 ; 4-byte Folded Reload
	v_add3_u32 v66, v66, v71, v72
	v_mul_i32_i24_e32 v71, v188, v47
	v_mul_i32_i24_e32 v72, v187, v22
	v_add3_u32 v68, v68, v69, v70
	scratch_load_b32 v69, off, off offset:52 ; 4-byte Folded Reload
	v_add3_u32 v66, v66, v76, v77
	s_clause 0x3
	scratch_load_b32 v76, off, off offset:64
	scratch_load_b32 v77, off, off offset:60
	;; [unrolled: 1-line block ×4, first 2 shown]
	v_add3_u32 v66, v66, v78, v79
	scratch_load_b32 v78, off, off offset:56 ; 4-byte Folded Reload
	v_mul_i32_i24_e32 v70, v189, v46
	scratch_load_b32 v189, off, off offset:448 ; 4-byte Folded Reload
	v_mul_i32_i24_e32 v79, v141, v23
	v_add3_u32 v66, v66, v80, v81
	v_mul_i32_i24_e32 v80, v161, v51
	v_mul_i32_i24_e32 v81, v160, v52
	v_fma_mix_f32 v67, v190, v1, v67 op_sel:[0,1,0] op_sel_hi:[0,1,0]
	scratch_load_b32 v141, off, off offset:292 ; 4-byte Folded Reload
	v_add3_u32 v66, v66, v82, v92
	v_mul_i32_i24_e32 v82, v159, v53
	v_mul_i32_i24_e32 v92, v158, v24
	v_mul_f32_e32 v67, v67, v192
	s_delay_alu instid0(VALU_DEP_4) | instskip(SKIP_2) | instid1(VALU_DEP_3)
	v_add3_u32 v66, v66, v94, v95
	v_mul_i32_i24_e32 v94, v175, v54
	v_mul_i32_i24_e32 v95, v174, v55
	v_add3_u32 v66, v66, v96, v97
	v_mul_i32_i24_e32 v96, v173, v56
	v_mul_i32_i24_e32 v97, v176, v25
	s_delay_alu instid0(VALU_DEP_3) | instskip(SKIP_2) | instid1(VALU_DEP_3)
	v_add3_u32 v66, v66, v98, v99
	v_mul_i32_i24_e32 v98, v180, v57
	v_mul_i32_i24_e32 v99, v179, v58
	v_add3_u32 v66, v66, v100, v101
	v_mul_i32_i24_e32 v100, v178, v59
	v_mul_i32_i24_e32 v101, v177, v26
	s_delay_alu instid0(VALU_DEP_3) | instskip(SKIP_2) | instid1(VALU_DEP_3)
	v_add3_u32 v66, v66, v109, v112
	v_mul_i32_i24_e32 v109, v184, v60
	v_mul_i32_i24_e32 v112, v183, v61
	v_add3_u32 v66, v66, v114, v115
	v_mul_i32_i24_e32 v114, v182, v62
	v_mul_i32_i24_e32 v115, v181, v27
	s_delay_alu instid0(VALU_DEP_3) | instskip(NEXT) | instid1(VALU_DEP_1)
	v_add3_u32 v66, v66, v122, v123
	v_mul_lo_u32 v66, v66, v185
	scratch_load_b32 v185, off, off offset:436 ; 4-byte Folded Reload
	v_cvt_f32_i32_e32 v66, v66
	s_delay_alu instid0(VALU_DEP_1)
	v_fma_mix_f32 v66, v0, v66, 0 op_sel_hi:[1,0,0]
	s_wait_loadcnt 0x9
	v_mul_i32_i24_e32 v126, v186, v65
	s_wait_loadcnt 0x8
	v_mul_i32_i24_e32 v69, v69, v45
	;; [unrolled: 2-line block ×5, first 2 shown]
	v_add3_u32 v68, v68, v69, v70
	s_wait_loadcnt 0x4
	v_mul_i32_i24_e32 v123, v187, v64
	s_wait_loadcnt 0x3
	v_mul_i32_i24_e32 v78, v78, v50
	s_clause 0x1
	scratch_load_b32 v69, off, off offset:596
	scratch_load_b32 v70, off, off offset:1104
	v_add3_u32 v68, v68, v71, v72
	s_clause 0x1
	scratch_load_b32 v71, off, off offset:1108
	scratch_load_b32 v72, off, off offset:1112
	v_add3_u32 v68, v68, v76, v77
	;; [unrolled: 4-line block ×5, first 2 shown]
	s_wait_loadcnt 0xb
	v_mul_i32_i24_e32 v82, v30, v141
	v_mul_i32_i24_e32 v92, v31, v142
	s_delay_alu instid0(VALU_DEP_3) | instskip(SKIP_2) | instid1(VALU_DEP_3)
	v_add3_u32 v68, v68, v94, v95
	v_mul_i32_i24_e32 v94, v32, v143
	v_mul_i32_i24_e32 v95, v17, v144
	v_add3_u32 v68, v68, v96, v97
	v_mul_i32_i24_e32 v97, v34, v202
	scratch_load_b32 v202, off, off offset:368 ; 4-byte Folded Reload
	v_mul_i32_i24_e32 v96, v33, v145
	v_add3_u32 v68, v68, v98, v99
	v_mul_i32_i24_e32 v98, v35, v146
	v_mul_i32_i24_e32 v99, v18, v198
	s_delay_alu instid0(VALU_DEP_3) | instskip(SKIP_2) | instid1(VALU_DEP_3)
	v_add3_u32 v68, v68, v100, v101
	v_mul_i32_i24_e32 v100, v36, v147
	v_mul_i32_i24_e32 v101, v37, v200
	v_add3_u32 v68, v68, v109, v112
	v_mul_i32_i24_e32 v109, v38, v201
	s_wait_loadcnt 0xb
	v_mul_i32_i24_e32 v127, v185, v28
	s_delay_alu instid0(VALU_DEP_3)
	v_add3_u32 v68, v68, v114, v115
	v_mul_i32_i24_e32 v114, v39, v209
	scratch_load_b32 v209, off, off offset:380 ; 4-byte Folded Reload
	v_mul_i32_i24_e32 v115, v40, v224
	v_add3_u32 v68, v68, v122, v123
	v_mul_i32_i24_e32 v122, v41, v230
	s_delay_alu instid0(VALU_DEP_2)
	v_add3_u32 v68, v68, v126, v127
	v_mul_i32_i24_e32 v126, v65, v93
	v_mul_i32_i24_e32 v127, v28, v108
	s_clause 0x1
	scratch_load_b32 v93, off, off offset:228
	scratch_load_b32 v108, off, off offset:460 th:TH_LOAD_LU
	v_mul_lo_u32 v68, v68, v189
	s_delay_alu instid0(VALU_DEP_1) | instskip(NEXT) | instid1(VALU_DEP_1)
	v_cvt_f32_i32_e32 v68, v68
	v_fma_mix_f32 v66, v1, v68, v66 op_sel_hi:[1,0,0]
	scratch_load_b32 v68, off, off offset:1092 ; 4-byte Folded Reload
	v_fma_f32 v66, v66, v191, -v67
	scratch_load_b32 v67, off, off offset:700 ; 4-byte Folded Reload
	s_wait_loadcnt 0xe
	v_mul_i32_i24_e32 v70, v9, v70
	s_wait_loadcnt 0xd
	v_mul_i32_i24_e32 v71, v10, v71
	;; [unrolled: 2-line block ×12, first 2 shown]
	s_wait_loadcnt 0x0
	v_add_f32_e32 v67, v67, v66
	scratch_load_b32 v66, off, off offset:592 ; 4-byte Folded Reload
	scratch_store_b32 off, v67, off offset:700 ; 4-byte Folded Spill
	scratch_load_b32 v67, off, off offset:1088 ; 4-byte Folded Reload
	s_wait_loadcnt 0x1
	v_mul_i32_i24_e32 v66, v2, v66
	s_wait_loadcnt 0x0
	v_mul_i32_i24_e32 v67, v5, v67
	s_delay_alu instid0(VALU_DEP_2)
	v_mad_i32_i24 v66, v3, v69, v66
	scratch_load_b32 v69, off, off offset:1100 ; 4-byte Folded Reload
	v_add3_u32 v66, v66, v67, v68
	s_clause 0x1
	scratch_load_b32 v67, off, off offset:1140
	scratch_load_b32 v68, off, off offset:1096
	s_wait_loadcnt 0x2
	v_mul_i32_i24_e32 v69, v8, v69
	s_wait_loadcnt 0x1
	v_mul_i32_i24_e32 v67, v4, v67
	;; [unrolled: 2-line block ×3, first 2 shown]
	s_delay_alu instid0(VALU_DEP_1) | instskip(SKIP_2) | instid1(VALU_DEP_3)
	v_add3_u32 v66, v66, v67, v68
	v_mul_i32_i24_e32 v68, v42, v150
	v_fma_mix_f32 v67, v149, v0, 0 op_sel:[0,1,0] op_sel_hi:[0,1,0]
	v_add3_u32 v66, v66, v69, v70
	v_mul_i32_i24_e32 v69, v44, v83
	v_mul_i32_i24_e32 v70, v21, v152
	v_mad_i32_i24 v68, v43, v151, v68
	v_fma_mix_f32 v67, v134, v1, v67 op_sel:[0,1,0] op_sel_hi:[0,1,0]
	v_add3_u32 v66, v66, v71, v72
	v_mul_i32_i24_e32 v71, v47, v153
	v_mul_i32_i24_e32 v72, v22, v84
	v_add3_u32 v68, v68, v69, v70
	v_mul_i32_i24_e32 v69, v45, v205
	v_mul_i32_i24_e32 v70, v46, v154
	;; [unrolled: 3-line block ×3, first 2 shown]
	v_mul_f32_e32 v67, v67, v103
	v_add3_u32 v68, v68, v69, v70
	v_add3_u32 v66, v66, v78, v79
	v_mul_i32_i24_e32 v78, v50, v157
	v_mul_i32_i24_e32 v79, v23, v162
	s_clause 0x1
	scratch_load_b32 v69, off, off offset:604
	scratch_load_b32 v70, off, off offset:620
	v_add3_u32 v68, v68, v71, v72
	v_add3_u32 v66, v66, v80, v81
	v_mul_i32_i24_e32 v80, v51, v163
	v_mul_i32_i24_e32 v81, v52, v165
	s_clause 0x1
	scratch_load_b32 v71, off, off offset:624
	scratch_load_b32 v72, off, off offset:628
	v_add3_u32 v68, v68, v76, v77
	v_add3_u32 v66, v66, v82, v92
	v_mul_i32_i24_e32 v82, v53, v164
	v_mul_i32_i24_e32 v92, v24, v166
	scratch_load_b32 v134, off, off offset:280 ; 4-byte Folded Reload
	v_add3_u32 v68, v68, v78, v79
	v_add3_u32 v66, v66, v94, v95
	v_mul_i32_i24_e32 v94, v54, v167
	v_mul_i32_i24_e32 v95, v55, v169
	scratch_load_b32 v84, off, off offset:204 ; 4-byte Folded Reload
	v_add3_u32 v68, v68, v80, v81
	v_add3_u32 v66, v66, v96, v97
	v_mul_i32_i24_e32 v96, v56, v168
	v_mul_i32_i24_e32 v97, v25, v170
	scratch_load_b32 v103, off, off offset:980 th:TH_LOAD_LU ; 4-byte Folded Reload
	v_add3_u32 v68, v68, v82, v92
	v_add3_u32 v66, v66, v98, v99
	v_mul_i32_i24_e32 v98, v57, v171
	v_mul_i32_i24_e32 v99, v58, v85
	scratch_load_b32 v85, off, off offset:208 ; 4-byte Folded Reload
	v_add3_u32 v68, v68, v94, v95
	v_add3_u32 v66, v66, v100, v101
	v_mul_i32_i24_e32 v100, v59, v172
	v_mul_i32_i24_e32 v101, v26, v86
	v_mul_i32_i24_e32 v94, v32, v210
	v_add3_u32 v68, v68, v96, v97
	v_add3_u32 v66, v66, v109, v112
	v_mul_i32_i24_e32 v109, v60, v87
	v_mul_i32_i24_e32 v112, v61, v89
	v_mul_i32_i24_e32 v95, v17, v211
	;; [unrolled: 5-line block ×3, first 2 shown]
	v_add3_u32 v68, v68, v100, v101
	v_add3_u32 v66, v66, v122, v123
	v_mul_i32_i24_e32 v122, v63, v91
	v_mul_i32_i24_e32 v123, v64, v231
	scratch_load_b32 v231, off, off offset:476 th:TH_LOAD_LU ; 4-byte Folded Reload
	v_add3_u32 v68, v68, v109, v112
	v_mul_lo_u32 v66, v66, v148
	v_mul_i32_i24_e32 v97, v34, v213
	v_mul_i32_i24_e32 v98, v35, v214
	;; [unrolled: 1-line block ×3, first 2 shown]
	v_add3_u32 v68, v68, v114, v115
	v_mul_i32_i24_e32 v100, v36, v216
	v_mul_i32_i24_e32 v101, v37, v217
	;; [unrolled: 1-line block ×3, first 2 shown]
	v_cvt_f32_i32_e32 v66, v66
	v_add3_u32 v68, v68, v122, v123
	v_mul_i32_i24_e32 v112, v19, v222
	v_mul_i32_i24_e32 v114, v39, v233
	v_mul_i32_i24_e32 v115, v40, v235
	v_fma_mix_f32 v66, v0, v66, 0 op_sel_hi:[1,0,0]
	v_add3_u32 v68, v68, v126, v127
	v_mul_i32_i24_e32 v122, v41, v236
	v_mul_i32_i24_e32 v123, v20, v240
	;; [unrolled: 1-line block ×4, first 2 shown]
	v_mul_lo_u32 v68, v68, v110
	v_mul_i32_i24_e32 v17, v17, v118
	scratch_load_b32 v86, off, off offset:212 ; 4-byte Folded Reload
	v_mul_i32_i24_e32 v18, v18, v124
	s_clause 0x3
	scratch_load_b32 v87, off, off offset:68
	scratch_load_b32 v88, off, off offset:216
	;; [unrolled: 1-line block ×4, first 2 shown]
	v_cvt_f32_i32_e32 v68, v68
	scratch_load_b32 v91, off, off offset:224 ; 4-byte Folded Reload
	v_mov_b32_e32 v110, v111
	s_clause 0x1
	scratch_load_b32 v111, off, off offset:232
	scratch_load_b32 v118, off, off offset:468 th:TH_LOAD_LU
	v_fma_mix_f32 v66, v1, v68, v66 op_sel_hi:[1,0,0]
	s_clause 0x2
	scratch_load_b32 v68, off, off offset:608
	scratch_load_b32 v124, off, off offset:480 th:TH_LOAD_LU
	scratch_load_b32 v83, off, off offset:16
	v_fma_f32 v66, v66, v75, -v67
	s_clause 0x1
	scratch_load_b32 v67, off, off offset:696
	scratch_load_b32 v75, off, off offset:632
	s_wait_loadcnt 0x14
	v_mul_i32_i24_e32 v70, v9, v70
	s_wait_loadcnt 0x13
	v_mul_i32_i24_e32 v71, v10, v71
	;; [unrolled: 2-line block ×4, first 2 shown]
	s_wait_loadcnt 0x1
	v_add_f32_e32 v67, v67, v66
	s_wait_loadcnt 0x0
	v_mul_i32_i24_e32 v76, v12, v75
	s_clause 0x1
	scratch_load_b32 v75, off, off offset:1156
	scratch_load_b32 v66, off, off offset:1152
	scratch_store_b32 off, v67, off offset:696 ; 4-byte Folded Spill
	scratch_load_b32 v67, off, off offset:600 ; 4-byte Folded Reload
	s_wait_loadcnt 0x2
	v_mul_i32_i24_e32 v77, v13, v75
	scratch_load_b32 v75, off, off offset:636 ; 4-byte Folded Reload
	s_wait_loadcnt 0x2
	v_mul_i32_i24_e32 v66, v2, v66
	s_wait_loadcnt 0x1
	v_mul_i32_i24_e32 v67, v5, v67
	s_delay_alu instid0(VALU_DEP_2)
	v_mad_i32_i24 v66, v3, v69, v66
	scratch_load_b32 v69, off, off offset:616 ; 4-byte Folded Reload
	v_add3_u32 v66, v66, v67, v68
	s_clause 0x1
	scratch_load_b32 v67, off, off offset:640
	scratch_load_b32 v68, off, off offset:612
	s_wait_loadcnt 0x3
	v_mul_i32_i24_e32 v78, v14, v75
	scratch_load_b32 v75, off, off offset:140 ; 4-byte Folded Reload
	s_wait_loadcnt 0x3
	v_mul_i32_i24_e32 v69, v8, v69
	s_wait_loadcnt 0x2
	v_mul_i32_i24_e32 v67, v4, v67
	;; [unrolled: 2-line block ×3, first 2 shown]
	s_delay_alu instid0(VALU_DEP_1) | instskip(SKIP_2) | instid1(VALU_DEP_3)
	v_add3_u32 v66, v66, v67, v68
	v_mul_i32_i24_e32 v68, v42, v221
	v_fma_mix_f32 v67, v219, v0, 0 op_sel:[0,1,0] op_sel_hi:[0,1,0]
	v_add3_u32 v66, v66, v69, v70
	v_mul_i32_i24_e32 v69, v44, v223
	v_mul_i32_i24_e32 v70, v21, v196
	v_mad_i32_i24 v68, v43, v203, v68
	v_fma_mix_f32 v67, v231, v1, v67 op_sel:[0,1,0] op_sel_hi:[0,1,0]
	v_add3_u32 v66, v66, v71, v72
	v_mul_i32_i24_e32 v71, v47, v238
	v_mul_i32_i24_e32 v72, v22, v239
	v_add3_u32 v68, v68, v69, v70
	v_mul_i32_i24_e32 v69, v45, v234
	v_mul_i32_i24_e32 v70, v46, v237
	;; [unrolled: 3-line block ×3, first 2 shown]
	v_mul_f32_e32 v67, v67, v232
	v_add3_u32 v68, v68, v69, v70
	s_delay_alu instid0(VALU_DEP_1) | instskip(NEXT) | instid1(VALU_DEP_1)
	v_add3_u32 v68, v68, v71, v72
	v_add3_u32 v68, v68, v76, v77
	s_wait_loadcnt 0x0
	v_mul_i32_i24_e32 v79, v15, v75
	scratch_load_b32 v75, off, off offset:144 ; 4-byte Folded Reload
	v_add3_u32 v66, v66, v78, v79
	v_mul_i32_i24_e32 v78, v50, v243
	v_mul_i32_i24_e32 v79, v23, v244
	s_delay_alu instid0(VALU_DEP_1)
	v_add3_u32 v68, v68, v78, v79
	s_wait_loadcnt 0x0
	v_mul_i32_i24_e32 v80, v29, v75
	scratch_load_b32 v75, off, off offset:148 ; 4-byte Folded Reload
	s_wait_loadcnt 0x0
	v_mul_i32_i24_e32 v81, v16, v75
	scratch_load_b32 v75, off, off offset:152 ; 4-byte Folded Reload
	v_add3_u32 v66, v66, v80, v81
	v_mul_i32_i24_e32 v80, v51, v245
	v_mul_i32_i24_e32 v81, v52, v247
	s_delay_alu instid0(VALU_DEP_1)
	v_add3_u32 v68, v68, v80, v81
	s_wait_loadcnt 0x0
	v_mul_i32_i24_e32 v82, v30, v75
	scratch_load_b32 v75, off, off offset:156 ; 4-byte Folded Reload
	s_wait_loadcnt 0x0
	v_mul_i32_i24_e32 v92, v31, v75
	scratch_load_b32 v75, off, off offset:568 th:TH_LOAD_LU ; 4-byte Folded Reload
	v_add3_u32 v66, v66, v82, v92
	v_mul_i32_i24_e32 v82, v53, v246
	v_mul_i32_i24_e32 v92, v24, v248
	s_delay_alu instid0(VALU_DEP_3) | instskip(SKIP_2) | instid1(VALU_DEP_4)
	v_add3_u32 v66, v66, v94, v95
	v_mul_i32_i24_e32 v94, v54, v249
	v_mul_i32_i24_e32 v95, v55, v251
	v_add3_u32 v68, v68, v82, v92
	s_delay_alu instid0(VALU_DEP_4) | instskip(SKIP_2) | instid1(VALU_DEP_4)
	v_add3_u32 v66, v66, v96, v97
	v_mul_i32_i24_e32 v96, v56, v250
	v_mul_i32_i24_e32 v97, v25, v252
	v_add3_u32 v68, v68, v94, v95
	s_delay_alu instid0(VALU_DEP_4) | instskip(SKIP_2) | instid1(VALU_DEP_4)
	;; [unrolled: 5-line block ×6, first 2 shown]
	v_add3_u32 v66, v66, v122, v123
	v_mul_i32_i24_e32 v122, v63, v137
	v_mul_i32_i24_e32 v123, v64, v139
	v_add3_u32 v68, v68, v114, v115
	s_delay_alu instid0(VALU_DEP_4) | instskip(NEXT) | instid1(VALU_DEP_2)
	v_mul_lo_u32 v66, v66, v218
	v_add3_u32 v68, v68, v122, v123
	s_delay_alu instid0(VALU_DEP_1) | instskip(NEXT) | instid1(VALU_DEP_3)
	v_add3_u32 v68, v68, v126, v127
	v_cvt_f32_i32_e32 v66, v66
	s_delay_alu instid0(VALU_DEP_2) | instskip(NEXT) | instid1(VALU_DEP_2)
	v_mul_lo_u32 v68, v68, v227
	v_fma_mix_f32 v66, v0, v66, 0 op_sel_hi:[1,0,0]
	s_delay_alu instid0(VALU_DEP_2) | instskip(NEXT) | instid1(VALU_DEP_1)
	v_cvt_f32_i32_e32 v68, v68
	v_fma_mix_f32 v66, v1, v68, v66 op_sel_hi:[1,0,0]
	s_delay_alu instid0(VALU_DEP_1)
	v_fma_f32 v66, v66, v225, -v67
	scratch_load_b32 v67, off, off offset:692 ; 4-byte Folded Reload
	s_wait_loadcnt 0x0
	v_add_f32_e32 v67, v67, v66
	scratch_load_b32 v66, off, off offset:488 ; 4-byte Folded Reload
	s_wait_loadcnt 0x0
	v_mul_i32_i24_e32 v2, v2, v66
	scratch_load_b32 v66, off, off offset:516 ; 4-byte Folded Reload
	v_mad_i32_i24 v2, v3, v207, v2
	v_mul_i32_i24_e32 v3, v4, v208
	s_clause 0x1
	scratch_load_b32 v4, off, off offset:524
	scratch_load_b32 v208, off, off offset:240
	v_mov_b32_e32 v207, v228
	scratch_load_b32 v228, off, off offset:972 th:TH_LOAD_LU ; 4-byte Folded Reload
	v_mul_i32_i24_e32 v19, v19, v207
	s_wait_loadcnt 0x3
	v_mul_i32_i24_e32 v5, v5, v66
	scratch_load_b32 v66, off, off offset:520 ; 4-byte Folded Reload
	s_wait_loadcnt 0x3
	v_mul_i32_i24_e32 v4, v7, v4
	scratch_load_b32 v7, off, off offset:496 ; 4-byte Folded Reload
	s_wait_loadcnt 0x1
	v_mul_i32_i24_e32 v6, v6, v66
	s_delay_alu instid0(VALU_DEP_1)
	v_add3_u32 v2, v2, v5, v6
	s_clause 0x1
	scratch_load_b32 v5, off, off offset:528
	scratch_load_b32 v6, off, off offset:492
	s_wait_loadcnt 0x2
	v_mul_i32_i24_e32 v7, v10, v7
	scratch_load_b32 v10, off, off offset:508 ; 4-byte Folded Reload
	v_add3_u32 v2, v2, v3, v4
	scratch_load_b32 v3, off, off offset:116 ; 4-byte Folded Reload
	v_mul_i32_i24_e32 v4, v44, v104
	scratch_load_b32 v104, off, off offset:984 th:TH_LOAD_LU ; 4-byte Folded Reload
	s_wait_loadcnt 0x4
	v_mul_i32_i24_e32 v5, v8, v5
	scratch_load_b32 v8, off, off offset:500 ; 4-byte Folded Reload
	s_wait_loadcnt 0x4
	v_mul_i32_i24_e32 v6, v9, v6
	scratch_load_b32 v9, off, off offset:504 ; 4-byte Folded Reload
	;; [unrolled: 3-line block ×3, first 2 shown]
	v_add3_u32 v2, v2, v5, v6
	scratch_load_b32 v6, off, off offset:552 ; 4-byte Folded Reload
	v_mul_i32_i24_e32 v5, v21, v105
	scratch_load_b32 v105, off, off offset:988 th:TH_LOAD_LU ; 4-byte Folded Reload
	v_mul_i32_i24_e32 v21, v58, v113
	s_wait_loadcnt 0x4
	v_mul_i32_i24_e32 v8, v11, v8
	scratch_load_b32 v11, off, off offset:512 ; 4-byte Folded Reload
	s_wait_loadcnt 0x4
	v_mul_i32_i24_e32 v9, v12, v9
	v_mul_i32_i24_e32 v12, v15, v226
	s_clause 0x1
	scratch_load_b32 v15, off, off offset:120
	scratch_load_b32 v226, off, off offset:976 th:TH_LOAD_LU
	v_add3_u32 v2, v2, v7, v8
	s_wait_loadcnt 0x5
	v_mul_i32_i24_e32 v13, v29, v13
	v_mul_i32_i24_e32 v29, v32, v117
	;; [unrolled: 1-line block ×4, first 2 shown]
	v_add3_u32 v2, v2, v9, v10
	v_mul_i32_i24_e32 v38, v41, v229
	scratch_load_b32 v107, off, off offset:992 th:TH_LOAD_LU ; 4-byte Folded Reload
	v_mov_b32_e32 v117, v119
	s_clause 0x1
	scratch_load_b32 v119, off, off offset:1008 th:TH_LOAD_LU
	scratch_load_b32 v121, off, off offset:1016 th:TH_LOAD_LU
	v_mul_i32_i24_e32 v7, v22, v87
	v_mul_i32_i24_e32 v8, v48, v88
	v_mul_i32_i24_e32 v9, v49, v90
	v_mul_i32_i24_e32 v10, v50, v89
	v_mul_i32_i24_e32 v22, v59, v111
	s_wait_loadcnt 0x5
	v_mul_i32_i24_e32 v11, v14, v11
	scratch_load_b32 v14, off, off offset:536 ; 4-byte Folded Reload
	s_wait_loadcnt 0x5
	v_mul_i32_i24_e32 v15, v30, v15
	v_mul_i32_i24_e32 v30, v33, v102
	v_add3_u32 v2, v2, v11, v12
	v_mul_i32_i24_e32 v33, v36, v125
	v_mul_i32_i24_e32 v36, v39, v208
	s_wait_loadcnt 0x4
	v_mul_i32_i24_e32 v20, v20, v226
	s_clause 0x1
	scratch_load_b32 v102, off, off offset:452 th:TH_LOAD_LU
	scratch_load_b32 v125, off, off offset:484 th:TH_LOAD_LU
	v_mul_i32_i24_e32 v11, v23, v91
	v_mul_i32_i24_e32 v12, v51, v93
	s_wait_loadcnt 0x2
	v_mul_i32_i24_e32 v14, v16, v14
	scratch_load_b32 v16, off, off offset:124 ; 4-byte Folded Reload
	v_add3_u32 v2, v2, v13, v14
	v_mul_i32_i24_e32 v13, v52, v103
	s_wait_loadcnt 0x2
	v_mul_i32_i24_e32 v14, v53, v102
	s_wait_loadcnt 0x0
	v_mul_i32_i24_e32 v16, v31, v16
	v_mul_i32_i24_e32 v31, v34, v120
	;; [unrolled: 1-line block ×4, first 2 shown]
	scratch_load_b32 v128, off, off offset:472 th:TH_LOAD_LU ; 4-byte Folded Reload
	v_add3_u32 v2, v2, v15, v16
	v_mul_i32_i24_e32 v15, v24, v104
	v_mul_i32_i24_e32 v16, v54, v105
	v_mul_i32_i24_e32 v24, v60, v117
	v_mov_b32_e32 v120, v199
	v_add3_u32 v2, v2, v29, v17
	v_mul_i32_i24_e32 v17, v55, v107
	v_mul_i32_i24_e32 v29, v63, v121
	scratch_load_b32 v199, off, off offset:4 ; 4-byte Folded Reload
	v_mul_i32_i24_e32 v27, v27, v120
	v_add3_u32 v2, v2, v30, v31
	v_mul_i32_i24_e32 v30, v64, v125
	v_mul_i32_i24_e32 v31, v65, v124
	s_delay_alu instid0(VALU_DEP_3) | instskip(NEXT) | instid1(VALU_DEP_1)
	v_add3_u32 v2, v2, v32, v18
	v_add3_u32 v2, v2, v33, v34
	s_delay_alu instid0(VALU_DEP_1) | instskip(SKIP_2) | instid1(VALU_DEP_3)
	v_add3_u32 v2, v2, v35, v19
	v_mul_i32_i24_e32 v19, v25, v108
	v_mul_i32_i24_e32 v25, v61, v119
	v_add3_u32 v2, v2, v36, v37
	s_delay_alu instid0(VALU_DEP_1) | instskip(SKIP_1) | instid1(VALU_DEP_2)
	v_add3_u32 v2, v2, v38, v20
	v_mul_i32_i24_e32 v20, v57, v110
	v_mul_lo_u32 v2, v2, v106
	scratch_load_b32 v106, off, off offset:456 th:TH_LOAD_LU ; 4-byte Folded Reload
	v_cvt_f32_i32_e32 v2, v2
	s_delay_alu instid0(VALU_DEP_1)
	v_fma_mix_f32 v2, v0, v2, 0 op_sel_hi:[1,0,0]
	v_fma_mix_f32 v0, v3, v0, 0 op_sel:[0,1,0] op_sel_hi:[0,1,0]
	v_mul_i32_i24_e32 v3, v42, v116
	scratch_load_b32 v116, off, off offset:464 th:TH_LOAD_LU ; 4-byte Folded Reload
	v_fma_mix_f32 v0, v75, v1, v0 op_sel:[0,1,0] op_sel_hi:[0,1,0]
	v_mad_i32_i24 v3, v43, v6, v3
	v_mul_i32_i24_e32 v6, v47, v85
	s_delay_alu instid0(VALU_DEP_2) | instskip(SKIP_2) | instid1(VALU_DEP_1)
	v_add3_u32 v3, v3, v4, v5
	v_mul_i32_i24_e32 v4, v45, v84
	v_mul_i32_i24_e32 v5, v46, v86
	v_add3_u32 v3, v3, v4, v5
	s_delay_alu instid0(VALU_DEP_1) | instskip(NEXT) | instid1(VALU_DEP_1)
	v_add3_u32 v3, v3, v6, v7
	v_add3_u32 v3, v3, v8, v9
	s_delay_alu instid0(VALU_DEP_1) | instskip(NEXT) | instid1(VALU_DEP_1)
	v_add3_u32 v3, v3, v10, v11
	;; [unrolled: 3-line block ×3, first 2 shown]
	v_add3_u32 v3, v3, v16, v17
	s_wait_loadcnt 0x3
	v_mul_i32_i24_e32 v28, v28, v128
	s_wait_loadcnt 0x2
	v_mul_f32_e32 v0, v0, v199
	s_wait_loadcnt 0x1
	v_mul_i32_i24_e32 v18, v56, v106
	s_delay_alu instid0(VALU_DEP_1) | instskip(NEXT) | instid1(VALU_DEP_1)
	v_add3_u32 v3, v3, v18, v19
	v_add3_u32 v3, v3, v20, v21
	s_wait_loadcnt 0x0
	v_mul_i32_i24_e32 v23, v26, v116
	v_mul_i32_i24_e32 v26, v62, v118
	s_delay_alu instid0(VALU_DEP_2) | instskip(NEXT) | instid1(VALU_DEP_1)
	v_add3_u32 v3, v3, v22, v23
	v_add3_u32 v3, v3, v24, v25
	s_delay_alu instid0(VALU_DEP_1) | instskip(NEXT) | instid1(VALU_DEP_1)
	v_add3_u32 v3, v3, v26, v27
	v_add3_u32 v3, v3, v29, v30
	s_delay_alu instid0(VALU_DEP_1) | instskip(NEXT) | instid1(VALU_DEP_1)
	v_add3_u32 v3, v3, v31, v28
	v_mul_lo_u32 v3, v3, v83
	s_delay_alu instid0(VALU_DEP_1) | instskip(NEXT) | instid1(VALU_DEP_1)
	v_cvt_f32_i32_e32 v3, v3
	v_fma_mix_f32 v2, v1, v3, v2 op_sel_hi:[1,0,0]
	scratch_load_b32 v1, off, off offset:12 ; 4-byte Folded Reload
	s_wait_loadcnt 0x0
	v_fma_f32 v0, v2, v1, -v0
	scratch_load_b32 v1, off, off offset:688 ; 4-byte Folded Reload
	s_wait_loadcnt 0x0
	v_add_f32_e32 v1, v1, v0
	scratch_load_b32 v0, off, off offset:1280 ; 4-byte Folded Reload
	s_clause 0x1
	scratch_store_b32 off, v67, off offset:692
	scratch_store_b32 off, v1, off offset:688
	s_wait_loadcnt 0x0
	v_or_b32_e32 v0, s11, v0
	s_delay_alu instid0(VALU_DEP_1)
	v_lshlrev_b32_e32 v1, 2, v0
	ds_load_b128 v[14:17], v1 offset:16896
	ds_load_b128 v[30:33], v1 offset:16912
	;; [unrolled: 1-line block ×4, first 2 shown]
	s_clause 0x1
	scratch_load_b32 v71, off, off offset:36
	scratch_load_b32 v72, off, off offset:32
	v_lshrrev_b32_e32 v0, 1, v0
	ds_load_b64 v[0:1], v0 offset:27200
	s_wait_dscnt 0x4
	v_bfe_i32 v2, v14, 0, 8
	v_bfe_i32 v3, v14, 8, 8
	;; [unrolled: 1-line block ×3, first 2 shown]
	v_ashrrev_i32_e32 v5, 24, v14
	v_bfe_i32 v7, v15, 8, 8
	v_mul_i32_i24_e32 v66, v206, v2
	v_bfe_i32 v12, v16, 16, 8
	v_mul_i32_i24_e32 v67, v73, v4
	v_mul_i32_i24_e32 v68, v204, v5
	v_ashrrev_i32_e32 v13, 24, v16
	v_mad_i32_i24 v66, v131, v3, v66
	s_wait_dscnt 0x3
	v_bfe_i32 v18, v30, 0, 8
	v_bfe_i32 v20, v30, 16, 8
	v_ashrrev_i32_e32 v21, 24, v30
	v_bfe_i32 v22, v31, 0, 8
	v_add3_u32 v66, v66, v67, v68
	v_mul_i32_i24_e32 v68, v74, v7
	scratch_load_b32 v74, off, off offset:28 ; 4-byte Folded Reload
	v_bfe_i32 v23, v31, 8, 8
	v_bfe_i32 v24, v31, 16, 8
	v_ashrrev_i32_e32 v25, 24, v31
	v_bfe_i32 v26, v32, 0, 8
	v_bfe_i32 v27, v32, 8, 8
	;; [unrolled: 1-line block ×3, first 2 shown]
	v_ashrrev_i32_e32 v29, 24, v32
	v_bfe_i32 v19, v30, 8, 8
	v_bfe_i32 v30, v33, 0, 8
	;; [unrolled: 1-line block ×4, first 2 shown]
	scratch_load_b32 v73, off, off offset:1240 th:TH_LOAD_LU ; 4-byte Folded Reload
	v_ashrrev_i32_e32 v9, 24, v15
	v_bfe_i32 v8, v15, 16, 8
	s_clause 0x2
	scratch_load_b32 v204, off, off offset:584 th:TH_LOAD_LU
	scratch_load_b32 v131, off, off offset:572 th:TH_LOAD_LU
	;; [unrolled: 1-line block ×3, first 2 shown]
	v_mul_i32_i24_e32 v70, v133, v9
	scratch_load_b32 v133, off, off offset:580 th:TH_LOAD_LU ; 4-byte Folded Reload
	v_mul_i32_i24_e32 v69, v132, v8
	scratch_load_b32 v132, off, off offset:576 th:TH_LOAD_LU ; 4-byte Folded Reload
	v_bfe_i32 v6, v15, 0, 8
	v_ashrrev_i32_e32 v33, 24, v33
	v_bfe_i32 v10, v16, 0, 8
	v_bfe_i32 v11, v16, 8, 8
	;; [unrolled: 1-line block ×5, first 2 shown]
	v_ashrrev_i32_e32 v17, 24, v17
	s_wait_dscnt 0x2
	v_bfe_i32 v42, v34, 0, 8
	v_bfe_i32 v43, v34, 8, 8
	v_bfe_i32 v44, v34, 16, 8
	v_ashrrev_i32_e32 v34, 24, v34
	v_bfe_i32 v45, v35, 0, 8
	v_bfe_i32 v46, v35, 8, 8
	v_bfe_i32 v47, v35, 16, 8
	v_ashrrev_i32_e32 v35, 24, v35
	;; [unrolled: 4-line block ×4, first 2 shown]
	s_wait_dscnt 0x1
	v_bfe_i32 v54, v38, 0, 8
	v_bfe_i32 v55, v38, 8, 8
	v_bfe_i32 v56, v38, 16, 8
	v_ashrrev_i32_e32 v38, 24, v38
	v_bfe_i32 v57, v39, 0, 8
	v_bfe_i32 v58, v39, 8, 8
	v_bfe_i32 v59, v39, 16, 8
	v_ashrrev_i32_e32 v39, 24, v39
	;; [unrolled: 4-line block ×4, first 2 shown]
	s_delay_alu instid0(VALU_DEP_2) | instskip(NEXT) | instid1(VALU_DEP_2)
	v_mul_i32_i24_e32 v126, v186, v65
	v_mul_i32_i24_e32 v127, v185, v41
	s_clause 0x1
	scratch_load_b32 v185, off, off offset:608 th:TH_LOAD_LU
	scratch_load_b32 v186, off, off offset:640 th:TH_LOAD_LU
	s_wait_loadcnt 0xa
	v_mul_i32_i24_e32 v71, v71, v10
	s_wait_loadcnt 0x9
	v_mul_i32_i24_e32 v72, v72, v11
	;; [unrolled: 2-line block ×3, first 2 shown]
	scratch_load_b32 v74, off, off offset:24 ; 4-byte Folded Reload
	s_wait_loadcnt 0x8
	v_mul_i32_i24_e32 v67, v73, v6
	s_wait_loadcnt 0x7
	v_mul_i32_i24_e32 v78, v204, v14
	;; [unrolled: 2-line block ×3, first 2 shown]
	v_add3_u32 v66, v66, v67, v68
	scratch_load_b32 v67, off, off offset:200 ; 4-byte Folded Reload
	s_wait_loadcnt 0x5
	v_mul_i32_i24_e32 v79, v133, v15
	v_mul_i32_i24_e32 v92, v206, v19
	s_wait_loadcnt 0x4
	v_mul_i32_i24_e32 v80, v132, v16
	v_add3_u32 v66, v66, v69, v70
	v_mul_i32_i24_e32 v68, v195, v42
	v_mul_i32_i24_e32 v69, v194, v44
	;; [unrolled: 1-line block ×3, first 2 shown]
	scratch_load_b32 v195, off, off offset:1208 th:TH_LOAD_LU ; 4-byte Folded Reload
	v_add3_u32 v66, v66, v71, v72
	s_clause 0x1
	scratch_load_b32 v194, off, off offset:1244 th:TH_LOAD_LU
	scratch_load_b32 v193, off, off offset:1148 th:TH_LOAD_LU
	s_wait_loadcnt 0x4
	v_mul_i32_i24_e32 v77, v74, v13
	scratch_load_b32 v74, off, off offset:20 ; 4-byte Folded Reload
	v_add3_u32 v66, v66, v76, v77
	s_clause 0x1
	scratch_load_b32 v76, off, off offset:64
	scratch_load_b32 v77, off, off offset:60
	v_add3_u32 v66, v66, v78, v79
	scratch_load_b32 v78, off, off offset:56 ; 4-byte Folded Reload
	v_add3_u32 v66, v66, v80, v81
	v_mul_i32_i24_e32 v80, v161, v51
	v_mul_i32_i24_e32 v81, v160, v52
	s_clause 0x1
	scratch_load_b32 v160, off, off offset:1092 th:TH_LOAD_LU
	scratch_load_b32 v161, off, off offset:1140 th:TH_LOAD_LU
	s_wait_loadcnt 0x8
	v_mul_i32_i24_e32 v71, v195, v47
	s_wait_loadcnt 0x7
	v_mul_i32_i24_e32 v72, v194, v35
	;; [unrolled: 2-line block ×4, first 2 shown]
	scratch_load_b32 v74, off, off offset:44 ; 4-byte Folded Reload
	v_add3_u32 v66, v66, v82, v92
	s_wait_loadcnt 0x5
	v_mul_i32_i24_e32 v76, v76, v48
	s_wait_loadcnt 0x4
	v_mul_i32_i24_e32 v77, v77, v49
	v_mul_i32_i24_e32 v82, v159, v53
	;; [unrolled: 1-line block ×3, first 2 shown]
	s_wait_loadcnt 0x3
	v_mul_i32_i24_e32 v78, v78, v50
	s_clause 0x1
	scratch_load_b32 v158, off, off offset:592 th:TH_LOAD_LU
	scratch_load_b32 v159, off, off offset:596 th:TH_LOAD_LU
	s_wait_loadcnt 0x2
	v_mul_i32_i24_e32 v94, v74, v20
	scratch_load_b32 v74, off, off offset:40 ; 4-byte Folded Reload
	s_wait_loadcnt 0x0
	v_mul_i32_i24_e32 v95, v74, v21
	scratch_load_b32 v74, off, off offset:48 ; 4-byte Folded Reload
	v_add3_u32 v66, v66, v94, v95
	v_mul_i32_i24_e32 v94, v175, v54
	v_mul_i32_i24_e32 v95, v174, v55
	s_clause 0x1
	scratch_load_b32 v174, off, off offset:1100 th:TH_LOAD_LU
	scratch_load_b32 v175, off, off offset:1104 th:TH_LOAD_LU
	s_wait_loadcnt 0x2
	v_mul_i32_i24_e32 v96, v74, v22
	scratch_load_b32 v74, off, off offset:660 ; 4-byte Folded Reload
	s_wait_loadcnt 0x0
	v_mul_i32_i24_e32 v97, v74, v23
	scratch_load_b32 v74, off, off offset:168 ; 4-byte Folded Reload
	v_add3_u32 v66, v66, v96, v97
	v_mul_i32_i24_e32 v96, v173, v56
	;; [unrolled: 12-line block ×6, first 2 shown]
	v_mul_i32_i24_e32 v115, v181, v40
	s_clause 0x1
	scratch_load_b32 v181, off, off offset:1128 th:TH_LOAD_LU
	scratch_load_b32 v182, off, off offset:1132 th:TH_LOAD_LU
	s_wait_loadcnt 0x2
	v_mul_i32_i24_e32 v122, v74, v32
	scratch_load_b32 v74, off, off offset:664 ; 4-byte Folded Reload
	s_wait_loadcnt 0x0
	v_mul_i32_i24_e32 v123, v74, v33
	scratch_load_b32 v74, off, off offset:1212 th:TH_LOAD_LU ; 4-byte Folded Reload
	v_add3_u32 v66, v66, v122, v123
	v_mul_i32_i24_e32 v122, v188, v63
	v_mul_i32_i24_e32 v123, v187, v64
	s_clause 0x1
	scratch_load_b32 v187, off, off offset:604 th:TH_LOAD_LU
	scratch_load_b32 v188, off, off offset:152 th:TH_LOAD_LU
	v_mul_lo_u32 v66, v66, v67
	s_wait_dscnt 0x0
	v_fma_mix_f32 v67, v197, v0, 0 op_sel:[0,1,0] op_sel_hi:[0,1,0]
	scratch_load_b32 v197, off, off offset:1144 th:TH_LOAD_LU ; 4-byte Folded Reload
	v_fma_mix_f32 v67, v190, v1, v67 op_sel:[0,1,0] op_sel_hi:[0,1,0]
	scratch_load_b32 v190, off, off offset:600 th:TH_LOAD_LU ; 4-byte Folded Reload
	v_cvt_f32_i32_e32 v66, v66
	v_mul_f32_e32 v67, v67, v192
	scratch_load_b32 v192, off, off offset:616 th:TH_LOAD_LU ; 4-byte Folded Reload
	v_fma_mix_f32 v66, v0, v66, 0 op_sel_hi:[1,0,0]
	s_wait_loadcnt 0x5
	v_mad_i32_i24 v68, v74, v43, v68
	s_delay_alu instid0(VALU_DEP_1)
	v_add3_u32 v68, v68, v69, v70
	scratch_load_b32 v69, off, off offset:52 ; 4-byte Folded Reload
	s_wait_loadcnt 0x3
	v_mul_i32_i24_e32 v70, v197, v46
	s_wait_loadcnt 0x0
	v_mul_i32_i24_e32 v69, v69, v45
	s_delay_alu instid0(VALU_DEP_1) | instskip(SKIP_2) | instid1(VALU_DEP_3)
	v_add3_u32 v68, v68, v69, v70
	v_mul_i32_i24_e32 v69, v8, v174
	v_mul_i32_i24_e32 v70, v9, v175
	v_add3_u32 v68, v68, v71, v72
	v_mul_i32_i24_e32 v71, v10, v176
	v_mul_i32_i24_e32 v72, v11, v177
	s_delay_alu instid0(VALU_DEP_3) | instskip(SKIP_2) | instid1(VALU_DEP_3)
	v_add3_u32 v68, v68, v76, v77
	v_mul_i32_i24_e32 v76, v12, v178
	v_mul_i32_i24_e32 v77, v13, v179
	v_add3_u32 v68, v68, v78, v79
	v_mul_i32_i24_e32 v78, v14, v180
	v_mul_i32_i24_e32 v79, v15, v181
	s_delay_alu instid0(VALU_DEP_3) | instskip(SKIP_2) | instid1(VALU_DEP_3)
	v_add3_u32 v68, v68, v80, v81
	v_mul_i32_i24_e32 v80, v16, v182
	v_mul_i32_i24_e32 v81, v17, v184
	v_add3_u32 v68, v68, v82, v92
	v_mul_i32_i24_e32 v92, v19, v142
	scratch_load_b32 v142, off, off offset:1032 th:TH_LOAD_LU ; 4-byte Folded Reload
	v_mul_i32_i24_e32 v82, v18, v141
	scratch_load_b32 v141, off, off offset:560 th:TH_LOAD_LU ; 4-byte Folded Reload
	v_add3_u32 v68, v68, v94, v95
	v_mul_i32_i24_e32 v95, v21, v144
	scratch_load_b32 v144, off, off offset:1024 th:TH_LOAD_LU ; 4-byte Folded Reload
	v_mul_i32_i24_e32 v94, v20, v143
	scratch_load_b32 v143, off, off offset:564 th:TH_LOAD_LU ; 4-byte Folded Reload
	v_add3_u32 v68, v68, v96, v97
	v_mul_i32_i24_e32 v96, v22, v145
	scratch_load_b32 v145, off, off offset:1028 th:TH_LOAD_LU ; 4-byte Folded Reload
	v_add3_u32 v68, v68, v98, v99
	v_mul_i32_i24_e32 v98, v24, v146
	scratch_load_b32 v146, off, off offset:1036 th:TH_LOAD_LU ; 4-byte Folded Reload
	v_mul_i32_i24_e32 v99, v25, v198
	scratch_load_b32 v198, off, off offset:492 th:TH_LOAD_LU ; 4-byte Folded Reload
	v_add3_u32 v68, v68, v100, v101
	v_mul_i32_i24_e32 v100, v26, v147
	v_mul_i32_i24_e32 v101, v27, v200
	s_clause 0x1
	scratch_load_b32 v147, off, off offset:1048 th:TH_LOAD_LU
	scratch_load_b32 v200, off, off offset:496 th:TH_LOAD_LU
	v_add3_u32 v68, v68, v109, v112
	v_mul_i32_i24_e32 v109, v28, v201
	v_mul_i32_i24_e32 v112, v29, v202
	s_clause 0x1
	scratch_load_b32 v201, off, off offset:500 th:TH_LOAD_LU
	scratch_load_b32 v202, off, off offset:504 th:TH_LOAD_LU
	v_add3_u32 v68, v68, v114, v115
	v_mul_i32_i24_e32 v115, v31, v224
	v_mov_b32_e32 v224, v148
	s_delay_alu instid0(VALU_DEP_3) | instskip(SKIP_4) | instid1(VALU_DEP_1)
	v_add3_u32 v68, v68, v122, v123
	v_mul_i32_i24_e32 v122, v32, v230
	v_mul_i32_i24_e32 v123, v33, v209
	scratch_load_b32 v209, off, off offset:488 th:TH_LOAD_LU ; 4-byte Folded Reload
	v_add3_u32 v68, v68, v126, v127
	v_mul_lo_u32 v68, v68, v189
	scratch_load_b32 v189, off, off offset:156 th:TH_LOAD_LU ; 4-byte Folded Reload
	v_cvt_f32_i32_e32 v68, v68
	s_delay_alu instid0(VALU_DEP_1) | instskip(SKIP_1) | instid1(VALU_DEP_2)
	v_fma_mix_f32 v66, v1, v68, v66 op_sel_hi:[1,0,0]
	v_mul_i32_i24_e32 v68, v5, v160
	v_fma_f32 v66, v66, v191, -v67
	s_clause 0x1
	scratch_load_b32 v67, off, off offset:684
	scratch_load_b32 v191, off, off offset:612 th:TH_LOAD_LU
	s_wait_loadcnt 0xe
	v_mul_i32_i24_e32 v114, v30, v142
	s_wait_loadcnt 0xc
	v_mul_i32_i24_e32 v97, v23, v144
	s_wait_loadcnt 0x1
	v_add_f32_e32 v67, v67, v66
	v_mul_i32_i24_e32 v66, v2, v158
	scratch_store_b32 off, v67, off offset:684 ; 4-byte Folded Spill
	v_mul_i32_i24_e32 v67, v4, v183
	v_mad_i32_i24 v66, v3, v159, v66
	s_delay_alu instid0(VALU_DEP_1) | instskip(SKIP_2) | instid1(VALU_DEP_1)
	v_add3_u32 v66, v66, v67, v68
	v_mul_i32_i24_e32 v67, v6, v161
	v_mul_i32_i24_e32 v68, v7, v173
	v_add3_u32 v66, v66, v67, v68
	v_mul_i32_i24_e32 v68, v42, v150
	v_fma_mix_f32 v67, v149, v0, 0 op_sel:[0,1,0] op_sel_hi:[0,1,0]
	s_clause 0x1
	scratch_load_b32 v149, off, off offset:1056 th:TH_LOAD_LU
	scratch_load_b32 v150, off, off offset:1060 th:TH_LOAD_LU
	v_add3_u32 v66, v66, v69, v70
	v_mad_i32_i24 v68, v43, v151, v68
	scratch_load_b32 v151, off, off offset:1064 th:TH_LOAD_LU ; 4-byte Folded Reload
	v_mul_i32_i24_e32 v70, v34, v152
	scratch_load_b32 v152, off, off offset:1068 th:TH_LOAD_LU ; 4-byte Folded Reload
	v_add3_u32 v66, v66, v71, v72
	v_mul_i32_i24_e32 v71, v47, v153
	scratch_load_b32 v153, off, off offset:1072 th:TH_LOAD_LU ; 4-byte Folded Reload
	v_mul_i32_i24_e32 v69, v44, v145
	v_mul_i32_i24_e32 v72, v35, v146
	v_add3_u32 v66, v66, v76, v77
	v_mul_i32_i24_e32 v76, v48, v155
	scratch_load_b32 v155, off, off offset:652 ; 4-byte Folded Reload
	v_add3_u32 v68, v68, v69, v70
	v_mul_i32_i24_e32 v70, v46, v154
	v_add3_u32 v66, v66, v78, v79
	v_mul_i32_i24_e32 v78, v50, v157
	scratch_load_b32 v157, off, off offset:1040 th:TH_LOAD_LU ; 4-byte Folded Reload
	v_mul_i32_i24_e32 v79, v36, v162
	scratch_load_b32 v162, off, off offset:1044 th:TH_LOAD_LU ; 4-byte Folded Reload
	v_add3_u32 v66, v66, v80, v81
	scratch_load_b32 v154, off, off offset:1076 th:TH_LOAD_LU ; 4-byte Folded Reload
	v_mul_i32_i24_e32 v77, v49, v156
	scratch_load_b32 v156, off, off offset:644 ; 4-byte Folded Reload
	v_mul_i32_i24_e32 v69, v45, v205
	v_add3_u32 v66, v66, v82, v92
	v_mul_i32_i24_e32 v80, v51, v163
	v_mul_i32_i24_e32 v81, v52, v165
	;; [unrolled: 1-line block ×3, first 2 shown]
	v_add3_u32 v68, v68, v69, v70
	v_add3_u32 v66, v66, v94, v95
	v_mul_i32_i24_e32 v92, v37, v166
	v_mul_i32_i24_e32 v94, v54, v167
	;; [unrolled: 1-line block ×3, first 2 shown]
	v_add3_u32 v68, v68, v71, v72
	v_add3_u32 v66, v66, v96, v97
	v_mul_i32_i24_e32 v96, v56, v168
	v_mul_i32_i24_e32 v97, v38, v170
	scratch_load_b32 v163, off, off offset:1152 th:TH_LOAD_LU ; 4-byte Folded Reload
	v_add3_u32 v68, v68, v76, v77
	v_add3_u32 v66, v66, v98, v99
	v_mul_i32_i24_e32 v98, v57, v171
	v_mul_i32_i24_e32 v99, v58, v141
	scratch_load_b32 v164, off, off offset:620 th:TH_LOAD_LU ; 4-byte Folded Reload
	;; [unrolled: 5-line block ×3, first 2 shown]
	v_add3_u32 v68, v68, v80, v81
	v_add3_u32 v66, v66, v109, v112
	v_mul_i32_i24_e32 v112, v61, v147
	s_clause 0x1
	scratch_load_b32 v166, off, off offset:628 th:TH_LOAD_LU
	scratch_load_b32 v167, off, off offset:632 th:TH_LOAD_LU
	v_add3_u32 v68, v68, v82, v92
	v_add3_u32 v66, v66, v114, v115
	s_clause 0x2
	scratch_load_b32 v168, off, off offset:1156 th:TH_LOAD_LU
	scratch_load_b32 v169, off, off offset:636 th:TH_LOAD_LU
	;; [unrolled: 1-line block ×3, first 2 shown]
	v_add3_u32 v68, v68, v94, v95
	v_add3_u32 v66, v66, v122, v123
	s_clause 0x1
	scratch_load_b32 v171, off, off offset:144 th:TH_LOAD_LU
	scratch_load_b32 v172, off, off offset:148 th:TH_LOAD_LU
	v_mul_i32_i24_e32 v69, v8, v192
	v_add3_u32 v68, v68, v96, v97
	v_mul_lo_u32 v66, v66, v148
	scratch_load_b32 v148, off, off offset:1052 th:TH_LOAD_LU ; 4-byte Folded Reload
	v_mul_i32_i24_e32 v82, v18, v188
	v_mul_i32_i24_e32 v92, v19, v189
	v_add3_u32 v68, v68, v98, v99
	v_mul_i32_i24_e32 v94, v20, v210
	v_mul_i32_i24_e32 v95, v21, v211
	;; [unrolled: 1-line block ×3, first 2 shown]
	v_cvt_f32_i32_e32 v66, v66
	v_add3_u32 v68, v68, v100, v101
	v_mul_i32_i24_e32 v97, v23, v213
	v_mul_i32_i24_e32 v98, v24, v214
	;; [unrolled: 1-line block ×3, first 2 shown]
	v_fma_mix_f32 v66, v0, v66, 0 op_sel_hi:[1,0,0]
	v_mul_i32_i24_e32 v100, v26, v216
	v_mul_i32_i24_e32 v101, v27, v217
	scratch_load_b32 v210, off, off offset:936 th:TH_LOAD_LU ; 4-byte Folded Reload
	v_mov_b32_e32 v216, v251
	s_clause 0x1
	scratch_load_b32 v205, off, off offset:512 th:TH_LOAD_LU
	scratch_load_b32 v211, off, off offset:940 th:TH_LOAD_LU
	v_mov_b32_e32 v217, v252
	v_dual_mov_b32 v215, v250 :: v_dual_mov_b32 v214, v249
	v_dual_mov_b32 v212, v247 :: v_dual_mov_b32 v213, v248
	s_wait_loadcnt 0x17
	v_mul_i32_i24_e32 v122, v63, v149
	s_wait_loadcnt 0x16
	v_mul_i32_i24_e32 v126, v65, v150
	;; [unrolled: 2-line block ×6, first 2 shown]
	s_wait_loadcnt 0xf
	v_fma_mix_f32 v67, v154, v1, v67 op_sel:[0,1,0] op_sel_hi:[0,1,0]
	v_add3_u32 v68, v68, v109, v112
	v_mul_i32_i24_e32 v109, v28, v220
	v_mul_i32_i24_e32 v112, v29, v222
	v_mov_b32_e32 v222, v135
	v_mul_f32_e32 v67, v67, v155
	v_mov_b32_e32 v220, v255
	s_wait_loadcnt 0xc
	v_mul_i32_i24_e32 v70, v9, v164
	s_wait_loadcnt 0xb
	v_mul_i32_i24_e32 v71, v10, v165
	;; [unrolled: 2-line block ×10, first 2 shown]
	s_delay_alu instid0(VALU_DEP_1)
	v_add3_u32 v68, v68, v114, v115
	v_mul_i32_i24_e32 v115, v31, v235
	v_mov_b32_e32 v235, v219
	v_mul_i32_i24_e32 v114, v30, v233
	v_mov_b32_e32 v233, v218
	v_add3_u32 v68, v68, v122, v123
	v_mul_i32_i24_e32 v123, v33, v240
	v_mov_b32_e32 v240, v223
	v_mul_i32_i24_e32 v122, v32, v236
	v_mov_b32_e32 v236, v221
	v_add3_u32 v68, v68, v126, v127
	v_mul_i32_i24_e32 v126, v65, v138
	scratch_load_b32 v138, off, off offset:536 th:TH_LOAD_LU ; 4-byte Folded Reload
	v_mul_i32_i24_e32 v127, v41, v140
	scratch_load_b32 v140, off, off offset:124 th:TH_LOAD_LU ; 4-byte Folded Reload
	v_mul_lo_u32 v68, v68, v153
	s_delay_alu instid0(VALU_DEP_1) | instskip(NEXT) | instid1(VALU_DEP_1)
	v_cvt_f32_i32_e32 v68, v68
	v_fma_mix_f32 v66, v1, v68, v66 op_sel_hi:[1,0,0]
	v_mul_i32_i24_e32 v68, v5, v185
	s_delay_alu instid0(VALU_DEP_2)
	v_fma_f32 v66, v66, v156, -v67
	scratch_load_b32 v67, off, off offset:680 ; 4-byte Folded Reload
	s_wait_loadcnt 0x0
	v_add_f32_e32 v67, v67, v66
	v_mul_i32_i24_e32 v66, v2, v163
	v_mul_i32_i24_e32 v2, v2, v209
	scratch_store_b32 off, v67, off offset:680 ; 4-byte Folded Spill
	v_mul_i32_i24_e32 v67, v4, v190
	v_mad_i32_i24 v66, v3, v187, v66
	v_mad_i32_i24 v2, v3, v210, v2
	v_mul_i32_i24_e32 v3, v6, v211
	s_delay_alu instid0(VALU_DEP_3) | instskip(SKIP_4) | instid1(VALU_DEP_3)
	v_add3_u32 v66, v66, v67, v68
	v_mul_i32_i24_e32 v67, v6, v186
	v_mul_i32_i24_e32 v68, v7, v191
	;; [unrolled: 1-line block ×4, first 2 shown]
	v_add3_u32 v66, v66, v67, v68
	v_fma_mix_f32 v67, v219, v0, 0 op_sel:[0,1,0] op_sel_hi:[0,1,0]
	v_mul_i32_i24_e32 v68, v42, v221
	v_mov_b32_e32 v219, v254
	v_mov_b32_e32 v221, v129
	v_add3_u32 v66, v66, v69, v70
	v_fma_mix_f32 v67, v231, v1, v67 op_sel:[0,1,0] op_sel_hi:[0,1,0]
	v_mul_i32_i24_e32 v69, v44, v223
	v_mov_b32_e32 v223, v231
	v_mov_b32_e32 v231, v232
	v_add3_u32 v66, v66, v71, v72
	v_mul_f32_e32 v67, v67, v232
	scratch_load_b32 v232, off, off offset:516 th:TH_LOAD_LU ; 4-byte Folded Reload
	v_mad_i32_i24 v68, v43, v203, v68
	scratch_load_b32 v203, off, off offset:508 th:TH_LOAD_LU ; 4-byte Folded Reload
	v_add3_u32 v66, v66, v76, v77
	v_mul_i32_i24_e32 v70, v34, v196
	scratch_load_b32 v196, off, off offset:956 th:TH_LOAD_LU ; 4-byte Folded Reload
	v_mul_i32_i24_e32 v71, v47, v238
	v_mul_i32_i24_e32 v72, v35, v239
	v_add3_u32 v66, v66, v78, v79
	v_add3_u32 v68, v68, v69, v70
	v_mul_i32_i24_e32 v69, v45, v234
	v_mul_i32_i24_e32 v70, v46, v237
	;; [unrolled: 1-line block ×3, first 2 shown]
	v_add3_u32 v66, v66, v80, v81
	v_mul_i32_i24_e32 v80, v51, v245
	scratch_load_b32 v245, off, off offset:520 th:TH_LOAD_LU ; 4-byte Folded Reload
	v_mul_i32_i24_e32 v81, v52, v247
	scratch_load_b32 v247, off, off offset:548 th:TH_LOAD_LU ; 4-byte Folded Reload
	v_add3_u32 v66, v66, v82, v92
	v_mul_i32_i24_e32 v82, v53, v246
	v_mul_i32_i24_e32 v92, v37, v248
	s_clause 0x1
	scratch_load_b32 v248, off, off offset:556 th:TH_LOAD_LU
	scratch_load_b32 v246, off, off offset:552 th:TH_LOAD_LU
	v_add3_u32 v66, v66, v94, v95
	v_mul_i32_i24_e32 v95, v55, v251
	scratch_load_b32 v251, off, off offset:128 th:TH_LOAD_LU ; 4-byte Folded Reload
	v_mul_i32_i24_e32 v94, v54, v249
	scratch_load_b32 v249, off, off offset:968 th:TH_LOAD_LU ; 4-byte Folded Reload
	v_add3_u32 v66, v66, v96, v97
	v_mul_i32_i24_e32 v97, v38, v252
	scratch_load_b32 v252, off, off offset:132 th:TH_LOAD_LU ; 4-byte Folded Reload
	v_mul_i32_i24_e32 v96, v56, v250
	scratch_load_b32 v250, off, off offset:544 th:TH_LOAD_LU ; 4-byte Folded Reload
	v_add3_u32 v66, v66, v98, v99
	v_mul_i32_i24_e32 v98, v57, v253
	v_mul_i32_i24_e32 v99, v58, v255
	scratch_load_b32 v255, off, off offset:952 th:TH_LOAD_LU ; 4-byte Folded Reload
	v_add3_u32 v68, v68, v69, v70
	v_add3_u32 v66, v66, v100, v101
	v_mul_i32_i24_e32 v100, v59, v254
	v_mul_i32_i24_e32 v101, v39, v129
	s_clause 0x1
	scratch_load_b32 v254, off, off offset:948 th:TH_LOAD_LU
	scratch_load_b32 v129, off, off offset:960 th:TH_LOAD_LU
	v_add3_u32 v66, v66, v109, v112
	v_mul_i32_i24_e32 v112, v61, v135
	scratch_load_b32 v135, off, off offset:528 th:TH_LOAD_LU ; 4-byte Folded Reload
	v_mul_i32_i24_e32 v109, v60, v130
	scratch_load_b32 v130, off, off offset:964 th:TH_LOAD_LU ; 4-byte Folded Reload
	v_add3_u32 v66, v66, v114, v115
	v_mul_i32_i24_e32 v114, v62, v134
	scratch_load_b32 v134, off, off offset:524 th:TH_LOAD_LU ; 4-byte Folded Reload
	v_mul_i32_i24_e32 v115, v40, v136
	scratch_load_b32 v136, off, off offset:944 th:TH_LOAD_LU ; 4-byte Folded Reload
	;; [unrolled: 5-line block ×3, first 2 shown]
	v_mul_lo_u32 v66, v66, v218
	v_mov_b32_e32 v218, v253
	scratch_load_b32 v253, off, off offset:136 th:TH_LOAD_LU ; 4-byte Folded Reload
	v_mul_i32_i24_e32 v77, v49, v242
	v_add3_u32 v68, v68, v71, v72
	v_mul_i32_i24_e32 v78, v50, v243
	v_mul_i32_i24_e32 v79, v36, v244
	v_cvt_f32_i32_e32 v66, v66
	s_delay_alu instid0(VALU_DEP_4) | instskip(NEXT) | instid1(VALU_DEP_2)
	v_add3_u32 v68, v68, v76, v77
	v_fma_mix_f32 v66, v0, v66, 0 op_sel_hi:[1,0,0]
	s_delay_alu instid0(VALU_DEP_2) | instskip(NEXT) | instid1(VALU_DEP_1)
	v_add3_u32 v68, v68, v78, v79
	v_add3_u32 v68, v68, v80, v81
	s_delay_alu instid0(VALU_DEP_1) | instskip(NEXT) | instid1(VALU_DEP_1)
	v_add3_u32 v68, v68, v82, v92
	v_add3_u32 v68, v68, v94, v95
	s_delay_alu instid0(VALU_DEP_1) | instskip(NEXT) | instid1(VALU_DEP_1)
	;; [unrolled: 3-line block ×4, first 2 shown]
	v_add3_u32 v68, v68, v114, v115
	v_add3_u32 v68, v68, v122, v123
	s_delay_alu instid0(VALU_DEP_1) | instskip(SKIP_2) | instid1(VALU_DEP_1)
	v_add3_u32 v68, v68, v126, v127
	scratch_load_b32 v127, off, off offset:800 th:TH_LOAD_LU ; 4-byte Folded Reload
	v_mul_lo_u32 v68, v68, v227
	v_cvt_f32_i32_e32 v68, v68
	s_delay_alu instid0(VALU_DEP_1) | instskip(NEXT) | instid1(VALU_DEP_1)
	v_fma_mix_f32 v66, v1, v68, v66 op_sel_hi:[1,0,0]
	v_fma_f32 v66, v66, v225, -v67
	scratch_load_b32 v67, off, off offset:676 ; 4-byte Folded Reload
	s_wait_loadcnt 0x16
	v_mul_i32_i24_e32 v4, v4, v232
	s_wait_loadcnt 0x13
	v_mul_i32_i24_e32 v5, v5, v245
	s_delay_alu instid0(VALU_DEP_1)
	v_add3_u32 v2, v2, v4, v5
	s_wait_loadcnt 0x8
	v_mul_i32_i24_e32 v5, v8, v135
	v_mul_i32_i24_e32 v8, v11, v201
	;; [unrolled: 1-line block ×8, first 2 shown]
	scratch_load_b32 v207, off, off offset:540 th:TH_LOAD_LU ; 4-byte Folded Reload
	v_mul_i32_i24_e32 v29, v32, v229
	scratch_load_b32 v229, off, off offset:116 th:TH_LOAD_LU ; 4-byte Folded Reload
	s_wait_loadcnt 0x8
	v_mul_i32_i24_e32 v4, v7, v134
	v_mul_i32_i24_e32 v7, v10, v200
	;; [unrolled: 1-line block ×3, first 2 shown]
	s_wait_loadcnt 0x7
	v_mul_i32_i24_e32 v12, v15, v136
	s_wait_loadcnt 0x6
	v_mul_i32_i24_e32 v13, v16, v137
	v_add3_u32 v2, v2, v3, v4
	s_wait_loadcnt 0x5
	v_mul_i32_i24_e32 v15, v18, v139
	v_mul_i32_i24_e32 v16, v19, v140
	;; [unrolled: 1-line block ×3, first 2 shown]
	s_wait_loadcnt 0x4
	v_mul_i32_i24_e32 v19, v22, v253
	v_add3_u32 v2, v2, v5, v6
	v_mul_i32_i24_e32 v21, v24, v255
	v_mul_i32_i24_e32 v22, v25, v196
	v_mul_i32_i24_e32 v24, v27, v130
	v_mul_i32_i24_e32 v25, v28, v250
	v_add3_u32 v2, v2, v7, v8
	v_mul_i32_i24_e32 v27, v30, v208
	v_mul_i32_i24_e32 v28, v31, v228
	v_mul_i32_i24_e32 v30, v33, v226
	;; [unrolled: 5-line block ×3, first 2 shown]
	v_mad_i32_i24 v3, v43, v246, v3
	v_add3_u32 v2, v2, v11, v12
	v_mul_i32_i24_e32 v7, v35, v87
	v_mul_i32_i24_e32 v8, v48, v88
	;; [unrolled: 1-line block ×3, first 2 shown]
	v_add3_u32 v3, v3, v4, v5
	v_add3_u32 v2, v2, v13, v14
	v_mul_i32_i24_e32 v4, v45, v84
	v_mul_i32_i24_e32 v5, v46, v86
	;; [unrolled: 1-line block ×4, first 2 shown]
	v_add3_u32 v2, v2, v15, v16
	v_mul_i32_i24_e32 v12, v51, v93
	v_add3_u32 v3, v3, v4, v5
	v_mul_i32_i24_e32 v13, v52, v103
	v_mul_i32_i24_e32 v14, v53, v102
	v_add3_u32 v2, v2, v17, v18
	v_mul_i32_i24_e32 v15, v37, v104
	v_add3_u32 v3, v3, v6, v7
	v_mul_i32_i24_e32 v16, v54, v105
	v_mul_i32_i24_e32 v17, v55, v107
	;; [unrolled: 5-line block ×4, first 2 shown]
	v_add3_u32 v2, v2, v23, v24
	v_mul_i32_i24_e32 v23, v39, v116
	v_add3_u32 v3, v3, v12, v13
	v_mul_i32_i24_e32 v24, v60, v117
	v_mov_b32_e32 v208, v226
	v_add3_u32 v2, v2, v25, v26
	v_mul_i32_i24_e32 v25, v61, v119
	v_add3_u32 v3, v3, v14, v15
	v_mul_i32_i24_e32 v26, v62, v118
	v_mov_b32_e32 v226, v75
	v_add3_u32 v2, v2, v27, v28
	v_mul_i32_i24_e32 v27, v40, v120
	v_add3_u32 v3, v3, v16, v17
	v_mul_i32_i24_e32 v28, v63, v121
	s_delay_alu instid0(VALU_DEP_4) | instskip(SKIP_1) | instid1(VALU_DEP_4)
	v_add3_u32 v2, v2, v29, v30
	v_mul_i32_i24_e32 v29, v64, v125
	v_add3_u32 v3, v3, v18, v19
	v_mul_i32_i24_e32 v30, v65, v124
	s_delay_alu instid0(VALU_DEP_2) | instskip(NEXT) | instid1(VALU_DEP_1)
	v_add3_u32 v3, v3, v20, v21
	v_add3_u32 v3, v3, v22, v23
	s_delay_alu instid0(VALU_DEP_1) | instskip(SKIP_2) | instid1(VALU_DEP_2)
	v_add3_u32 v3, v3, v24, v25
	s_wait_loadcnt 0x2
	v_add_f32_e32 v67, v67, v66
	v_add3_u32 v3, v3, v26, v27
	scratch_store_b32 off, v67, off offset:676 ; 4-byte Folded Spill
	v_add3_u32 v3, v3, v28, v29
	s_delay_alu instid0(VALU_DEP_1) | instskip(NEXT) | instid1(VALU_DEP_1)
	v_add3_u32 v3, v3, v30, v31
	v_mul_lo_u32 v3, v3, v83
	s_delay_alu instid0(VALU_DEP_1) | instskip(SKIP_2) | instid1(VALU_DEP_1)
	v_cvt_f32_i32_e32 v3, v3
	s_wait_loadcnt 0x1
	v_mul_lo_u32 v2, v2, v207
	v_cvt_f32_i32_e32 v2, v2
	s_delay_alu instid0(VALU_DEP_1) | instskip(SKIP_2) | instid1(VALU_DEP_2)
	v_fma_mix_f32 v2, v0, v2, 0 op_sel_hi:[1,0,0]
	s_wait_loadcnt 0x0
	v_fma_mix_f32 v0, v229, v0, 0 op_sel:[0,1,0] op_sel_hi:[0,1,0]
	v_fma_mix_f32 v2, v1, v3, v2 op_sel_hi:[1,0,0]
	s_delay_alu instid0(VALU_DEP_2) | instskip(NEXT) | instid1(VALU_DEP_1)
	v_fma_mix_f32 v0, v75, v1, v0 op_sel:[0,1,0] op_sel_hi:[0,1,0]
	v_mul_f32_e32 v0, v0, v199
	scratch_load_b32 v199, off, off offset:12 ; 4-byte Folded Reload
	s_wait_loadcnt 0x0
	v_fma_f32 v0, v2, v199, -v0
	s_delay_alu instid0(VALU_DEP_1) | instskip(SKIP_3) | instid1(VALU_DEP_1)
	v_add_f32_e32 v127, v127, v0
	scratch_load_b32 v0, off, off offset:1284 ; 4-byte Folded Reload
	s_wait_loadcnt 0x0
	v_or_b32_e32 v0, s11, v0
	v_lshlrev_b32_e32 v1, 2, v0
	v_lshrrev_b32_e32 v16, 1, v0
	ds_load_b128 v[8:11], v1 offset:16896
	ds_load_b128 v[12:15], v1 offset:16912
	;; [unrolled: 1-line block ×4, first 2 shown]
	s_clause 0x8
	scratch_load_b32 v66, off, off offset:388 th:TH_LOAD_LU
	scratch_load_b32 v69, off, off offset:860 th:TH_LOAD_LU
	;; [unrolled: 1-line block ×9, first 2 shown]
	ds_load_b64 v[27:28], v16 offset:27200
	s_wait_dscnt 0x4
	v_bfe_i32 v62, v8, 0, 8
	v_bfe_i32 v65, v8, 8, 8
	;; [unrolled: 1-line block ×3, first 2 shown]
	v_ashrrev_i32_e32 v56, 24, v8
	v_bfe_i32 v64, v9, 0, 8
	v_bfe_i32 v55, v10, 16, 8
	v_ashrrev_i32_e32 v54, 24, v10
	s_wait_dscnt 0x3
	v_bfe_i32 v49, v12, 0, 8
	v_bfe_i32 v47, v12, 16, 8
	v_ashrrev_i32_e32 v46, 24, v12
	v_bfe_i32 v45, v13, 0, 8
	v_bfe_i32 v44, v13, 8, 8
	v_bfe_i32 v43, v13, 16, 8
	v_ashrrev_i32_e32 v42, 24, v13
	v_bfe_i32 v41, v14, 0, 8
	;; [unrolled: 4-line block ×4, first 2 shown]
	v_bfe_i32 v61, v9, 16, 8
	v_ashrrev_i32_e32 v60, 24, v9
	v_bfe_i32 v59, v10, 0, 8
	v_bfe_i32 v57, v10, 8, 8
	s_wait_dscnt 0x2
	v_bfe_i32 v30, v6, 0, 8
	v_bfe_i32 v31, v6, 8, 8
	;; [unrolled: 1-line block ×6, first 2 shown]
	v_ashrrev_i32_e32 v50, 24, v11
	v_mul_i32_i24_e32 v78, v204, v53
	v_mul_i32_i24_e32 v79, v133, v52
	v_bfe_i32 v24, v7, 0, 8
	v_mul_i32_i24_e32 v80, v132, v51
	v_mul_i32_i24_e32 v81, v131, v50
	v_bfe_i32 v22, v7, 8, 8
	v_bfe_i32 v48, v12, 8, 8
	;; [unrolled: 1-line block ×3, first 2 shown]
	v_ashrrev_i32_e32 v20, 24, v7
	s_wait_dscnt 0x1
	v_bfe_i32 v15, v0, 0, 8
	v_bfe_i32 v14, v0, 8, 8
	v_mul_i32_i24_e32 v92, v206, v48
	v_bfe_i32 v10, v0, 16, 8
	v_ashrrev_i32_e32 v13, 24, v0
	v_bfe_i32 v11, v1, 0, 8
	v_bfe_i32 v12, v1, 8, 8
	v_bfe_i32 v8, v1, 16, 8
	v_ashrrev_i32_e32 v9, 24, v1
	v_bfe_i32 v18, v4, 0, 8
	v_bfe_i32 v19, v4, 8, 8
	;; [unrolled: 4-line block ×3, first 2 shown]
	v_bfe_i32 v32, v5, 8, 8
	v_bfe_i32 v26, v5, 16, 8
	v_ashrrev_i32_e32 v29, 24, v5
	v_bfe_i32 v5, v2, 8, 8
	v_ashrrev_i32_e32 v23, 24, v6
	;; [unrolled: 2-line block ×3, first 2 shown]
	v_bfe_i32 v7, v3, 0, 8
	v_bfe_i32 v1, v3, 8, 8
	;; [unrolled: 1-line block ×3, first 2 shown]
	v_ashrrev_i32_e32 v3, 24, v3
	v_mul_i32_i24_e32 v93, v9, v143
	v_mul_i32_i24_e32 v91, v4, v157
	;; [unrolled: 1-line block ×9, first 2 shown]
	s_wait_loadcnt 0x8
	v_mul_i32_i24_e32 v66, v66, v62
	s_wait_loadcnt 0x6
	v_mul_i32_i24_e32 v70, v70, v60
	;; [unrolled: 2-line block ×4, first 2 shown]
	v_mad_i32_i24 v66, v69, v65, v66
	scratch_load_b32 v69, off, off offset:864 th:TH_LOAD_LU ; 4-byte Folded Reload
	s_wait_loadcnt 0x1
	v_mul_i32_i24_e32 v67, v67, v58
	v_mul_i32_i24_e32 v71, v71, v59
	;; [unrolled: 1-line block ×3, first 2 shown]
	s_delay_alu instid0(VALU_DEP_3)
	v_add3_u32 v66, v66, v67, v68
	v_mul_i32_i24_e32 v67, v73, v64
	s_clause 0x1
	scratch_load_b32 v73, off, off offset:28 th:TH_LOAD_LU
	scratch_load_b32 v68, off, off offset:872 th:TH_LOAD_LU
	s_wait_loadcnt 0x2
	v_mul_i32_i24_e32 v69, v69, v61
	s_wait_loadcnt 0x1
	v_mul_i32_i24_e32 v76, v73, v55
	scratch_load_b32 v73, off, off offset:24 th:TH_LOAD_LU ; 4-byte Folded Reload
	s_wait_loadcnt 0x1
	v_mul_i32_i24_e32 v68, v68, v63
	s_delay_alu instid0(VALU_DEP_1)
	v_add3_u32 v66, v66, v67, v68
	s_clause 0x1
	scratch_load_b32 v67, off, off offset:200 th:TH_LOAD_LU
	scratch_load_b32 v68, off, off offset:908 th:TH_LOAD_LU
	v_add3_u32 v66, v66, v69, v70
	s_clause 0x1
	scratch_load_b32 v69, off, off offset:904 th:TH_LOAD_LU
	scratch_load_b32 v70, off, off offset:900 th:TH_LOAD_LU
	v_add3_u32 v66, v66, v71, v72
	v_mul_i32_i24_e32 v71, v195, v26
	v_mul_i32_i24_e32 v72, v194, v29
	s_wait_loadcnt 0x4
	v_mul_i32_i24_e32 v77, v73, v54
	scratch_load_b32 v73, off, off offset:20 th:TH_LOAD_LU ; 4-byte Folded Reload
	v_add3_u32 v66, v66, v76, v77
	s_wait_loadcnt 0x3
	v_mul_i32_i24_e32 v68, v68, v18
	s_delay_alu instid0(VALU_DEP_2)
	v_add3_u32 v66, v66, v78, v79
	v_mul_i32_i24_e32 v79, v193, v23
	s_wait_loadcnt 0x2
	v_mul_i32_i24_e32 v69, v69, v17
	s_wait_loadcnt 0x1
	v_mul_i32_i24_e32 v70, v70, v16
	v_mad_i32_i24 v68, v74, v19, v68
	v_add3_u32 v66, v66, v80, v81
	v_mul_i32_i24_e32 v74, v54, v179
	scratch_load_b32 v179, off, off offset:1316 ; 4-byte Folded Reload
	v_add3_u32 v68, v68, v69, v70
	scratch_load_b32 v69, off, off offset:52 th:TH_LOAD_LU ; 4-byte Folded Reload
	v_mul_i32_i24_e32 v70, v197, v32
	s_wait_loadcnt 0x2
	v_mul_i32_i24_e32 v82, v73, v49
	scratch_load_b32 v73, off, off offset:44 th:TH_LOAD_LU ; 4-byte Folded Reload
	v_add3_u32 v66, v66, v82, v92
	s_wait_loadcnt 0x1
	v_mul_i32_i24_e32 v69, v69, v33
	s_delay_alu instid0(VALU_DEP_1)
	v_add3_u32 v68, v68, v69, v70
	scratch_load_b32 v69, off, off offset:448 th:TH_LOAD_LU ; 4-byte Folded Reload
	v_mul_i32_i24_e32 v70, v60, v175
	v_add3_u32 v68, v68, v71, v72
	v_mul_i32_i24_e32 v71, v59, v176
	v_mul_i32_i24_e32 v72, v57, v177
	s_wait_loadcnt 0x1
	v_mul_i32_i24_e32 v94, v73, v47
	scratch_load_b32 v73, off, off offset:40 th:TH_LOAD_LU ; 4-byte Folded Reload
	s_wait_loadcnt 0x0
	v_mul_i32_i24_e32 v95, v73, v46
	scratch_load_b32 v73, off, off offset:48 th:TH_LOAD_LU ; 4-byte Folded Reload
	v_add3_u32 v66, v66, v94, v95
	s_wait_loadcnt 0x0
	v_mul_i32_i24_e32 v96, v73, v45
	scratch_load_b32 v73, off, off offset:660 th:TH_LOAD_LU ; 4-byte Folded Reload
	s_wait_loadcnt 0x0
	v_mul_i32_i24_e32 v97, v73, v44
	scratch_load_b32 v73, off, off offset:168 th:TH_LOAD_LU ; 4-byte Folded Reload
	v_add3_u32 v66, v66, v96, v97
	;; [unrolled: 7-line block ×7, first 2 shown]
	s_delay_alu instid0(VALU_DEP_1) | instskip(SKIP_3) | instid1(VALU_DEP_1)
	v_mul_lo_u32 v66, v66, v67
	scratch_load_b32 v67, off, off offset:912 th:TH_LOAD_LU ; 4-byte Folded Reload
	v_cvt_f32_i32_e32 v66, v66
	s_wait_dscnt 0x0
	v_fma_mix_f32 v66, v27, v66, 0 op_sel_hi:[1,0,0]
	s_wait_loadcnt 0x1
	v_mul_i32_i24_e32 v76, v73, v30
	scratch_load_b32 v73, off, off offset:60 th:TH_LOAD_LU ; 4-byte Folded Reload
	s_wait_loadcnt 0x1
	v_fma_mix_f32 v67, v67, v27, 0 op_sel:[0,1,0] op_sel_hi:[0,1,0]
	s_wait_loadcnt 0x0
	v_mul_i32_i24_e32 v77, v73, v31
	scratch_load_b32 v73, off, off offset:56 th:TH_LOAD_LU ; 4-byte Folded Reload
	v_add3_u32 v68, v68, v76, v77
	v_mul_i32_i24_e32 v76, v52, v181
	v_mul_i32_i24_e32 v77, v51, v182
	s_wait_loadcnt 0x0
	v_mul_i32_i24_e32 v78, v73, v25
	scratch_load_b32 v73, off, off offset:888 th:TH_LOAD_LU ; 4-byte Folded Reload
	v_add3_u32 v68, v68, v78, v79
	scratch_load_b32 v79, off, off offset:292 th:TH_LOAD_LU ; 4-byte Folded Reload
	v_mul_i32_i24_e32 v78, v50, v184
	s_wait_loadcnt 0x1
	v_mul_i32_i24_e32 v80, v73, v24
	scratch_load_b32 v73, off, off offset:884 th:TH_LOAD_LU ; 4-byte Folded Reload
	s_wait_loadcnt 0x1
	v_mul_i32_i24_e32 v79, v49, v79
	s_wait_loadcnt 0x0
	v_mul_i32_i24_e32 v81, v73, v22
	scratch_load_b32 v73, off, off offset:392 th:TH_LOAD_LU ; 4-byte Folded Reload
	v_add3_u32 v68, v68, v80, v81
	s_clause 0x1
	scratch_load_b32 v80, off, off offset:296 th:TH_LOAD_LU
	scratch_load_b32 v81, off, off offset:832 th:TH_LOAD_LU
	s_wait_loadcnt 0x2
	v_mul_i32_i24_e32 v82, v73, v21
	scratch_load_b32 v73, off, off offset:880 th:TH_LOAD_LU ; 4-byte Folded Reload
	s_wait_loadcnt 0x2
	v_mul_i32_i24_e32 v80, v48, v80
	s_wait_loadcnt 0x1
	v_mul_i32_i24_e32 v81, v47, v81
	;; [unrolled: 2-line block ×3, first 2 shown]
	scratch_load_b32 v73, off, off offset:408 th:TH_LOAD_LU ; 4-byte Folded Reload
	v_add3_u32 v68, v68, v82, v92
	v_mul_i32_i24_e32 v92, v45, v83
	s_clause 0x1
	scratch_load_b32 v83, off, off offset:844 th:TH_LOAD_LU
	scratch_load_b32 v82, off, off offset:836 th:TH_LOAD_LU
	s_wait_loadcnt 0x2
	v_mul_i32_i24_e32 v94, v73, v15
	scratch_load_b32 v73, off, off offset:404 th:TH_LOAD_LU ; 4-byte Folded Reload
	s_wait_loadcnt 0x1
	v_mul_i32_i24_e32 v82, v46, v82
	s_wait_loadcnt 0x0
	v_mul_i32_i24_e32 v95, v73, v14
	scratch_load_b32 v73, off, off offset:400 th:TH_LOAD_LU ; 4-byte Folded Reload
	v_add3_u32 v68, v68, v94, v95
	v_mul_i32_i24_e32 v95, v43, v83
	scratch_load_b32 v83, off, off offset:360 th:TH_LOAD_LU ; 4-byte Folded Reload
	v_mul_i32_i24_e32 v94, v44, v144
	v_mul_i32_i24_e32 v44, v44, v254
	s_wait_loadcnt 0x1
	v_mul_i32_i24_e32 v96, v73, v10
	scratch_load_b32 v73, off, off offset:396 th:TH_LOAD_LU ; 4-byte Folded Reload
	s_wait_loadcnt 0x0
	v_mul_i32_i24_e32 v97, v73, v13
	scratch_load_b32 v73, off, off offset:424 th:TH_LOAD_LU ; 4-byte Folded Reload
	v_add3_u32 v68, v68, v96, v97
	v_mul_i32_i24_e32 v96, v42, v83
	scratch_load_b32 v83, off, off offset:848 th:TH_LOAD_LU ; 4-byte Folded Reload
	s_wait_loadcnt 0x1
	v_mul_i32_i24_e32 v98, v73, v11
	scratch_load_b32 v73, off, off offset:420 th:TH_LOAD_LU ; 4-byte Folded Reload
	s_wait_loadcnt 0x1
	;; [unrolled: 3-line block ×3, first 2 shown]
	v_mul_i32_i24_e32 v99, v73, v12
	scratch_load_b32 v73, off, off offset:416 th:TH_LOAD_LU ; 4-byte Folded Reload
	v_add3_u32 v68, v68, v98, v99
	s_wait_loadcnt 0x1
	v_mul_i32_i24_e32 v98, v40, v83
	scratch_load_b32 v83, off, off offset:856 th:TH_LOAD_LU ; 4-byte Folded Reload
	s_wait_loadcnt 0x1
	v_mul_i32_i24_e32 v100, v73, v8
	scratch_load_b32 v73, off, off offset:412 th:TH_LOAD_LU ; 4-byte Folded Reload
	;; [unrolled: 3-line block ×4, first 2 shown]
	v_add3_u32 v68, v68, v100, v101
	s_wait_loadcnt 0x1
	v_mul_i32_i24_e32 v100, v38, v83
	scratch_load_b32 v83, off, off offset:372 th:TH_LOAD_LU ; 4-byte Folded Reload
	v_mul_i32_i24_e32 v101, v37, v142
	s_wait_loadcnt 0x1
	v_mul_i32_i24_e32 v109, v73, v4
	scratch_load_b32 v73, off, off offset:108 th:TH_LOAD_LU ; 4-byte Folded Reload
	s_wait_loadcnt 0x0
	v_mul_i32_i24_e32 v112, v73, v5
	scratch_load_b32 v73, off, off offset:892 th:TH_LOAD_LU ; 4-byte Folded Reload
	v_add3_u32 v68, v68, v109, v112
	v_mul_i32_i24_e32 v109, v36, v83
	scratch_load_b32 v83, off, off offset:380 th:TH_LOAD_LU ; 4-byte Folded Reload
	s_wait_loadcnt 0x1
	v_mul_i32_i24_e32 v114, v73, v6
	scratch_load_b32 v73, off, off offset:428 th:TH_LOAD_LU ; 4-byte Folded Reload
	s_wait_loadcnt 0x1
	;; [unrolled: 3-line block ×3, first 2 shown]
	v_mul_i32_i24_e32 v115, v73, v2
	scratch_load_b32 v73, off, off offset:444 th:TH_LOAD_LU ; 4-byte Folded Reload
	v_add3_u32 v68, v68, v114, v115
	s_wait_loadcnt 0x0
	v_mul_i32_i24_e32 v75, v73, v7
	scratch_load_b32 v73, off, off offset:112 th:TH_LOAD_LU ; 4-byte Folded Reload
	s_wait_loadcnt 0x0
	v_mul_i32_i24_e32 v122, v73, v1
	scratch_load_b32 v73, off, off offset:440 th:TH_LOAD_LU ; 4-byte Folded Reload
	v_add3_u32 v68, v68, v75, v122
	scratch_load_b32 v122, off, off offset:796 th:TH_LOAD_LU ; 4-byte Folded Reload
	v_mul_i32_i24_e32 v75, v53, v180
	s_wait_loadcnt 0x1
	v_mul_i32_i24_e32 v123, v73, v0
	scratch_load_b32 v73, off, off offset:436 th:TH_LOAD_LU ; 4-byte Folded Reload
	s_wait_loadcnt 0x0
	v_mul_i32_i24_e32 v126, v73, v3
	v_mul_i32_i24_e32 v73, v55, v178
	s_delay_alu instid0(VALU_DEP_2) | instskip(NEXT) | instid1(VALU_DEP_1)
	v_add3_u32 v68, v68, v123, v126
	v_mul_lo_u32 v68, v68, v69
	v_mul_i32_i24_e32 v69, v61, v174
	s_delay_alu instid0(VALU_DEP_2) | instskip(NEXT) | instid1(VALU_DEP_1)
	v_cvt_f32_i32_e32 v68, v68
	v_fma_mix_f32 v66, v28, v68, v66 op_sel_hi:[1,0,0]
	scratch_load_b32 v68, off, off offset:896 th:TH_LOAD_LU ; 4-byte Folded Reload
	s_wait_loadcnt 0x0
	v_fma_mix_f32 v67, v68, v28, v67 op_sel:[0,1,0] op_sel_hi:[0,1,0]
	scratch_load_b32 v68, off, off offset:648 ; 4-byte Folded Reload
	s_wait_loadcnt 0x0
	v_mul_f32_e32 v67, v67, v68
	scratch_load_b32 v68, off, off offset:8 ; 4-byte Folded Reload
	s_wait_loadcnt 0x0
	v_fma_f32 v66, v66, v68, -v67
	v_mul_i32_i24_e32 v67, v58, v183
	v_mul_i32_i24_e32 v68, v56, v160
	s_delay_alu instid0(VALU_DEP_3) | instskip(SKIP_3) | instid1(VALU_DEP_1)
	v_add_f32_e32 v122, v122, v66
	v_mul_i32_i24_e32 v66, v62, v158
	scratch_load_b32 v158, off, off offset:1296 ; 4-byte Folded Reload
	v_mad_i32_i24 v66, v65, v159, v66
	v_add3_u32 v66, v66, v67, v68
	v_mul_i32_i24_e32 v67, v64, v161
	v_mul_i32_i24_e32 v68, v63, v173
	s_delay_alu instid0(VALU_DEP_1)
	v_add3_u32 v66, v66, v67, v68
	s_clause 0x1
	scratch_load_b32 v67, off, off offset:92 th:TH_LOAD_LU
	scratch_load_b32 v68, off, off offset:300 th:TH_LOAD_LU
	v_add3_u32 v66, v66, v69, v70
	scratch_load_b32 v70, off, off offset:304 th:TH_LOAD_LU ; 4-byte Folded Reload
	v_mul_i32_i24_e32 v69, v17, v145
	v_add3_u32 v66, v66, v71, v72
	scratch_load_b32 v71, off, off offset:852 th:TH_LOAD_LU ; 4-byte Folded Reload
	v_mul_i32_i24_e32 v72, v29, v146
	v_add3_u32 v66, v66, v73, v74
	s_clause 0x1
	scratch_load_b32 v73, off, off offset:100 th:TH_LOAD_LU
	scratch_load_b32 v74, off, off offset:104 th:TH_LOAD_LU
	v_add3_u32 v66, v66, v75, v76
	s_clause 0x1
	scratch_load_b32 v75, off, off offset:312 th:TH_LOAD_LU
	scratch_load_b32 v76, off, off offset:316 th:TH_LOAD_LU
	v_add3_u32 v66, v66, v77, v78
	s_clause 0x1
	scratch_load_b32 v77, off, off offset:320 th:TH_LOAD_LU
	scratch_load_b32 v78, off, off offset:328 th:TH_LOAD_LU
	v_add3_u32 v66, v66, v79, v80
	s_clause 0x1
	scratch_load_b32 v79, off, off offset:324 th:TH_LOAD_LU
	scratch_load_b32 v80, off, off offset:332 th:TH_LOAD_LU
	v_add3_u32 v66, v66, v81, v82
	s_clause 0x1
	scratch_load_b32 v81, off, off offset:336 th:TH_LOAD_LU
	scratch_load_b32 v82, off, off offset:344 th:TH_LOAD_LU
	v_add3_u32 v66, v66, v92, v94
	v_mul_i32_i24_e32 v92, v10, v83
	scratch_load_b32 v83, off, off offset:348 th:TH_LOAD_LU ; 4-byte Folded Reload
	v_add3_u32 v66, v66, v95, v96
	v_mul_i32_i24_e32 v96, v12, v141
	s_delay_alu instid0(VALU_DEP_2) | instskip(SKIP_1) | instid1(VALU_DEP_2)
	v_add3_u32 v66, v66, v97, v98
	v_mul_i32_i24_e32 v98, v6, v162
	v_add3_u32 v66, v66, v99, v100
	s_delay_alu instid0(VALU_DEP_1) | instskip(NEXT) | instid1(VALU_DEP_1)
	v_add3_u32 v66, v66, v101, v109
	v_add3_u32 v66, v66, v111, v112
	s_delay_alu instid0(VALU_DEP_1) | instskip(NEXT) | instid1(VALU_DEP_1)
	v_mul_lo_u32 v66, v66, v224
	v_cvt_f32_i32_e32 v66, v66
	s_delay_alu instid0(VALU_DEP_1)
	v_fma_mix_f32 v66, v27, v66, 0 op_sel_hi:[1,0,0]
	s_wait_loadcnt 0xe
	v_fma_mix_f32 v67, v67, v27, 0 op_sel:[0,1,0] op_sel_hi:[0,1,0]
	s_wait_loadcnt 0xd
	v_mul_i32_i24_e32 v68, v18, v68
	s_wait_loadcnt 0xc
	v_mul_i32_i24_e32 v70, v16, v70
	v_fma_mix_f32 v67, v154, v28, v67 op_sel:[0,1,0] op_sel_hi:[0,1,0]
	s_wait_loadcnt 0xb
	v_mad_i32_i24 v68, v19, v71, v68
	scratch_load_b32 v71, off, off offset:96 th:TH_LOAD_LU ; 4-byte Folded Reload
	v_mul_f32_e32 v67, v67, v155
	v_add3_u32 v68, v68, v69, v70
	s_clause 0x1
	scratch_load_b32 v69, off, off offset:376 th:TH_LOAD_LU
	scratch_load_b32 v70, off, off offset:308 th:TH_LOAD_LU
	s_wait_loadcnt 0xd
	v_mul_i32_i24_e32 v73, v30, v73
	s_wait_loadcnt 0xc
	v_mul_i32_i24_e32 v74, v31, v74
	;; [unrolled: 2-line block ×11, first 2 shown]
	scratch_load_b32 v83, off, off offset:352 th:TH_LOAD_LU ; 4-byte Folded Reload
	s_wait_loadcnt 0x3
	v_mul_i32_i24_e32 v71, v26, v71
	s_wait_loadcnt 0x2
	v_mul_i32_i24_e32 v69, v33, v69
	;; [unrolled: 2-line block ×3, first 2 shown]
	s_delay_alu instid0(VALU_DEP_1)
	v_add3_u32 v68, v68, v69, v70
	v_mul_i32_i24_e32 v69, v61, v192
	v_mul_i32_i24_e32 v70, v60, v164
	v_mul_i32_i24_e32 v61, v61, v135
	v_mul_i32_i24_e32 v60, v60, v198
	v_add3_u32 v68, v68, v71, v72
	v_mul_i32_i24_e32 v71, v59, v165
	v_mul_i32_i24_e32 v72, v57, v166
	v_mul_i32_i24_e32 v59, v59, v200
	v_mul_i32_i24_e32 v57, v57, v201
	;; [unrolled: 5-line block ×4, first 2 shown]
	s_wait_loadcnt 0x0
	v_mul_i32_i24_e32 v95, v11, v83
	scratch_load_b32 v83, off, off offset:356 th:TH_LOAD_LU ; 4-byte Folded Reload
	v_add3_u32 v68, v68, v77, v78
	v_mul_i32_i24_e32 v77, v51, v171
	v_mul_i32_i24_e32 v78, v50, v172
	;; [unrolled: 1-line block ×4, first 2 shown]
	v_add3_u32 v68, v68, v79, v80
	v_mul_i32_i24_e32 v79, v49, v188
	v_mul_i32_i24_e32 v80, v48, v189
	;; [unrolled: 1-line block ×4, first 2 shown]
	v_add3_u32 v68, v68, v81, v82
	s_clause 0x1
	scratch_load_b32 v81, off, off offset:248 th:TH_LOAD_LU
	scratch_load_b32 v82, off, off offset:252 th:TH_LOAD_LU
	v_add3_u32 v68, v68, v92, v94
	s_clause 0x1
	scratch_load_b32 v92, off, off offset:76 th:TH_LOAD_LU
	scratch_load_b32 v94, off, off offset:276 th:TH_LOAD_LU
	v_add3_u32 v68, v68, v95, v96
	s_wait_loadcnt 0x4
	v_mul_i32_i24_e32 v97, v8, v83
	scratch_load_b32 v83, off, off offset:256 th:TH_LOAD_LU ; 4-byte Folded Reload
	v_add3_u32 v68, v68, v97, v93
	s_clause 0x1
	scratch_load_b32 v97, off, off offset:792 th:TH_LOAD_LU
	scratch_load_b32 v93, off, off offset:272 th:TH_LOAD_LU
	v_add3_u32 v68, v68, v91, v90
	s_clause 0x1
	scratch_load_b32 v90, off, off offset:260 th:TH_LOAD_LU
	scratch_load_b32 v91, off, off offset:264 th:TH_LOAD_LU
	s_wait_loadcnt 0x8
	v_mul_i32_i24_e32 v81, v47, v81
	s_wait_loadcnt 0x7
	v_mul_i32_i24_e32 v82, v46, v82
	v_add3_u32 v68, v68, v98, v88
	scratch_load_b32 v88, off, off offset:784 th:TH_LOAD_LU ; 4-byte Folded Reload
	s_wait_loadcnt 0x7
	v_mul_i32_i24_e32 v92, v36, v92
	s_wait_loadcnt 0x6
	v_mul_i32_i24_e32 v94, v34, v94
	v_mul_i32_i24_e32 v47, v47, v251
	v_add3_u32 v68, v68, v87, v86
	s_clause 0x1
	scratch_load_b32 v86, off, off offset:776 th:TH_LOAD_LU
	scratch_load_b32 v87, off, off offset:780 th:TH_LOAD_LU
	v_mul_i32_i24_e32 v46, v46, v252
	v_mul_i32_i24_e32 v36, v36, v228
	v_add3_u32 v68, v68, v89, v85
	s_clause 0x1
	scratch_load_b32 v85, off, off offset:672 th:TH_LOAD_LU
	scratch_load_b32 v89, off, off offset:812 th:TH_LOAD_LU
	v_mul_i32_i24_e32 v34, v34, v208
	v_mul_lo_u32 v68, v68, v153
	s_delay_alu instid0(VALU_DEP_1) | instskip(NEXT) | instid1(VALU_DEP_1)
	v_cvt_f32_i32_e32 v68, v68
	v_fma_mix_f32 v66, v28, v68, v66 op_sel_hi:[1,0,0]
	v_mul_i32_i24_e32 v68, v56, v185
	v_mul_i32_i24_e32 v56, v56, v245
	s_delay_alu instid0(VALU_DEP_3)
	v_fma_f32 v66, v66, v156, -v67
	v_mul_i32_i24_e32 v67, v58, v190
	v_mul_i32_i24_e32 v58, v58, v232
	s_wait_loadcnt 0x9
	v_mul_i32_i24_e32 v83, v45, v83
	v_mul_i32_i24_e32 v45, v45, v253
	s_wait_loadcnt 0x8
	v_add_f32_e32 v97, v97, v66
	v_mul_i32_i24_e32 v66, v62, v163
	v_mul_i32_i24_e32 v62, v62, v209
	s_wait_loadcnt 0x7
	v_mul_i32_i24_e32 v93, v35, v93
	s_wait_loadcnt 0x6
	v_mul_i32_i24_e32 v90, v38, v90
	v_mad_i32_i24 v66, v65, v187, v66
	s_wait_loadcnt 0x5
	v_mul_i32_i24_e32 v91, v37, v91
	v_mad_i32_i24 v62, v65, v210, v62
	s_wait_loadcnt 0x4
	v_mul_i32_i24_e32 v88, v40, v88
	v_add3_u32 v66, v66, v67, v68
	v_mul_i32_i24_e32 v67, v64, v186
	v_mul_i32_i24_e32 v68, v63, v191
	v_add3_u32 v56, v62, v58, v56
	s_wait_loadcnt 0x3
	v_mul_i32_i24_e32 v86, v42, v86
	s_wait_loadcnt 0x2
	v_mul_i32_i24_e32 v87, v41, v87
	v_mul_i32_i24_e32 v62, v63, v134
	v_add3_u32 v66, v66, v67, v68
	v_mul_i32_i24_e32 v68, v18, v236
	s_wait_loadcnt 0x1
	v_mul_i32_i24_e32 v85, v43, v85
	s_wait_loadcnt 0x0
	v_mul_i32_i24_e32 v89, v39, v89
	v_mul_i32_i24_e32 v58, v64, v211
	v_add3_u32 v66, v66, v69, v70
	scratch_load_b32 v70, off, off offset:268 th:TH_LOAD_LU ; 4-byte Folded Reload
	v_mul_i32_i24_e32 v69, v17, v240
	v_mul_i32_i24_e32 v43, v43, v255
	v_add3_u32 v56, v56, v58, v62
	v_add3_u32 v66, v66, v71, v72
	scratch_load_b32 v71, off, off offset:816 th:TH_LOAD_LU ; 4-byte Folded Reload
	v_mul_i32_i24_e32 v42, v42, v196
	v_mul_i32_i24_e32 v41, v41, v129
	v_add3_u32 v56, v56, v61, v60
	v_add3_u32 v66, v66, v73, v74
	v_mul_i32_i24_e32 v40, v40, v130
	v_mul_i32_i24_e32 v39, v39, v250
	;; [unrolled: 1-line block ×3, first 2 shown]
	v_add3_u32 v56, v56, v59, v57
	v_add3_u32 v66, v66, v75, v76
	v_mul_i32_i24_e32 v17, v17, v247
	v_mul_i32_i24_e32 v72, v29, v239
	v_mad_i32_i24 v18, v19, v246, v18
	v_add3_u32 v54, v56, v55, v54
	v_add3_u32 v66, v66, v77, v78
	scratch_load_b32 v77, off, off offset:820 th:TH_LOAD_LU ; 4-byte Folded Reload
	v_mul_i32_i24_e32 v73, v30, v241
	v_mul_i32_i24_e32 v75, v25, v243
	v_add3_u32 v52, v54, v53, v52
	v_add3_u32 v66, v66, v79, v80
	scratch_load_b32 v79, off, off offset:824 th:TH_LOAD_LU ; 4-byte Folded Reload
	v_mul_i32_i24_e32 v74, v31, v242
	v_mul_i32_i24_e32 v76, v23, v244
	v_add3_u32 v50, v52, v51, v50
	v_add3_u32 v66, v66, v81, v82
	v_mul_i32_i24_e32 v82, v14, v216
	v_mul_i32_i24_e32 v78, v22, v212
	v_mul_i32_i24_e32 v80, v20, v213
	v_add3_u32 v48, v50, v49, v48
	v_add3_u32 v66, v66, v83, v84
	v_mul_i32_i24_e32 v83, v10, v215
	;; [unrolled: 5-line block ×4, first 2 shown]
	v_mul_i32_i24_e32 v88, v9, v221
	v_mul_i32_i24_e32 v12, v12, v113
	v_add3_u32 v42, v44, v43, v42
	v_add3_u32 v66, v66, v89, v90
	s_clause 0x1
	scratch_load_b32 v153, off, off offset:804
	scratch_load_b32 v89, off, off offset:828 th:TH_LOAD_LU
	v_mul_i32_i24_e32 v90, v5, v222
	v_fma_mix_f32 v67, v235, v27, 0 op_sel:[0,1,0] op_sel_hi:[0,1,0]
	v_add3_u32 v40, v42, v41, v40
	v_add3_u32 v66, v66, v91, v92
	s_clause 0x4
	scratch_load_b32 v91, off, off offset:280 th:TH_LOAD_LU
	scratch_load_b32 v133, off, off offset:1292
	scratch_load_b32 v92, off, off offset:80 th:TH_LOAD_LU
	scratch_load_b32 v95, off, off offset:284 th:TH_LOAD_LU
	;; [unrolled: 1-line block ×3, first 2 shown]
	v_add3_u32 v66, v66, v93, v94
	s_clause 0x1
	scratch_load_b32 v93, off, off offset:84 th:TH_LOAD_LU
	scratch_load_b32 v94, off, off offset:288 th:TH_LOAD_LU
	v_fma_mix_f32 v67, v223, v28, v67 op_sel:[0,1,0] op_sel_hi:[0,1,0]
	v_mul_lo_u32 v66, v66, v233
	s_delay_alu instid0(VALU_DEP_2) | instskip(NEXT) | instid1(VALU_DEP_2)
	v_mul_f32_e32 v67, v67, v231
	v_cvt_f32_i32_e32 v66, v66
	s_delay_alu instid0(VALU_DEP_1)
	v_fma_mix_f32 v66, v27, v66, 0 op_sel_hi:[1,0,0]
	s_wait_loadcnt 0xc
	v_mul_i32_i24_e32 v70, v16, v70
	v_mul_i32_i24_e32 v16, v16, v248
	s_wait_loadcnt 0xb
	v_mad_i32_i24 v68, v19, v71, v68
	v_mul_i32_i24_e32 v71, v26, v238
	v_mul_i32_i24_e32 v19, v20, v104
	s_delay_alu instid0(VALU_DEP_3) | instskip(SKIP_2) | instid1(VALU_DEP_1)
	v_add3_u32 v68, v68, v69, v70
	v_mul_i32_i24_e32 v69, v33, v234
	v_mul_i32_i24_e32 v70, v32, v237
	v_add3_u32 v68, v68, v69, v70
	s_clause 0x2
	scratch_load_b32 v70, off, off offset:1308
	scratch_load_b32 v69, off, off offset:1288
	scratch_load_b32 v63, off, off offset:236 th:TH_LOAD_LU
	s_wait_loadcnt 0xd
	v_mul_i32_i24_e32 v77, v24, v77
	scratch_load_b32 v65, off, off offset:1256 ; 4-byte Folded Reload
	v_add3_u32 v68, v68, v71, v72
	scratch_load_b32 v71, off, off offset:1312 ; 4-byte Folded Reload
	s_wait_loadcnt 0xe
	v_mul_i32_i24_e32 v79, v21, v79
	v_add3_u32 v68, v68, v73, v74
	s_delay_alu instid0(VALU_DEP_1) | instskip(NEXT) | instid1(VALU_DEP_1)
	v_add3_u32 v68, v68, v75, v76
	v_add3_u32 v68, v68, v77, v78
	s_delay_alu instid0(VALU_DEP_1) | instskip(NEXT) | instid1(VALU_DEP_1)
	v_add3_u32 v68, v68, v79, v80
	v_add3_u32 v68, v68, v81, v82
	s_wait_loadcnt 0xc
	v_mul_i32_i24_e32 v89, v4, v89
	s_delay_alu instid0(VALU_DEP_2)
	v_add3_u32 v68, v68, v83, v84
	s_wait_loadcnt 0xb
	v_mul_i32_i24_e32 v91, v6, v91
	s_wait_loadcnt 0x9
	v_mul_i32_i24_e32 v92, v2, v92
	v_add3_u32 v68, v68, v85, v86
	s_wait_loadcnt 0x7
	v_mul_i32_i24_e32 v96, v3, v96
	v_mul_i32_i24_e32 v95, v0, v95
	s_wait_loadcnt 0x6
	v_mul_i32_i24_e32 v93, v7, v93
	s_wait_loadcnt 0x5
	v_mul_i32_i24_e32 v94, v1, v94
	v_add3_u32 v68, v68, v87, v88
	v_mul_i32_i24_e32 v0, v0, v124
	s_delay_alu instid0(VALU_DEP_2) | instskip(NEXT) | instid1(VALU_DEP_1)
	v_add3_u32 v68, v68, v89, v90
	v_add3_u32 v68, v68, v91, v92
	s_delay_alu instid0(VALU_DEP_1) | instskip(NEXT) | instid1(VALU_DEP_1)
	v_add3_u32 v68, v68, v93, v94
	v_add3_u32 v68, v68, v95, v96
	s_delay_alu instid0(VALU_DEP_1) | instskip(NEXT) | instid1(VALU_DEP_1)
	v_mul_lo_u32 v68, v68, v227
	v_cvt_f32_i32_e32 v68, v68
	s_delay_alu instid0(VALU_DEP_1) | instskip(NEXT) | instid1(VALU_DEP_1)
	v_fma_mix_f32 v66, v28, v68, v66 op_sel_hi:[1,0,0]
	v_fma_f32 v66, v66, v225, -v67
	scratch_load_b32 v67, off, off          ; 4-byte Folded Reload
	s_wait_loadcnt 0x3
	v_mul_i32_i24_e32 v38, v38, v63
	scratch_load_b32 v63, off, off offset:240 th:TH_LOAD_LU ; 4-byte Folded Reload
	v_add3_u32 v38, v40, v39, v38
	scratch_load_b32 v40, off, off offset:788 th:TH_LOAD_LU ; 4-byte Folded Reload
	s_wait_loadcnt 0x2
	v_add_f32_e32 v67, v67, v66
	scratch_store_b32 off, v67, off         ; 4-byte Folded Spill
	scratch_load_b32 v66, off, off          ; 4-byte Folded Reload
	s_wait_loadcnt 0x2
	v_mul_i32_i24_e32 v37, v37, v63
	scratch_load_b32 v63, off, off offset:244 th:TH_LOAD_LU ; 4-byte Folded Reload
	v_add3_u32 v36, v38, v37, v36
	s_wait_loadcnt 0x0
	v_mul_i32_i24_e32 v35, v35, v63
	s_delay_alu instid0(VALU_DEP_1)
	v_add3_u32 v34, v36, v35, v34
	v_add3_u32 v35, v18, v17, v16
	scratch_load_b32 v16, off, off offset:204 th:TH_LOAD_LU ; 4-byte Folded Reload
	v_mul_i32_i24_e32 v17, v14, v107
	v_mul_i32_i24_e32 v14, v10, v106
	scratch_load_b32 v10, off, off offset:232 th:TH_LOAD_LU ; 4-byte Folded Reload
	v_mul_i32_i24_e32 v18, v21, v102
	v_mul_lo_u32 v34, v34, v207
	s_delay_alu instid0(VALU_DEP_1) | instskip(NEXT) | instid1(VALU_DEP_1)
	v_cvt_f32_i32_e32 v34, v34
	v_fma_mix_f32 v34, v27, v34, 0 op_sel_hi:[1,0,0]
	v_fma_mix_f32 v27, v229, v27, 0 op_sel:[0,1,0] op_sel_hi:[0,1,0]
	s_wait_loadcnt 0x1
	v_mul_i32_i24_e32 v36, v33, v16
	scratch_load_b32 v16, off, off offset:212 th:TH_LOAD_LU ; 4-byte Folded Reload
	s_wait_loadcnt 0x1
	v_mul_i32_i24_e32 v10, v8, v10
	v_mul_i32_i24_e32 v8, v4, v117
	;; [unrolled: 1-line block ×4, first 2 shown]
	s_wait_loadcnt 0x0
	v_mul_i32_i24_e32 v37, v32, v16
	scratch_load_b32 v16, off, off offset:208 th:TH_LOAD_LU ; 4-byte Folded Reload
	v_add3_u32 v3, v35, v36, v37
	s_wait_loadcnt 0x0
	v_mul_i32_i24_e32 v32, v26, v16
	scratch_load_b32 v16, off, off offset:68 th:TH_LOAD_LU ; 4-byte Folded Reload
	s_wait_loadcnt 0x0
	v_mul_i32_i24_e32 v33, v29, v16
	scratch_load_b32 v16, off, off offset:216 th:TH_LOAD_LU ; 4-byte Folded Reload
	v_add3_u32 v3, v3, v32, v33
	s_wait_loadcnt 0x0
	v_mul_i32_i24_e32 v29, v30, v16
	scratch_load_b32 v16, off, off offset:220 th:TH_LOAD_LU ; 4-byte Folded Reload
	;; [unrolled: 7-line block ×3, first 2 shown]
	s_wait_loadcnt 0x0
	v_mul_i32_i24_e32 v26, v23, v16
	scratch_load_b32 v16, off, off offset:228 th:TH_LOAD_LU ; 4-byte Folded Reload
	v_add3_u32 v3, v3, v25, v26
	scratch_load_b32 v25, off, off offset:1248 ; 4-byte Folded Reload
	s_wait_loadcnt 0x1
	v_mul_i32_i24_e32 v23, v24, v16
	v_mul_i32_i24_e32 v16, v15, v105
	;; [unrolled: 1-line block ×5, first 2 shown]
	v_add3_u32 v3, v3, v23, v22
	v_mul_i32_i24_e32 v9, v5, v119
	v_mul_i32_i24_e32 v5, v6, v118
	;; [unrolled: 1-line block ×4, first 2 shown]
	v_add3_u32 v3, v3, v18, v19
	scratch_load_b32 v23, off, off offset:808 ; 4-byte Folded Reload
	v_add3_u32 v3, v3, v16, v17
	s_delay_alu instid0(VALU_DEP_1) | instskip(NEXT) | instid1(VALU_DEP_1)
	v_add3_u32 v3, v3, v14, v15
	v_add3_u32 v3, v3, v13, v12
	s_delay_alu instid0(VALU_DEP_1) | instskip(NEXT) | instid1(VALU_DEP_1)
	v_add3_u32 v3, v3, v10, v11
	;; [unrolled: 3-line block ×3, first 2 shown]
	v_add3_u32 v2, v3, v2, v4
	s_delay_alu instid0(VALU_DEP_1)
	v_add3_u32 v0, v2, v0, v1
	scratch_load_b32 v1, off, off offset:16 th:TH_LOAD_LU ; 4-byte Folded Reload
	s_wait_loadcnt 0x0
	v_mul_lo_u32 v0, v0, v1
	v_fma_mix_f32 v1, v226, v28, v27 op_sel:[0,1,0] op_sel_hi:[0,1,0]
	s_clause 0x1
	scratch_load_b32 v27, off, off offset:1252
	scratch_load_b32 v2, off, off offset:4
	v_cvt_f32_i32_e32 v0, v0
	s_delay_alu instid0(VALU_DEP_1) | instskip(SKIP_2) | instid1(VALU_DEP_1)
	v_fma_mix_f32 v0, v28, v0, v34 op_sel_hi:[1,0,0]
	s_wait_loadcnt 0x0
	v_mul_f32_e32 v1, v1, v2
	v_fma_f32 v0, v0, v199, -v1
	s_delay_alu instid0(VALU_DEP_1)
	v_add_f32_e32 v40, v40, v0
	s_cbranch_vccnz .LBB172_6
; %bb.7:                                ;   in Loop: Header=BB172_5 Depth=1
	scratch_load_b32 v0, off, off offset:1656 ; 4-byte Folded Reload
	s_wait_loadcnt 0x0
	s_wait_storecnt 0x0
	s_barrier_signal -1
	s_barrier_wait -1
	v_add_nc_u32_e32 v10, s7, v0
	scratch_load_b32 v0, off, off offset:1332 ; 4-byte Folded Reload
	s_wait_loadcnt 0x0
	global_inv scope:SCOPE_SE
	s_clause 0x6
	scratch_load_b32 v1, off, off offset:1336
	scratch_load_b32 v5, off, off offset:1344
	;; [unrolled: 1-line block ×4, first 2 shown]
	scratch_load_b64 v[17:18], off, off offset:1380
	scratch_load_b32 v7, off, off offset:1348
	scratch_load_b32 v13, off, off offset:1356
	s_mov_b32 s7, 16
	v_add_nc_u32_e32 v0, v10, v0
	s_wait_loadcnt 0x6
	v_add_nc_u32_e32 v2, v10, v1
	scratch_load_b32 v1, off, off offset:1340 ; 4-byte Folded Reload
	s_wait_loadcnt 0x5
	v_add_nc_u32_e32 v11, v10, v9
	v_add_nc_u32_e32 v6, v10, v5
	s_wait_loadcnt 0x4
	v_add_nc_u32_e32 v12, v10, v12
	s_wait_loadcnt 0x3
	v_mad_co_i64_i32 v[2:3], null, v2, 36, v[17:18]
	s_wait_loadcnt 0x1
	v_add_nc_u32_e32 v14, v10, v13
	scratch_load_b32 v13, off, off offset:1420 th:TH_LOAD_LU ; 4-byte Folded Reload
	v_add_nc_u32_e32 v8, v10, v7
	v_mad_co_i64_i32 v[6:7], null, v6, 36, v[17:18]
	v_mad_co_i64_i32 v[14:15], null, v14, 36, v[17:18]
	s_delay_alu instid0(VALU_DEP_3) | instskip(SKIP_4) | instid1(VALU_DEP_3)
	v_mad_co_i64_i32 v[8:9], null, v8, 36, v[17:18]
	s_wait_loadcnt 0x1
	v_add_nc_u32_e32 v4, v10, v1
	v_mad_co_i64_i32 v[10:11], null, v11, 36, v[17:18]
	v_mad_co_i64_i32 v[0:1], null, v0, 36, v[17:18]
	;; [unrolled: 1-line block ×3, first 2 shown]
	s_wait_loadcnt 0x0
	v_add_nc_u32_e32 v16, 4, v13
	v_mad_co_i64_i32 v[12:13], null, v12, 36, v[17:18]
	s_delay_alu instid0(VALU_DEP_2)
	v_mad_co_u64_u32 v[16:17], null, v16, 36, s[2:3]
	s_clause 0x8
	global_load_b32 v10, v[10:11], off offset:4
	global_load_b32 v0, v[0:1], off offset:4
	;; [unrolled: 1-line block ×8, first 2 shown]
	global_load_b32 v7, v[16:17], off
	scratch_load_b32 v8, off, off offset:1416 ; 4-byte Folded Reload
	s_wait_loadcnt 0x0
	ds_store_b32 v8, v10
	scratch_load_b32 v8, off, off offset:1388 ; 4-byte Folded Reload
	s_wait_loadcnt 0x0
	ds_store_b32 v8, v0
	;; [unrolled: 3-line block ×9, first 2 shown]
	s_wait_dscnt 0x0
	s_barrier_signal -1
	s_barrier_wait -1
	global_inv scope:SCOPE_SE
	s_clause 0x3
	scratch_load_b32 v0, off, off offset:1364
	scratch_load_b32 v1, off, off offset:1368
	;; [unrolled: 1-line block ×4, first 2 shown]
	s_wait_loadcnt 0x3
	ds_load_b32 v0, v0
	s_wait_loadcnt 0x2
	ds_load_b32 v1, v1 offset:128
	s_wait_loadcnt 0x1
	ds_load_b32 v2, v2 offset:256
	;; [unrolled: 2-line block ×3, first 2 shown]
	s_wait_dscnt 0x3
	v_lshrrev_b32_e32 v4, 16, v0
	v_cvt_f32_f16_e32 v0, v0
	scratch_store_b32 off, v0, off offset:776 ; 4-byte Folded Spill
	s_wait_dscnt 0x2
	v_cvt_f32_f16_e32 v0, v1
	scratch_store_b32 off, v0, off offset:172 ; 4-byte Folded Spill
	v_lshrrev_b32_e32 v0, 16, v1
	s_wait_dscnt 0x1
	v_cvt_f32_f16_e32 v1, v2
	s_delay_alu instid0(VALU_DEP_2)
	v_cvt_f32_f16_e32 v0, v0
	scratch_store_b32 off, v1, off offset:780 ; 4-byte Folded Spill
	v_lshrrev_b32_e32 v1, 16, v2
	s_wait_dscnt 0x0
	v_lshrrev_b32_e32 v2, 16, v3
	v_cvt_f32_f16_e32 v3, v3
	scratch_store_b32 off, v0, off offset:784 ; 4-byte Folded Spill
	v_cvt_f32_f16_e32 v0, v1
	scratch_store_b32 off, v0, off offset:180 ; 4-byte Folded Spill
	;; [unrolled: 2-line block ×3, first 2 shown]
	v_cvt_f32_f16_e32 v3, v4
	s_clause 0x1
	scratch_store_b32 off, v0, off offset:4
	scratch_store_b32 off, v3, off offset:1176
.LBB172_8:                              ;   Parent Loop BB172_5 Depth=1
                                        ; =>  This Inner Loop Header: Depth=2
	s_wait_alu 0xfffe
	s_lshl_b32 s16, s7, 2
	s_clause 0x4
	scratch_store_b32 off, v127, off offset:800
	scratch_store_b32 off, v122, off offset:796
	;; [unrolled: 1-line block ×3, first 2 shown]
	scratch_store_b32 off, v66, off
	scratch_store_b32 off, v40, off offset:788
	s_wait_alu 0xfffe
	v_add_nc_u32_e32 v5, s16, v69
	s_lshr_b32 s10, s7, 2
	s_wait_alu 0xfffe
	s_and_b32 s11, s10, 0x3ffffffe
	s_lshl_b32 s10, s7, 1
	ds_load_2addr_b32 v[43:44], v5 offset1:1
	s_wait_alu 0xfffe
	s_and_b32 s10, s10, 16
	s_addk_co_i32 s11, 0x6200
	s_wait_alu 0xfffe
	v_or_b32_e32 v0, s10, v65
	v_add3_u32 v4, s11, v70, v71
	s_delay_alu instid0(VALU_DEP_2)
	v_lshlrev_b32_e32 v1, 2, v0
	v_lshrrev_b32_e32 v91, 1, v0
	s_wait_dscnt 0x0
	v_and_b32_e32 v0, 0xf0f0f0f, v43
	v_lshrrev_b32_e32 v248, 28, v43
	v_bfe_u32 v249, v43, 20, 4
	v_bfe_u32 v130, v43, 24, 4
	v_and_b32_e32 v217, 15, v44
	v_lshrrev_b16 v8, 8, v0
	v_bfe_u32 v212, v44, 24, 4
	v_bfe_u32 v246, v43, 16, 4
	v_bfe_u32 v157, v44, 4, 4
	v_mov_b32_e32 v129, v217
	v_and_b32_e32 v211, 0xffff, v8
	v_and_b32_e32 v8, 0xf0f0f0f, v44
	v_lshrrev_b32_e32 v236, 28, v44
	v_bfe_u32 v152, v44, 20, 4
	s_delay_alu instid0(VALU_DEP_3) | instskip(SKIP_1) | instid1(VALU_DEP_1)
	v_lshrrev_b16 v12, 8, v8
	v_bfe_u32 v8, v44, 16, 4
	v_mov_b32_e32 v216, v8
	ds_load_b128 v[16:19], v1 offset:16896
	ds_load_b128 v[32:35], v1 offset:16912
	ds_load_b128 v[49:52], v1 offset:16928
	ds_load_b128 v[0:3], v1 offset:16944
	ds_load_2addr_b32 v[53:54], v5 offset0:2 offset1:3
	ds_load_2addr_b32 v[60:61], v5 offset0:4 offset1:5
	;; [unrolled: 1-line block ×3, first 2 shown]
	s_wait_dscnt 0x6
	v_bfe_i32 v123, v17, 16, 8
	v_bfe_i32 v104, v18, 16, 8
	s_wait_dscnt 0x5
	v_bfe_i32 v88, v32, 16, 8
	v_bfe_i32 v84, v33, 16, 8
	v_lshrrev_b16 v6, 8, v16
	v_mul_i32_i24_e32 v39, v8, v123
	s_wait_dscnt 0x2
	v_bfe_u32 v8, v53, 16, 4
	v_and_b32_e32 v214, 0xffff, v12
	v_and_b32_e32 v12, 0xf0f0f0f, v53
	v_lshrrev_b16 v10, 8, v17
	v_bfe_i32 v126, v16, 16, 8
	v_mul_i32_i24_e32 v45, v8, v104
	v_mov_b32_e32 v161, v8
	s_wait_dscnt 0x1
	v_bfe_u32 v8, v60, 16, 4
	v_and_b32_e32 v11, 15, v43
	v_bfe_i32 v125, v16, 0, 8
	v_ashrrev_i32_e32 v127, 24, v16
	v_lshrrev_b16 v16, 8, v12
	v_mul_i32_i24_e32 v62, v8, v88
	v_mov_b32_e32 v168, v8
	v_bfe_u32 v8, v61, 16, 4
	v_bfe_i32 v99, v18, 0, 8
	v_and_b32_e32 v12, 15, v53
	v_bfe_i32 v80, v34, 16, 8
	v_bfe_i32 v122, v10, 0, 8
	v_mul_i32_i24_e32 v70, v8, v84
	s_wait_dscnt 0x0
	v_dual_mov_b32 v170, v8 :: v_dual_and_b32 v5, 0xf0f0f0f, v65
	v_bfe_u32 v8, v65, 16, 4
	v_and_b32_e32 v10, 0xffff, v16
	v_mul_i32_i24_e32 v41, v12, v99
	v_dual_mov_b32 v165, v12 :: v_dual_and_b32 v16, 0xf0f0f0f, v54
	s_delay_alu instid0(VALU_DEP_4)
	v_mov_b32_e32 v207, v8
	v_bfe_i32 v90, v19, 0, 8
	v_mul_i32_i24_e32 v73, v8, v80
	v_bfe_u32 v8, v66, 16, 4
	v_and_b32_e32 v12, 15, v54
	v_lshrrev_b16 v14, 8, v18
	v_lshrrev_b16 v20, 8, v19
	v_bfe_i32 v86, v32, 0, 8
	v_mov_b32_e32 v253, v8
	scratch_store_b32 off, v12, off offset:412 ; 4-byte Folded Spill
	v_mul_i32_i24_e32 v47, v12, v90
	v_and_b32_e32 v12, 15, v60
	v_bfe_i32 v103, v14, 0, 8
	v_lshrrev_b16 v21, 8, v16
	v_bfe_i32 v92, v20, 0, 8
	v_dual_mov_b32 v239, v11 :: v_dual_and_b32 v20, 0xf0f0f0f, v60
	v_mul_i32_i24_e32 v58, v12, v86
	v_mov_b32_e32 v166, v12
	v_bfe_i32 v82, v33, 0, 8
	v_and_b32_e32 v12, 15, v61
	v_bfe_i32 v128, v6, 0, 8
	v_bfe_u32 v6, v53, 24, 4
	v_mul_i32_i24_e32 v42, v10, v103
	v_mov_b32_e32 v163, v10
	v_lshrrev_b16 v24, 8, v20
	v_mul_i32_i24_e32 v64, v12, v82
	v_mov_b32_e32 v204, v12
	v_and_b32_e32 v12, 15, v66
	v_and_b32_e32 v10, 0xffff, v21
	v_bfe_u32 v131, v54, 16, 4
	v_lshrrev_b16 v22, 8, v32
	v_ashrrev_i32_e32 v105, 24, v18
	v_mov_b32_e32 v255, v12
	s_clause 0x1
	scratch_store_b32 off, v6, off offset:968
	scratch_store_b32 off, v10, off offset:972
	v_mul_i32_i24_e32 v48, v10, v92
	v_and_b32_e32 v10, 0xffff, v24
	v_and_b32_e32 v24, 0xf0f0f0f, v61
	v_bfe_i32 v87, v22, 0, 8
	v_ashrrev_i32_e32 v124, 24, v17
	v_bfe_i32 v106, v17, 0, 8
	v_mul_i32_i24_e32 v46, v6, v105
	v_lshrrev_b16 v28, 8, v24
	v_bfe_u32 v6, v54, 24, 4
	v_ashrrev_i32_e32 v96, 24, v19
	v_mul_i32_i24_e32 v59, v10, v87
	s_delay_alu instid0(VALU_DEP_4)
	v_dual_mov_b32 v169, v10 :: v_dual_and_b32 v10, 0xffff, v28
	v_mul_i32_i24_e32 v40, v212, v124
	scratch_store_b32 off, v6, off offset:980 ; 4-byte Folded Spill
	v_bfe_i32 v93, v19, 16, 8
	v_mul_i32_i24_e32 v56, v6, v96
	v_bfe_u32 v6, v60, 24, 4
	v_ashrrev_i32_e32 v89, 24, v32
	v_mov_b32_e32 v172, v10
	v_mul_i32_i24_e32 v37, v217, v106
	v_mul_i32_i24_e32 v36, v211, v128
	;; [unrolled: 1-line block ×4, first 2 shown]
	v_lshrrev_b16 v26, 8, v33
	v_lshrrev_b16 v30, 8, v34
	v_mul_i32_i24_e32 v63, v6, v89
	v_mov_b32_e32 v167, v6
	v_bfe_u32 v6, v61, 24, 4
	v_ashrrev_i32_e32 v85, 24, v33
	v_lshrrev_b16 v5, 8, v5
	v_and_b32_e32 v32, 0xf0f0f0f, v66
	v_mad_i32_i24 v40, v130, v127, v40
	v_mad_i32_i24 v37, v11, v125, v37
	;; [unrolled: 1-line block ×3, first 2 shown]
	v_lshrrev_b16 v57, 8, v35
	v_bfe_i32 v83, v26, 0, 8
	v_mul_i32_i24_e32 v71, v6, v85
	v_mov_b32_e32 v205, v6
	v_bfe_u32 v6, v65, 24, 4
	v_ashrrev_i32_e32 v81, 24, v34
	v_bfe_i32 v79, v30, 0, 8
	v_bfe_i32 v78, v34, 0, 8
	v_and_b32_e32 v250, 0xffff, v5
	v_dual_mov_b32 v206, v6 :: v_dual_and_b32 v251, 15, v65
	v_bfe_u32 v252, v66, 24, 4
	v_lshrrev_b16 v75, 8, v32
	v_ashrrev_i32_e32 v68, 24, v35
	v_bfe_i32 v67, v35, 16, 8
	v_bfe_i32 v35, v35, 0, 8
	v_add3_u32 v36, v36, v38, v42
	v_add3_u32 v38, v39, v45, v55
	;; [unrolled: 1-line block ×4, first 2 shown]
	v_mul_i32_i24_e32 v69, v10, v83
	v_mul_i32_i24_e32 v5, v251, v78
	;; [unrolled: 1-line block ×4, first 2 shown]
	v_bfe_i32 v34, v57, 0, 8
	v_and_b32_e32 v10, 0xffff, v75
	v_mul_i32_i24_e32 v57, v12, v35
	v_mul_i32_i24_e32 v77, v252, v68
	v_add3_u32 v36, v36, v48, v59
	v_add3_u32 v39, v39, v63, v71
	;; [unrolled: 1-line block ×3, first 2 shown]
	v_mul_i32_i24_e32 v75, v10, v34
	v_mul_i32_i24_e32 v76, v8, v67
	v_add3_u32 v38, v38, v62, v70
	v_add3_u32 v36, v36, v69, v72
	;; [unrolled: 1-line block ×4, first 2 shown]
	v_bfe_u32 v74, v43, 4, 4
	v_add3_u32 v38, v38, v73, v76
	v_lshrrev_b16 v42, 8, v50
	v_lshrrev_b16 v46, 8, v51
	v_add3_u32 v36, v36, v75, v37
	v_lshrrev_b16 v47, 8, v52
	v_bfe_i32 v45, v51, 16, 8
	v_bfe_i32 v42, v42, 0, 8
	;; [unrolled: 1-line block ×3, first 2 shown]
	v_add3_u32 v5, v5, v38, v36
	ds_load_u16 v36, v4
	ds_load_u16 v69, v4 offset:8
	v_bfe_i32 v48, v51, 0, 8
	v_bfe_i32 v39, v49, 0, 8
	v_ashrrev_i32_e32 v37, 24, v49
	v_ashrrev_i32_e32 v40, 24, v50
	v_bfe_i32 v41, v50, 16, 8
	v_bfe_u32 v134, v53, 4, 4
	v_bfe_u32 v138, v54, 4, 4
	v_lshrrev_b32_e32 v75, 28, v53
	v_mul_i32_i24_e32 v102, v236, v40
	v_mul_i32_i24_e32 v101, v152, v41
	;; [unrolled: 1-line block ×3, first 2 shown]
	v_bfe_u32 v76, v53, 20, 4
	v_lshrrev_b32_e32 v135, 28, v54
	v_bfe_u32 v136, v54, 20, 4
	v_lshrrev_b32_e32 v143, 28, v60
	v_lshrrev_b16 v63, 8, v2
	v_mul_i32_i24_e32 v8, v76, v45
	v_bfe_i32 v56, v0, 0, 8
	s_wait_dscnt 0x1
	v_lshrrev_b16 v94, 8, v36
	s_wait_dscnt 0x0
	v_cvt_f32_ubyte0_e32 v72, v69
	v_and_b32_e32 v4, 0xff, v36
	v_bfe_i32 v36, v49, 16, 8
	v_bfe_u32 v144, v60, 20, 4
	v_bfe_u32 v146, v60, 4, 4
	v_lshrrev_b32_e32 v147, 28, v61
	scratch_store_b32 off, v4, off offset:420 ; 4-byte Folded Spill
	v_mul_lo_u32 v4, v5, v4
	v_lshrrev_b16 v5, 8, v49
	v_ashrrev_i32_e32 v49, 24, v52
	v_ashrrev_i32_e32 v57, 24, v1
	v_bfe_u32 v150, v61, 4, 4
	v_mad_i32_i24 v102, v248, v37, v102
	v_bfe_i32 v38, v5, 0, 8
	v_lshrrev_b16 v5, 8, v0
	v_cvt_f32_i32_e32 v95, v4
	v_lshrrev_b32_e32 v4, 4, v43
	v_bfe_i32 v43, v50, 0, 8
	v_bfe_i32 v50, v52, 16, 8
	v_bfe_i32 v55, v5, 0, 8
	v_bfe_i32 v52, v52, 0, 8
	v_lshrrev_b16 v4, 8, v4
	v_mul_i32_i24_e32 v98, v157, v43
	v_mul_i32_i24_e32 v109, v136, v50
	;; [unrolled: 1-line block ×4, first 2 shown]
	v_and_b32_e32 v4, 15, v4
	v_mad_i32_i24 v98, v74, v39, v98
	v_mad_i32_i24 v101, v249, v36, v101
	v_lshrrev_b16 v70, 8, v3
	v_bfe_i32 v58, v1, 16, 8
	v_and_b32_e32 v4, 0xffff, v4
	v_add3_u32 v98, v98, v6, v107
	scratch_load_b32 v107, off, off offset:776 ; 4-byte Folded Reload
	v_bfe_u32 v148, v61, 20, 4
	v_mul_i32_i24_e32 v116, v147, v57
	scratch_store_b32 off, v4, off offset:344 ; 4-byte Folded Spill
	v_mul_i32_i24_e32 v97, v4, v38
	v_lshrrev_b32_e32 v4, 4, v44
	v_ashrrev_i32_e32 v44, 24, v51
	v_bfe_i32 v51, v47, 0, 8
	v_lshrrev_b16 v47, 8, v1
	v_lshrrev_b32_e32 v151, 28, v65
	v_lshrrev_b16 v4, 8, v4
	v_mul_i32_i24_e32 v9, v75, v44
	v_bfe_i32 v63, v63, 0, 8
	v_bfe_i32 v59, v47, 0, 8
	;; [unrolled: 1-line block ×3, first 2 shown]
	v_and_b32_e32 v4, 15, v4
	v_bfe_u32 v154, v65, 20, 4
	v_bfe_u32 v156, v65, 4, 4
	v_ashrrev_i32_e32 v64, 24, v3
	v_bfe_i32 v32, v3, 0, 8
	v_and_b32_e32 v4, 0xffff, v4
	v_mul_i32_i24_e32 v115, v148, v58
	v_bfe_i32 v62, v2, 16, 8
	v_bfe_i32 v47, v70, 0, 8
	scratch_store_b32 off, v4, off offset:96 ; 4-byte Folded Spill
	v_mul_i32_i24_e32 v100, v4, v42
	v_lshrrev_b32_e32 v4, 4, v53
	v_ashrrev_i32_e32 v53, 24, v0
	v_mul_i32_i24_e32 v118, v154, v62
	s_delay_alu instid0(VALU_DEP_3) | instskip(NEXT) | instid1(VALU_DEP_3)
	v_lshrrev_b16 v4, 8, v4
	v_mul_i32_i24_e32 v113, v143, v53
	s_delay_alu instid0(VALU_DEP_2) | instskip(NEXT) | instid1(VALU_DEP_1)
	v_and_b32_e32 v4, 15, v4
	v_dual_mov_b32 v254, v10 :: v_dual_and_b32 v77, 0xffff, v4
	v_lshrrev_b32_e32 v4, 4, v54
	v_bfe_i32 v54, v0, 16, 8
	v_mul_i32_i24_e32 v0, v146, v56
	s_delay_alu instid0(VALU_DEP_4) | instskip(NEXT) | instid1(VALU_DEP_4)
	v_mul_i32_i24_e32 v7, v77, v46
	v_lshrrev_b16 v4, 8, v4
	s_delay_alu instid0(VALU_DEP_4) | instskip(NEXT) | instid1(VALU_DEP_3)
	v_mul_i32_i24_e32 v112, v144, v54
	v_add3_u32 v97, v97, v100, v7
	s_delay_alu instid0(VALU_DEP_3) | instskip(SKIP_3) | instid1(VALU_DEP_4)
	v_and_b32_e32 v4, 15, v4
	v_add3_u32 v100, v101, v8, v109
	v_add3_u32 v101, v102, v9, v110
	v_cvt_f32_ubyte1_e32 v109, v69
	v_and_b32_e32 v137, 0xffff, v4
	v_lshrrev_b32_e32 v4, 4, v60
	v_bfe_i32 v60, v1, 0, 8
	v_add3_u32 v101, v101, v113, v116
	scratch_store_b32 off, v109, off offset:392 ; 4-byte Folded Spill
	v_mul_i32_i24_e32 v108, v137, v51
	v_lshrrev_b16 v4, 8, v4
	v_mul_i32_i24_e32 v1, v150, v60
	s_delay_alu instid0(VALU_DEP_2) | instskip(NEXT) | instid1(VALU_DEP_2)
	v_and_b32_e32 v4, 15, v4
	v_add3_u32 v0, v98, v0, v1
	v_add3_u32 v1, v100, v112, v115
	s_delay_alu instid0(VALU_DEP_3) | instskip(SKIP_3) | instid1(VALU_DEP_4)
	v_and_b32_e32 v145, 0xffff, v4
	v_lshrrev_b32_e32 v4, 4, v61
	v_ashrrev_i32_e32 v61, 24, v2
	v_mul_i32_i24_e32 v2, v156, v33
	v_mul_i32_i24_e32 v111, v145, v55
	s_delay_alu instid0(VALU_DEP_4) | instskip(NEXT) | instid1(VALU_DEP_4)
	v_lshrrev_b16 v4, 8, v4
	v_mul_i32_i24_e32 v119, v151, v61
	s_delay_alu instid0(VALU_DEP_3) | instskip(SKIP_2) | instid1(VALU_DEP_1)
	v_add3_u32 v97, v97, v108, v111
	scratch_load_b32 v108, off, off offset:1176 ; 4-byte Folded Reload
	v_and_b32_e32 v4, 15, v4
	v_and_b32_e32 v149, 0xffff, v4
	v_lshrrev_b32_e32 v4, 4, v65
	v_bfe_i32 v65, v3, 16, 8
	v_bfe_u32 v3, v66, 4, 4
	s_delay_alu instid0(VALU_DEP_4) | instskip(NEXT) | instid1(VALU_DEP_4)
	v_mul_i32_i24_e32 v114, v149, v59
	v_lshrrev_b16 v4, 8, v4
	scratch_store_b32 off, v3, off offset:956 ; 4-byte Folded Spill
	v_mul_i32_i24_e32 v3, v3, v32
	v_and_b32_e32 v5, 15, v4
	v_lshrrev_b32_e32 v4, 28, v66
	s_delay_alu instid0(VALU_DEP_3) | instskip(NEXT) | instid1(VALU_DEP_3)
	v_add3_u32 v0, v0, v2, v3
	v_and_b32_e32 v155, 0xffff, v5
	v_lshrrev_b32_e32 v5, 4, v66
	s_delay_alu instid0(VALU_DEP_4) | instskip(NEXT) | instid1(VALU_DEP_3)
	v_mul_i32_i24_e32 v121, v4, v64
	v_mul_i32_i24_e32 v117, v155, v63
	s_delay_alu instid0(VALU_DEP_3) | instskip(NEXT) | instid1(VALU_DEP_3)
	v_lshrrev_b16 v5, 8, v5
	v_add3_u32 v2, v101, v119, v121
	s_delay_alu instid0(VALU_DEP_3) | instskip(NEXT) | instid1(VALU_DEP_3)
	v_add3_u32 v97, v97, v114, v117
	v_and_b32_e32 v71, 15, v5
	v_bfe_u32 v5, v66, 20, 4
	v_mov_b32_e32 v114, v216
	s_delay_alu instid0(VALU_DEP_3) | instskip(NEXT) | instid1(VALU_DEP_3)
	v_and_b32_e32 v14, 0xffff, v71
	v_mul_i32_i24_e32 v120, v5, v65
	s_delay_alu instid0(VALU_DEP_2) | instskip(NEXT) | instid1(VALU_DEP_2)
	v_mul_i32_i24_e32 v66, v14, v47
	v_add3_u32 v1, v1, v118, v120
	v_mov_b32_e32 v209, v14
	scratch_store_b32 off, v5, off offset:948 ; 4-byte Folded Spill
	v_add3_u32 v2, v97, v66, v2
	scratch_store_b32 off, v209, off offset:952 ; 4-byte Folded Spill
	v_add3_u32 v0, v0, v1, v2
	ds_load_b64 v[2:3], v91 offset:27200
	v_and_b32_e32 v1, 0xffff, v94
	s_clause 0x1
	scratch_store_b32 off, v4, off offset:384
	scratch_store_b32 off, v1, off offset:388
	v_mul_lo_u32 v0, v0, v1
	s_delay_alu instid0(VALU_DEP_1) | instskip(SKIP_3) | instid1(VALU_DEP_2)
	v_cvt_f32_i32_e32 v0, v0
	s_wait_dscnt 0x0
	v_fma_mix_f32 v1, v95, v2, 0 op_sel_hi:[0,1,0]
	v_fma_mix_f32 v66, v72, v2, 0 op_sel:[0,1,0] op_sel_hi:[0,1,0]
	v_fma_mix_f32 v0, v0, v3, v1 op_sel_hi:[0,1,0]
	s_delay_alu instid0(VALU_DEP_2) | instskip(SKIP_1) | instid1(VALU_DEP_1)
	v_fma_mix_f32 v1, v109, v3, v66 op_sel:[0,1,0] op_sel_hi:[0,1,0]
	s_wait_loadcnt 0x0
	v_mul_f32_e32 v1, v1, v108
	s_delay_alu instid0(VALU_DEP_1) | instskip(SKIP_1) | instid1(VALU_DEP_2)
	v_fma_f32 v0, v0, v107, -v1
	v_add_nc_u32_e32 v1, s16, v158
	v_add_f32_e32 v153, v153, v0
	ds_load_2addr_b32 v[94:95], v1 offset1:1
	ds_load_2addr_b32 v[139:140], v1 offset0:4 offset1:5
	ds_load_2addr_b32 v[141:142], v1 offset0:6 offset1:7
	v_add3_u32 v0, s11, v179, v133
	scratch_store_b32 off, v153, off offset:804 ; 4-byte Folded Spill
	s_wait_dscnt 0x2
	v_and_b32_e32 v4, 15, v94
	v_bfe_u32 v5, v94, 16, 4
	s_wait_dscnt 0x1
	v_and_b32_e32 v225, 15, v139
	v_bfe_u32 v223, v139, 8, 4
	v_bfe_u32 v221, v139, 16, 4
	scratch_store_b32 off, v4, off offset:572 ; 4-byte Folded Spill
	v_mul_i32_i24_e32 v66, v125, v4
	v_bfe_u32 v4, v94, 8, 4
	scratch_store_b32 off, v5, off offset:576 ; 4-byte Folded Spill
	v_mul_i32_i24_e32 v91, v126, v5
	v_bfe_u32 v5, v94, 24, 4
	v_bfe_u32 v181, v139, 24, 4
	scratch_store_b32 off, v4, off offset:1132 ; 4-byte Folded Spill
	v_mad_i32_i24 v66, v128, v4, v66
	v_and_b32_e32 v4, 15, v95
	v_mul_i32_i24_e32 v97, v127, v5
	v_and_b32_e32 v173, 15, v140
	v_bfe_u32 v121, v140, 8, 4
	v_bfe_u32 v120, v140, 16, 4
	scratch_store_b32 off, v4, off offset:596 ; 4-byte Folded Spill
	v_add3_u32 v66, v66, v91, v97
	v_mul_i32_i24_e32 v91, v106, v4
	v_bfe_u32 v4, v95, 8, 4
	s_clause 0x2
	scratch_store_b32 off, v5, off offset:580
	scratch_store_b32 off, v173, off offset:288
	;; [unrolled: 1-line block ×3, first 2 shown]
	s_wait_dscnt 0x0
	v_bfe_u32 v158, v141, 8, 4
	scratch_store_b32 off, v4, off offset:584 ; 4-byte Folded Spill
	v_mul_i32_i24_e32 v97, v122, v4
	v_bfe_u32 v4, v95, 16, 4
	v_bfe_u32 v230, v141, 24, 4
	s_clause 0x3
	scratch_store_b32 off, v225, off offset:276
	scratch_store_b32 off, v221, off offset:280
	;; [unrolled: 1-line block ×4, first 2 shown]
	v_mul_i32_i24_e32 v98, v123, v4
	v_bfe_u32 v4, v95, 24, 4
	v_add3_u32 v66, v66, v97, v91
	scratch_store_b32 off, v223, off offset:884 ; 4-byte Folded Spill
	v_lshrrev_b32_e32 v171, 28, v94
	scratch_store_b32 off, v158, off offset:308 ; 4-byte Folded Spill
	v_mul_i32_i24_e32 v100, v124, v4
	scratch_store_b32 off, v4, off offset:592 ; 4-byte Folded Spill
	v_bfe_u32 v5, v94, 4, 4
	v_bfe_u32 v159, v95, 12, 4
	v_lshrrev_b32_e32 v238, 28, v95
	v_add3_u32 v66, v66, v98, v100
	ds_load_2addr_b32 v[97:98], v1 offset0:2 offset1:3
	v_and_b32_e32 v1, 15, v141
	v_mul_i32_i24_e32 v176, v42, v159
	v_mul_i32_i24_e32 v178, v40, v238
	scratch_store_b32 off, v1, off offset:304 ; 4-byte Folded Spill
	v_mul_i32_i24_e32 v1, v78, v1
	s_wait_dscnt 0x0
	v_bfe_u32 v4, v97, 8, 4
	v_and_b32_e32 v247, 15, v97
	v_and_b32_e32 v111, 15, v98
	v_bfe_u32 v222, v98, 8, 4
	v_bfe_u32 v237, v98, 24, 4
	scratch_store_b32 off, v4, off offset:240 ; 4-byte Folded Spill
	v_mul_i32_i24_e32 v100, v103, v4
	v_bfe_u32 v4, v97, 16, 4
	v_mul_i32_i24_e32 v91, v99, v247
	s_clause 0x1
	scratch_store_b32 off, v230, off offset:1224
	scratch_store_b32 off, v4, off offset:244
	v_mul_i32_i24_e32 v101, v104, v4
	v_bfe_u32 v4, v97, 24, 4
	v_add3_u32 v66, v66, v100, v91
	v_mul_i32_i24_e32 v91, v90, v111
	v_mul_i32_i24_e32 v100, v92, v222
	s_delay_alu instid0(VALU_DEP_4) | instskip(SKIP_4) | instid1(VALU_DEP_3)
	v_mul_i32_i24_e32 v102, v105, v4
	scratch_store_b32 off, v4, off offset:248 ; 4-byte Folded Spill
	v_bfe_u32 v4, v98, 16, 4
	v_add3_u32 v66, v66, v101, v102
	v_mul_i32_i24_e32 v102, v96, v237
	v_mul_i32_i24_e32 v101, v93, v4
	scratch_store_b32 off, v4, off offset:60 ; 4-byte Folded Spill
	v_bfe_u32 v4, v140, 24, 4
	v_add3_u32 v66, v66, v100, v91
	v_mul_i32_i24_e32 v91, v86, v225
	v_mul_i32_i24_e32 v100, v87, v223
	s_clause 0x1
	scratch_store_b32 off, v120, off offset:296
	scratch_store_b32 off, v4, off offset:300
	v_add3_u32 v66, v66, v101, v102
	v_mul_i32_i24_e32 v101, v88, v221
	v_mul_i32_i24_e32 v102, v89, v181
	s_delay_alu instid0(VALU_DEP_3) | instskip(SKIP_2) | instid1(VALU_DEP_3)
	v_add3_u32 v66, v66, v100, v91
	v_mul_i32_i24_e32 v91, v82, v173
	v_mul_i32_i24_e32 v100, v83, v121
	v_add3_u32 v66, v66, v101, v102
	v_mul_i32_i24_e32 v101, v84, v120
	v_mul_i32_i24_e32 v102, v85, v4
	v_bfe_u32 v4, v141, 16, 4
	s_delay_alu instid0(VALU_DEP_4)
	v_add3_u32 v66, v66, v100, v91
	v_mul_i32_i24_e32 v91, v79, v158
	scratch_store_b32 off, v4, off offset:624 ; 4-byte Folded Spill
	v_mul_i32_i24_e32 v100, v80, v4
	v_add3_u32 v66, v66, v101, v102
	v_and_b32_e32 v4, 15, v142
	v_mul_i32_i24_e32 v101, v81, v230
	v_bfe_u32 v102, v142, 16, 4
	s_delay_alu instid0(VALU_DEP_4)
	v_add3_u32 v1, v66, v91, v1
	s_clause 0x1
	scratch_store_b32 off, v4, off offset:872
	scratch_store_b32 off, v237, off offset:880
	v_mul_i32_i24_e32 v66, v35, v4
	v_bfe_u32 v4, v142, 8, 4
	v_add3_u32 v1, v1, v100, v101
	v_mul_i32_i24_e32 v100, v67, v102
	scratch_store_b32 off, v4, off offset:428 ; 4-byte Folded Spill
	v_mul_i32_i24_e32 v91, v34, v4
	v_bfe_u32 v4, v142, 24, 4
	scratch_store_b32 off, v102, off offset:860 ; 4-byte Folded Spill
	v_add3_u32 v1, v1, v91, v66
	scratch_store_b32 off, v4, off offset:864 ; 4-byte Folded Spill
	ds_load_u16 v66, v0
	ds_load_u16 v0, v0 offset:8
	s_clause 0x1
	scratch_load_b32 v224, off, off offset:784
	scratch_load_b32 v164, off, off offset:172
	v_mul_i32_i24_e32 v101, v68, v4
	s_clause 0x1
	scratch_store_b32 off, v5, off offset:1140
	scratch_store_b32 off, v159, off offset:320
	v_add3_u32 v1, v1, v100, v101
	v_mul_i32_i24_e32 v100, v39, v5
	v_bfe_u32 v5, v94, 12, 4
	scratch_store_b32 off, v5, off offset:992 ; 4-byte Folded Spill
	v_mad_i32_i24 v100, v38, v5, v100
	v_bfe_u32 v5, v95, 4, 4
	s_wait_dscnt 0x1
	v_and_b32_e32 v4, 0xff, v66
	v_lshrrev_b16 v91, 8, v66
	s_wait_dscnt 0x0
	v_cvt_f32_ubyte0_e32 v234, v0
	v_mul_i32_i24_e32 v175, v43, v5
	v_cvt_f32_ubyte1_e32 v180, v0
	scratch_store_b32 off, v4, off offset:1136 ; 4-byte Folded Spill
	v_mul_lo_u32 v1, v1, v4
	v_bfe_u32 v4, v94, 20, 4
	v_mul_i32_i24_e32 v94, v37, v171
	v_and_b32_e32 v229, 0xffff, v91
	v_fma_mix_f32 v66, v2, v234, 0 op_sel:[1,0,0] op_sel_hi:[1,0,0]
	s_clause 0x1
	scratch_store_b32 off, v234, off offset:1228
	scratch_store_b32 off, v4, off offset:1144
	v_mul_i32_i24_e32 v101, v36, v4
	v_bfe_u32 v4, v97, 20, 4
	v_cvt_f32_i32_e32 v1, v1
	v_fma_mix_f32 v0, v3, v180, v66 op_sel:[1,0,0] op_sel_hi:[1,0,0]
	s_delay_alu instid0(VALU_DEP_4)
	v_add3_u32 v174, v100, v101, v94
	v_bfe_u32 v100, v95, 20, 4
	scratch_store_b32 off, v4, off offset:52 ; 4-byte Folded Spill
	v_bfe_u32 v95, v97, 4, 4
	v_mul_i32_i24_e32 v183, v45, v4
	v_bfe_u32 v4, v98, 20, 4
	scratch_store_b32 off, v5, off offset:48 ; 4-byte Folded Spill
	v_mul_i32_i24_e32 v177, v41, v100
	v_bfe_u32 v5, v97, 12, 4
	v_add3_u32 v174, v174, v175, v176
	v_mul_i32_i24_e32 v179, v48, v95
	v_lshrrev_b32_e32 v101, 28, v97
	v_bfe_u32 v97, v98, 4, 4
	v_mul_i32_i24_e32 v182, v46, v5
	v_add3_u32 v174, v174, v177, v178
	scratch_store_b32 off, v5, off offset:252 ; 4-byte Folded Spill
	v_mul_i32_i24_e32 v184, v44, v101
	v_bfe_u32 v5, v98, 12, 4
	v_mul_i32_i24_e32 v185, v52, v97
	v_add3_u32 v174, v174, v179, v182
	v_lshrrev_b32_e32 v98, 28, v98
	scratch_store_b32 off, v4, off offset:44 ; 4-byte Folded Spill
	v_mul_i32_i24_e32 v186, v51, v5
	scratch_store_b32 off, v5, off offset:56 ; 4-byte Folded Spill
	v_add3_u32 v174, v174, v183, v184
	v_mul_i32_i24_e32 v187, v50, v4
	v_mul_i32_i24_e32 v188, v49, v98
	v_bfe_u32 v4, v139, 20, 4
	v_bfe_u32 v94, v139, 4, 4
	;; [unrolled: 1-line block ×3, first 2 shown]
	v_add3_u32 v174, v174, v185, v186
	v_lshrrev_b32_e32 v139, 28, v139
	scratch_store_b32 off, v4, off offset:256 ; 4-byte Folded Spill
	v_mul_i32_i24_e32 v189, v56, v94
	v_mul_i32_i24_e32 v190, v55, v5
	;; [unrolled: 1-line block ×3, first 2 shown]
	v_bfe_u32 v4, v140, 20, 4
	scratch_store_b32 off, v5, off offset:260 ; 4-byte Folded Spill
	v_bfe_u32 v5, v140, 4, 4
	v_add3_u32 v174, v174, v187, v188
	v_mul_i32_i24_e32 v192, v53, v139
	v_mul_i32_i24_e32 v195, v58, v4
	v_fma_mix_f32 v1, v2, v1, 0 op_sel_hi:[1,0,0]
	scratch_store_b32 off, v5, off offset:64 ; 4-byte Folded Spill
	v_mul_i32_i24_e32 v193, v60, v5
	v_bfe_u32 v5, v140, 12, 4
	v_add3_u32 v174, v174, v189, v190
	scratch_store_b32 off, v4, off offset:264 ; 4-byte Folded Spill
	v_lshrrev_b32_e32 v140, 28, v140
	v_bfe_u32 v4, v141, 20, 4
	scratch_store_b32 off, v5, off offset:268 ; 4-byte Folded Spill
	v_mul_i32_i24_e32 v194, v59, v5
	v_bfe_u32 v5, v141, 4, 4
	v_add3_u32 v174, v174, v191, v192
	v_mul_i32_i24_e32 v196, v57, v140
	scratch_store_b32 off, v4, off offset:72 ; 4-byte Folded Spill
	v_mul_i32_i24_e32 v199, v62, v4
	scratch_store_b32 off, v5, off offset:68 ; 4-byte Folded Spill
	v_mul_i32_i24_e32 v197, v33, v5
	v_bfe_u32 v5, v141, 12, 4
	v_lshrrev_b32_e32 v4, 28, v141
	v_add3_u32 v174, v174, v193, v194
	s_clause 0x3
	scratch_store_b32 off, v171, off offset:312
	scratch_store_b32 off, v100, off offset:316
	scratch_store_b32 off, v5, off offset:76
	scratch_store_b32 off, v4, off offset:80
	v_mul_i32_i24_e32 v198, v63, v5
	v_mul_i32_i24_e32 v200, v61, v4
	v_bfe_u32 v4, v142, 20, 4
	v_bfe_u32 v5, v142, 4, 4
	v_add3_u32 v174, v174, v195, v196
	s_clause 0x6
	scratch_store_b32 off, v238, off offset:324
	scratch_store_b32 off, v101, off offset:328
	;; [unrolled: 1-line block ×7, first 2 shown]
	v_mul_i32_i24_e32 v201, v32, v5
	v_bfe_u32 v5, v142, 12, 4
	v_add3_u32 v174, v174, v197, v198
	v_mul_i32_i24_e32 v203, v65, v4
	v_lshrrev_b32_e32 v4, 28, v142
	v_mov_b32_e32 v189, v130
	v_mul_i32_i24_e32 v202, v47, v5
	v_add3_u32 v174, v174, v199, v200
	scratch_store_b32 off, v5, off offset:92 ; 4-byte Folded Spill
	v_mul_i32_i24_e32 v142, v64, v4
	scratch_store_b32 off, v4, off offset:148 ; 4-byte Folded Spill
	v_add3_u32 v174, v174, v201, v202
	s_delay_alu instid0(VALU_DEP_1) | instskip(NEXT) | instid1(VALU_DEP_1)
	v_add3_u32 v174, v174, v203, v142
	v_mul_lo_u32 v91, v174, v229
	s_delay_alu instid0(VALU_DEP_1) | instskip(NEXT) | instid1(VALU_DEP_1)
	v_cvt_f32_i32_e32 v91, v91
	v_fma_mix_f32 v1, v3, v91, v1 op_sel_hi:[1,0,0]
	v_mov_b32_e32 v91, v72
	s_wait_loadcnt 0x1
	v_mul_f32_e32 v0, v0, v224
	s_wait_loadcnt 0x0
	s_delay_alu instid0(VALU_DEP_1) | instskip(NEXT) | instid1(VALU_DEP_1)
	v_fma_f32 v0, v1, v164, -v0
	v_add_f32_e32 v23, v23, v0
	scratch_load_b32 v0, off, off offset:1320 ; 4-byte Folded Reload
	scratch_store_b32 off, v23, off offset:808 ; 4-byte Folded Spill
	s_wait_loadcnt 0x0
	v_add3_u32 v66, s11, v0, v25
	v_add_nc_u32_e32 v0, s16, v27
	ds_load_2addr_b32 v[174:175], v0 offset1:1
	s_wait_dscnt 0x0
	v_and_b32_e32 v162, 15, v174
	v_bfe_u32 v153, v174, 8, 4
	v_bfe_u32 v160, v174, 16, 4
	;; [unrolled: 1-line block ×3, first 2 shown]
	v_and_b32_e32 v4, 15, v175
	v_mul_i32_i24_e32 v1, v125, v162
	scratch_store_b32 off, v153, off offset:1044 ; 4-byte Folded Spill
	v_mul_i32_i24_e32 v176, v126, v160
	v_mul_i32_i24_e32 v177, v127, v142
	scratch_store_b32 off, v4, off offset:1048 ; 4-byte Folded Spill
	v_mad_i32_i24 v1, v128, v153, v1
	s_clause 0x2
	scratch_store_b32 off, v162, off offset:852
	scratch_store_b32 off, v160, off offset:232
	;; [unrolled: 1-line block ×3, first 2 shown]
	v_bfe_u32 v5, v174, 4, 4
	v_add3_u32 v1, v1, v176, v177
	v_mul_i32_i24_e32 v176, v106, v4
	v_bfe_u32 v4, v175, 8, 4
	s_delay_alu instid0(VALU_DEP_1)
	v_mul_i32_i24_e32 v177, v122, v4
	scratch_store_b32 off, v4, off offset:996 ; 4-byte Folded Spill
	v_bfe_u32 v4, v175, 16, 4
	v_add3_u32 v1, v1, v177, v176
	ds_load_2addr_b32 v[176:177], v0 offset0:2 offset1:3
	scratch_store_b32 off, v4, off offset:1052 ; 4-byte Folded Spill
	v_mul_i32_i24_e32 v178, v123, v4
	v_bfe_u32 v4, v175, 24, 4
	scratch_store_b32 off, v4, off offset:1000 ; 4-byte Folded Spill
	v_mul_i32_i24_e32 v179, v124, v4
	s_delay_alu instid0(VALU_DEP_1)
	v_add3_u32 v1, v1, v178, v179
	s_wait_dscnt 0x0
	v_and_b32_e32 v4, 15, v176
	v_bfe_u32 v71, v177, 8, 4
	v_bfe_u32 v245, v177, 4, 4
	;; [unrolled: 1-line block ×4, first 2 shown]
	s_clause 0x1
	scratch_store_b32 off, v4, off offset:1056
	scratch_store_b32 off, v229, off offset:1064
	v_mul_i32_i24_e32 v178, v99, v4
	v_bfe_u32 v4, v176, 8, 4
	v_mul_i32_i24_e32 v23, v52, v245
	v_mul_i32_i24_e32 v22, v51, v244
	v_lshrrev_b32_e32 v192, 28, v177
	v_mul_i32_i24_e32 v21, v50, v243
	scratch_store_b32 off, v4, off offset:620 ; 4-byte Folded Spill
	v_mul_i32_i24_e32 v179, v103, v4
	v_bfe_u32 v4, v176, 16, 4
	v_mul_i32_i24_e32 v20, v49, v192
	s_delay_alu instid0(VALU_DEP_3)
	v_add3_u32 v1, v1, v179, v178
	scratch_store_b32 off, v4, off offset:600 ; 4-byte Folded Spill
	v_mul_i32_i24_e32 v182, v104, v4
	v_bfe_u32 v4, v176, 24, 4
	v_mul_i32_i24_e32 v179, v92, v71
	scratch_store_b32 off, v4, off offset:604 ; 4-byte Folded Spill
	v_mul_i32_i24_e32 v183, v105, v4
	v_and_b32_e32 v4, 15, v177
	s_delay_alu instid0(VALU_DEP_2) | instskip(NEXT) | instid1(VALU_DEP_2)
	v_add3_u32 v1, v1, v182, v183
	v_mul_i32_i24_e32 v178, v90, v4
	scratch_store_b32 off, v4, off offset:508 ; 4-byte Folded Spill
	v_bfe_u32 v4, v177, 16, 4
	scratch_store_b32 off, v71, off offset:608 ; 4-byte Folded Spill
	v_add3_u32 v1, v1, v179, v178
	ds_load_2addr_b32 v[178:179], v0 offset0:4 offset1:5
	scratch_store_b32 off, v4, off offset:612 ; 4-byte Folded Spill
	v_mul_i32_i24_e32 v182, v93, v4
	v_bfe_u32 v4, v177, 24, 4
	scratch_store_b32 off, v4, off offset:616 ; 4-byte Folded Spill
	v_mul_i32_i24_e32 v183, v96, v4
	s_delay_alu instid0(VALU_DEP_1)
	v_add3_u32 v1, v1, v182, v183
	s_wait_dscnt 0x0
	v_and_b32_e32 v4, 15, v178
	v_bfe_u32 v241, v178, 12, 4
	v_bfe_u32 v242, v178, 20, 4
	v_lshrrev_b32_e32 v73, 28, v178
	v_lshrrev_b32_e32 v240, 28, v179
	scratch_store_b32 off, v4, off offset:432 ; 4-byte Folded Spill
	v_mul_i32_i24_e32 v182, v86, v4
	v_bfe_u32 v4, v178, 8, 4
	v_mul_i32_i24_e32 v18, v55, v241
	v_mul_i32_i24_e32 v17, v54, v242
	;; [unrolled: 1-line block ×4, first 2 shown]
	scratch_store_b32 off, v4, off offset:640 ; 4-byte Folded Spill
	v_mul_i32_i24_e32 v183, v87, v4
	v_bfe_u32 v4, v178, 16, 4
	s_delay_alu instid0(VALU_DEP_2)
	v_add3_u32 v1, v1, v183, v182
	scratch_store_b32 off, v4, off offset:1148 ; 4-byte Folded Spill
	v_mul_i32_i24_e32 v184, v88, v4
	v_bfe_u32 v4, v178, 24, 4
	scratch_store_b32 off, v4, off offset:1004 ; 4-byte Folded Spill
	v_mul_i32_i24_e32 v185, v89, v4
	v_and_b32_e32 v4, 15, v179
	s_delay_alu instid0(VALU_DEP_2)
	v_add3_u32 v1, v1, v184, v185
	scratch_store_b32 off, v4, off offset:1152 ; 4-byte Folded Spill
	v_mul_i32_i24_e32 v182, v82, v4
	v_bfe_u32 v4, v179, 8, 4
	scratch_store_b32 off, v4, off offset:1008 ; 4-byte Folded Spill
	v_mul_i32_i24_e32 v183, v83, v4
	v_bfe_u32 v4, v179, 16, 4
	s_delay_alu instid0(VALU_DEP_2) | instskip(SKIP_3) | instid1(VALU_DEP_1)
	v_add3_u32 v1, v1, v183, v182
	scratch_store_b32 off, v4, off offset:1156 ; 4-byte Folded Spill
	v_mul_i32_i24_e32 v184, v84, v4
	v_bfe_u32 v4, v179, 24, 4
	v_mul_i32_i24_e32 v185, v85, v4
	scratch_store_b32 off, v4, off offset:1160 ; 4-byte Folded Spill
	v_add3_u32 v182, v1, v184, v185
	ds_load_2addr_b32 v[0:1], v0 offset0:6 offset1:7
	s_wait_dscnt 0x0
	v_and_b32_e32 v4, 15, v0
	v_bfe_u32 v227, v1, 20, 4
	scratch_store_b32 off, v180, off offset:1068 ; 4-byte Folded Spill
	v_bfe_u32 v235, v0, 4, 4
	v_bfe_u32 v233, v0, 12, 4
	scratch_store_b32 off, v4, off offset:1012 ; 4-byte Folded Spill
	v_mul_i32_i24_e32 v183, v78, v4
	v_bfe_u32 v4, v0, 8, 4
	v_bfe_u32 v232, v0, 20, 4
	v_mul_i32_i24_e32 v9, v33, v235
	v_mul_i32_i24_e32 v8, v63, v233
	v_lshrrev_b32_e32 v231, 28, v0
	scratch_store_b32 off, v4, off offset:628 ; 4-byte Folded Spill
	v_mul_i32_i24_e32 v184, v79, v4
	v_bfe_u32 v4, v0, 16, 4
	v_mul_i32_i24_e32 v7, v62, v232
	v_mul_i32_i24_e32 v6, v61, v231
	v_bfe_u32 v228, v1, 4, 4
	v_add3_u32 v182, v182, v184, v183
	scratch_store_b32 off, v4, off offset:632 ; 4-byte Folded Spill
	v_mul_i32_i24_e32 v185, v80, v4
	v_bfe_u32 v4, v0, 24, 4
	v_bfe_u32 v226, v1, 12, 4
	v_lshrrev_b32_e32 v220, 28, v1
	scratch_store_b32 off, v4, off offset:636 ; 4-byte Folded Spill
	v_mul_i32_i24_e32 v186, v81, v4
	v_and_b32_e32 v4, 15, v1
	v_mul_i32_i24_e32 v0, v47, v226
	s_delay_alu instid0(VALU_DEP_3)
	v_add3_u32 v182, v182, v185, v186
	scratch_store_b32 off, v4, off offset:160 ; 4-byte Folded Spill
	v_mul_i32_i24_e32 v183, v35, v4
	v_bfe_u32 v4, v1, 8, 4
	scratch_store_b32 off, v4, off offset:104 ; 4-byte Folded Spill
	v_mul_i32_i24_e32 v184, v34, v4
	v_bfe_u32 v4, v1, 16, 4
	s_delay_alu instid0(VALU_DEP_2)
	v_add3_u32 v182, v182, v184, v183
	scratch_store_b32 off, v4, off offset:108 ; 4-byte Folded Spill
	v_mul_i32_i24_e32 v185, v67, v4
	v_bfe_u32 v4, v1, 24, 4
	v_mul_i32_i24_e32 v1, v64, v220
	scratch_store_b32 off, v4, off offset:120 ; 4-byte Folded Spill
	ds_load_u16 v183, v66
	ds_load_u16 v66, v66 offset:8
	s_clause 0x1
	scratch_load_b32 v215, off, off offset:180
	scratch_load_b32 v201, off, off offset:780
	v_mul_i32_i24_e32 v186, v68, v4
	s_clause 0x3
	scratch_store_b32 off, v5, off offset:512
	scratch_store_b32 off, v245, off offset:436
	;; [unrolled: 1-line block ×4, first 2 shown]
	v_add3_u32 v182, v182, v185, v186
	s_clause 0x8
	scratch_store_b32 off, v242, off offset:456
	scratch_store_b32 off, v240, off offset:480
	;; [unrolled: 1-line block ×9, first 2 shown]
	s_wait_dscnt 0x1
	v_and_b32_e32 v4, 0xff, v183
	v_lshrrev_b16 v15, 8, v183
	s_wait_dscnt 0x0
	v_cvt_f32_ubyte1_e32 v218, v66
	s_delay_alu instid0(VALU_DEP_3)
	v_mul_lo_u32 v182, v182, v4
	scratch_store_b32 off, v4, off offset:152 ; 4-byte Folded Spill
	v_cvt_f32_ubyte0_e32 v4, v66
	v_and_b32_e32 v219, 0xffff, v15
	s_clause 0x1
	scratch_store_b32 off, v220, off offset:1076
	scratch_store_b32 off, v218, off offset:1084
	v_fma_mix_f32 v31, v2, v4, 0 op_sel:[1,0,0] op_sel_hi:[1,0,0]
	v_cvt_f32_i32_e32 v182, v182
	scratch_store_b32 off, v219, off offset:1080 ; 4-byte Folded Spill
	v_fma_mix_f32 v14, v2, v182, 0 op_sel_hi:[1,0,0]
	v_mul_i32_i24_e32 v182, v39, v5
	v_bfe_u32 v5, v174, 12, 4
	scratch_store_b32 off, v4, off offset:164 ; 4-byte Folded Spill
	v_bfe_u32 v4, v174, 20, 4
	scratch_store_b32 off, v5, off offset:168 ; 4-byte Folded Spill
	v_mad_i32_i24 v182, v38, v5, v182
	scratch_store_b32 off, v4, off offset:156 ; 4-byte Folded Spill
	v_mul_i32_i24_e32 v183, v36, v4
	v_lshrrev_b32_e32 v4, 28, v174
	v_bfe_u32 v5, v175, 4, 4
	s_clause 0x1
	scratch_store_b32 off, v4, off offset:100
	scratch_store_b32 off, v5, off offset:112
	v_mul_i32_i24_e32 v174, v37, v4
	v_bfe_u32 v4, v175, 20, 4
	v_mul_i32_i24_e32 v30, v43, v5
	v_bfe_u32 v5, v175, 12, 4
	s_delay_alu instid0(VALU_DEP_4)
	v_add3_u32 v174, v182, v183, v174
	scratch_store_b32 off, v4, off offset:116 ; 4-byte Folded Spill
	v_mul_i32_i24_e32 v29, v41, v4
	v_mul_i32_i24_e32 v28, v42, v5
	v_lshrrev_b32_e32 v4, 28, v175
	scratch_store_b32 off, v5, off offset:124 ; 4-byte Folded Spill
	v_bfe_u32 v5, v176, 4, 4
	v_bfe_u32 v183, v179, 12, 4
	v_add3_u32 v28, v174, v30, v28
	scratch_store_b32 off, v4, off offset:128 ; 4-byte Folded Spill
	v_mul_i32_i24_e32 v175, v40, v4
	v_bfe_u32 v4, v176, 20, 4
	scratch_store_b32 off, v5, off offset:132 ; 4-byte Folded Spill
	v_mul_i32_i24_e32 v27, v48, v5
	v_bfe_u32 v5, v176, 12, 4
	v_add3_u32 v28, v28, v29, v175
	scratch_store_b32 off, v4, off offset:140 ; 4-byte Folded Spill
	v_mul_i32_i24_e32 v25, v45, v4
	v_lshrrev_b32_e32 v4, 28, v176
	v_mul_i32_i24_e32 v26, v46, v5
	scratch_store_b32 off, v5, off offset:136 ; 4-byte Folded Spill
	v_bfe_u32 v5, v178, 4, 4
	s_clause 0x1
	scratch_store_b32 off, v192, off offset:448
	scratch_store_b32 off, v183, off offset:476
	v_mul_i32_i24_e32 v24, v44, v4
	v_add3_u32 v26, v28, v27, v26
	v_mul_i32_i24_e32 v19, v56, v5
	s_clause 0x1
	scratch_store_b32 off, v5, off offset:452
	scratch_store_b32 off, v241, off offset:460
	v_bfe_u32 v5, v179, 4, 4
	v_add3_u32 v24, v26, v25, v24
	scratch_store_b32 off, v4, off offset:144 ; 4-byte Folded Spill
	v_bfe_u32 v4, v179, 20, 4
	v_mul_i32_i24_e32 v12, v59, v183
	v_mul_i32_i24_e32 v13, v60, v5
	v_add3_u32 v22, v24, v23, v22
	s_clause 0x2
	scratch_store_b32 off, v73, off offset:464
	scratch_store_b32 off, v4, off offset:472
	;; [unrolled: 1-line block ×3, first 2 shown]
	v_mul_i32_i24_e32 v11, v58, v4
	v_add3_u32 v20, v22, v21, v20
	v_mul_i32_i24_e32 v5, v32, v228
	v_mul_i32_i24_e32 v4, v65, v227
	v_mov_b32_e32 v175, v74
	s_delay_alu instid0(VALU_DEP_4) | instskip(NEXT) | instid1(VALU_DEP_1)
	v_add3_u32 v18, v20, v19, v18
	v_add3_u32 v16, v18, v17, v16
	s_delay_alu instid0(VALU_DEP_1) | instskip(NEXT) | instid1(VALU_DEP_1)
	v_add3_u32 v12, v16, v13, v12
	v_add3_u32 v10, v12, v11, v10
	s_delay_alu instid0(VALU_DEP_1) | instskip(NEXT) | instid1(VALU_DEP_1)
	;; [unrolled: 3-line block ×3, first 2 shown]
	v_add3_u32 v0, v6, v5, v0
	v_add3_u32 v0, v0, v4, v1
	v_fma_mix_f32 v1, v3, v218, v31 op_sel:[1,0,0] op_sel_hi:[1,0,0]
	s_delay_alu instid0(VALU_DEP_2) | instskip(NEXT) | instid1(VALU_DEP_1)
	v_mul_lo_u32 v0, v0, v219
	v_cvt_f32_i32_e32 v0, v0
	s_delay_alu instid0(VALU_DEP_1) | instskip(SKIP_3) | instid1(VALU_DEP_1)
	v_fma_mix_f32 v0, v3, v0, v14 op_sel_hi:[1,0,0]
	s_wait_loadcnt 0x1
	v_mul_f32_e32 v1, v1, v215
	s_wait_loadcnt 0x0
	v_fma_f32 v0, v0, v201, -v1
	scratch_load_b32 v1, off, off offset:772 ; 4-byte Folded Reload
	s_wait_loadcnt 0x0
	v_add_f32_e32 v1, v1, v0
	scratch_store_b32 off, v1, off offset:772 ; 4-byte Folded Spill
	s_clause 0x1
	scratch_load_b32 v0, off, off offset:1300
	scratch_load_b32 v1, off, off offset:1324
	s_wait_loadcnt 0x0
	v_add3_u32 v4, s11, v1, v0
	scratch_load_b32 v0, off, off offset:1304 ; 4-byte Folded Reload
	s_wait_loadcnt 0x0
	v_add_nc_u32_e32 v5, s16, v0
	ds_load_2addr_b32 v[0:1], v5 offset1:1
	s_wait_dscnt 0x0
	v_and_b32_e32 v6, 15, v0
	v_bfe_u32 v9, v0, 8, 4
	v_bfe_u32 v198, v0, 16, 4
	;; [unrolled: 1-line block ×3, first 2 shown]
	v_and_b32_e32 v197, 15, v1
	scratch_store_b32 off, v6, off offset:424 ; 4-byte Folded Spill
	v_mul_i32_i24_e32 v6, v125, v6
	v_mul_i32_i24_e32 v7, v126, v198
	scratch_store_b32 off, v8, off offset:516 ; 4-byte Folded Spill
	v_mul_i32_i24_e32 v8, v127, v8
	v_bfe_u32 v196, v1, 8, 4
	v_mad_i32_i24 v6, v128, v9, v6
	v_bfe_u32 v190, v1, 16, 4
	v_bfe_u32 v188, v1, 24, 4
	s_clause 0x3
	scratch_store_b32 off, v9, off offset:16
	scratch_store_b32 off, v197, off offset:204
	;; [unrolled: 1-line block ×4, first 2 shown]
	v_add3_u32 v6, v6, v7, v8
	v_mul_i32_i24_e32 v7, v106, v197
	v_mul_i32_i24_e32 v8, v122, v196
	;; [unrolled: 1-line block ×4, first 2 shown]
	v_bfe_u32 v69, v0, 20, 4
	v_bfe_u32 v184, v0, 4, 4
	v_add3_u32 v6, v6, v8, v7
	v_bfe_u32 v16, v1, 20, 4
	s_delay_alu instid0(VALU_DEP_2)
	v_add3_u32 v8, v6, v9, v10
	ds_load_2addr_b32 v[6:7], v5 offset0:2 offset1:3
	s_wait_dscnt 0x0
	v_and_b32_e32 v187, 15, v6
	v_bfe_u32 v185, v6, 8, 4
	v_bfe_u32 v11, v6, 16, 4
	;; [unrolled: 1-line block ×3, first 2 shown]
	scratch_store_b32 off, v198, off offset:228 ; 4-byte Folded Spill
	v_mul_i32_i24_e32 v9, v99, v187
	v_mul_i32_i24_e32 v10, v103, v185
	scratch_store_b32 off, v11, off offset:20 ; 4-byte Folded Spill
	v_mul_i32_i24_e32 v11, v104, v11
	s_clause 0x1
	scratch_store_b32 off, v188, off offset:216
	scratch_store_b32 off, v187, off offset:220
	v_add3_u32 v8, v8, v10, v9
	v_and_b32_e32 v9, 15, v7
	scratch_store_b32 off, v12, off offset:24 ; 4-byte Folded Spill
	v_mul_i32_i24_e32 v12, v105, v12
	v_bfe_u32 v10, v7, 8, 4
	s_clause 0x1
	scratch_store_b32 off, v185, off offset:224
	scratch_store_b32 off, v9, off offset:28
	v_mul_i32_i24_e32 v9, v90, v9
	v_add3_u32 v8, v8, v11, v12
	scratch_store_b32 off, v10, off offset:32 ; 4-byte Folded Spill
	v_mul_i32_i24_e32 v10, v92, v10
	v_bfe_u32 v11, v7, 16, 4
	v_bfe_u32 v12, v7, 24, 4
	v_bfe_u32 v19, v6, 20, 4
	v_bfe_u32 v22, v7, 20, 4
	v_add3_u32 v8, v8, v10, v9
	s_clause 0x1
	scratch_store_b32 off, v11, off offset:36
	scratch_store_b32 off, v12, off offset:40
	v_mul_i32_i24_e32 v11, v93, v11
	v_mul_i32_i24_e32 v12, v96, v12
	;; [unrolled: 1-line block ×3, first 2 shown]
	v_bfe_u32 v17, v6, 12, 4
	v_bfe_u32 v20, v7, 12, 4
	v_mul_i32_i24_e32 v21, v50, v22
	v_add3_u32 v10, v8, v11, v12
	ds_load_2addr_b32 v[8:9], v5 offset0:4 offset1:5
	v_lshrrev_b32_e32 v132, 28, v7
	s_wait_dscnt 0x0
	v_and_b32_e32 v11, 15, v8
	v_bfe_u32 v12, v8, 8, 4
	v_bfe_u32 v13, v8, 16, 4
	;; [unrolled: 1-line block ×4, first 2 shown]
	s_clause 0x2
	scratch_store_b32 off, v11, off offset:520
	scratch_store_b32 off, v12, off offset:524
	;; [unrolled: 1-line block ×3, first 2 shown]
	v_mul_i32_i24_e32 v11, v86, v11
	v_mul_i32_i24_e32 v12, v87, v12
	v_mul_i32_i24_e32 v13, v88, v13
	v_bfe_u32 v23, v8, 12, 4
	v_mul_i32_i24_e32 v24, v54, v25
	v_bfe_u32 v28, v9, 20, 4
	v_add3_u32 v10, v10, v12, v11
	v_and_b32_e32 v11, 15, v9
	scratch_store_b32 off, v14, off offset:532 ; 4-byte Folded Spill
	v_mul_i32_i24_e32 v14, v89, v14
	v_bfe_u32 v12, v9, 8, 4
	v_bfe_u32 v26, v9, 12, 4
	scratch_store_b32 off, v11, off offset:536 ; 4-byte Folded Spill
	v_mul_i32_i24_e32 v11, v82, v11
	v_add3_u32 v10, v10, v13, v14
	scratch_store_b32 off, v12, off offset:540 ; 4-byte Folded Spill
	v_mul_i32_i24_e32 v12, v83, v12
	v_bfe_u32 v13, v9, 16, 4
	v_bfe_u32 v14, v9, 24, 4
	v_mul_i32_i24_e32 v27, v58, v28
	s_delay_alu instid0(VALU_DEP_4)
	v_add3_u32 v10, v10, v12, v11
	s_clause 0x1
	scratch_store_b32 off, v13, off offset:544
	scratch_store_b32 off, v14, off offset:548
	v_mul_i32_i24_e32 v13, v84, v13
	v_mul_i32_i24_e32 v14, v85, v14
	s_delay_alu instid0(VALU_DEP_1)
	v_add3_u32 v12, v10, v13, v14
	ds_load_2addr_b32 v[10:11], v5 offset0:6 offset1:7
	s_wait_dscnt 0x0
	v_and_b32_e32 v5, 15, v10
	v_bfe_u32 v13, v10, 8, 4
	v_bfe_u32 v14, v10, 16, 4
	;; [unrolled: 1-line block ×3, first 2 shown]
	v_and_b32_e32 v110, 15, v11
	s_clause 0x2
	scratch_store_b32 off, v5, off offset:552
	scratch_store_b32 off, v13, off offset:556
	;; [unrolled: 1-line block ×3, first 2 shown]
	v_mul_i32_i24_e32 v5, v78, v5
	v_mul_i32_i24_e32 v13, v79, v13
	;; [unrolled: 1-line block ×4, first 2 shown]
	scratch_store_b32 off, v70, off offset:1060 ; 4-byte Folded Spill
	v_bfe_u32 v31, v10, 20, 4
	v_add3_u32 v5, v12, v13, v5
	v_bfe_u32 v13, v11, 8, 4
	v_mul_i32_i24_e32 v12, v35, v110
	v_bfe_u32 v29, v10, 12, 4
	v_lshrrev_b32_e32 v133, 28, v10
	v_add3_u32 v5, v5, v14, v15
	v_bfe_u32 v14, v11, 16, 4
	scratch_store_b32 off, v13, off offset:1164 ; 4-byte Folded Spill
	v_mul_i32_i24_e32 v13, v34, v13
	v_bfe_u32 v15, v11, 24, 4
	v_mul_i32_i24_e32 v30, v62, v31
	scratch_store_b32 off, v14, off offset:1168 ; 4-byte Folded Spill
	v_mul_i32_i24_e32 v14, v67, v14
	v_add3_u32 v5, v5, v13, v12
	scratch_store_b32 off, v15, off offset:568 ; 4-byte Folded Spill
	v_mul_i32_i24_e32 v15, v68, v15
	v_bfe_u32 v213, v11, 12, 4
	v_bfe_u32 v210, v11, 20, 4
	s_delay_alu instid0(VALU_DEP_3)
	v_add3_u32 v5, v5, v14, v15
	v_bfe_u32 v15, v0, 12, 4
	scratch_store_b32 off, v110, off offset:1096 ; 4-byte Folded Spill
	ds_load_u16 v12, v4
	ds_load_u16 v4, v4 offset:8
	s_clause 0x1
	scratch_load_b32 v118, off, off offset:4
	scratch_load_b32 v117, off, off offset:176
	v_lshrrev_b32_e32 v0, 28, v0
	v_mul_i32_i24_e32 v14, v36, v69
	s_clause 0x1
	scratch_store_b32 off, v25, off offset:1120
	scratch_store_b32 off, v23, off offset:1116
	v_bfe_u32 v25, v9, 4, 4
	s_clause 0x1
	scratch_store_b32 off, v0, off offset:644
	scratch_store_b32 off, v28, off offset:652
	v_mul_i32_i24_e32 v0, v37, v0
	s_clause 0x2
	scratch_store_b32 off, v15, off offset:1100
	scratch_store_b32 off, v22, off offset:1104
	;; [unrolled: 1-line block ×3, first 2 shown]
	v_bfe_u32 v22, v8, 4, 4
	scratch_store_b32 off, v20, off offset:1108 ; 4-byte Folded Spill
	v_mul_i32_i24_e32 v20, v51, v20
	v_mul_i32_i24_e32 v23, v55, v23
	v_lshrrev_b32_e32 v8, 28, v8
	s_wait_dscnt 0x1
	v_lshrrev_b16 v13, 8, v12
	v_and_b32_e32 v12, 0xff, v12
	scratch_store_b32 off, v22, off offset:1112 ; 4-byte Folded Spill
	v_mul_i32_i24_e32 v22, v56, v22
	scratch_store_b32 off, v8, off offset:1172 ; 4-byte Folded Spill
	v_mul_i32_i24_e32 v8, v53, v8
	scratch_store_b32 off, v12, off offset:560 ; 4-byte Folded Spill
	v_mul_lo_u32 v5, v5, v12
	v_mul_i32_i24_e32 v12, v39, v184
	scratch_store_b32 off, v25, off offset:648 ; 4-byte Folded Spill
	v_mul_i32_i24_e32 v25, v60, v25
	v_lshrrev_b32_e32 v9, 28, v9
	scratch_store_b32 off, v26, off offset:656 ; 4-byte Folded Spill
	v_mad_i32_i24 v12, v38, v15, v12
	v_mul_i32_i24_e32 v15, v41, v16
	v_mul_i32_i24_e32 v26, v59, v26
	v_bfe_u32 v28, v10, 4, 4
	s_clause 0x1
	scratch_store_b32 off, v9, off offset:660
	scratch_store_b32 off, v31, off offset:668
	v_add3_u32 v0, v12, v14, v0
	v_bfe_u32 v12, v1, 4, 4
	v_bfe_u32 v14, v1, 12, 4
	scratch_store_b32 off, v16, off offset:832 ; 4-byte Folded Spill
	v_lshrrev_b32_e32 v1, 28, v1
	v_bfe_u32 v16, v6, 4, 4
	s_clause 0x1
	scratch_store_b32 off, v19, off offset:12
	scratch_store_b32 off, v14, off offset:836
	v_mul_i32_i24_e32 v14, v42, v14
	v_bfe_u32 v19, v7, 4, 4
	scratch_store_b32 off, v12, off offset:196 ; 4-byte Folded Spill
	v_mul_i32_i24_e32 v12, v43, v12
	scratch_store_b32 off, v1, off offset:840 ; 4-byte Folded Spill
	v_mul_i32_i24_e32 v1, v40, v1
	;; [unrolled: 2-line block ×3, first 2 shown]
	v_add3_u32 v0, v0, v12, v14
	v_lshrrev_b32_e32 v6, 28, v6
	scratch_store_b32 off, v17, off offset:844 ; 4-byte Folded Spill
	v_mul_i32_i24_e32 v17, v46, v17
	scratch_store_b32 off, v19, off offset:200 ; 4-byte Folded Spill
	v_add3_u32 v0, v0, v15, v1
	scratch_store_b32 off, v6, off offset:848 ; 4-byte Folded Spill
	v_mul_i32_i24_e32 v6, v44, v6
	v_mul_i32_i24_e32 v19, v52, v19
	;; [unrolled: 1-line block ×3, first 2 shown]
	v_add3_u32 v0, v0, v16, v17
	v_mul_i32_i24_e32 v9, v57, v9
	scratch_store_b32 off, v28, off offset:664 ; 4-byte Folded Spill
	v_mul_i32_i24_e32 v28, v33, v28
	scratch_store_b32 off, v29, off offset:672 ; 4-byte Folded Spill
	v_add3_u32 v0, v0, v18, v6
	v_mul_i32_i24_e32 v29, v63, v29
	v_mul_i32_i24_e32 v10, v61, v133
	v_bfe_u32 v31, v11, 4, 4
	v_lshrrev_b32_e32 v11, 28, v11
	v_add3_u32 v0, v0, v19, v20
	v_mul_i32_i24_e32 v33, v65, v210
	v_and_b32_e32 v208, 0xffff, v13
	s_clause 0x1
	scratch_store_b32 off, v31, off offset:1124
	scratch_store_b32 off, v11, off offset:1128
	v_add3_u32 v0, v0, v21, v7
	v_mul_i32_i24_e32 v31, v32, v31
	v_mul_i32_i24_e32 v32, v47, v213
	;; [unrolled: 1-line block ×3, first 2 shown]
	v_cvt_f32_i32_e32 v5, v5
	v_add3_u32 v0, v0, v22, v23
	s_wait_dscnt 0x0
	v_cvt_f32_ubyte0_e32 v186, v4
	v_cvt_f32_ubyte1_e32 v119, v4
	s_clause 0x3
	scratch_store_b32 off, v184, off offset:1200
	scratch_store_b32 off, v133, off offset:1204
	;; [unrolled: 1-line block ×4, first 2 shown]
	v_add3_u32 v0, v0, v24, v8
	v_fma_mix_f32 v5, v2, v5, 0 op_sel_hi:[1,0,0]
	v_fma_mix_f32 v2, v2, v186, 0 op_sel:[1,0,0] op_sel_hi:[1,0,0]
	s_clause 0x1
	scratch_store_b32 off, v186, off offset:1088
	scratch_store_b32 off, v132, off offset:1216
	v_add3_u32 v0, v0, v25, v26
	scratch_store_b32 off, v208, off offset:184 ; 4-byte Folded Spill
	v_fma_mix_f32 v1, v3, v119, v2 op_sel:[1,0,0] op_sel_hi:[1,0,0]
	scratch_store_b32 off, v119, off offset:812 ; 4-byte Folded Spill
	v_add3_u32 v0, v0, v27, v9
	s_delay_alu instid0(VALU_DEP_1) | instskip(NEXT) | instid1(VALU_DEP_1)
	v_add3_u32 v0, v0, v28, v29
	v_add3_u32 v0, v0, v30, v10
	s_delay_alu instid0(VALU_DEP_1) | instskip(NEXT) | instid1(VALU_DEP_1)
	v_add3_u32 v0, v0, v31, v32
	v_add3_u32 v0, v0, v33, v11
	s_delay_alu instid0(VALU_DEP_1) | instskip(NEXT) | instid1(VALU_DEP_1)
	v_mul_lo_u32 v0, v0, v208
	v_cvt_f32_i32_e32 v0, v0
	s_delay_alu instid0(VALU_DEP_1) | instskip(SKIP_3) | instid1(VALU_DEP_1)
	v_fma_mix_f32 v0, v3, v0, v5 op_sel_hi:[1,0,0]
	s_wait_loadcnt 0x1
	v_mul_f32_e32 v1, v1, v118
	s_wait_loadcnt 0x0
	v_fma_f32 v0, v0, v117, -v1
	scratch_load_b32 v1, off, off offset:768 ; 4-byte Folded Reload
	s_wait_loadcnt 0x0
	v_add_f32_e32 v1, v1, v0
	scratch_load_b32 v0, off, off offset:1260 ; 4-byte Folded Reload
	scratch_store_b32 off, v1, off offset:768 ; 4-byte Folded Spill
	s_wait_loadcnt 0x0
	v_or_b32_e32 v0, s10, v0
	s_delay_alu instid0(VALU_DEP_1)
	v_lshlrev_b32_e32 v12, 2, v0
	v_lshrrev_b32_e32 v16, 1, v0
	ds_load_b128 v[0:3], v12 offset:16896
	ds_load_b128 v[4:7], v12 offset:16912
	;; [unrolled: 1-line block ×4, first 2 shown]
	s_clause 0x10
	scratch_load_b32 v130, off, off offset:968
	scratch_load_b32 v113, off, off offset:412
	;; [unrolled: 1-line block ×17, first 2 shown]
	s_wait_dscnt 0x3
	v_bfe_i32 v17, v0, 0, 8
	v_bfe_i32 v18, v0, 8, 8
	;; [unrolled: 1-line block ×3, first 2 shown]
	v_ashrrev_i32_e32 v20, 24, v0
	v_bfe_i32 v21, v1, 0, 8
	v_mul_i32_i24_e32 v66, v239, v17
	v_bfe_i32 v22, v1, 8, 8
	v_mul_i32_i24_e32 v67, v246, v19
	v_mul_i32_i24_e32 v68, v189, v20
	v_bfe_i32 v23, v1, 16, 8
	v_mad_i32_i24 v66, v211, v18, v66
	v_ashrrev_i32_e32 v24, 24, v1
	scratch_load_b32 v72, off, off offset:344 ; 4-byte Folded Reload
	v_bfe_i32 v25, v2, 0, 8
	v_bfe_i32 v26, v2, 8, 8
	v_add3_u32 v66, v66, v67, v68
	v_mul_i32_i24_e32 v67, v129, v21
	v_mul_i32_i24_e32 v68, v214, v22
	;; [unrolled: 1-line block ×4, first 2 shown]
	scratch_load_b32 v74, off, off offset:96 ; 4-byte Folded Reload
	v_bfe_i32 v27, v2, 16, 8
	v_add3_u32 v66, v66, v67, v68
	v_ashrrev_i32_e32 v2, 24, v2
	v_mul_i32_i24_e32 v80, v165, v25
	v_mul_i32_i24_e32 v81, v163, v26
	v_bfe_i32 v28, v3, 0, 8
	v_add3_u32 v66, v66, v78, v79
	v_bfe_i32 v29, v3, 8, 8
	v_mul_i32_i24_e32 v82, v161, v27
	v_bfe_i32 v30, v3, 16, 8
	v_ashrrev_i32_e32 v3, 24, v3
	v_add3_u32 v66, v66, v80, v81
	s_wait_dscnt 0x2
	v_bfe_i32 v31, v4, 0, 8
	v_bfe_i32 v32, v4, 8, 8
	v_mul_i32_i24_e32 v86, v131, v30
	v_bfe_i32 v33, v4, 16, 8
	v_ashrrev_i32_e32 v4, 24, v4
	v_mul_i32_i24_e32 v88, v166, v31
	v_mul_i32_i24_e32 v89, v169, v32
	v_bfe_i32 v34, v5, 0, 8
	v_bfe_i32 v35, v5, 8, 8
	v_mul_i32_i24_e32 v90, v168, v33
	v_mul_i32_i24_e32 v92, v167, v4
	v_bfe_i32 v36, v5, 16, 8
	v_ashrrev_i32_e32 v5, 24, v5
	v_mul_i32_i24_e32 v93, v204, v34
	v_mul_i32_i24_e32 v96, v172, v35
	v_bfe_i32 v37, v6, 0, 8
	v_bfe_i32 v38, v6, 8, 8
	v_mul_i32_i24_e32 v99, v170, v36
	v_mul_i32_i24_e32 v103, v205, v5
	v_bfe_i32 v39, v6, 16, 8
	v_ashrrev_i32_e32 v6, 24, v6
	v_mul_i32_i24_e32 v104, v251, v37
	v_mul_i32_i24_e32 v105, v250, v38
	v_bfe_i32 v40, v7, 0, 8
	v_bfe_i32 v41, v7, 8, 8
	v_mul_i32_i24_e32 v106, v207, v39
	v_mul_i32_i24_e32 v122, v206, v6
	v_bfe_i32 v42, v7, 16, 8
	v_ashrrev_i32_e32 v7, 24, v7
	v_mul_i32_i24_e32 v123, v255, v40
	v_mul_i32_i24_e32 v124, v254, v41
	s_wait_dscnt 0x0
	v_bfe_i32 v64, v15, 8, 8
	v_mul_i32_i24_e32 v125, v253, v42
	v_mul_i32_i24_e32 v126, v252, v7
	s_clause 0x1
	scratch_load_b32 v216, off, off offset:956
	scratch_load_b32 v217, off, off offset:388
	ds_load_b64 v[0:1], v16 offset:27200
	v_bfe_i32 v16, v8, 0, 8
	v_bfe_i32 v43, v8, 8, 8
	v_bfe_i32 v44, v8, 16, 8
	v_ashrrev_i32_e32 v8, 24, v8
	v_bfe_i32 v45, v9, 0, 8
	v_mul_i32_i24_e32 v68, v175, v16
	v_bfe_i32 v46, v9, 8, 8
	v_mul_i32_i24_e32 v78, v249, v44
	v_mul_i32_i24_e32 v79, v248, v8
	v_bfe_i32 v47, v9, 16, 8
	v_ashrrev_i32_e32 v9, 24, v9
	v_bfe_i32 v48, v10, 0, 8
	v_bfe_i32 v49, v10, 8, 8
	;; [unrolled: 1-line block ×3, first 2 shown]
	v_mul_i32_i24_e32 v80, v152, v47
	v_mul_i32_i24_e32 v81, v236, v9
	v_ashrrev_i32_e32 v10, 24, v10
	v_bfe_i32 v51, v11, 0, 8
	v_bfe_i32 v52, v11, 8, 8
	v_bfe_i32 v53, v11, 16, 8
	v_ashrrev_i32_e32 v11, 24, v11
	v_bfe_i32 v54, v12, 0, 8
	v_bfe_i32 v55, v12, 8, 8
	v_bfe_i32 v56, v12, 16, 8
	;; [unrolled: 4-line block ×4, first 2 shown]
	v_ashrrev_i32_e32 v14, 24, v14
	v_bfe_i32 v63, v15, 0, 8
	v_bfe_i32 v65, v15, 16, 8
	v_ashrrev_i32_e32 v15, 24, v15
	s_wait_dscnt 0x0
	v_fma_mix_f32 v67, v91, v0, 0 op_sel:[0,1,0] op_sel_hi:[0,1,0]
	s_clause 0x2
	scratch_load_b32 v176, off, off offset:1152
	scratch_load_b32 v177, off, off offset:1156
	;; [unrolled: 1-line block ×3, first 2 shown]
	s_clause 0x2
	scratch_store_b32 off, v239, off offset:900
	scratch_store_b32 off, v246, off offset:896
	;; [unrolled: 1-line block ×3, first 2 shown]
	v_fma_mix_f32 v67, v109, v1, v67 op_sel:[0,1,0] op_sel_hi:[0,1,0]
	scratch_load_b32 v109, off, off offset:248 ; 4-byte Folded Reload
	s_clause 0x6
	scratch_store_b32 off, v211, off offset:888
	scratch_store_b32 off, v165, off offset:1024
	;; [unrolled: 1-line block ×7, first 2 shown]
	v_mul_f32_e32 v67, v67, v108
	scratch_load_b32 v108, off, off offset:244 ; 4-byte Folded Reload
	s_clause 0x1b
	scratch_store_b32 off, v163, off offset:1016
	scratch_store_b32 off, v204, off offset:192
	;; [unrolled: 1-line block ×28, first 2 shown]
	s_wait_loadcnt 0x19
	v_mul_i32_i24_e32 v83, v130, v2
	s_wait_loadcnt 0x18
	v_mul_i32_i24_e32 v84, v113, v28
	s_delay_alu instid0(VALU_DEP_2)
	v_add3_u32 v66, v66, v82, v83
	v_mul_i32_i24_e32 v82, v134, v48
	v_mul_i32_i24_e32 v83, v77, v49
	s_wait_loadcnt 0x11
	v_mul_i32_i24_e32 v128, v116, v15
	s_wait_loadcnt 0x10
	;; [unrolled: 2-line block ×3, first 2 shown]
	v_mul_i32_i24_e32 v87, v115, v3
	s_delay_alu instid0(VALU_DEP_2) | instskip(SKIP_2) | instid1(VALU_DEP_3)
	v_add3_u32 v66, v66, v84, v85
	v_mul_i32_i24_e32 v84, v76, v50
	v_mul_i32_i24_e32 v85, v75, v10
	v_add3_u32 v66, v66, v86, v87
	v_mul_i32_i24_e32 v86, v138, v51
	v_mul_i32_i24_e32 v87, v137, v52
	s_delay_alu instid0(VALU_DEP_3) | instskip(SKIP_2) | instid1(VALU_DEP_3)
	v_add3_u32 v66, v66, v88, v89
	v_mul_i32_i24_e32 v88, v136, v53
	v_mul_i32_i24_e32 v89, v135, v11
	v_add3_u32 v66, v66, v90, v92
	s_wait_loadcnt 0x8
	v_mad_i32_i24 v68, v72, v43, v68
	v_mul_i32_i24_e32 v90, v146, v54
	v_mul_i32_i24_e32 v92, v145, v55
	v_add3_u32 v66, v66, v93, v96
	s_delay_alu instid0(VALU_DEP_4)
	v_add3_u32 v68, v68, v78, v79
	v_mul_i32_i24_e32 v78, v157, v45
	s_wait_loadcnt 0x7
	v_mul_i32_i24_e32 v79, v74, v46
	v_mul_i32_i24_e32 v93, v144, v56
	v_add3_u32 v66, v66, v99, v103
	v_mul_i32_i24_e32 v96, v143, v12
	v_mul_i32_i24_e32 v99, v150, v57
	v_add3_u32 v68, v68, v78, v79
	v_mul_i32_i24_e32 v103, v149, v58
	v_add3_u32 v66, v66, v104, v105
	v_mul_i32_i24_e32 v104, v148, v59
	v_mul_i32_i24_e32 v105, v147, v13
	v_add3_u32 v68, v68, v80, v81
	;; [unrolled: 5-line block ×4, first 2 shown]
	v_mul_i32_i24_e32 v80, v25, v247
	v_add3_u32 v66, v66, v125, v126
	v_mul_i32_i24_e32 v126, v209, v64
	scratch_load_b32 v209, off, off offset:948 ; 4-byte Folded Reload
	v_add3_u32 v68, v68, v86, v87
	scratch_load_b32 v86, off, off offset:60 ; 4-byte Folded Reload
	v_mul_lo_u32 v66, v66, v174
	v_mul_i32_i24_e32 v84, v28, v111
	v_mul_i32_i24_e32 v85, v29, v222
	v_add3_u32 v68, v68, v88, v89
	v_mul_i32_i24_e32 v87, v3, v237
	v_mul_i32_i24_e32 v88, v31, v225
	;; [unrolled: 1-line block ×3, first 2 shown]
	scratch_load_b32 v225, off, off offset:1144 ; 4-byte Folded Reload
	v_add3_u32 v68, v68, v90, v92
	v_cvt_f32_i32_e32 v66, v66
	v_mul_i32_i24_e32 v90, v33, v221
	v_mul_i32_i24_e32 v92, v4, v181
	scratch_load_b32 v223, off, off offset:624 ; 4-byte Folded Reload
	v_add3_u32 v68, v68, v93, v96
	v_fma_mix_f32 v66, v0, v66, 0 op_sel_hi:[1,0,0]
	v_mul_i32_i24_e32 v96, v35, v121
	scratch_load_b32 v121, off, off offset:304 ; 4-byte Folded Reload
	v_mul_i32_i24_e32 v93, v34, v173
	v_add3_u32 v68, v68, v99, v103
	v_mul_i32_i24_e32 v99, v36, v120
	s_wait_loadcnt 0xb
	v_mul_i32_i24_e32 v125, v216, v63
	s_clause 0x1
	scratch_load_b32 v120, off, off offset:300
	scratch_load_b32 v173, off, off offset:864
	v_add3_u32 v68, v68, v104, v105
	v_mul_i32_i24_e32 v105, v38, v158
	s_clause 0x2
	scratch_load_b32 v158, off, off offset:428
	scratch_load_b32 v181, off, off offset:56
	;; [unrolled: 1-line block ×3, first 2 shown]
	v_add3_u32 v68, v68, v106, v122
	v_mul_i32_i24_e32 v122, v6, v230
	s_clause 0x1
	scratch_load_b32 v230, off, off offset:872
	scratch_load_b32 v237, off, off offset:1052
	v_add3_u32 v68, v68, v123, v124
	s_delay_alu instid0(VALU_DEP_1)
	v_add3_u32 v68, v68, v125, v126
	v_mul_i32_i24_e32 v125, v42, v102
	scratch_load_b32 v102, off, off offset:992 ; 4-byte Folded Reload
	s_wait_loadcnt 0xe
	v_mul_i32_i24_e32 v83, v2, v109
	s_wait_loadcnt 0xd
	v_mul_i32_i24_e32 v82, v27, v108
	;; [unrolled: 2-line block ×4, first 2 shown]
	s_delay_alu instid0(VALU_DEP_2)
	v_add3_u32 v68, v68, v127, v128
	s_clause 0x1
	scratch_load_b32 v127, off, off offset:88
	scratch_load_b32 v128, off, off offset:148
	v_mul_lo_u32 v68, v68, v217
	s_wait_loadcnt 0xb
	v_mul_i32_i24_e32 v106, v39, v223
	s_delay_alu instid0(VALU_DEP_2) | instskip(SKIP_2) | instid1(VALU_DEP_2)
	v_cvt_f32_i32_e32 v68, v68
	s_wait_loadcnt 0xa
	v_mul_i32_i24_e32 v104, v37, v121
	v_fma_mix_f32 v66, v1, v68, v66 op_sel_hi:[1,0,0]
	v_mul_i32_i24_e32 v68, v20, v195
	s_wait_loadcnt 0x9
	v_mul_i32_i24_e32 v103, v5, v120
	s_wait_loadcnt 0x8
	v_mul_i32_i24_e32 v126, v7, v173
	v_fma_f32 v66, v66, v107, -v67
	s_clause 0x1
	scratch_load_b32 v67, off, off offset:764
	scratch_load_b32 v107, off, off offset:240
	s_wait_loadcnt 0x9
	v_mul_i32_i24_e32 v124, v41, v158
	s_wait_loadcnt 0x6
	v_mul_i32_i24_e32 v123, v40, v230
	;; [unrolled: 2-line block ×4, first 2 shown]
	s_wait_loadcnt 0x1
	v_add_f32_e32 v67, v67, v66
	v_mul_i32_i24_e32 v66, v17, v191
	s_wait_loadcnt 0x0
	v_mul_i32_i24_e32 v81, v26, v107
	scratch_store_b32 off, v67, off offset:764 ; 4-byte Folded Spill
	v_mul_i32_i24_e32 v67, v19, v193
	v_mad_i32_i24 v66, v18, v194, v66
	s_delay_alu instid0(VALU_DEP_1) | instskip(SKIP_2) | instid1(VALU_DEP_1)
	v_add3_u32 v66, v66, v67, v68
	v_mul_i32_i24_e32 v67, v21, v199
	v_mul_i32_i24_e32 v68, v22, v200
	v_add3_u32 v66, v66, v67, v68
	v_fma_mix_f32 v67, v234, v0, 0 op_sel:[0,1,0] op_sel_hi:[0,1,0]
	scratch_load_b32 v234, off, off offset:48 ; 4-byte Folded Reload
	v_mul_i32_i24_e32 v68, v16, v141
	v_add3_u32 v66, v66, v78, v79
	v_mul_i32_i24_e32 v79, v8, v171
	scratch_load_b32 v171, off, off offset:52 ; 4-byte Folded Reload
	v_mul_i32_i24_e32 v78, v44, v225
	v_mad_i32_i24 v68, v43, v102, v68
	v_add3_u32 v66, v66, v80, v81
	v_mul_i32_i24_e32 v80, v47, v100
	scratch_load_b32 v100, off, off offset:252 ; 4-byte Folded Reload
	v_mul_i32_i24_e32 v81, v9, v238
	v_add3_u32 v68, v68, v78, v79
	v_add3_u32 v66, v66, v82, v83
	v_mul_i32_i24_e32 v79, v46, v159
	scratch_load_b32 v159, off, off offset:264 ; 4-byte Folded Reload
	v_mul_i32_i24_e32 v82, v48, v95
	v_fma_mix_f32 v67, v180, v1, v67 op_sel:[0,1,0] op_sel_hi:[0,1,0]
	v_add3_u32 v66, v66, v84, v85
	v_mul_i32_i24_e32 v85, v10, v101
	s_clause 0x1
	scratch_load_b32 v101, off, off offset:260
	scratch_load_b32 v238, off, off offset:1148
	v_mul_f32_e32 v67, v67, v224
	v_add3_u32 v66, v66, v86, v87
	v_mul_i32_i24_e32 v86, v51, v97
	scratch_load_b32 v97, off, off offset:44 ; 4-byte Folded Reload
	v_mul_i32_i24_e32 v87, v52, v181
	scratch_load_b32 v224, off, off offset:604 ; 4-byte Folded Reload
	v_add3_u32 v66, v66, v88, v89
	v_mul_i32_i24_e32 v89, v11, v98
	s_clause 0x1
	scratch_load_b32 v98, off, off offset:256
	scratch_load_b32 v180, off, off offset:632
	v_add3_u32 v66, v66, v90, v92
	v_mul_i32_i24_e32 v90, v54, v94
	scratch_load_b32 v94, off, off offset:64 ; 4-byte Folded Reload
	v_add3_u32 v66, v66, v93, v96
	v_mul_i32_i24_e32 v96, v12, v139
	s_delay_alu instid0(VALU_DEP_2) | instskip(NEXT) | instid1(VALU_DEP_1)
	v_add3_u32 v66, v66, v99, v103
	v_add3_u32 v66, v66, v104, v105
	v_mul_i32_i24_e32 v105, v13, v140
	s_delay_alu instid0(VALU_DEP_2)
	v_add3_u32 v66, v66, v106, v122
	s_clause 0x1
	scratch_load_b32 v106, off, off offset:68
	scratch_load_b32 v122, off, off offset:76
	v_add3_u32 v66, v66, v123, v124
	s_clause 0x1
	scratch_load_b32 v123, off, off offset:72
	scratch_load_b32 v124, off, off offset:80
	;; [unrolled: 4-line block ×3, first 2 shown]
	v_mul_lo_u32 v66, v66, v221
	s_delay_alu instid0(VALU_DEP_1) | instskip(NEXT) | instid1(VALU_DEP_1)
	v_cvt_f32_i32_e32 v66, v66
	v_fma_mix_f32 v66, v0, v66, 0 op_sel_hi:[1,0,0]
	s_wait_loadcnt 0x10
	v_mul_i32_i24_e32 v78, v45, v234
	s_delay_alu instid0(VALU_DEP_1)
	v_add3_u32 v68, v68, v78, v79
	s_wait_loadcnt 0xf
	v_mul_i32_i24_e32 v84, v50, v171
	scratch_load_b32 v79, off, off offset:1000 ; 4-byte Folded Reload
	v_mul_i32_i24_e32 v78, v23, v237
	s_wait_loadcnt 0xf
	v_mul_i32_i24_e32 v83, v49, v100
	v_add3_u32 v68, v68, v80, v81
	s_wait_loadcnt 0xe
	v_mul_i32_i24_e32 v104, v59, v159
	s_delay_alu instid0(VALU_DEP_2) | instskip(SKIP_2) | instid1(VALU_DEP_2)
	v_add3_u32 v68, v68, v82, v83
	s_wait_loadcnt 0xd
	v_mul_i32_i24_e32 v92, v55, v101
	v_add3_u32 v68, v68, v84, v85
	scratch_load_b32 v84, off, off offset:508 ; 4-byte Folded Reload
	v_mul_i32_i24_e32 v85, v29, v71
	scratch_load_b32 v71, off, off offset:612 ; 4-byte Folded Reload
	s_wait_loadcnt 0xd
	v_mul_i32_i24_e32 v88, v53, v97
	v_add3_u32 v68, v68, v86, v87
	s_wait_loadcnt 0xc
	v_mul_i32_i24_e32 v83, v2, v224
	s_wait_loadcnt 0xb
	v_mul_i32_i24_e32 v93, v56, v98
	v_add3_u32 v68, v68, v88, v89
	scratch_load_b32 v88, off, off offset:432 ; 4-byte Folded Reload
	s_wait_loadcnt 0xa
	v_mul_i32_i24_e32 v99, v57, v94
	scratch_load_b32 v94, off, off offset:268 ; 4-byte Folded Reload
	v_add3_u32 v68, v68, v90, v92
	scratch_load_b32 v92, off, off offset:1004 ; 4-byte Folded Reload
	v_mul_i32_i24_e32 v90, v33, v238
	v_add3_u32 v68, v68, v93, v96
	scratch_load_b32 v96, off, off offset:1008 ; 4-byte Folded Reload
	v_mul_i32_i24_e32 v93, v34, v176
	s_wait_loadcnt 0xc
	v_mul_i32_i24_e32 v106, v60, v106
	s_wait_loadcnt 0xb
	v_mul_i32_i24_e32 v122, v61, v122
	s_wait_loadcnt 0xa
	v_mul_i32_i24_e32 v123, v62, v123
	s_wait_loadcnt 0x9
	v_mul_i32_i24_e32 v124, v14, v124
	s_wait_loadcnt 0x8
	v_mul_i32_i24_e32 v125, v63, v125
	s_wait_loadcnt 0x7
	v_mul_i32_i24_e32 v126, v64, v126
	s_wait_loadcnt 0x6
	v_mul_i32_i24_e32 v79, v24, v79
	s_wait_loadcnt 0x5
	v_mul_i32_i24_e32 v84, v28, v84
	s_wait_loadcnt 0x4
	v_mul_i32_i24_e32 v86, v30, v71
	s_wait_loadcnt 0x3
	v_mul_i32_i24_e32 v88, v31, v88
	s_wait_loadcnt 0x2
	v_mul_i32_i24_e32 v103, v58, v94
	s_wait_loadcnt 0x1
	v_mul_i32_i24_e32 v92, v4, v92
	s_delay_alu instid0(VALU_DEP_2)
	v_add3_u32 v68, v68, v99, v103
	v_mul_i32_i24_e32 v99, v36, v177
	s_wait_loadcnt 0x0
	v_mul_i32_i24_e32 v96, v35, v96
	v_mul_i32_i24_e32 v103, v5, v178
	v_add3_u32 v68, v68, v104, v105
	scratch_load_b32 v104, off, off offset:1012 ; 4-byte Folded Reload
	v_mul_i32_i24_e32 v105, v38, v179
	v_add3_u32 v68, v68, v106, v122
	v_mul_i32_i24_e32 v106, v39, v180
	v_mul_i32_i24_e32 v122, v6, v182
	;; [unrolled: 1-line block ×3, first 2 shown]
	scratch_load_b32 v70, off, off offset:1164 ; 4-byte Folded Reload
	v_add3_u32 v68, v68, v123, v124
	s_clause 0x1
	scratch_load_b32 v123, off, off offset:160
	scratch_load_b32 v124, off, off offset:104
	v_add3_u32 v68, v68, v125, v126
	s_clause 0x1
	scratch_load_b32 v125, off, off offset:108
	scratch_load_b32 v126, off, off offset:120
	v_add3_u32 v68, v68, v127, v128
	v_mul_i32_i24_e32 v127, v65, v227
	v_mul_i32_i24_e32 v128, v15, v220
	scratch_load_b32 v227, off, off offset:1112 ; 4-byte Folded Reload
	v_mul_lo_u32 v68, v68, v229
	scratch_load_b32 v229, off, off offset:1048 ; 4-byte Folded Reload
	v_cvt_f32_i32_e32 v68, v68
	s_delay_alu instid0(VALU_DEP_1)
	v_fma_mix_f32 v66, v1, v68, v66 op_sel_hi:[1,0,0]
	v_mul_i32_i24_e32 v68, v20, v142
	scratch_load_b32 v142, off, off offset:1056 ; 4-byte Folded Reload
	v_fma_f32 v66, v66, v164, -v67
	s_clause 0x1
	scratch_load_b32 v67, off, off offset:760
	scratch_load_b32 v164, off, off offset:640
	s_wait_loadcnt 0xa
	v_mul_i32_i24_e32 v104, v37, v104
	s_wait_loadcnt 0x8
	v_mul_i32_i24_e32 v123, v40, v123
	;; [unrolled: 2-line block ×6, first 2 shown]
	s_wait_loadcnt 0x1
	v_add_f32_e32 v67, v67, v66
	v_mul_i32_i24_e32 v66, v17, v162
	scratch_load_b32 v162, off, off offset:616 ; 4-byte Folded Reload
	s_wait_loadcnt 0x1
	v_mul_i32_i24_e32 v89, v32, v164
	scratch_store_b32 off, v67, off offset:760 ; 4-byte Folded Spill
	v_mul_i32_i24_e32 v67, v19, v160
	v_mad_i32_i24 v66, v18, v153, v66
	s_clause 0x1
	scratch_load_b32 v153, off, off offset:620
	scratch_load_b32 v160, off, off offset:600
	v_mul_i32_i24_e32 v19, v19, v198
	scratch_load_b32 v198, off, off offset:848 ; 4-byte Folded Reload
	v_add3_u32 v66, v66, v67, v68
	scratch_load_b32 v68, off, off offset:996 ; 4-byte Folded Reload
	v_mul_i32_i24_e32 v67, v21, v229
	s_wait_loadcnt 0x4
	v_mul_i32_i24_e32 v87, v3, v162
	s_wait_loadcnt 0x3
	;; [unrolled: 2-line block ×4, first 2 shown]
	v_mul_i32_i24_e32 v68, v22, v68
	s_delay_alu instid0(VALU_DEP_1)
	v_add3_u32 v66, v66, v67, v68
	s_clause 0x1
	scratch_load_b32 v67, off, off offset:152
	scratch_load_b32 v68, off, off offset:512
	v_add3_u32 v66, v66, v78, v79
	s_clause 0x1
	scratch_load_b32 v78, off, off offset:156
	scratch_load_b32 v79, off, off offset:100
	;; [unrolled: 4-line block ×5, first 2 shown]
	v_add3_u32 v66, v66, v86, v87
	v_mul_i32_i24_e32 v86, v51, v245
	v_mul_i32_i24_e32 v87, v52, v244
	s_clause 0x1
	scratch_load_b32 v244, off, off offset:672
	scratch_load_b32 v245, off, off offset:1128
	v_add3_u32 v66, v66, v88, v89
	v_mul_i32_i24_e32 v89, v11, v192
	scratch_load_b32 v192, off, off offset:452 ; 4-byte Folded Reload
	v_mul_i32_i24_e32 v88, v53, v243
	scratch_load_b32 v243, off, off offset:664 ; 4-byte Folded Reload
	v_add3_u32 v66, v66, v90, v92
	v_mul_i32_i24_e32 v92, v55, v241
	scratch_load_b32 v241, off, off offset:656 ; 4-byte Folded Reload
	v_mul_i32_i24_e32 v11, v11, v132
	scratch_load_b32 v132, off, off offset:668 ; 4-byte Folded Reload
	;; [unrolled: 5-line block ×3, first 2 shown]
	v_add3_u32 v66, v66, v99, v103
	v_mul_i32_i24_e32 v103, v58, v183
	scratch_load_b32 v183, off, off offset:472 ; 4-byte Folded Reload
	v_add3_u32 v66, v66, v104, v105
	v_mul_i32_i24_e32 v105, v13, v240
	scratch_load_b32 v240, off, off offset:652 ; 4-byte Folded Reload
	v_add3_u32 v66, v66, v106, v122
	v_mul_i32_i24_e32 v106, v60, v235
	v_mul_i32_i24_e32 v122, v61, v233
	s_clause 0x1
	scratch_load_b32 v233, off, off offset:1172
	scratch_load_b32 v235, off, off offset:648
	v_add3_u32 v66, v66, v123, v124
	v_mul_i32_i24_e32 v123, v62, v232
	v_mul_i32_i24_e32 v124, v14, v231
	s_clause 0x1
	scratch_load_b32 v232, off, off offset:1116
	scratch_load_b32 v231, off, off offset:1120
	v_add3_u32 v66, v66, v125, v126
	v_mul_i32_i24_e32 v125, v63, v228
	v_mul_i32_i24_e32 v126, v64, v226
	scratch_load_b32 v226, off, off offset:1108 ; 4-byte Folded Reload
	v_mul_i32_i24_e32 v14, v14, v133
	scratch_load_b32 v133, off, off offset:1124 ; 4-byte Folded Reload
	s_wait_loadcnt 0x19
	v_mul_lo_u32 v66, v66, v67
	s_wait_loadcnt 0x18
	v_mul_i32_i24_e32 v68, v16, v68
	scratch_load_b32 v67, off, off offset:164 ; 4-byte Folded Reload
	s_wait_loadcnt 0x18
	v_mul_i32_i24_e32 v78, v44, v78
	s_wait_loadcnt 0x17
	v_mul_i32_i24_e32 v79, v8, v79
	v_cvt_f32_i32_e32 v66, v66
	s_wait_loadcnt 0x16
	v_mad_i32_i24 v68, v43, v80, v68
	scratch_load_b32 v80, off, off offset:116 ; 4-byte Folded Reload
	s_wait_loadcnt 0x16
	v_mul_i32_i24_e32 v81, v9, v81
	v_fma_mix_f32 v66, v0, v66, 0 op_sel_hi:[1,0,0]
	v_add3_u32 v68, v68, v78, v79
	s_clause 0x1
	scratch_load_b32 v78, off, off offset:112
	scratch_load_b32 v79, off, off offset:124
	s_wait_loadcnt 0x17
	v_mul_i32_i24_e32 v82, v48, v82
	s_wait_loadcnt 0x16
	v_mul_i32_i24_e32 v83, v49, v83
	;; [unrolled: 2-line block ×4, first 2 shown]
	v_mul_i32_i24_e32 v10, v10, v198
	s_wait_loadcnt 0x12
	v_mul_i32_i24_e32 v15, v15, v245
	s_wait_loadcnt 0x11
	;; [unrolled: 2-line block ×7, first 2 shown]
	v_fma_mix_f32 v67, v67, v0, 0 op_sel:[0,1,0] op_sel_hi:[0,1,0]
	s_delay_alu instid0(VALU_DEP_1) | instskip(SKIP_2) | instid1(VALU_DEP_2)
	v_fma_mix_f32 v67, v218, v1, v67 op_sel:[0,1,0] op_sel_hi:[0,1,0]
	s_wait_loadcnt 0x2
	v_mul_i32_i24_e32 v80, v47, v80
	v_mul_f32_e32 v67, v67, v215
	s_wait_loadcnt 0x1
	v_mul_i32_i24_e32 v78, v45, v78
	s_wait_loadcnt 0x0
	v_mul_i32_i24_e32 v79, v46, v79
	s_delay_alu instid0(VALU_DEP_1) | instskip(NEXT) | instid1(VALU_DEP_1)
	v_add3_u32 v68, v68, v78, v79
	v_add3_u32 v68, v68, v80, v81
	s_delay_alu instid0(VALU_DEP_1) | instskip(NEXT) | instid1(VALU_DEP_1)
	v_add3_u32 v68, v68, v82, v83
	v_add3_u32 v68, v68, v84, v85
	;; [unrolled: 3-line block ×7, first 2 shown]
	s_delay_alu instid0(VALU_DEP_1) | instskip(NEXT) | instid1(VALU_DEP_1)
	v_mul_lo_u32 v68, v68, v219
	v_cvt_f32_i32_e32 v68, v68
	s_delay_alu instid0(VALU_DEP_1) | instskip(NEXT) | instid1(VALU_DEP_1)
	v_fma_mix_f32 v66, v1, v68, v66 op_sel_hi:[1,0,0]
	v_fma_f32 v66, v66, v201, -v67
	s_clause 0x1
	scratch_load_b32 v67, off, off offset:756
	scratch_load_b32 v201, off, off offset:200
	s_wait_loadcnt 0x1
	v_add_f32_e32 v67, v67, v66
	scratch_load_b32 v66, off, off offset:424 ; 4-byte Folded Reload
	s_wait_loadcnt 0x0
	v_mul_i32_i24_e32 v17, v17, v66
	scratch_load_b32 v66, off, off offset:516 ; 4-byte Folded Reload
	s_wait_loadcnt 0x0
	v_mul_i32_i24_e32 v20, v20, v66
	scratch_load_b32 v66, off, off offset:16 ; 4-byte Folded Reload
	s_wait_loadcnt 0x0
	v_mad_i32_i24 v17, v18, v66, v17
	v_mul_i32_i24_e32 v18, v21, v197
	v_mul_i32_i24_e32 v21, v24, v188
	s_clause 0x1
	scratch_load_b32 v24, off, off offset:20
	scratch_load_b32 v188, off, off offset:840
	v_add3_u32 v17, v17, v19, v20
	v_mul_i32_i24_e32 v19, v22, v196
	v_mul_i32_i24_e32 v22, v25, v187
	s_clause 0x1
	scratch_load_b32 v25, off, off offset:24
	scratch_load_b32 v187, off, off offset:836
	v_mul_i32_i24_e32 v20, v23, v190
	v_mul_i32_i24_e32 v23, v26, v185
	s_clause 0x1
	scratch_load_b32 v26, off, off offset:32
	scratch_load_b32 v185, off, off offset:1168
	v_add3_u32 v17, v17, v18, v19
	s_clause 0x2
	scratch_load_b32 v190, off, off offset:8
	scratch_load_b32 v197, off, off offset:844
	;; [unrolled: 1-line block ×3, first 2 shown]
	v_mul_i32_i24_e32 v18, v52, v226
	v_add3_u32 v17, v17, v20, v21
	v_mul_i32_i24_e32 v20, v54, v227
	v_mul_i32_i24_e32 v21, v55, v232
	s_delay_alu instid0(VALU_DEP_3)
	v_add3_u32 v17, v17, v22, v23
	v_mul_i32_i24_e32 v22, v56, v231
	v_mul_i32_i24_e32 v23, v57, v235
	s_wait_loadcnt 0x8
	v_mul_i32_i24_e32 v24, v27, v24
	scratch_load_b32 v27, off, off offset:36 ; 4-byte Folded Reload
	s_wait_loadcnt 0x7
	v_mul_i32_i24_e32 v2, v2, v25
	scratch_load_b32 v25, off, off offset:28 ; 4-byte Folded Reload
	s_wait_loadcnt 0x6
	v_mul_i32_i24_e32 v26, v29, v26
	scratch_load_b32 v29, off, off offset:524 ; 4-byte Folded Reload
	v_add3_u32 v2, v17, v24, v2
	v_mul_i32_i24_e32 v17, v51, v201
	v_mul_i32_i24_e32 v24, v58, v241
	s_wait_loadcnt 0x2
	v_mul_i32_i24_e32 v27, v30, v27
	scratch_load_b32 v30, off, off offset:528 ; 4-byte Folded Reload
	s_wait_loadcnt 0x2
	v_mul_i32_i24_e32 v25, v28, v25
	scratch_load_b32 v28, off, off offset:40 ; 4-byte Folded Reload
	s_wait_loadcnt 0x2
	v_mul_i32_i24_e32 v29, v32, v29
	scratch_load_b32 v32, off, off offset:540 ; 4-byte Folded Reload
	v_add3_u32 v2, v2, v25, v26
	v_mul_i32_i24_e32 v25, v59, v240
	v_mul_i32_i24_e32 v26, v60, v243
	s_wait_loadcnt 0x2
	v_mul_i32_i24_e32 v30, v33, v30
	scratch_load_b32 v33, off, off offset:544 ; 4-byte Folded Reload
	s_wait_loadcnt 0x2
	v_mul_i32_i24_e32 v3, v3, v28
	scratch_load_b32 v28, off, off offset:520 ; 4-byte Folded Reload
	s_wait_loadcnt 0x2
	v_mul_i32_i24_e32 v32, v35, v32
	scratch_load_b32 v35, off, off offset:556 ; 4-byte Folded Reload
	v_add3_u32 v2, v2, v27, v3
	scratch_load_b32 v3, off, off offset:560 ; 4-byte Folded Reload
	v_mul_i32_i24_e32 v27, v61, v244
	s_wait_loadcnt 0x3
	v_mul_i32_i24_e32 v33, v36, v33
	scratch_load_b32 v36, off, off offset:564 ; 4-byte Folded Reload
	s_wait_loadcnt 0x3
	v_mul_i32_i24_e32 v28, v31, v28
	scratch_load_b32 v31, off, off offset:532 ; 4-byte Folded Reload
	s_wait_loadcnt 0x3
	v_mul_i32_i24_e32 v35, v38, v35
	v_add3_u32 v2, v2, v28, v29
	v_mul_i32_i24_e32 v38, v41, v70
	v_mul_i32_i24_e32 v28, v62, v132
	;; [unrolled: 1-line block ×3, first 2 shown]
	s_wait_loadcnt 0x1
	v_mul_i32_i24_e32 v36, v39, v36
	v_mul_i32_i24_e32 v39, v42, v185
	s_wait_loadcnt 0x0
	v_mul_i32_i24_e32 v4, v4, v31
	scratch_load_b32 v31, off, off offset:536 ; 4-byte Folded Reload
	v_add3_u32 v2, v2, v30, v4
	v_mul_i32_i24_e32 v4, v44, v69
	scratch_load_b32 v69, off, off offset:644 ; 4-byte Folded Reload
	v_mul_i32_i24_e32 v30, v64, v213
	s_wait_loadcnt 0x1
	v_mul_i32_i24_e32 v31, v34, v31
	scratch_load_b32 v34, off, off offset:548 ; 4-byte Folded Reload
	v_add3_u32 v2, v2, v31, v32
	v_mul_i32_i24_e32 v31, v65, v210
	s_wait_loadcnt 0x0
	v_mul_i32_i24_e32 v5, v5, v34
	scratch_load_b32 v34, off, off offset:552 ; 4-byte Folded Reload
	v_add3_u32 v2, v2, v33, v5
	v_mul_i32_i24_e32 v5, v8, v69
	v_mul_i32_i24_e32 v8, v48, v190
	s_wait_loadcnt 0x0
	v_mul_i32_i24_e32 v34, v37, v34
	v_mul_i32_i24_e32 v37, v40, v110
	s_clause 0x1
	scratch_load_b32 v40, off, off offset:568
	scratch_load_b32 v110, off, off offset:1104
	v_add3_u32 v2, v2, v34, v35
	s_delay_alu instid0(VALU_DEP_1) | instskip(NEXT) | instid1(VALU_DEP_1)
	v_add3_u32 v2, v2, v36, v6
	v_add3_u32 v2, v2, v37, v38
	s_wait_loadcnt 0x1
	v_mul_i32_i24_e32 v7, v7, v40
	s_wait_loadcnt 0x0
	v_mul_i32_i24_e32 v19, v53, v110
	s_delay_alu instid0(VALU_DEP_2) | instskip(SKIP_2) | instid1(VALU_DEP_3)
	v_add3_u32 v2, v2, v39, v7
	v_mul_i32_i24_e32 v7, v9, v188
	v_mul_i32_i24_e32 v9, v49, v197
	v_mul_lo_u32 v2, v2, v3
	v_mul_i32_i24_e32 v3, v16, v184
	scratch_load_b32 v184, off, off offset:1100 ; 4-byte Folded Reload
	v_mul_i32_i24_e32 v16, v50, v196
	v_cvt_f32_i32_e32 v2, v2
	s_delay_alu instid0(VALU_DEP_1) | instskip(SKIP_3) | instid1(VALU_DEP_1)
	v_fma_mix_f32 v2, v0, v2, 0 op_sel_hi:[1,0,0]
	v_fma_mix_f32 v0, v186, v0, 0 op_sel:[0,1,0] op_sel_hi:[0,1,0]
	scratch_load_b32 v186, off, off offset:832 ; 4-byte Folded Reload
	v_fma_mix_f32 v0, v119, v1, v0 op_sel:[0,1,0] op_sel_hi:[0,1,0]
	v_mul_f32_e32 v0, v0, v118
	scratch_store_b32 off, v145, off offset:988 ; 4-byte Folded Spill
	s_wait_loadcnt 0x1
	v_mad_i32_i24 v3, v43, v184, v3
	s_delay_alu instid0(VALU_DEP_1)
	v_add3_u32 v3, v3, v4, v5
	scratch_load_b32 v4, off, off offset:196 ; 4-byte Folded Reload
	v_mul_i32_i24_e32 v5, v46, v187
	s_wait_loadcnt 0x1
	v_mul_i32_i24_e32 v6, v47, v186
	s_wait_loadcnt 0x0
	v_mul_i32_i24_e32 v4, v45, v4
	s_delay_alu instid0(VALU_DEP_1) | instskip(NEXT) | instid1(VALU_DEP_1)
	v_add3_u32 v3, v3, v4, v5
	v_add3_u32 v3, v3, v6, v7
	s_delay_alu instid0(VALU_DEP_1) | instskip(NEXT) | instid1(VALU_DEP_1)
	v_add3_u32 v3, v3, v8, v9
	v_add3_u32 v3, v3, v16, v10
	;; [unrolled: 3-line block ×7, first 2 shown]
	s_delay_alu instid0(VALU_DEP_1) | instskip(NEXT) | instid1(VALU_DEP_1)
	v_mul_lo_u32 v3, v3, v208
	v_cvt_f32_i32_e32 v3, v3
	s_delay_alu instid0(VALU_DEP_1) | instskip(SKIP_3) | instid1(VALU_DEP_1)
	v_fma_mix_f32 v2, v1, v3, v2 op_sel_hi:[1,0,0]
	scratch_load_b32 v1, off, off offset:752 ; 4-byte Folded Reload
	v_fma_f32 v0, v2, v117, -v0
	s_wait_loadcnt 0x0
	v_add_f32_e32 v1, v1, v0
	scratch_load_b32 v0, off, off offset:1264 ; 4-byte Folded Reload
	s_clause 0x1
	scratch_store_b32 off, v67, off offset:756
	scratch_store_b32 off, v1, off offset:752
	s_wait_loadcnt 0x0
	v_or_b32_e32 v0, s10, v0
	s_delay_alu instid0(VALU_DEP_1)
	v_lshlrev_b32_e32 v12, 2, v0
	scratch_store_b32 off, v129, off offset:964 ; 4-byte Folded Spill
	v_lshrrev_b32_e32 v16, 1, v0
	ds_load_b128 v[0:3], v12 offset:16896
	ds_load_b128 v[4:7], v12 offset:16912
	;; [unrolled: 1-line block ×4, first 2 shown]
	s_clause 0xa
	scratch_load_b32 v215, off, off offset:952
	scratch_load_b32 v219, off, off offset:1176
	;; [unrolled: 1-line block ×11, first 2 shown]
	s_wait_dscnt 0x3
	v_bfe_i32 v17, v0, 0, 8
	v_bfe_i32 v18, v0, 8, 8
	v_bfe_i32 v19, v0, 16, 8
	v_ashrrev_i32_e32 v20, 24, v0
	v_bfe_i32 v21, v1, 0, 8
	v_mul_i32_i24_e32 v66, v239, v17
	v_bfe_i32 v22, v1, 8, 8
	v_mul_i32_i24_e32 v67, v246, v19
	v_mul_i32_i24_e32 v68, v189, v20
	v_bfe_i32 v23, v1, 16, 8
	v_mad_i32_i24 v66, v211, v18, v66
	v_ashrrev_i32_e32 v24, 24, v1
	ds_load_b64 v[0:1], v16 offset:27200
	s_wait_dscnt 0x2
	v_bfe_i32 v16, v8, 0, 8
	v_mov_b32_e32 v211, v114
	v_add3_u32 v66, v66, v67, v68
	v_mul_i32_i24_e32 v67, v129, v21
	v_mul_i32_i24_e32 v68, v214, v22
	v_bfe_i32 v43, v8, 8, 8
	v_bfe_i32 v44, v8, 16, 8
	v_ashrrev_i32_e32 v8, 24, v8
	v_mul_i32_i24_e32 v78, v211, v23
	v_mul_i32_i24_e32 v79, v212, v24
	v_add3_u32 v66, v66, v67, v68
	v_mul_i32_i24_e32 v68, v175, v16
	v_bfe_i32 v25, v2, 0, 8
	v_bfe_i32 v26, v2, 8, 8
	;; [unrolled: 1-line block ×4, first 2 shown]
	v_add3_u32 v66, v66, v78, v79
	v_mul_i32_i24_e32 v78, v249, v44
	v_mul_i32_i24_e32 v79, v248, v8
	v_mad_i32_i24 v68, v72, v43, v68
	v_bfe_i32 v27, v2, 16, 8
	v_ashrrev_i32_e32 v2, 24, v2
	v_bfe_i32 v47, v9, 16, 8
	v_ashrrev_i32_e32 v9, 24, v9
	v_mul_i32_i24_e32 v80, v165, v25
	v_mul_i32_i24_e32 v81, v163, v26
	v_add3_u32 v68, v68, v78, v79
	v_mul_i32_i24_e32 v78, v157, v45
	v_mul_i32_i24_e32 v79, v74, v46
	v_bfe_i32 v28, v3, 0, 8
	v_bfe_i32 v29, v3, 8, 8
	;; [unrolled: 1-line block ×4, first 2 shown]
	v_mul_i32_i24_e32 v82, v161, v27
	v_mul_i32_i24_e32 v83, v130, v2
	v_add3_u32 v66, v66, v80, v81
	v_mul_i32_i24_e32 v80, v152, v47
	v_mul_i32_i24_e32 v81, v236, v9
	v_add3_u32 v68, v68, v78, v79
	v_bfe_i32 v30, v3, 16, 8
	v_ashrrev_i32_e32 v3, 24, v3
	v_bfe_i32 v50, v10, 16, 8
	v_ashrrev_i32_e32 v10, 24, v10
	v_mov_b32_e32 v163, v130
	v_mul_i32_i24_e32 v84, v113, v28
	v_mul_i32_i24_e32 v85, v112, v29
	v_mov_b32_e32 v130, v115
	v_add3_u32 v66, v66, v82, v83
	v_mul_i32_i24_e32 v82, v134, v48
	v_mul_i32_i24_e32 v83, v77, v49
	v_add3_u32 v68, v68, v80, v81
	v_bfe_i32 v31, v4, 0, 8
	v_bfe_i32 v32, v4, 8, 8
	;; [unrolled: 1-line block ×4, first 2 shown]
	v_mul_i32_i24_e32 v86, v131, v30
	v_mul_i32_i24_e32 v87, v130, v3
	v_add3_u32 v66, v66, v84, v85
	v_mul_i32_i24_e32 v84, v76, v50
	v_mul_i32_i24_e32 v85, v75, v10
	v_add3_u32 v68, v68, v82, v83
	v_bfe_i32 v33, v4, 16, 8
	v_ashrrev_i32_e32 v4, 24, v4
	v_bfe_i32 v53, v11, 16, 8
	v_ashrrev_i32_e32 v11, 24, v11
	v_mul_i32_i24_e32 v88, v166, v31
	v_mul_i32_i24_e32 v89, v169, v32
	v_add3_u32 v66, v66, v86, v87
	v_mul_i32_i24_e32 v86, v138, v51
	v_mul_i32_i24_e32 v87, v137, v52
	v_add3_u32 v68, v68, v84, v85
	v_bfe_i32 v34, v5, 0, 8
	v_bfe_i32 v35, v5, 8, 8
	s_wait_dscnt 0x1
	v_bfe_i32 v54, v12, 0, 8
	v_bfe_i32 v55, v12, 8, 8
	v_mul_i32_i24_e32 v90, v168, v33
	v_mul_i32_i24_e32 v92, v167, v4
	v_add3_u32 v66, v66, v88, v89
	v_mul_i32_i24_e32 v88, v136, v53
	v_mul_i32_i24_e32 v89, v135, v11
	v_add3_u32 v68, v68, v86, v87
	v_bfe_i32 v36, v5, 16, 8
	v_ashrrev_i32_e32 v5, 24, v5
	v_bfe_i32 v56, v12, 16, 8
	v_ashrrev_i32_e32 v12, 24, v12
	v_mul_i32_i24_e32 v93, v204, v34
	v_mul_i32_i24_e32 v96, v172, v35
	v_add3_u32 v66, v66, v90, v92
	v_mul_i32_i24_e32 v90, v146, v54
	v_mul_i32_i24_e32 v92, v145, v55
	v_add3_u32 v68, v68, v88, v89
	v_bfe_i32 v37, v6, 0, 8
	v_bfe_i32 v38, v6, 8, 8
	v_bfe_i32 v57, v13, 0, 8
	v_bfe_i32 v58, v13, 8, 8
	v_mul_i32_i24_e32 v99, v170, v36
	v_mul_i32_i24_e32 v103, v205, v5
	v_add3_u32 v66, v66, v93, v96
	v_mul_i32_i24_e32 v93, v144, v56
	v_mul_i32_i24_e32 v96, v143, v12
	v_add3_u32 v68, v68, v90, v92
	v_bfe_i32 v39, v6, 16, 8
	v_ashrrev_i32_e32 v6, 24, v6
	v_bfe_i32 v59, v13, 16, 8
	v_ashrrev_i32_e32 v13, 24, v13
	v_mov_b32_e32 v214, v112
	v_mul_i32_i24_e32 v104, v251, v37
	v_mul_i32_i24_e32 v105, v250, v38
	v_add3_u32 v66, v66, v99, v103
	v_mul_i32_i24_e32 v99, v150, v57
	v_mul_i32_i24_e32 v103, v149, v58
	v_add3_u32 v68, v68, v93, v96
	v_bfe_i32 v40, v7, 0, 8
	v_bfe_i32 v41, v7, 8, 8
	;; [unrolled: 1-line block ×4, first 2 shown]
	v_mul_i32_i24_e32 v106, v207, v39
	v_mul_i32_i24_e32 v122, v206, v6
	v_add3_u32 v66, v66, v104, v105
	v_mul_i32_i24_e32 v104, v148, v59
	v_mul_i32_i24_e32 v105, v147, v13
	v_add3_u32 v68, v68, v99, v103
	v_bfe_i32 v42, v7, 16, 8
	v_ashrrev_i32_e32 v7, 24, v7
	v_bfe_i32 v62, v14, 16, 8
	v_ashrrev_i32_e32 v14, 24, v14
	v_mul_i32_i24_e32 v123, v255, v40
	v_mul_i32_i24_e32 v124, v254, v41
	v_add3_u32 v66, v66, v106, v122
	v_mul_i32_i24_e32 v106, v156, v60
	v_mul_i32_i24_e32 v122, v155, v61
	v_add3_u32 v68, v68, v104, v105
	v_bfe_i32 v63, v15, 0, 8
	v_bfe_i32 v64, v15, 8, 8
	v_mul_i32_i24_e32 v125, v253, v42
	v_mul_i32_i24_e32 v126, v252, v7
	v_add3_u32 v66, v66, v123, v124
	v_mul_i32_i24_e32 v123, v154, v62
	v_mul_i32_i24_e32 v124, v151, v14
	v_add3_u32 v68, v68, v106, v122
	v_bfe_i32 v65, v15, 16, 8
	v_ashrrev_i32_e32 v15, 24, v15
	v_add3_u32 v66, v66, v125, v126
	v_mul_i32_i24_e32 v125, v216, v63
	v_mov_b32_e32 v113, v116
	v_add3_u32 v68, v68, v123, v124
	v_mul_i32_i24_e32 v127, v209, v65
	v_mul_lo_u32 v66, v66, v174
	s_wait_dscnt 0x0
	v_fma_mix_f32 v67, v91, v0, 0 op_sel:[0,1,0] op_sel_hi:[0,1,0]
	v_mul_i32_i24_e32 v128, v113, v15
	v_mul_i32_i24_e32 v123, v40, v230
	v_mov_b32_e32 v236, v230
	scratch_load_b32 v230, off, off offset:312 ; 4-byte Folded Reload
	v_mov_b32_e32 v254, v148
	v_mul_i32_i24_e32 v84, v28, v111
	v_cvt_f32_i32_e32 v66, v66
	s_clause 0x3
	scratch_load_b32 v112, off, off offset:880
	scratch_load_b32 v114, off, off offset:884
	;; [unrolled: 1-line block ×4, first 2 shown]
	v_fma_mix_f32 v66, v0, v66, 0 op_sel_hi:[1,0,0]
	v_mul_i32_i24_e32 v85, v29, v222
	v_mov_b32_e32 v161, v222
	s_clause 0x1
	scratch_load_b32 v222, off, off offset:308
	scratch_load_b32 v72, off, off offset:148
	v_mul_i32_i24_e32 v78, v23, v202
	v_mul_i32_i24_e32 v79, v24, v203
	v_mov_b32_e32 v246, v150
	v_mul_i32_i24_e32 v80, v25, v247
	v_mul_i32_i24_e32 v81, v26, v107
	;; [unrolled: 1-line block ×5, first 2 shown]
	v_mov_b32_e32 v158, v173
	s_clause 0x1
	scratch_load_b32 v173, off, off offset:328
	scratch_load_b32 v138, off, off offset:336
	v_mul_i32_i24_e32 v103, v5, v120
	v_mul_i32_i24_e32 v106, v39, v223
	scratch_load_b32 v223, off, off offset:1224 ; 4-byte Folded Reload
	v_mov_b32_e32 v253, v147
	v_mul_i32_i24_e32 v104, v37, v121
	s_clause 0x1
	scratch_load_b32 v145, off, off offset:68
	scratch_load_b32 v147, off, off offset:76
	v_mov_b32_e32 v252, v146
	scratch_load_b32 v146, off, off offset:72 ; 4-byte Folded Reload
	v_mov_b32_e32 v239, v152
	s_clause 0x4
	scratch_load_b32 v152, off, off offset:84
	scratch_load_b32 v157, off, off offset:92
	;; [unrolled: 1-line block ×5, first 2 shown]
	v_mov_b32_e32 v204, v98
	s_clause 0x2
	scratch_load_b32 v74, off, off offset:28
	scratch_load_b32 v91, off, off offset:520
	;; [unrolled: 1-line block ×3, first 2 shown]
	v_mov_b32_e32 v172, v77
	v_mov_b32_e32 v170, v76
	s_clause 0x1
	scratch_load_b32 v76, off, off offset:36
	scratch_load_b32 v77, off, off offset:40
	v_dual_mov_b32 v207, v94 :: v_dual_mov_b32 v202, v95
	v_mov_b32_e32 v203, v100
	v_mov_b32_e32 v205, v101
	scratch_load_b32 v129, off, off offset:564 ; 4-byte Folded Reload
	v_dual_mov_b32 v206, v159 :: v_dual_mov_b32 v175, v135
	v_dual_mov_b32 v255, v149 :: v_dual_mov_b32 v156, v155
	;; [unrolled: 1-line block ×3, first 2 shown]
	s_clause 0xc
	scratch_store_b32 off, v239, off offset:976
	scratch_store_b32 off, v172, off offset:908
	;; [unrolled: 1-line block ×13, first 2 shown]
	v_dual_mov_b32 v168, v212 :: v_dual_mov_b32 v165, v211
	s_wait_loadcnt 0x22
	v_mul_i32_i24_e32 v126, v215, v64
	s_wait_loadcnt 0x1f
	v_fma_mix_f32 v67, v218, v1, v67 op_sel:[0,1,0] op_sel_hi:[0,1,0]
	s_delay_alu instid0(VALU_DEP_2)
	v_add3_u32 v68, v68, v125, v126
	s_wait_loadcnt 0x1c
	v_mul_i32_i24_e32 v88, v31, v208
	s_wait_loadcnt 0x1b
	v_mul_i32_i24_e32 v93, v34, v117
	v_mul_f32_e32 v67, v67, v219
	s_wait_loadcnt 0x1a
	v_mul_i32_i24_e32 v96, v35, v118
	v_add3_u32 v68, v68, v127, v128
	s_wait_loadcnt 0x19
	v_mul_i32_i24_e32 v99, v36, v119
	v_mul_i32_i24_e32 v125, v42, v228
	;; [unrolled: 1-line block ×3, first 2 shown]
	v_mul_lo_u32 v68, v68, v217
	s_delay_alu instid0(VALU_DEP_1) | instskip(NEXT) | instid1(VALU_DEP_1)
	v_cvt_f32_i32_e32 v68, v68
	v_fma_mix_f32 v66, v1, v68, v66 op_sel_hi:[1,0,0]
	v_mul_i32_i24_e32 v68, v20, v195
	v_mov_b32_e32 v195, v111
	scratch_load_b32 v111, off, off offset:60 ; 4-byte Folded Reload
	v_fma_f32 v66, v66, v220, -v67
	scratch_load_b32 v67, off, off offset:748 ; 4-byte Folded Reload
	scratch_store_b32 off, v195, off offset:856 ; 4-byte Folded Spill
	s_wait_loadcnt 0x18
	v_mul_i32_i24_e32 v87, v3, v112
	s_wait_loadcnt 0x17
	v_mul_i32_i24_e32 v89, v32, v114
	;; [unrolled: 2-line block ×6, first 2 shown]
	scratch_load_b32 v72, off, off offset:1064 ; 4-byte Folded Reload
	s_wait_loadcnt 0x11
	v_mul_i32_i24_e32 v122, v6, v223
	s_wait_loadcnt 0xb
	v_mul_i32_i24_e32 v127, v65, v150
	;; [unrolled: 2-line block ×3, first 2 shown]
	s_wait_loadcnt 0x1
	v_add_f32_e32 v67, v67, v66
	v_mul_i32_i24_e32 v66, v17, v191
	v_mov_b32_e32 v191, v107
	scratch_load_b32 v107, off, off offset:552 ; 4-byte Folded Reload
	scratch_store_b32 off, v67, off offset:748 ; 4-byte Folded Spill
	v_mul_i32_i24_e32 v67, v19, v193
	v_mad_i32_i24 v66, v18, v194, v66
	v_mov_b32_e32 v193, v108
	scratch_load_b32 v108, off, off offset:556 ; 4-byte Folded Reload
	v_mov_b32_e32 v194, v109
	scratch_load_b32 v109, off, off offset:560 ; 4-byte Folded Reload
	v_add3_u32 v66, v66, v67, v68
	v_mul_i32_i24_e32 v67, v21, v199
	v_mul_i32_i24_e32 v68, v22, v200
	v_dual_mov_b32 v199, v102 :: v_dual_mov_b32 v200, v220
	s_delay_alu instid0(VALU_DEP_2)
	v_add3_u32 v66, v66, v67, v68
	v_mul_i32_i24_e32 v68, v16, v141
	scratch_load_b32 v141, off, off offset:1212 ; 4-byte Folded Reload
	v_add3_u32 v66, v66, v78, v79
	v_mul_i32_i24_e32 v78, v44, v225
	v_mul_i32_i24_e32 v79, v8, v230
	v_mad_i32_i24 v68, v43, v102, v68
	v_mov_b32_e32 v225, v140
	v_add3_u32 v66, v66, v80, v81
	v_mul_i32_i24_e32 v80, v47, v210
	scratch_load_b32 v102, off, off offset:548 ; 4-byte Folded Reload
	v_add3_u32 v68, v68, v78, v79
	v_mul_i32_i24_e32 v78, v45, v234
	scratch_load_b32 v234, off, off offset:324 ; 4-byte Folded Reload
	v_add3_u32 v66, v66, v82, v83
	v_mul_i32_i24_e32 v79, v46, v213
	v_mul_i32_i24_e32 v82, v48, v95
	;; [unrolled: 1-line block ×3, first 2 shown]
	scratch_load_b32 v95, off, off offset:528 ; 4-byte Folded Reload
	v_add3_u32 v66, v66, v84, v85
	v_mul_i32_i24_e32 v84, v50, v171
	scratch_load_b32 v171, off, off offset:332 ; 4-byte Folded Reload
	v_add3_u32 v68, v68, v78, v79
	v_mul_i32_i24_e32 v85, v10, v173
	v_add3_u32 v66, v66, v86, v87
	v_mul_i32_i24_e32 v87, v52, v181
	scratch_load_b32 v181, off, off offset:340 ; 4-byte Folded Reload
	v_mul_i32_i24_e32 v78, v23, v237
	scratch_load_b32 v237, off, off offset:1000 ; 4-byte Folded Reload
	v_add3_u32 v66, v66, v88, v89
	v_mul_i32_i24_e32 v88, v53, v97
	v_mul_i32_i24_e32 v89, v11, v138
	s_clause 0x1
	scratch_load_b32 v97, off, off offset:532
	scratch_load_b32 v100, off, off offset:540
	v_add3_u32 v66, v66, v90, v92
	v_mul_i32_i24_e32 v92, v55, v101
	scratch_load_b32 v101, off, off offset:544 ; 4-byte Folded Reload
	scratch_store_b32 off, v225, off offset:876 ; 4-byte Folded Spill
	v_add3_u32 v66, v66, v93, v96
	v_mul_i32_i24_e32 v96, v12, v139
	scratch_load_b32 v139, off, off offset:64 ; 4-byte Folded Reload
	v_mul_i32_i24_e32 v93, v56, v98
	scratch_load_b32 v98, off, off offset:536 ; 4-byte Folded Reload
	v_add3_u32 v66, v66, v99, v103
	v_mul_i32_i24_e32 v103, v58, v94
	scratch_load_b32 v94, off, off offset:524 ; 4-byte Folded Reload
	v_add3_u32 v66, v66, v104, v105
	v_mul_i32_i24_e32 v105, v13, v140
	scratch_load_b32 v140, off, off offset:80 ; 4-byte Folded Reload
	v_mul_i32_i24_e32 v104, v59, v159
	scratch_load_b32 v159, off, off offset:1208 ; 4-byte Folded Reload
	v_add3_u32 v66, v66, v106, v122
	v_mul_i32_i24_e32 v106, v60, v145
	v_mul_i32_i24_e32 v122, v61, v147
	s_delay_alu instid0(VALU_DEP_3) | instskip(SKIP_1) | instid1(VALU_DEP_2)
	v_add3_u32 v66, v66, v123, v124
	v_mul_i32_i24_e32 v123, v62, v146
	v_add3_u32 v66, v66, v125, v126
	v_mul_i32_i24_e32 v125, v63, v152
	v_mul_i32_i24_e32 v126, v64, v157
	s_delay_alu instid0(VALU_DEP_3) | instskip(SKIP_2) | instid1(VALU_DEP_1)
	v_mul_lo_u32 v66, v66, v221
	scratch_load_b32 v221, off, off offset:1228 ; 4-byte Folded Reload
	v_cvt_f32_i32_e32 v66, v66
	v_fma_mix_f32 v66, v0, v66, 0 op_sel_hi:[1,0,0]
	s_wait_loadcnt 0xd
	v_mul_i32_i24_e32 v81, v9, v234
	s_delay_alu instid0(VALU_DEP_1)
	v_add3_u32 v68, v68, v80, v81
	v_mul_i32_i24_e32 v80, v25, v142
	v_mul_i32_i24_e32 v81, v26, v153
	s_wait_loadcnt 0xb
	v_mul_i32_i24_e32 v86, v51, v171
	scratch_load_b32 v142, off, off offset:1216 ; 4-byte Folded Reload
	v_add3_u32 v68, v68, v82, v83
	v_mul_i32_i24_e32 v82, v27, v160
	v_mul_i32_i24_e32 v83, v2, v224
	s_wait_loadcnt 0xb
	v_mul_i32_i24_e32 v90, v54, v181
	scratch_load_b32 v224, off, off offset:508 ; 4-byte Folded Reload
	v_add3_u32 v68, v68, v84, v85
	s_wait_loadcnt 0xb
	v_mul_i32_i24_e32 v79, v24, v237
	scratch_load_b32 v160, off, off offset:812 ; 4-byte Folded Reload
	v_add3_u32 v68, v68, v86, v87
	v_mul_i32_i24_e32 v86, v30, v71
	scratch_load_b32 v71, off, off offset:160 ; 4-byte Folded Reload
	v_mul_i32_i24_e32 v87, v3, v162
	v_mul_i32_i24_e32 v3, v3, v77
	v_add3_u32 v68, v68, v88, v89
	v_mul_i32_i24_e32 v88, v31, v174
	v_mul_i32_i24_e32 v89, v32, v164
	s_wait_loadcnt 0x9
	v_mul_i32_i24_e32 v99, v57, v139
	scratch_load_b32 v164, off, off offset:1204 ; 4-byte Folded Reload
	v_add3_u32 v68, v68, v90, v92
	v_mul_i32_i24_e32 v90, v33, v238
	scratch_load_b32 v238, off, off offset:1004 ; 4-byte Folded Reload
	v_mov_b32_e32 v162, v130
	v_add3_u32 v68, v68, v93, v96
	v_mul_i32_i24_e32 v93, v34, v176
	scratch_load_b32 v176, off, off offset:1008 ; 4-byte Folded Reload
	s_wait_loadcnt 0x9
	v_mul_i32_i24_e32 v124, v14, v140
	v_add3_u32 v68, v68, v99, v103
	v_mul_i32_i24_e32 v99, v36, v177
	v_mul_i32_i24_e32 v103, v5, v178
	;; [unrolled: 1-line block ×3, first 2 shown]
	s_delay_alu instid0(VALU_DEP_4) | instskip(SKIP_2) | instid1(VALU_DEP_3)
	v_add3_u32 v68, v68, v104, v105
	v_mul_i32_i24_e32 v104, v37, v169
	v_mul_i32_i24_e32 v105, v38, v179
	v_add3_u32 v68, v68, v106, v122
	v_mul_i32_i24_e32 v122, v6, v182
	scratch_load_b32 v182, off, off offset:512 ; 4-byte Folded Reload
	v_mul_i32_i24_e32 v106, v39, v180
	scratch_load_b32 v180, off, off offset:424 ; 4-byte Folded Reload
	v_add3_u32 v68, v68, v123, v124
	s_wait_loadcnt 0x9
	v_fma_mix_f32 v67, v221, v0, 0 op_sel:[0,1,0] op_sel_hi:[0,1,0]
	s_delay_alu instid0(VALU_DEP_2) | instskip(NEXT) | instid1(VALU_DEP_1)
	v_add3_u32 v68, v68, v125, v126
	v_add3_u32 v68, v68, v127, v128
	s_delay_alu instid0(VALU_DEP_1) | instskip(SKIP_2) | instid1(VALU_DEP_1)
	v_mul_lo_u32 v68, v68, v72
	scratch_load_b32 v72, off, off offset:1044 ; 4-byte Folded Reload
	v_cvt_f32_i32_e32 v68, v68
	v_fma_mix_f32 v66, v1, v68, v66 op_sel_hi:[1,0,0]
	scratch_load_b32 v68, off, off offset:1068 ; 4-byte Folded Reload
	s_wait_loadcnt 0x9
	v_mul_i32_i24_e32 v84, v28, v224
	s_wait_loadcnt 0x7
	v_mul_i32_i24_e32 v123, v40, v71
	scratch_load_b32 v71, off, off offset:104 ; 4-byte Folded Reload
	s_wait_loadcnt 0x6
	v_mul_i32_i24_e32 v92, v4, v238
	v_mul_i32_i24_e32 v4, v4, v97
	s_wait_loadcnt 0x5
	v_mul_i32_i24_e32 v96, v35, v176
	s_wait_loadcnt 0x1
	v_fma_mix_f32 v67, v68, v1, v67 op_sel:[0,1,0] op_sel_hi:[0,1,0]
	scratch_load_b32 v68, off, off offset:784 ; 4-byte Folded Reload
	s_wait_loadcnt 0x1
	v_mul_i32_i24_e32 v124, v41, v71
	scratch_load_b32 v71, off, off offset:108 ; 4-byte Folded Reload
	s_wait_loadcnt 0x1
	v_mul_f32_e32 v67, v67, v68
	scratch_load_b32 v68, off, off offset:172 ; 4-byte Folded Reload
	s_wait_loadcnt 0x1
	v_mul_i32_i24_e32 v125, v42, v71
	scratch_load_b32 v71, off, off offset:120 ; 4-byte Folded Reload
	s_wait_loadcnt 0x1
	v_fma_f32 v66, v66, v68, -v67
	s_clause 0x1
	scratch_load_b32 v67, off, off offset:744
	scratch_load_b32 v68, off, off offset:236
	s_wait_loadcnt 0x2
	v_mul_i32_i24_e32 v126, v7, v71
	scratch_load_b32 v71, off, off offset:156 ; 4-byte Folded Reload
	s_wait_loadcnt 0x2
	v_add_f32_e32 v67, v67, v66
	scratch_load_b32 v66, off, off offset:852 ; 4-byte Folded Reload
	s_wait_loadcnt 0x2
	v_mul_i32_i24_e32 v68, v20, v68
	scratch_store_b32 off, v67, off offset:744 ; 4-byte Folded Spill
	scratch_load_b32 v67, off, off offset:232 ; 4-byte Folded Reload
	s_wait_loadcnt 0x1
	v_mul_i32_i24_e32 v66, v17, v66
	v_mul_i32_i24_e32 v17, v17, v180
	s_wait_loadcnt 0x0
	v_mul_i32_i24_e32 v67, v19, v67
	s_delay_alu instid0(VALU_DEP_3)
	v_mad_i32_i24 v66, v18, v72, v66
	scratch_load_b32 v72, off, off offset:608 ; 4-byte Folded Reload
	v_add3_u32 v66, v66, v67, v68
	v_mul_i32_i24_e32 v67, v21, v229
	scratch_load_b32 v229, off, off offset:996 ; 4-byte Folded Reload
	s_wait_loadcnt 0x1
	v_mul_i32_i24_e32 v85, v29, v72
	scratch_load_b32 v72, off, off offset:20 ; 4-byte Folded Reload
	s_wait_loadcnt 0x1
	v_mul_i32_i24_e32 v68, v22, v229
	s_delay_alu instid0(VALU_DEP_1)
	v_add3_u32 v66, v66, v67, v68
	v_mul_i32_i24_e32 v68, v16, v182
	scratch_load_b32 v67, off, off offset:152 ; 4-byte Folded Reload
	v_add3_u32 v66, v66, v78, v79
	v_mul_i32_i24_e32 v78, v44, v71
	scratch_load_b32 v71, off, off offset:100 ; 4-byte Folded Reload
	v_add3_u32 v66, v66, v80, v81
	s_delay_alu instid0(VALU_DEP_1) | instskip(NEXT) | instid1(VALU_DEP_1)
	v_add3_u32 v66, v66, v82, v83
	v_add3_u32 v66, v66, v84, v85
	s_delay_alu instid0(VALU_DEP_1) | instskip(NEXT) | instid1(VALU_DEP_1)
	v_add3_u32 v66, v66, v86, v87
	v_add3_u32 v66, v66, v88, v89
	s_delay_alu instid0(VALU_DEP_1) | instskip(SKIP_3) | instid1(VALU_DEP_1)
	v_add3_u32 v66, v66, v90, v92
	v_mul_i32_i24_e32 v90, v54, v192
	scratch_load_b32 v192, off, off offset:16 ; 4-byte Folded Reload
	v_add3_u32 v66, v66, v93, v96
	v_add3_u32 v66, v66, v99, v103
	v_mul_i32_i24_e32 v99, v57, v73
	scratch_load_b32 v73, off, off offset:24 ; 4-byte Folded Reload
	v_add3_u32 v66, v66, v104, v105
	v_mul_i32_i24_e32 v104, v59, v183
	s_delay_alu instid0(VALU_DEP_2) | instskip(NEXT) | instid1(VALU_DEP_1)
	v_add3_u32 v66, v66, v106, v122
	v_add3_u32 v66, v66, v123, v124
	s_delay_alu instid0(VALU_DEP_1) | instskip(SKIP_1) | instid1(VALU_DEP_1)
	v_add3_u32 v66, v66, v125, v126
	s_wait_loadcnt 0x3
	v_mul_lo_u32 v66, v66, v67
	scratch_load_b32 v67, off, off offset:164 ; 4-byte Folded Reload
	s_wait_loadcnt 0x3
	v_mul_i32_i24_e32 v79, v8, v71
	scratch_load_b32 v71, off, off offset:168 ; 4-byte Folded Reload
	v_cvt_f32_i32_e32 v66, v66
	s_delay_alu instid0(VALU_DEP_1)
	v_fma_mix_f32 v66, v0, v66, 0 op_sel_hi:[1,0,0]
	s_wait_loadcnt 0x3
	v_mad_i32_i24 v17, v18, v192, v17
	scratch_load_b32 v18, off, off offset:204 ; 4-byte Folded Reload
	s_wait_loadcnt 0x3
	v_mul_i32_i24_e32 v2, v2, v73
	s_wait_loadcnt 0x2
	v_fma_mix_f32 v67, v67, v0, 0 op_sel:[0,1,0] op_sel_hi:[0,1,0]
	s_wait_loadcnt 0x1
	v_mad_i32_i24 v68, v43, v71, v68
	scratch_load_b32 v71, off, off offset:112 ; 4-byte Folded Reload
	v_add3_u32 v68, v68, v78, v79
	s_wait_loadcnt 0x1
	v_mul_i32_i24_e32 v18, v21, v18
	scratch_load_b32 v21, off, off offset:216 ; 4-byte Folded Reload
	s_wait_loadcnt 0x1
	v_mul_i32_i24_e32 v78, v45, v71
	scratch_load_b32 v71, off, off offset:124 ; 4-byte Folded Reload
	s_wait_loadcnt 0x1
	v_mul_i32_i24_e32 v21, v24, v21
	v_mul_i32_i24_e32 v24, v27, v72
	;; [unrolled: 1-line block ×7, first 2 shown]
	s_wait_loadcnt 0x0
	v_mul_i32_i24_e32 v79, v46, v71
	scratch_load_b32 v71, off, off offset:116 ; 4-byte Folded Reload
	v_add3_u32 v68, v68, v78, v79
	s_wait_loadcnt 0x0
	v_mul_i32_i24_e32 v80, v47, v71
	scratch_load_b32 v71, off, off offset:128 ; 4-byte Folded Reload
	s_wait_loadcnt 0x0
	v_mul_i32_i24_e32 v81, v9, v71
	scratch_load_b32 v71, off, off offset:132 ; 4-byte Folded Reload
	v_add3_u32 v68, v68, v80, v81
	s_wait_loadcnt 0x0
	v_mul_i32_i24_e32 v82, v48, v71
	scratch_load_b32 v71, off, off offset:136 ; 4-byte Folded Reload
	;; [unrolled: 7-line block ×3, first 2 shown]
	s_wait_loadcnt 0x0
	v_mul_i32_i24_e32 v85, v10, v71
	scratch_load_b32 v71, off, off offset:436 ; 4-byte Folded Reload
	v_mul_i32_i24_e32 v10, v10, v198
	v_mov_b32_e32 v198, v219
	v_add3_u32 v68, v68, v84, v85
	s_wait_loadcnt 0x0
	v_mul_i32_i24_e32 v86, v51, v71
	scratch_load_b32 v71, off, off offset:444 ; 4-byte Folded Reload
	s_wait_loadcnt 0x0
	v_mul_i32_i24_e32 v87, v52, v71
	scratch_load_b32 v71, off, off offset:440 ; 4-byte Folded Reload
	v_add3_u32 v68, v68, v86, v87
	s_wait_loadcnt 0x0
	v_mul_i32_i24_e32 v88, v53, v71
	scratch_load_b32 v71, off, off offset:448 ; 4-byte Folded Reload
	s_wait_loadcnt 0x0
	v_mul_i32_i24_e32 v89, v11, v71
	scratch_load_b32 v71, off, off offset:460 ; 4-byte Folded Reload
	v_mul_i32_i24_e32 v11, v11, v142
	v_add3_u32 v68, v68, v88, v89
	s_wait_loadcnt 0x0
	v_mul_i32_i24_e32 v92, v55, v71
	scratch_load_b32 v71, off, off offset:456 ; 4-byte Folded Reload
	v_add3_u32 v68, v68, v90, v92
	s_wait_loadcnt 0x0
	v_mul_i32_i24_e32 v93, v56, v71
	scratch_load_b32 v71, off, off offset:464 ; 4-byte Folded Reload
	s_wait_loadcnt 0x0
	v_mul_i32_i24_e32 v96, v12, v71
	scratch_load_b32 v71, off, off offset:476 ; 4-byte Folded Reload
	v_mul_i32_i24_e32 v12, v12, v233
	v_add3_u32 v68, v68, v93, v96
	s_wait_loadcnt 0x0
	v_mul_i32_i24_e32 v103, v58, v71
	scratch_load_b32 v71, off, off offset:480 ; 4-byte Folded Reload
	v_add3_u32 v68, v68, v99, v103
	s_wait_loadcnt 0x0
	v_mul_i32_i24_e32 v105, v13, v71
	scratch_load_b32 v71, off, off offset:484 ; 4-byte Folded Reload
	v_mul_i32_i24_e32 v13, v13, v242
	v_add3_u32 v68, v68, v104, v105
	s_wait_loadcnt 0x0
	v_mul_i32_i24_e32 v106, v60, v71
	scratch_load_b32 v71, off, off offset:492 ; 4-byte Folded Reload
	s_wait_loadcnt 0x0
	v_mul_i32_i24_e32 v122, v61, v71
	scratch_load_b32 v71, off, off offset:488 ; 4-byte Folded Reload
	v_add3_u32 v68, v68, v106, v122
	s_wait_loadcnt 0x0
	v_mul_i32_i24_e32 v123, v62, v71
	scratch_load_b32 v71, off, off offset:496 ; 4-byte Folded Reload
	s_wait_loadcnt 0x0
	v_mul_i32_i24_e32 v124, v14, v71
	scratch_load_b32 v71, off, off offset:500 ; 4-byte Folded Reload
	v_mul_i32_i24_e32 v14, v14, v164
	v_add3_u32 v68, v68, v123, v124
	s_wait_loadcnt 0x0
	v_mul_i32_i24_e32 v125, v63, v71
	scratch_load_b32 v71, off, off offset:504 ; 4-byte Folded Reload
	s_wait_loadcnt 0x0
	v_mul_i32_i24_e32 v126, v64, v71
	scratch_load_b32 v71, off, off offset:1072 ; 4-byte Folded Reload
	v_add3_u32 v68, v68, v125, v126
	s_wait_loadcnt 0x0
	v_mul_i32_i24_e32 v127, v65, v71
	scratch_load_b32 v71, off, off offset:1076 ; 4-byte Folded Reload
	s_wait_loadcnt 0x0
	v_mul_i32_i24_e32 v128, v15, v71
	scratch_load_b32 v71, off, off offset:1080 ; 4-byte Folded Reload
	v_mul_i32_i24_e32 v15, v15, v245
	v_add3_u32 v68, v68, v127, v128
	s_wait_loadcnt 0x0
	s_delay_alu instid0(VALU_DEP_1) | instskip(SKIP_2) | instid1(VALU_DEP_1)
	v_mul_lo_u32 v68, v68, v71
	scratch_load_b32 v71, off, off offset:516 ; 4-byte Folded Reload
	v_cvt_f32_i32_e32 v68, v68
	v_fma_mix_f32 v66, v1, v68, v66 op_sel_hi:[1,0,0]
	scratch_load_b32 v68, off, off offset:1084 ; 4-byte Folded Reload
	s_wait_loadcnt 0x1
	v_mul_i32_i24_e32 v20, v20, v71
	s_wait_loadcnt 0x0
	v_fma_mix_f32 v67, v68, v1, v67 op_sel:[0,1,0] op_sel_hi:[0,1,0]
	scratch_load_b32 v68, off, off offset:180 ; 4-byte Folded Reload
	s_wait_loadcnt 0x0
	v_mul_f32_e32 v67, v67, v68
	scratch_load_b32 v68, off, off offset:780 ; 4-byte Folded Reload
	s_wait_loadcnt 0x0
	v_fma_f32 v66, v66, v68, -v67
	scratch_load_b32 v67, off, off offset:740 ; 4-byte Folded Reload
	s_wait_loadcnt 0x0
	v_add_f32_e32 v67, v67, v66
	scratch_load_b32 v66, off, off offset:228 ; 4-byte Folded Reload
	s_wait_loadcnt 0x0
	v_mul_i32_i24_e32 v19, v19, v66
	s_delay_alu instid0(VALU_DEP_1)
	v_add3_u32 v17, v17, v19, v20
	s_clause 0x1
	scratch_load_b32 v19, off, off offset:208
	scratch_load_b32 v20, off, off offset:212
	s_wait_loadcnt 0x1
	v_mul_i32_i24_e32 v19, v22, v19
	scratch_load_b32 v22, off, off offset:220 ; 4-byte Folded Reload
	s_wait_loadcnt 0x1
	v_mul_i32_i24_e32 v20, v23, v20
	scratch_load_b32 v23, off, off offset:224 ; 4-byte Folded Reload
	v_add3_u32 v17, v17, v18, v19
	v_mul_i32_i24_e32 v18, v52, v226
	v_mul_i32_i24_e32 v19, v53, v110
	s_delay_alu instid0(VALU_DEP_3)
	v_add3_u32 v17, v17, v20, v21
	v_mul_i32_i24_e32 v20, v54, v227
	v_mul_i32_i24_e32 v21, v55, v232
	s_wait_loadcnt 0x1
	v_mul_i32_i24_e32 v22, v25, v22
	v_mul_i32_i24_e32 v25, v28, v74
	;; [unrolled: 1-line block ×5, first 2 shown]
	scratch_load_b32 v37, off, off offset:1060 ; 4-byte Folded Reload
	s_wait_loadcnt 0x1
	v_mul_i32_i24_e32 v23, v26, v23
	v_mul_i32_i24_e32 v26, v29, v75
	;; [unrolled: 1-line block ×5, first 2 shown]
	v_add3_u32 v17, v17, v22, v23
	v_mul_i32_i24_e32 v38, v41, v70
	v_mul_i32_i24_e32 v22, v56, v231
	;; [unrolled: 1-line block ×3, first 2 shown]
	s_delay_alu instid0(VALU_DEP_4) | instskip(SKIP_2) | instid1(VALU_DEP_3)
	v_add3_u32 v2, v17, v24, v2
	v_mul_i32_i24_e32 v17, v51, v201
	v_mul_i32_i24_e32 v24, v58, v241
	v_add3_u32 v2, v2, v25, v26
	v_mul_i32_i24_e32 v25, v59, v240
	v_mul_i32_i24_e32 v26, v60, v243
	s_delay_alu instid0(VALU_DEP_3)
	v_add3_u32 v2, v2, v27, v3
	scratch_load_b32 v3, off, off offset:1088 ; 4-byte Folded Reload
	v_mul_i32_i24_e32 v27, v61, v244
	v_add3_u32 v2, v2, v28, v29
	v_mul_i32_i24_e32 v28, v62, v132
	v_mul_i32_i24_e32 v29, v63, v133
	s_delay_alu instid0(VALU_DEP_3) | instskip(SKIP_4) | instid1(VALU_DEP_2)
	v_add3_u32 v2, v2, v30, v4
	scratch_load_b32 v4, off, off offset:1092 ; 4-byte Folded Reload
	v_mul_i32_i24_e32 v30, v64, v159
	v_add3_u32 v2, v2, v31, v32
	v_mul_i32_i24_e32 v31, v65, v141
	v_add3_u32 v2, v2, v33, v5
	v_mul_i32_i24_e32 v5, v8, v69
	v_mul_i32_i24_e32 v8, v48, v190
	s_delay_alu instid0(VALU_DEP_3)
	v_add3_u32 v2, v2, v34, v35
	s_wait_loadcnt 0x2
	v_mul_i32_i24_e32 v6, v6, v37
	scratch_load_b32 v37, off, off offset:1096 ; 4-byte Folded Reload
	v_add3_u32 v2, v2, v36, v6
	v_mul_i32_i24_e32 v6, v47, v186
	v_mov_b32_e32 v186, v161
	s_wait_loadcnt 0x1
	v_mul_i32_i24_e32 v4, v44, v4
	s_wait_loadcnt 0x0
	v_mul_i32_i24_e32 v37, v40, v37
	scratch_load_b32 v40, off, off offset:568 ; 4-byte Folded Reload
	v_add3_u32 v2, v2, v37, v38
	s_wait_loadcnt 0x0
	v_mul_i32_i24_e32 v7, v7, v40
	s_delay_alu instid0(VALU_DEP_1) | instskip(SKIP_3) | instid1(VALU_DEP_4)
	v_add3_u32 v2, v2, v39, v7
	v_mul_i32_i24_e32 v7, v9, v188
	v_mul_i32_i24_e32 v9, v49, v197
	v_dual_mov_b32 v197, v216 :: v_dual_mov_b32 v188, v215
	v_mul_lo_u32 v2, v2, v109
	s_delay_alu instid0(VALU_DEP_1) | instskip(NEXT) | instid1(VALU_DEP_1)
	v_cvt_f32_i32_e32 v2, v2
	v_fma_mix_f32 v2, v0, v2, 0 op_sel_hi:[1,0,0]
	v_fma_mix_f32 v0, v3, v0, 0 op_sel:[0,1,0] op_sel_hi:[0,1,0]
	scratch_load_b32 v3, off, off offset:1200 ; 4-byte Folded Reload
	v_fma_mix_f32 v0, v160, v1, v0 op_sel:[0,1,0] op_sel_hi:[0,1,0]
	s_wait_loadcnt 0x0
	v_mul_i32_i24_e32 v3, v16, v3
	v_mul_i32_i24_e32 v16, v50, v196
	s_delay_alu instid0(VALU_DEP_2) | instskip(NEXT) | instid1(VALU_DEP_1)
	v_mad_i32_i24 v3, v43, v184, v3
	v_add3_u32 v3, v3, v4, v5
	scratch_load_b32 v4, off, off offset:196 ; 4-byte Folded Reload
	v_mul_i32_i24_e32 v5, v46, v187
	v_mov_b32_e32 v187, v209
	s_wait_loadcnt 0x0
	v_mul_i32_i24_e32 v4, v45, v4
	s_delay_alu instid0(VALU_DEP_1) | instskip(SKIP_2) | instid1(VALU_DEP_1)
	v_add3_u32 v3, v3, v4, v5
	scratch_load_b32 v4, off, off offset:184 ; 4-byte Folded Reload
	v_add3_u32 v3, v3, v6, v7
	v_add3_u32 v3, v3, v8, v9
	s_delay_alu instid0(VALU_DEP_1) | instskip(NEXT) | instid1(VALU_DEP_1)
	v_add3_u32 v3, v3, v16, v10
	v_add3_u32 v3, v3, v17, v18
	s_delay_alu instid0(VALU_DEP_1) | instskip(NEXT) | instid1(VALU_DEP_1)
	;; [unrolled: 3-line block ×5, first 2 shown]
	v_add3_u32 v3, v3, v28, v14
	v_add3_u32 v3, v3, v29, v30
	s_delay_alu instid0(VALU_DEP_1) | instskip(SKIP_1) | instid1(VALU_DEP_1)
	v_add3_u32 v3, v3, v31, v15
	s_wait_loadcnt 0x0
	v_mul_lo_u32 v3, v3, v4
	s_delay_alu instid0(VALU_DEP_1) | instskip(NEXT) | instid1(VALU_DEP_1)
	v_cvt_f32_i32_e32 v3, v3
	v_fma_mix_f32 v2, v1, v3, v2 op_sel_hi:[1,0,0]
	scratch_load_b32 v1, off, off offset:4  ; 4-byte Folded Reload
	s_wait_loadcnt 0x0
	v_mul_f32_e32 v0, v0, v1
	scratch_load_b32 v1, off, off offset:176 ; 4-byte Folded Reload
	s_wait_loadcnt 0x0
	v_fma_f32 v0, v2, v1, -v0
	scratch_load_b32 v1, off, off offset:736 ; 4-byte Folded Reload
	s_wait_loadcnt 0x0
	v_add_f32_e32 v1, v1, v0
	scratch_load_b32 v0, off, off offset:1268 ; 4-byte Folded Reload
	scratch_store_b32 off, v1, off offset:736 ; 4-byte Folded Spill
	s_wait_loadcnt 0x0
	v_or_b32_e32 v0, s10, v0
	s_delay_alu instid0(VALU_DEP_1)
	v_lshlrev_b32_e32 v12, 2, v0
	scratch_store_b32 off, v67, off offset:740 ; 4-byte Folded Spill
	v_lshrrev_b32_e32 v16, 1, v0
	ds_load_b128 v[0:3], v12 offset:16896
	ds_load_b128 v[4:7], v12 offset:16912
	;; [unrolled: 1-line block ×4, first 2 shown]
	s_clause 0xf
	scratch_load_b32 v249, off, off offset:900
	scratch_load_b32 v153, off, off offset:964
	;; [unrolled: 1-line block ×16, first 2 shown]
	s_wait_dscnt 0x3
	v_bfe_i32 v30, v3, 16, 8
	v_bfe_i32 v17, v0, 0, 8
	;; [unrolled: 1-line block ×4, first 2 shown]
	v_ashrrev_i32_e32 v20, 24, v0
	v_bfe_i32 v21, v1, 0, 8
	v_bfe_i32 v22, v1, 8, 8
	;; [unrolled: 1-line block ×3, first 2 shown]
	v_ashrrev_i32_e32 v24, 24, v1
	v_mul_i32_i24_e32 v68, v189, v20
	s_wait_dscnt 0x1
	v_bfe_i32 v44, v8, 16, 8
	ds_load_b64 v[0:1], v16 offset:27200
	v_mul_i32_i24_e32 v78, v211, v23
	v_mul_i32_i24_e32 v79, v212, v24
	v_bfe_i32 v16, v8, 0, 8
	v_bfe_i32 v43, v8, 8, 8
	v_ashrrev_i32_e32 v8, 24, v8
	v_bfe_i32 v45, v9, 0, 8
	v_bfe_i32 v46, v9, 8, 8
	;; [unrolled: 1-line block ×5, first 2 shown]
	v_ashrrev_i32_e32 v9, 24, v9
	v_bfe_i32 v27, v2, 16, 8
	v_ashrrev_i32_e32 v2, 24, v2
	v_bfe_i32 v48, v10, 0, 8
	v_bfe_i32 v28, v3, 0, 8
	;; [unrolled: 1-line block ×4, first 2 shown]
	v_mul_i32_i24_e32 v83, v163, v2
	scratch_load_b32 v163, off, off offset:412 ; 4-byte Folded Reload
	v_bfe_i32 v50, v10, 16, 8
	v_ashrrev_i32_e32 v10, 24, v10
	v_mul_i32_i24_e32 v85, v214, v29
	v_ashrrev_i32_e32 v3, 24, v3
	v_bfe_i32 v51, v11, 0, 8
	v_bfe_i32 v52, v11, 8, 8
	s_clause 0x7
	scratch_load_b32 v137, off, off offset:1040
	scratch_load_b32 v240, off, off offset:1072
	;; [unrolled: 1-line block ×8, first 2 shown]
	v_mul_i32_i24_e32 v87, v130, v3
	v_bfe_i32 v31, v4, 0, 8
	v_bfe_i32 v32, v4, 8, 8
	;; [unrolled: 1-line block ×4, first 2 shown]
	v_ashrrev_i32_e32 v4, 24, v4
	s_wait_dscnt 0x1
	v_bfe_i32 v55, v12, 8, 8
	s_clause 0x7
	scratch_load_b32 v148, off, off offset:192
	scratch_load_b32 v226, off, off offset:448
	;; [unrolled: 1-line block ×8, first 2 shown]
	v_bfe_i32 v34, v5, 0, 8
	v_bfe_i32 v35, v5, 8, 8
	v_bfe_i32 v56, v12, 16, 8
	s_clause 0x7
	scratch_load_b32 v143, off, off offset:1232
	scratch_load_b32 v110, off, off offset:1244
	;; [unrolled: 1-line block ×8, first 2 shown]
	v_bfe_i32 v54, v12, 0, 8
	v_ashrrev_i32_e32 v12, 24, v12
	scratch_load_b32 v212, off, off offset:824 ; 4-byte Folded Reload
	v_mov_b32_e32 v214, v250
	scratch_load_b32 v250, off, off offset:984 ; 4-byte Folded Reload
	v_mov_b32_e32 v211, v251
	scratch_load_b32 v251, off, off offset:420 ; 4-byte Folded Reload
	v_ashrrev_i32_e32 v11, 24, v11
	v_bfe_i32 v36, v5, 16, 8
	v_ashrrev_i32_e32 v5, 24, v5
	v_bfe_i32 v37, v6, 0, 8
	v_bfe_i32 v38, v6, 8, 8
	;; [unrolled: 1-line block ×5, first 2 shown]
	v_ashrrev_i32_e32 v6, 24, v6
	v_bfe_i32 v59, v13, 16, 8
	v_ashrrev_i32_e32 v13, 24, v13
	v_mul_i32_i24_e32 v105, v214, v38
	v_bfe_i32 v40, v7, 0, 8
	v_bfe_i32 v41, v7, 8, 8
	;; [unrolled: 1-line block ×5, first 2 shown]
	v_ashrrev_i32_e32 v7, 24, v7
	v_bfe_i32 v62, v14, 16, 8
	v_ashrrev_i32_e32 v14, 24, v14
	v_bfe_i32 v63, v15, 0, 8
	v_bfe_i32 v64, v15, 8, 8
	;; [unrolled: 1-line block ×3, first 2 shown]
	v_ashrrev_i32_e32 v15, 24, v15
	scratch_load_b32 v130, off, off offset:1220 ; 4-byte Folded Reload
	v_mov_b32_e32 v201, v112
	v_mov_b32_e32 v183, v176
	v_mul_i32_i24_e32 v127, v209, v65
	v_mul_i32_i24_e32 v128, v113, v15
	v_mov_b32_e32 v113, v221
	s_clause 0x2
	scratch_load_b32 v176, off, off offset:636
	scratch_load_b32 v221, off, off offset:140
	;; [unrolled: 1-line block ×3, first 2 shown]
	s_clause 0x3
	scratch_store_b32 off, v165, off offset:1188
	scratch_store_b32 off, v189, off offset:1196
	;; [unrolled: 1-line block ×4, first 2 shown]
	s_wait_loadcnt 0x2f
	v_mul_i32_i24_e32 v66, v249, v17
	s_wait_loadcnt 0x2d
	v_mul_i32_i24_e32 v80, v133, v25
	;; [unrolled: 2-line block ×5, first 2 shown]
	scratch_load_b32 v70, off, off offset:400 ; 4-byte Folded Reload
	s_wait_loadcnt 0x2a
	v_mul_i32_i24_e32 v67, v167, v19
	s_wait_loadcnt 0x28
	v_mad_i32_i24 v66, v69, v18, v66
	s_wait_loadcnt 0x27
	v_mul_i32_i24_e32 v103, v149, v5
	s_wait_loadcnt 0x26
	v_mul_i32_i24_e32 v122, v151, v6
	v_add3_u32 v66, v66, v67, v68
	v_mul_i32_i24_e32 v67, v153, v21
	v_mul_i32_i24_e32 v68, v166, v22
	s_delay_alu instid0(VALU_DEP_1) | instskip(SKIP_4) | instid1(VALU_DEP_1)
	v_add3_u32 v66, v66, v67, v68
	s_clause 0x1
	scratch_load_b32 v67, off, off offset:408
	scratch_load_b32 v68, off, off offset:404
	v_add3_u32 v66, v66, v78, v79
	v_add3_u32 v66, v66, v80, v81
	v_mul_i32_i24_e32 v80, v239, v47
	scratch_load_b32 v239, off, off offset:500 ; 4-byte Folded Reload
	v_add3_u32 v66, v66, v82, v83
	v_mul_i32_i24_e32 v83, v172, v49
	scratch_load_b32 v172, off, off offset:632 ; 4-byte Folded Reload
	s_wait_loadcnt 0x24
	v_mul_i32_i24_e32 v84, v163, v28
	s_delay_alu instid0(VALU_DEP_1)
	v_add3_u32 v66, v66, v84, v85
	v_mul_i32_i24_e32 v84, v170, v50
	s_wait_loadcnt 0x23
	v_mul_i32_i24_e32 v88, v137, v31
	scratch_load_b32 v170, off, off offset:628 ; 4-byte Folded Reload
	v_add3_u32 v66, v66, v86, v87
	s_wait_loadcnt 0x1f
	v_mul_i32_i24_e32 v89, v136, v32
	s_wait_loadcnt 0x1e
	v_mul_i32_i24_e32 v90, v135, v33
	;; [unrolled: 2-line block ×3, first 2 shown]
	v_add3_u32 v66, v66, v88, v89
	v_mul_i32_i24_e32 v89, v175, v11
	s_delay_alu instid0(VALU_DEP_2)
	v_add3_u32 v66, v66, v90, v92
	s_wait_loadcnt 0x1c
	v_mul_i32_i24_e32 v93, v148, v34
	v_mul_i32_i24_e32 v90, v252, v54
	scratch_load_b32 v252, off, off offset:596 ; 4-byte Folded Reload
	s_wait_loadcnt 0x16
	v_mul_i32_i24_e32 v96, v144, v35
	s_wait_loadcnt 0x15
	v_mul_i32_i24_e32 v99, v143, v36
	s_delay_alu instid0(VALU_DEP_2)
	v_add3_u32 v66, v66, v93, v96
	s_wait_loadcnt 0x14
	v_mul_i32_i24_e32 v124, v110, v41
	s_wait_loadcnt 0x13
	v_mul_i32_i24_e32 v125, v248, v42
	;; [unrolled: 2-line block ×3, first 2 shown]
	v_add3_u32 v66, v66, v99, v103
	v_mul_i32_i24_e32 v99, v246, v57
	v_mul_i32_i24_e32 v103, v255, v58
	scratch_load_b32 v255, off, off offset:592 ; 4-byte Folded Reload
	s_wait_loadcnt 0xe
	v_mul_i32_i24_e32 v106, v212, v39
	scratch_load_b32 v246, off, off offset:180 ; 4-byte Folded Reload
	s_wait_loadcnt 0xe
	v_mul_i32_i24_e32 v123, v250, v40
	s_wait_loadcnt 0x8
	v_mul_i32_i24_e32 v78, v70, v44
	scratch_load_b32 v70, off, off offset:396 ; 4-byte Folded Reload
	s_wait_loadcnt_dscnt 0x800
	v_fma_mix_f32 v67, v67, v0, 0 op_sel:[0,1,0] op_sel_hi:[0,1,0]
	s_wait_loadcnt 0x7
	v_mul_i32_i24_e32 v68, v68, v16
	s_delay_alu instid0(VALU_DEP_2)
	v_fma_mix_f32 v67, v218, v1, v67 op_sel:[0,1,0] op_sel_hi:[0,1,0]
	scratch_load_b32 v218, off, off offset:128 ; 4-byte Folded Reload
	v_mul_f32_e32 v67, v67, v219
	scratch_load_b32 v219, off, off offset:132 ; 4-byte Folded Reload
	s_wait_loadcnt 0x2
	v_mul_i32_i24_e32 v79, v70, v8
	scratch_load_b32 v70, off, off offset:344 ; 4-byte Folded Reload
	s_wait_loadcnt 0x0
	v_mad_i32_i24 v68, v70, v43, v68
	scratch_load_b32 v70, off, off offset:416 ; 4-byte Folded Reload
	v_add3_u32 v68, v68, v78, v79
	s_wait_loadcnt 0x0
	v_mul_i32_i24_e32 v78, v70, v45
	scratch_load_b32 v70, off, off offset:96 ; 4-byte Folded Reload
	s_wait_loadcnt 0x0
	v_mul_i32_i24_e32 v79, v70, v46
	scratch_load_b32 v70, off, off offset:348 ; 4-byte Folded Reload
	v_add3_u32 v68, v68, v78, v79
	v_mul_i32_i24_e32 v79, v24, v255
	s_wait_loadcnt 0x0
	v_mul_i32_i24_e32 v81, v70, v9
	scratch_load_b32 v70, off, off offset:356 ; 4-byte Folded Reload
	v_add3_u32 v68, v68, v80, v81
	v_mul_i32_i24_e32 v80, v25, v130
	v_mul_i32_i24_e32 v81, v26, v191
	scratch_load_b32 v191, off, off offset:204 ; 4-byte Folded Reload
	s_wait_loadcnt 0x1
	v_mul_i32_i24_e32 v82, v70, v48
	scratch_load_b32 v70, off, off offset:352 ; 4-byte Folded Reload
	v_add3_u32 v68, v68, v82, v83
	v_mul_i32_i24_e32 v82, v27, v193
	v_mul_i32_i24_e32 v83, v2, v194
	s_clause 0x1
	scratch_load_b32 v193, off, off offset:212
	scratch_load_b32 v194, off, off offset:216
	s_wait_loadcnt 0x2
	v_mul_i32_i24_e32 v85, v70, v10
	scratch_load_b32 v70, off, off offset:368 ; 4-byte Folded Reload
	v_add3_u32 v68, v68, v84, v85
	v_mul_i32_i24_e32 v84, v28, v195
	v_mul_i32_i24_e32 v85, v29, v161
	s_clause 0x1
	scratch_load_b32 v195, off, off offset:220
	scratch_load_b32 v161, off, off offset:616
	s_wait_loadcnt 0x2
	v_mul_i32_i24_e32 v86, v70, v51
	scratch_load_b32 v70, off, off offset:364 ; 4-byte Folded Reload
	s_wait_loadcnt 0x0
	v_mul_i32_i24_e32 v87, v70, v52
	scratch_load_b32 v70, off, off offset:360 ; 4-byte Folded Reload
	v_add3_u32 v68, v68, v86, v87
	v_mul_i32_i24_e32 v86, v30, v111
	scratch_load_b32 v111, off, off offset:428 ; 4-byte Folded Reload
	v_mul_i32_i24_e32 v87, v3, v112
	scratch_load_b32 v112, off, off offset:624 ; 4-byte Folded Reload
	s_wait_loadcnt 0x2
	v_mul_i32_i24_e32 v88, v70, v53
	scratch_load_b32 v70, off, off offset:988 ; 4-byte Folded Reload
	v_add3_u32 v68, v68, v88, v89
	v_mul_i32_i24_e32 v89, v32, v114
	v_mov_b32_e32 v114, v223
	v_mul_i32_i24_e32 v104, v211, v37
	v_mul_i32_i24_e32 v88, v31, v208
	s_clause 0x1
	scratch_load_b32 v208, off, off offset:104
	scratch_load_b32 v223, off, off offset:436
	scratch_store_b32 off, v211, off offset:828 ; 4-byte Folded Spill
	v_add3_u32 v66, v66, v104, v105
	v_mul_i32_i24_e32 v104, v254, v59
	v_mul_i32_i24_e32 v105, v253, v13
	s_clause 0x1
	scratch_load_b32 v253, off, off offset:584
	scratch_load_b32 v254, off, off offset:588
	v_add3_u32 v66, v66, v106, v122
	v_mul_i32_i24_e32 v122, v156, v61
	scratch_load_b32 v156, off, off offset:580 ; 4-byte Folded Reload
	v_add3_u32 v66, v66, v123, v124
	v_mul_i32_i24_e32 v123, v155, v62
	v_mul_i32_i24_e32 v124, v154, v14
	s_clause 0x1
	scratch_load_b32 v155, off, off offset:572
	scratch_load_b32 v154, off, off offset:1132
	v_add3_u32 v66, v66, v125, v126
	v_mul_i32_i24_e32 v125, v216, v63
	v_mul_i32_i24_e32 v126, v215, v64
	s_clause 0x1
	scratch_load_b32 v215, off, off offset:1136
	scratch_load_b32 v216, off, off offset:120
	v_mul_lo_u32 v66, v66, v251
	s_delay_alu instid0(VALU_DEP_1) | instskip(NEXT) | instid1(VALU_DEP_1)
	v_cvt_f32_i32_e32 v66, v66
	v_fma_mix_f32 v66, v0, v66, 0 op_sel_hi:[1,0,0]
	s_wait_loadcnt 0x9
	v_mul_i32_i24_e32 v92, v70, v55
	scratch_load_b32 v70, off, off offset:376 ; 4-byte Folded Reload
	v_add3_u32 v68, v68, v90, v92
	v_mul_i32_i24_e32 v90, v33, v115
	scratch_load_b32 v115, off, off offset:1140 ; 4-byte Folded Reload
	v_mul_i32_i24_e32 v92, v4, v116
	scratch_load_b32 v116, off, off offset:1144 ; 4-byte Folded Reload
	s_wait_loadcnt 0x8
	v_mul_i32_i24_e32 v78, v23, v254
	s_wait_loadcnt 0x2
	v_mul_i32_i24_e32 v93, v70, v56
	scratch_load_b32 v70, off, off offset:372 ; 4-byte Folded Reload
	s_wait_loadcnt 0x0
	v_mul_i32_i24_e32 v96, v70, v12
	scratch_load_b32 v70, off, off offset:380 ; 4-byte Folded Reload
	v_add3_u32 v68, v68, v93, v96
	v_mul_i32_i24_e32 v93, v34, v117
	v_mul_i32_i24_e32 v96, v35, v118
	s_clause 0x1
	scratch_load_b32 v117, off, off offset:852
	scratch_load_b32 v118, off, off offset:232
	v_add3_u32 v68, v68, v99, v103
	v_mul_i32_i24_e32 v99, v36, v119
	v_mul_i32_i24_e32 v103, v5, v120
	s_clause 0x1
	scratch_load_b32 v120, off, off offset:236
	scratch_load_b32 v119, off, off offset:1044
	;; [unrolled: 6-line block ×3, first 2 shown]
	s_wait_loadcnt 0x6
	v_mul_i32_i24_e32 v106, v70, v60
	scratch_load_b32 v70, off, off offset:576 ; 4-byte Folded Reload
	v_add3_u32 v68, v68, v106, v122
	v_mul_i32_i24_e32 v106, v39, v112
	v_mul_i32_i24_e32 v122, v6, v114
	s_delay_alu instid0(VALU_DEP_3)
	v_add3_u32 v68, v68, v123, v124
	v_mul_i32_i24_e32 v124, v41, v111
	scratch_load_b32 v111, off, off offset:784 ; 4-byte Folded Reload
	v_mul_i32_i24_e32 v123, v40, v236
	scratch_load_b32 v236, off, off offset:488 ; 4-byte Folded Reload
	v_add3_u32 v68, v68, v125, v126
	v_mul_i32_i24_e32 v125, v42, v228
	v_mul_i32_i24_e32 v126, v7, v158
	s_clause 0x1
	scratch_load_b32 v158, off, off offset:608
	scratch_load_b32 v228, off, off offset:456
	v_add3_u32 v68, v68, v127, v128
	v_mul_i32_i24_e32 v127, v65, v150
	scratch_load_b32 v150, off, off offset:148 ; 4-byte Folded Reload
	v_mul_lo_u32 v68, v68, v217
	scratch_load_b32 v217, off, off offset:124 ; 4-byte Folded Reload
	v_cvt_f32_i32_e32 v68, v68
	s_delay_alu instid0(VALU_DEP_1) | instskip(SKIP_1) | instid1(VALU_DEP_2)
	v_fma_mix_f32 v66, v1, v68, v66 op_sel_hi:[1,0,0]
	v_mul_i32_i24_e32 v68, v20, v156
	v_fma_f32 v66, v66, v220, -v67
	s_clause 0x1
	scratch_load_b32 v67, off, off offset:732
	scratch_load_b32 v220, off, off offset:136
	s_wait_loadcnt 0x3
	v_mul_i32_i24_e32 v128, v15, v150
	s_wait_loadcnt 0x1
	v_add_f32_e32 v67, v67, v66
	v_mul_i32_i24_e32 v66, v17, v155
	scratch_store_b32 off, v67, off offset:732 ; 4-byte Folded Spill
	v_mul_i32_i24_e32 v67, v19, v70
	v_mad_i32_i24 v66, v18, v154, v66
	s_delay_alu instid0(VALU_DEP_1) | instskip(SKIP_2) | instid1(VALU_DEP_1)
	v_add3_u32 v66, v66, v67, v68
	v_mul_i32_i24_e32 v67, v21, v252
	v_mul_i32_i24_e32 v68, v22, v253
	v_add3_u32 v66, v66, v67, v68
	v_mul_i32_i24_e32 v68, v16, v115
	v_fma_mix_f32 v67, v113, v0, 0 op_sel:[0,1,0] op_sel_hi:[0,1,0]
	s_delay_alu instid0(VALU_DEP_3)
	v_add3_u32 v66, v66, v78, v79
	v_mul_i32_i24_e32 v78, v44, v116
	v_mul_i32_i24_e32 v79, v8, v230
	v_mad_i32_i24 v68, v43, v199, v68
	scratch_load_b32 v199, off, off offset:1064 ; 4-byte Folded Reload
	v_add3_u32 v66, v66, v80, v81
	v_mul_i32_i24_e32 v80, v47, v210
	v_mul_i32_i24_e32 v81, v9, v234
	v_add3_u32 v68, v68, v78, v79
	scratch_load_b32 v78, off, off offset:48 ; 4-byte Folded Reload
	v_add3_u32 v66, v66, v82, v83
	v_mul_i32_i24_e32 v82, v48, v202
	scratch_load_b32 v202, off, off offset:1068 ; 4-byte Folded Reload
	v_mul_i32_i24_e32 v83, v49, v203
	scratch_load_b32 v203, off, off offset:172 ; 4-byte Folded Reload
	v_add3_u32 v66, v66, v84, v85
	scratch_load_b32 v84, off, off offset:52 ; 4-byte Folded Reload
	v_mul_i32_i24_e32 v79, v46, v213
	v_mul_i32_i24_e32 v85, v10, v173
	v_mov_b32_e32 v175, v238
	v_add3_u32 v66, v66, v86, v87
	scratch_load_b32 v87, off, off offset:56 ; 4-byte Folded Reload
	v_mul_i32_i24_e32 v86, v51, v171
	s_clause 0x1
	scratch_load_b32 v230, off, off offset:464
	scratch_load_b32 v234, off, off offset:480
	v_add3_u32 v66, v66, v88, v89
	scratch_load_b32 v88, off, off offset:44 ; 4-byte Folded Reload
	v_mul_i32_i24_e32 v89, v11, v138
	v_mov_b32_e32 v138, v229
	scratch_load_b32 v238, off, off offset:496 ; 4-byte Folded Reload
	v_add3_u32 v66, v66, v90, v92
	v_mul_i32_i24_e32 v90, v54, v181
	v_mul_i32_i24_e32 v92, v55, v205
	v_mov_b32_e32 v181, v182
	scratch_load_b32 v182, off, off offset:228 ; 4-byte Folded Reload
	v_add3_u32 v66, v66, v93, v96
	scratch_load_b32 v96, off, off offset:272 ; 4-byte Folded Reload
	v_mul_i32_i24_e32 v93, v56, v204
	s_clause 0x1
	scratch_load_b32 v204, off, off offset:156
	scratch_load_b32 v205, off, off offset:168
	v_add3_u32 v66, v66, v99, v103
	v_mul_i32_i24_e32 v99, v57, v139
	v_mul_i32_i24_e32 v103, v58, v207
	s_clause 0x1
	scratch_load_b32 v139, off, off offset:1052
	scratch_load_b32 v207, off, off offset:100
	v_add3_u32 v66, v66, v104, v105
	v_mul_i32_i24_e32 v104, v59, v206
	;; [unrolled: 6-line block ×4, first 2 shown]
	v_mul_i32_i24_e32 v124, v14, v140
	scratch_load_b32 v146, off, off offset:1056 ; 4-byte Folded Reload
	v_mov_b32_e32 v140, v237
	v_add3_u32 v66, v66, v125, v126
	v_mul_i32_i24_e32 v125, v63, v152
	v_mul_i32_i24_e32 v126, v64, v157
	scratch_load_b32 v152, off, off offset:604 ; 4-byte Folded Reload
	v_mov_b32_e32 v157, v224
	v_mul_lo_u32 v66, v66, v215
	s_clause 0x6
	scratch_load_b32 v213, off, off offset:116
	scratch_load_b32 v225, off, off offset:444
	;; [unrolled: 1-line block ×7, first 2 shown]
	v_cvt_f32_i32_e32 v66, v66
	s_delay_alu instid0(VALU_DEP_1) | instskip(SKIP_4) | instid1(VALU_DEP_2)
	v_fma_mix_f32 v66, v0, v66, 0 op_sel_hi:[1,0,0]
	s_wait_loadcnt 0x1b
	v_mul_i32_i24_e32 v78, v45, v78
	s_wait_loadcnt 0x1a
	v_fma_mix_f32 v67, v202, v1, v67 op_sel:[0,1,0] op_sel_hi:[0,1,0]
	v_add3_u32 v68, v68, v78, v79
	v_mul_i32_i24_e32 v79, v24, v140
	s_wait_loadcnt 0x18
	v_mul_i32_i24_e32 v84, v50, v84
	v_mul_f32_e32 v67, v67, v111
	v_add3_u32 v68, v68, v80, v81
	s_wait_loadcnt 0x17
	v_mul_i32_i24_e32 v87, v52, v87
	s_delay_alu instid0(VALU_DEP_2) | instskip(SKIP_3) | instid1(VALU_DEP_3)
	v_add3_u32 v68, v68, v82, v83
	v_mul_i32_i24_e32 v82, v27, v190
	s_wait_loadcnt 0x14
	v_mul_i32_i24_e32 v88, v53, v88
	v_add3_u32 v68, v68, v84, v85
	v_mul_i32_i24_e32 v84, v28, v157
	v_mul_i32_i24_e32 v85, v29, v158
	s_delay_alu instid0(VALU_DEP_3)
	v_add3_u32 v68, v68, v86, v87
	v_mul_i32_i24_e32 v87, v3, v161
	s_wait_loadcnt 0x11
	v_mul_i32_i24_e32 v96, v12, v96
	v_mul_i32_i24_e32 v3, v3, v77
	scratch_load_b32 v77, off, off offset:1104 ; 4-byte Folded Reload
	v_add3_u32 v68, v68, v88, v89
	v_mul_i32_i24_e32 v88, v31, v174
	v_mul_i32_i24_e32 v89, v32, v178
	s_wait_loadcnt 0xf
	v_mul_i32_i24_e32 v78, v23, v139
	v_add3_u32 v68, v68, v90, v92
	v_mul_i32_i24_e32 v92, v4, v175
	v_mul_i32_i24_e32 v4, v4, v97
	;; [unrolled: 1-line block ×3, first 2 shown]
	scratch_load_b32 v97, off, off offset:1116 ; 4-byte Folded Reload
	v_add3_u32 v68, v68, v93, v96
	v_mul_i32_i24_e32 v93, v34, v179
	v_mul_i32_i24_e32 v96, v35, v183
	s_wait_loadcnt 0xc
	v_mul_i32_i24_e32 v81, v26, v145
	v_add3_u32 v68, v68, v99, v103
	s_wait_loadcnt 0xb
	v_mul_i32_i24_e32 v86, v30, v147
	v_mul_i32_i24_e32 v103, v5, v185
	;; [unrolled: 1-line block ×3, first 2 shown]
	s_wait_loadcnt 0xa
	v_mul_i32_i24_e32 v80, v25, v146
	v_add3_u32 v68, v68, v104, v105
	v_mul_i32_i24_e32 v99, v36, v184
	v_mul_i32_i24_e32 v104, v37, v169
	;; [unrolled: 1-line block ×3, first 2 shown]
	s_wait_loadcnt 0x9
	v_mul_i32_i24_e32 v83, v2, v152
	v_add3_u32 v68, v68, v106, v122
	v_mul_i32_i24_e32 v2, v2, v73
	scratch_load_b32 v73, off, off offset:1164 ; 4-byte Folded Reload
	v_mul_i32_i24_e32 v122, v6, v176
	v_mul_i32_i24_e32 v106, v39, v172
	v_add3_u32 v68, v68, v123, v124
	scratch_load_b32 v102, off, off offset:840 ; 4-byte Folded Reload
	v_mul_i32_i24_e32 v123, v40, v206
	v_mul_i32_i24_e32 v124, v41, v208
	v_add3_u32 v68, v68, v125, v126
	v_mul_i32_i24_e32 v126, v7, v216
	v_mul_i32_i24_e32 v125, v42, v209
	s_delay_alu instid0(VALU_DEP_3) | instskip(SKIP_2) | instid1(VALU_DEP_3)
	v_add3_u32 v68, v68, v127, v128
	v_mul_i32_i24_e32 v127, v65, v240
	v_mul_i32_i24_e32 v128, v15, v242
	v_mul_lo_u32 v68, v68, v199
	s_delay_alu instid0(VALU_DEP_1) | instskip(NEXT) | instid1(VALU_DEP_1)
	v_cvt_f32_i32_e32 v68, v68
	v_fma_mix_f32 v66, v1, v68, v66 op_sel_hi:[1,0,0]
	v_mul_i32_i24_e32 v68, v20, v120
	v_mul_i32_i24_e32 v20, v20, v71
	scratch_load_b32 v71, off, off offset:1060 ; 4-byte Folded Reload
	v_fma_f32 v66, v66, v203, -v67
	scratch_load_b32 v67, off, off offset:728 ; 4-byte Folded Reload
	s_wait_loadcnt 0x1
	v_mul_i32_i24_e32 v6, v6, v71
	s_wait_loadcnt 0x0
	v_add_f32_e32 v67, v67, v66
	v_mul_i32_i24_e32 v66, v17, v117
	v_mul_i32_i24_e32 v17, v17, v180
	scratch_load_b32 v180, off, off offset:1100 ; 4-byte Folded Reload
	scratch_store_b32 off, v67, off offset:728 ; 4-byte Folded Spill
	v_mul_i32_i24_e32 v67, v19, v118
	v_mad_i32_i24 v17, v18, v192, v17
	scratch_load_b32 v192, off, off offset:208 ; 4-byte Folded Reload
	v_mul_i32_i24_e32 v19, v19, v182
	v_mad_i32_i24 v66, v18, v119, v66
	v_mul_i32_i24_e32 v18, v21, v191
	s_delay_alu instid0(VALU_DEP_3) | instskip(NEXT) | instid1(VALU_DEP_3)
	v_add3_u32 v17, v17, v19, v20
	v_add3_u32 v66, v66, v67, v68
	v_mul_i32_i24_e32 v67, v21, v121
	v_mul_i32_i24_e32 v20, v23, v193
	;; [unrolled: 1-line block ×9, first 2 shown]
	scratch_load_b32 v75, off, off offset:568 ; 4-byte Folded Reload
	v_mul_i32_i24_e32 v30, v33, v95
	v_mul_i32_i24_e32 v32, v35, v100
	;; [unrolled: 1-line block ×4, first 2 shown]
	scratch_load_b32 v129, off, off offset:1200 th:TH_LOAD_LU ; 4-byte Folded Reload
	v_mul_i32_i24_e32 v35, v38, v108
	v_mul_i32_i24_e32 v38, v41, v73
	scratch_load_b32 v101, off, off offset:1092 ; 4-byte Folded Reload
	v_add3_u32 v66, v66, v67, v68
	s_clause 0x1
	scratch_load_b32 v108, off, off offset:196
	scratch_load_b32 v94, off, off offset:844
	v_mul_i32_i24_e32 v68, v16, v181
	scratch_load_b32 v95, off, off offset:848 ; 4-byte Folded Reload
	v_add3_u32 v66, v66, v78, v79
	v_mul_i32_i24_e32 v79, v8, v207
	s_clause 0x2
	scratch_load_b32 v76, off, off offset:200
	scratch_load_b32 v72, off, off offset:1112
	;; [unrolled: 1-line block ×3, first 2 shown]
	v_add3_u32 v66, v66, v80, v81
	v_mul_i32_i24_e32 v78, v44, v204
	v_mad_i32_i24 v68, v43, v205, v68
	v_mul_i32_i24_e32 v80, v47, v213
	v_mul_i32_i24_e32 v81, v9, v218
	v_add3_u32 v66, v66, v82, v83
	v_mul_i32_i24_e32 v82, v48, v219
	v_add3_u32 v68, v68, v78, v79
	v_mul_i32_i24_e32 v78, v45, v210
	v_mul_i32_i24_e32 v79, v46, v217
	v_add3_u32 v66, v66, v84, v85
	v_mul_i32_i24_e32 v83, v49, v220
	v_mul_i32_i24_e32 v84, v50, v221
	;; [unrolled: 1-line block ×3, first 2 shown]
	v_add3_u32 v68, v68, v78, v79
	v_add3_u32 v66, v66, v86, v87
	v_mul_i32_i24_e32 v86, v51, v223
	v_mul_i32_i24_e32 v87, v52, v225
	v_fma_mix_f32 v67, v173, v0, 0 op_sel:[0,1,0] op_sel_hi:[0,1,0]
	v_add3_u32 v68, v68, v80, v81
	v_add3_u32 v66, v66, v88, v89
	v_mul_i32_i24_e32 v89, v11, v226
	v_mul_i32_i24_e32 v11, v11, v142
	scratch_load_b32 v142, off, off offset:1120 ; 4-byte Folded Reload
	v_add3_u32 v68, v68, v82, v83
	v_add3_u32 v66, v66, v90, v92
	v_mul_i32_i24_e32 v88, v53, v224
	v_mul_i32_i24_e32 v90, v54, v227
	;; [unrolled: 1-line block ×3, first 2 shown]
	v_add3_u32 v68, v68, v84, v85
	v_add3_u32 v66, v66, v93, v96
	v_mul_i32_i24_e32 v96, v12, v230
	v_mul_i32_i24_e32 v93, v56, v228
	v_fma_mix_f32 v67, v244, v1, v67 op_sel:[0,1,0] op_sel_hi:[0,1,0]
	v_add3_u32 v68, v68, v86, v87
	v_add3_u32 v66, v66, v99, v103
	v_mul_i32_i24_e32 v99, v57, v231
	v_mul_i32_i24_e32 v103, v58, v233
	v_mul_f32_e32 v67, v67, v246
	v_add3_u32 v68, v68, v88, v89
	v_add3_u32 v66, v66, v104, v105
	v_mul_i32_i24_e32 v105, v13, v234
	v_mul_i32_i24_e32 v104, v59, v232
	s_delay_alu instid0(VALU_DEP_4) | instskip(NEXT) | instid1(VALU_DEP_4)
	v_add3_u32 v68, v68, v90, v92
	v_add3_u32 v66, v66, v106, v122
	v_mul_i32_i24_e32 v106, v60, v235
	v_mul_i32_i24_e32 v122, v61, v237
	s_delay_alu instid0(VALU_DEP_4) | instskip(NEXT) | instid1(VALU_DEP_4)
	v_add3_u32 v68, v68, v93, v96
	v_add3_u32 v66, v66, v123, v124
	v_mul_i32_i24_e32 v124, v14, v238
	v_mul_i32_i24_e32 v14, v14, v164
	scratch_load_b32 v164, off, off offset:1124 ; 4-byte Folded Reload
	v_add3_u32 v68, v68, v99, v103
	v_mul_i32_i24_e32 v123, v62, v236
	v_add3_u32 v66, v66, v125, v126
	v_mul_i32_i24_e32 v125, v63, v239
	v_mul_i32_i24_e32 v126, v64, v241
	v_add3_u32 v68, v68, v104, v105
	s_delay_alu instid0(VALU_DEP_4) | instskip(NEXT) | instid1(VALU_DEP_2)
	v_mul_lo_u32 v66, v66, v171
	v_add3_u32 v68, v68, v106, v122
	s_delay_alu instid0(VALU_DEP_1) | instskip(NEXT) | instid1(VALU_DEP_3)
	v_add3_u32 v68, v68, v123, v124
	v_cvt_f32_i32_e32 v66, v66
	s_delay_alu instid0(VALU_DEP_2) | instskip(NEXT) | instid1(VALU_DEP_2)
	v_add3_u32 v68, v68, v125, v126
	v_fma_mix_f32 v66, v0, v66, 0 op_sel_hi:[1,0,0]
	s_delay_alu instid0(VALU_DEP_2) | instskip(NEXT) | instid1(VALU_DEP_1)
	v_add3_u32 v68, v68, v127, v128
	v_mul_lo_u32 v68, v68, v243
	s_delay_alu instid0(VALU_DEP_1) | instskip(NEXT) | instid1(VALU_DEP_1)
	v_cvt_f32_i32_e32 v68, v68
	v_fma_mix_f32 v66, v1, v68, v66 op_sel_hi:[1,0,0]
	s_delay_alu instid0(VALU_DEP_1)
	v_fma_f32 v66, v66, v245, -v67
	scratch_load_b32 v67, off, off offset:724 ; 4-byte Folded Reload
	s_wait_loadcnt 0xc
	v_mul_i32_i24_e32 v19, v22, v192
	v_mul_i32_i24_e32 v22, v25, v195
	;; [unrolled: 1-line block ×5, first 2 shown]
	v_add3_u32 v17, v17, v18, v19
	s_clause 0x1
	scratch_load_b32 v98, off, off offset:1096
	scratch_load_b32 v74, off, off offset:1168
	v_mul_i32_i24_e32 v34, v37, v107
	scratch_load_b32 v107, off, off offset:832 ; 4-byte Folded Reload
	v_add3_u32 v17, v17, v20, v21
	scratch_load_b32 v91, off, off offset:1108 ; 4-byte Folded Reload
	v_mul_i32_i24_e32 v19, v53, v77
	v_mul_i32_i24_e32 v21, v55, v97
	v_add3_u32 v17, v17, v22, v23
	scratch_load_b32 v23, off, off offset:1172 ; 4-byte Folded Reload
	s_wait_loadcnt 0x10
	v_mul_i32_i24_e32 v7, v7, v75
	v_add3_u32 v2, v17, v24, v2
	scratch_load_b32 v24, off, off offset:656 ; 4-byte Folded Reload
	v_add3_u32 v2, v2, v25, v26
	s_clause 0x1
	scratch_load_b32 v25, off, off offset:652
	scratch_load_b32 v26, off, off offset:660
	v_add3_u32 v2, v2, v27, v3
	s_wait_loadcnt 0x12
	v_mul_i32_i24_e32 v3, v16, v129
	s_clause 0x1
	scratch_load_b32 v16, off, off offset:12
	scratch_load_b32 v27, off, off offset:672
	s_wait_loadcnt 0x10
	v_mul_i32_i24_e32 v10, v10, v95
	v_add3_u32 v2, v2, v28, v29
	scratch_load_b32 v28, off, off offset:668 ; 4-byte Folded Reload
	v_mad_i32_i24 v3, v43, v180, v3
	s_wait_loadcnt 0x10
	v_mul_i32_i24_e32 v17, v51, v76
	s_wait_loadcnt 0xf
	v_mul_i32_i24_e32 v20, v54, v72
	v_add3_u32 v2, v2, v30, v4
	v_mul_i32_i24_e32 v30, v64, v159
	scratch_load_b32 v159, off, off offset:1128 ; 4-byte Folded Reload
	v_mul_i32_i24_e32 v4, v44, v101
	v_add3_u32 v2, v2, v31, v32
	v_mul_i32_i24_e32 v31, v65, v141
	scratch_load_b32 v141, off, off offset:184 ; 4-byte Folded Reload
	v_add3_u32 v2, v2, v33, v5
	scratch_load_b32 v5, off, off offset:644 ; 4-byte Folded Reload
	v_add3_u32 v2, v2, v34, v35
	s_wait_loadcnt 0x10
	v_mul_i32_i24_e32 v22, v56, v142
	s_delay_alu instid0(VALU_DEP_2)
	v_add3_u32 v2, v2, v36, v6
	s_wait_loadcnt 0xf
	v_mul_i32_i24_e32 v29, v63, v164
	s_wait_loadcnt 0xe
	v_add_f32_e32 v67, v67, v66
	s_wait_loadcnt 0xd
	v_mul_i32_i24_e32 v37, v40, v98
	s_wait_loadcnt 0xc
	v_mul_i32_i24_e32 v39, v42, v74
	;; [unrolled: 2-line block ×3, first 2 shown]
	v_add3_u32 v2, v2, v37, v38
	s_wait_loadcnt 0xa
	v_mul_i32_i24_e32 v18, v52, v91
	s_delay_alu instid0(VALU_DEP_2)
	v_add3_u32 v2, v2, v39, v7
	s_wait_loadcnt 0x9
	v_mul_i32_i24_e32 v12, v12, v23
	scratch_load_b32 v23, off, off offset:648 ; 4-byte Folded Reload
	v_mul_i32_i24_e32 v7, v9, v102
	v_mul_i32_i24_e32 v9, v49, v94
	v_mul_lo_u32 v2, v2, v109
	scratch_load_b32 v109, off, off offset:836 ; 4-byte Folded Reload
	s_wait_loadcnt 0xa
	v_mul_i32_i24_e32 v24, v58, v24
	s_wait_loadcnt 0x9
	v_mul_i32_i24_e32 v25, v59, v25
	;; [unrolled: 2-line block ×3, first 2 shown]
	scratch_load_b32 v26, off, off offset:664 ; 4-byte Folded Reload
	v_cvt_f32_i32_e32 v2, v2
	s_wait_loadcnt 0x8
	v_mul_i32_i24_e32 v16, v50, v16
	s_wait_loadcnt 0x7
	v_mul_i32_i24_e32 v27, v61, v27
	v_fma_mix_f32 v2, v0, v2, 0 op_sel_hi:[1,0,0]
	v_fma_mix_f32 v0, v100, v0, 0 op_sel:[0,1,0] op_sel_hi:[0,1,0]
	s_wait_loadcnt 0x6
	v_mul_i32_i24_e32 v28, v62, v28
	s_delay_alu instid0(VALU_DEP_2)
	v_fma_mix_f32 v0, v160, v1, v0 op_sel:[0,1,0] op_sel_hi:[0,1,0]
	scratch_load_b32 v160, off, off offset:176 ; 4-byte Folded Reload
	s_wait_loadcnt 0x6
	v_mul_i32_i24_e32 v15, v15, v159
	s_wait_loadcnt 0x4
	v_mul_i32_i24_e32 v5, v8, v5
	scratch_load_b32 v8, off, off offset:8  ; 4-byte Folded Reload
	v_add3_u32 v3, v3, v4, v5
	v_mul_i32_i24_e32 v4, v45, v108
	s_wait_loadcnt 0x4
	v_mul_i32_i24_e32 v23, v57, v23
	s_wait_loadcnt 0x3
	v_mul_i32_i24_e32 v5, v46, v109
	s_delay_alu instid0(VALU_DEP_1) | instskip(SKIP_2) | instid1(VALU_DEP_2)
	v_add3_u32 v3, v3, v4, v5
	s_wait_loadcnt 0x2
	v_mul_i32_i24_e32 v26, v60, v26
	v_add3_u32 v3, v3, v6, v7
	s_wait_loadcnt 0x0
	v_mul_i32_i24_e32 v8, v48, v8
	s_delay_alu instid0(VALU_DEP_1) | instskip(NEXT) | instid1(VALU_DEP_1)
	v_add3_u32 v3, v3, v8, v9
	v_add3_u32 v3, v3, v16, v10
	s_delay_alu instid0(VALU_DEP_1) | instskip(NEXT) | instid1(VALU_DEP_1)
	v_add3_u32 v3, v3, v17, v18
	v_add3_u32 v3, v3, v19, v11
	;; [unrolled: 3-line block ×6, first 2 shown]
	s_delay_alu instid0(VALU_DEP_1) | instskip(NEXT) | instid1(VALU_DEP_1)
	v_mul_lo_u32 v3, v3, v141
	v_cvt_f32_i32_e32 v3, v3
	s_delay_alu instid0(VALU_DEP_1)
	v_fma_mix_f32 v2, v1, v3, v2 op_sel_hi:[1,0,0]
	scratch_load_b32 v1, off, off offset:4  ; 4-byte Folded Reload
	s_wait_loadcnt 0x0
	v_mul_f32_e32 v0, v0, v1
	scratch_load_b32 v1, off, off offset:720 ; 4-byte Folded Reload
	v_fma_f32 v0, v2, v160, -v0
	s_wait_loadcnt 0x0
	s_delay_alu instid0(VALU_DEP_1)
	v_add_f32_e32 v1, v1, v0
	scratch_load_b32 v0, off, off offset:1272 ; 4-byte Folded Reload
	s_clause 0x1
	scratch_store_b32 off, v67, off offset:724
	scratch_store_b32 off, v1, off offset:720
	s_wait_loadcnt 0x0
	v_or_b32_e32 v0, s10, v0
	s_delay_alu instid0(VALU_DEP_1)
	v_lshlrev_b32_e32 v12, 2, v0
	v_lshrrev_b32_e32 v16, 1, v0
	ds_load_b128 v[0:3], v12 offset:16896
	ds_load_b128 v[4:7], v12 offset:16912
	;; [unrolled: 1-line block ×4, first 2 shown]
	s_wait_dscnt 0x3
	v_bfe_i32 v63, v0, 0, 8
	v_bfe_i32 v50, v0, 8, 8
	v_bfe_i32 v64, v0, 16, 8
	v_ashrrev_i32_e32 v65, 24, v0
	v_bfe_i32 v51, v1, 0, 8
	v_bfe_i32 v52, v1, 8, 8
	v_bfe_i32 v53, v1, 16, 8
	v_ashrrev_i32_e32 v54, 24, v1
	;; [unrolled: 4-line block ×4, first 2 shown]
	s_wait_dscnt 0x2
	v_bfe_i32 v48, v4, 0, 8
	v_bfe_i32 v49, v4, 8, 8
	v_bfe_i32 v34, v4, 16, 8
	v_ashrrev_i32_e32 v35, 24, v4
	v_bfe_i32 v36, v5, 0, 8
	v_bfe_i32 v37, v5, 8, 8
	v_bfe_i32 v38, v5, 16, 8
	v_ashrrev_i32_e32 v39, 24, v5
	;; [unrolled: 4-line block ×4, first 2 shown]
	ds_load_b64 v[0:1], v16 offset:27200
	s_wait_dscnt 0x2
	v_bfe_i32 v31, v8, 0, 8
	v_bfe_i32 v16, v8, 8, 8
	v_bfe_i32 v32, v8, 16, 8
	v_ashrrev_i32_e32 v33, 24, v8
	v_bfe_i32 v17, v9, 0, 8
	v_bfe_i32 v18, v9, 8, 8
	v_bfe_i32 v19, v9, 16, 8
	v_ashrrev_i32_e32 v20, 24, v9
	;; [unrolled: 4-line block ×4, first 2 shown]
	s_wait_dscnt 0x1
	v_bfe_i32 v29, v12, 0, 8
	v_bfe_i32 v30, v12, 8, 8
	v_bfe_i32 v2, v12, 16, 8
	v_ashrrev_i32_e32 v66, 24, v12
	v_bfe_i32 v3, v13, 0, 8
	v_bfe_i32 v4, v13, 8, 8
	v_bfe_i32 v5, v13, 16, 8
	v_ashrrev_i32_e32 v6, 24, v13
	;; [unrolled: 4-line block ×4, first 2 shown]
	v_mul_i32_i24_e32 v15, v249, v63
	v_mul_i32_i24_e32 v67, v167, v64
	;; [unrolled: 1-line block ×3, first 2 shown]
	scratch_load_b32 v167, off, off offset:972 ; 4-byte Folded Reload
	v_mul_i32_i24_e32 v78, v165, v53
	v_mad_i32_i24 v15, v69, v50, v15
	scratch_load_b32 v165, off, off offset:960 ; 4-byte Folded Reload
	v_mul_i32_i24_e32 v104, v211, v40
	v_mul_i32_i24_e32 v124, v110, v45
	;; [unrolled: 1-line block ×3, first 2 shown]
	v_add3_u32 v15, v15, v67, v68
	v_mul_i32_i24_e32 v68, v166, v52
	scratch_load_b32 v166, off, off offset:968 ; 4-byte Folded Reload
	v_mov_b32_e32 v211, v110
	scratch_load_b32 v110, off, off offset:944 ; 4-byte Folded Reload
	v_mul_i32_i24_e32 v67, v153, v51
	v_mul_i32_i24_e32 v80, v133, v55
	;; [unrolled: 1-line block ×5, first 2 shown]
	v_add3_u32 v15, v15, v67, v68
	v_mul_i32_i24_e32 v87, v162, v62
	v_mul_i32_i24_e32 v88, v137, v48
	v_mul_i32_i24_e32 v89, v136, v49
	v_mul_i32_i24_e32 v90, v135, v34
	v_add3_u32 v15, v15, v78, v79
	v_mul_i32_i24_e32 v92, v134, v35
	v_mul_i32_i24_e32 v93, v148, v36
	v_mul_i32_i24_e32 v96, v144, v37
	v_mul_i32_i24_e32 v99, v143, v38
	;; [unrolled: 5-line block ×3, first 2 shown]
	s_clause 0x4
	scratch_load_b32 v67, off, off offset:408
	scratch_load_b32 v68, off, off offset:404
	;; [unrolled: 1-line block ×5, first 2 shown]
	v_mul_i32_i24_e32 v123, v250, v44
	s_clause 0x1
	scratch_load_b32 v80, off, off offset:976
	scratch_load_b32 v81, off, off offset:348
	v_mul_i32_i24_e32 v125, v248, v46
	v_mul_i32_i24_e32 v126, v247, v47
	;; [unrolled: 1-line block ×3, first 2 shown]
	v_dual_mov_b32 v148, v143 :: v_dual_mov_b32 v189, v214
	scratch_load_b32 v214, off, off offset:884 ; 4-byte Folded Reload
	v_mov_b32_e32 v162, v151
	v_mov_b32_e32 v250, v202
	s_clause 0x1
	scratch_load_b32 v131, off, off offset:520
	scratch_load_b32 v132, off, off offset:524
	v_dual_mov_b32 v163, v248 :: v_dual_mov_b32 v248, v114
	v_mov_b32_e32 v153, v130
	v_mov_b32_e32 v135, v184
	v_dual_mov_b32 v137, v169 :: v_dual_mov_b32 v136, v185
	v_mov_b32_e32 v249, v199
	s_wait_loadcnt 0xd
	v_mul_i32_i24_e32 v85, v167, v60
	s_wait_loadcnt 0xc
	v_mul_i32_i24_e32 v86, v165, v61
	;; [unrolled: 2-line block ×3, first 2 shown]
	s_delay_alu instid0(VALU_DEP_1)
	v_add3_u32 v15, v15, v82, v83
	s_clause 0x1
	scratch_load_b32 v82, off, off offset:356
	scratch_load_b32 v83, off, off offset:908
	v_add3_u32 v15, v15, v84, v85
	s_clause 0x1
	scratch_load_b32 v84, off, off offset:904
	scratch_load_b32 v85, off, off offset:352
	;; [unrolled: 4-line block ×4, first 2 shown]
	s_wait_loadcnt_dscnt 0x1100
	v_fma_mix_f32 v67, v67, v0, 0 op_sel:[0,1,0] op_sel_hi:[0,1,0]
	s_wait_loadcnt 0x10
	v_mul_i32_i24_e32 v68, v68, v31
	v_add3_u32 v15, v15, v90, v92
	s_wait_loadcnt 0xf
	v_mul_i32_i24_e32 v78, v78, v32
	s_wait_loadcnt 0xe
	v_mul_i32_i24_e32 v79, v79, v33
	s_clause 0x1
	scratch_load_b32 v90, off, off offset:916
	scratch_load_b32 v92, off, off offset:988
	v_add3_u32 v15, v15, v93, v96
	s_wait_loadcnt 0xf
	v_mad_i32_i24 v68, v168, v16, v68
	s_clause 0x1
	scratch_load_b32 v93, off, off offset:376
	scratch_load_b32 v96, off, off offset:372
	s_wait_loadcnt 0x10
	v_mul_i32_i24_e32 v80, v80, v19
	v_add3_u32 v15, v15, v99, v103
	v_add3_u32 v68, v68, v78, v79
	s_clause 0x3
	scratch_load_b32 v78, off, off offset:416
	scratch_load_b32 v79, off, off offset:96
	;; [unrolled: 1-line block ×4, first 2 shown]
	v_add3_u32 v15, v15, v104, v105
	s_clause 0x1
	scratch_load_b32 v104, off, off offset:924
	scratch_load_b32 v105, off, off offset:920
	s_wait_loadcnt 0x15
	v_mul_i32_i24_e32 v81, v81, v20
	v_mov_b32_e32 v187, v168
	v_add3_u32 v15, v15, v106, v122
	v_mul_i32_i24_e32 v122, v110, v8
	s_clause 0x1
	scratch_load_b32 v110, off, off offset:940
	scratch_load_b32 v106, off, off offset:380
	v_add3_u32 v15, v15, v123, v124
	s_delay_alu instid0(VALU_DEP_1)
	v_add3_u32 v15, v15, v125, v126
	v_mul_i32_i24_e32 v125, v197, v11
	v_mul_i32_i24_e32 v126, v188, v12
	scratch_load_b32 v197, off, off offset:860 ; 4-byte Folded Reload
	v_mov_b32_e32 v69, v247
	v_mul_lo_u32 v15, v15, v251
	v_mov_b32_e32 v247, v116
	v_mov_b32_e32 v251, v111
	s_delay_alu instid0(VALU_DEP_3) | instskip(NEXT) | instid1(VALU_DEP_1)
	v_cvt_f32_i32_e32 v15, v15
	v_fma_mix_f32 v15, v0, v15, 0 op_sel_hi:[1,0,0]
	s_wait_loadcnt 0x14
	v_mul_i32_i24_e32 v82, v82, v21
	s_wait_loadcnt 0x13
	v_mul_i32_i24_e32 v83, v83, v22
	;; [unrolled: 2-line block ×17, first 2 shown]
	v_add3_u32 v68, v68, v78, v79
	scratch_load_b32 v78, off, off offset:388 ; 4-byte Folded Reload
	s_wait_loadcnt 0x4
	v_mul_i32_i24_e32 v105, v105, v6
	v_mul_i32_i24_e32 v79, v54, v255
	s_wait_loadcnt 0x3
	v_mul_i32_i24_e32 v123, v110, v9
	scratch_load_b32 v110, off, off offset:936 ; 4-byte Folded Reload
	v_add3_u32 v68, v68, v80, v81
	s_wait_loadcnt 0x3
	v_mul_i32_i24_e32 v106, v106, v7
	v_mul_i32_i24_e32 v80, v55, v130
	scratch_load_b32 v130, off, off offset:556 ; 4-byte Folded Reload
	v_add3_u32 v68, v68, v82, v83
	s_delay_alu instid0(VALU_DEP_1) | instskip(SKIP_4) | instid1(VALU_DEP_2)
	v_add3_u32 v68, v68, v84, v85
	v_mul_i32_i24_e32 v85, v60, v186
	scratch_load_b32 v186, off, off offset:872 ; 4-byte Folded Reload
	v_add3_u32 v68, v68, v86, v87
	v_mul_i32_i24_e32 v87, v62, v201
	v_add3_u32 v68, v68, v88, v89
	v_mul_i32_i24_e32 v89, v49, v214
	s_delay_alu instid0(VALU_DEP_2) | instskip(NEXT) | instid1(VALU_DEP_1)
	v_add3_u32 v68, v68, v90, v92
	v_add3_u32 v68, v68, v93, v96
	s_delay_alu instid0(VALU_DEP_1) | instskip(NEXT) | instid1(VALU_DEP_1)
	v_add3_u32 v68, v68, v99, v103
	v_add3_u32 v68, v68, v104, v105
	s_delay_alu instid0(VALU_DEP_1)
	v_add3_u32 v68, v68, v106, v122
	v_mul_i32_i24_e32 v106, v42, v112
	v_mul_i32_i24_e32 v122, v43, v114
	s_clause 0x1
	scratch_load_b32 v112, off, off offset:532
	scratch_load_b32 v114, off, off offset:540
	s_wait_loadcnt 0x4
	v_mul_i32_i24_e32 v124, v110, v10
	scratch_load_b32 v110, off, off offset:384 ; 4-byte Folded Reload
	v_add3_u32 v68, v68, v123, v124
	s_delay_alu instid0(VALU_DEP_1)
	v_add3_u32 v68, v68, v125, v126
	v_mul_i32_i24_e32 v125, v46, v197
	s_wait_loadcnt 0x3
	v_mul_i32_i24_e32 v123, v44, v186
	s_wait_loadcnt 0x0
	v_mul_i32_i24_e32 v128, v110, v14
	scratch_load_b32 v110, off, off offset:528 ; 4-byte Folded Reload
	v_add3_u32 v68, v68, v127, v128
	v_mul_i32_i24_e32 v128, v14, v150
	s_delay_alu instid0(VALU_DEP_2) | instskip(SKIP_2) | instid1(VALU_DEP_3)
	v_mul_lo_u32 v68, v68, v78
	v_mul_i32_i24_e32 v78, v53, v254
	v_mov_b32_e32 v254, v113
	v_cvt_f32_i32_e32 v68, v68
	s_delay_alu instid0(VALU_DEP_1) | instskip(SKIP_4) | instid1(VALU_DEP_2)
	v_fma_mix_f32 v15, v1, v68, v15 op_sel_hi:[1,0,0]
	scratch_load_b32 v68, off, off offset:392 ; 4-byte Folded Reload
	s_wait_loadcnt 0x0
	v_fma_mix_f32 v67, v68, v1, v67 op_sel:[0,1,0] op_sel_hi:[0,1,0]
	v_mul_i32_i24_e32 v68, v65, v156
	v_mul_f32_e32 v67, v67, v198
	scratch_load_b32 v198, off, off offset:864 ; 4-byte Folded Reload
	v_fma_f32 v15, v15, v200, -v67
	scratch_load_b32 v67, off, off offset:716 ; 4-byte Folded Reload
	s_wait_loadcnt 0x1
	v_mul_i32_i24_e32 v126, v47, v198
	s_wait_loadcnt 0x0
	v_add_f32_e32 v67, v67, v15
	v_mul_i32_i24_e32 v15, v63, v155
	scratch_store_b32 off, v67, off offset:716 ; 4-byte Folded Spill
	v_mul_i32_i24_e32 v67, v64, v70
	scratch_load_b32 v70, off, off offset:240 ; 4-byte Folded Reload
	v_mad_i32_i24 v15, v50, v154, v15
	s_delay_alu instid0(VALU_DEP_1) | instskip(SKIP_3) | instid1(VALU_DEP_2)
	v_add3_u32 v15, v15, v67, v68
	v_mul_i32_i24_e32 v67, v51, v252
	v_mul_i32_i24_e32 v68, v52, v253
	v_dual_mov_b32 v252, v215 :: v_dual_mov_b32 v253, v115
	v_add3_u32 v15, v15, v67, v68
	v_mul_i32_i24_e32 v68, v31, v115
	v_fma_mix_f32 v67, v113, v0, 0 op_sel:[0,1,0] op_sel_hi:[0,1,0]
	s_clause 0x1
	scratch_load_b32 v113, off, off offset:536
	scratch_load_b32 v115, off, off offset:544
	v_add3_u32 v15, v15, v78, v79
	v_mul_i32_i24_e32 v78, v32, v116
	v_fma_mix_f32 v67, v202, v1, v67 op_sel:[0,1,0] op_sel_hi:[0,1,0]
	scratch_load_b32 v116, off, off offset:548 ; 4-byte Folded Reload
	v_mul_f32_e32 v67, v67, v111
	v_mov_b32_e32 v111, v71
	s_wait_loadcnt 0x3
	v_mul_i32_i24_e32 v81, v56, v70
	scratch_load_b32 v70, off, off offset:244 ; 4-byte Folded Reload
	v_add3_u32 v15, v15, v80, v81
	s_wait_loadcnt 0x0
	v_mul_i32_i24_e32 v82, v57, v70
	scratch_load_b32 v70, off, off offset:248 ; 4-byte Folded Reload
	s_wait_loadcnt 0x0
	v_mul_i32_i24_e32 v83, v58, v70
	scratch_load_b32 v70, off, off offset:856 ; 4-byte Folded Reload
	v_add3_u32 v15, v15, v82, v83
	s_wait_loadcnt 0x0
	v_mul_i32_i24_e32 v84, v59, v70
	scratch_load_b32 v70, off, off offset:60 ; 4-byte Folded Reload
	v_add3_u32 v15, v15, v84, v85
	;; [unrolled: 4-line block ×4, first 2 shown]
	s_wait_loadcnt 0x0
	v_mul_i32_i24_e32 v90, v34, v70
	scratch_load_b32 v70, off, off offset:284 ; 4-byte Folded Reload
	s_wait_loadcnt 0x0
	v_mul_i32_i24_e32 v92, v35, v70
	scratch_load_b32 v70, off, off offset:288 ; 4-byte Folded Reload
	v_add3_u32 v15, v15, v90, v92
	s_wait_loadcnt 0x0
	v_mul_i32_i24_e32 v93, v36, v70
	scratch_load_b32 v70, off, off offset:292 ; 4-byte Folded Reload
	s_wait_loadcnt 0x0
	v_mul_i32_i24_e32 v96, v37, v70
	scratch_load_b32 v70, off, off offset:296 ; 4-byte Folded Reload
	v_add3_u32 v15, v15, v93, v96
	;; [unrolled: 7-line block ×4, first 2 shown]
	s_delay_alu instid0(VALU_DEP_1) | instskip(SKIP_4) | instid1(VALU_DEP_1)
	v_add3_u32 v15, v15, v106, v122
	s_wait_loadcnt 0x0
	v_mul_i32_i24_e32 v124, v45, v70
	scratch_load_b32 v70, off, off offset:312 ; 4-byte Folded Reload
	v_add3_u32 v15, v15, v123, v124
	v_add3_u32 v15, v15, v125, v126
	s_delay_alu instid0(VALU_DEP_1) | instskip(NEXT) | instid1(VALU_DEP_1)
	v_mul_lo_u32 v15, v15, v215
	v_cvt_f32_i32_e32 v15, v15
	s_delay_alu instid0(VALU_DEP_1)
	v_fma_mix_f32 v15, v0, v15, 0 op_sel_hi:[1,0,0]
	s_wait_loadcnt 0x0
	v_mul_i32_i24_e32 v79, v33, v70
	scratch_load_b32 v70, off, off offset:992 ; 4-byte Folded Reload
	s_wait_loadcnt 0x0
	v_mad_i32_i24 v68, v16, v70, v68
	scratch_load_b32 v70, off, off offset:48 ; 4-byte Folded Reload
	v_add3_u32 v68, v68, v78, v79
	s_wait_loadcnt 0x0
	v_mul_i32_i24_e32 v78, v17, v70
	scratch_load_b32 v70, off, off offset:320 ; 4-byte Folded Reload
	s_wait_loadcnt 0x0
	v_mul_i32_i24_e32 v79, v18, v70
	scratch_load_b32 v70, off, off offset:316 ; 4-byte Folded Reload
	v_add3_u32 v68, v68, v78, v79
	v_mul_i32_i24_e32 v78, v53, v139
	v_mul_i32_i24_e32 v79, v54, v140
	v_dual_mov_b32 v140, v179 :: v_dual_mov_b32 v139, v175
	s_wait_loadcnt 0x0
	v_mul_i32_i24_e32 v80, v19, v70
	scratch_load_b32 v70, off, off offset:324 ; 4-byte Folded Reload
	s_wait_loadcnt 0x0
	v_mul_i32_i24_e32 v81, v20, v70
	scratch_load_b32 v70, off, off offset:868 ; 4-byte Folded Reload
	v_add3_u32 v68, v68, v80, v81
	v_mul_i32_i24_e32 v80, v55, v146
	v_mul_i32_i24_e32 v81, v56, v145
	s_wait_loadcnt 0x0
	v_mul_i32_i24_e32 v82, v21, v70
	scratch_load_b32 v70, off, off offset:252 ; 4-byte Folded Reload
	s_wait_loadcnt 0x0
	v_mul_i32_i24_e32 v83, v22, v70
	scratch_load_b32 v70, off, off offset:52 ; 4-byte Folded Reload
	v_add3_u32 v68, v68, v82, v83
	v_mul_i32_i24_e32 v82, v57, v190
	v_mul_i32_i24_e32 v83, v58, v152
	;; [unrolled: 9-line block ×5, first 2 shown]
	v_mul_i32_i24_e32 v48, v48, v131
	v_mul_i32_i24_e32 v49, v49, v132
	s_wait_loadcnt 0x0
	v_mul_i32_i24_e32 v90, v29, v70
	scratch_load_b32 v70, off, off offset:260 ; 4-byte Folded Reload
	s_wait_loadcnt 0x0
	v_mul_i32_i24_e32 v92, v30, v70
	scratch_load_b32 v70, off, off offset:256 ; 4-byte Folded Reload
	v_add3_u32 v68, v68, v90, v92
	v_mul_i32_i24_e32 v90, v34, v177
	v_mul_i32_i24_e32 v92, v35, v175
	;; [unrolled: 1-line block ×4, first 2 shown]
	s_wait_loadcnt 0x0
	v_mul_i32_i24_e32 v93, v2, v70
	scratch_load_b32 v70, off, off offset:272 ; 4-byte Folded Reload
	s_wait_loadcnt 0x0
	v_mul_i32_i24_e32 v96, v66, v70
	scratch_load_b32 v70, off, off offset:64 ; 4-byte Folded Reload
	v_add3_u32 v68, v68, v93, v96
	v_mul_i32_i24_e32 v93, v36, v179
	v_mul_i32_i24_e32 v36, v36, v113
	s_wait_loadcnt 0x0
	v_mul_i32_i24_e32 v99, v3, v70
	scratch_load_b32 v70, off, off offset:268 ; 4-byte Folded Reload
	s_wait_loadcnt 0x0
	v_mul_i32_i24_e32 v103, v4, v70
	scratch_load_b32 v70, off, off offset:264 ; 4-byte Folded Reload
	v_add3_u32 v68, v68, v99, v103
	v_mul_i32_i24_e32 v99, v38, v184
	v_mul_i32_i24_e32 v103, v39, v185
	;; [unrolled: 1-line block ×4, first 2 shown]
	s_wait_loadcnt 0x0
	v_mul_i32_i24_e32 v104, v5, v70
	scratch_load_b32 v70, off, off offset:876 ; 4-byte Folded Reload
	s_wait_loadcnt 0x0
	v_mul_i32_i24_e32 v105, v6, v70
	scratch_load_b32 v70, off, off offset:68 ; 4-byte Folded Reload
	v_add3_u32 v68, v68, v104, v105
	v_mul_i32_i24_e32 v104, v40, v169
	v_mul_i32_i24_e32 v105, v41, v170
	;; [unrolled: 1-line block ×3, first 2 shown]
	s_wait_loadcnt 0x0
	v_mul_i32_i24_e32 v106, v7, v70
	scratch_load_b32 v70, off, off offset:76 ; 4-byte Folded Reload
	s_wait_loadcnt 0x0
	v_mul_i32_i24_e32 v122, v8, v70
	scratch_load_b32 v70, off, off offset:72 ; 4-byte Folded Reload
	v_add3_u32 v68, v68, v106, v122
	v_mul_i32_i24_e32 v106, v42, v172
	v_mul_i32_i24_e32 v122, v43, v176
	;; [unrolled: 1-line block ×3, first 2 shown]
	scratch_load_b32 v71, off, off offset:812 ; 4-byte Folded Reload
	s_wait_loadcnt 0x1
	v_mul_i32_i24_e32 v123, v9, v70
	scratch_load_b32 v70, off, off offset:80 ; 4-byte Folded Reload
	s_wait_loadcnt 0x0
	v_mul_i32_i24_e32 v124, v10, v70
	scratch_load_b32 v70, off, off offset:84 ; 4-byte Folded Reload
	v_add3_u32 v68, v68, v123, v124
	v_mul_i32_i24_e32 v123, v44, v206
	v_mul_i32_i24_e32 v124, v45, v208
	;; [unrolled: 1-line block ×4, first 2 shown]
	v_mov_b32_e32 v206, v166
	s_wait_loadcnt 0x0
	v_mul_i32_i24_e32 v125, v11, v70
	scratch_load_b32 v70, off, off offset:92 ; 4-byte Folded Reload
	s_wait_loadcnt 0x0
	v_mul_i32_i24_e32 v126, v12, v70
	scratch_load_b32 v70, off, off offset:88 ; 4-byte Folded Reload
	v_add3_u32 v68, v68, v125, v126
	v_mul_i32_i24_e32 v125, v46, v209
	v_mul_i32_i24_e32 v126, v47, v216
	;; [unrolled: 1-line block ×4, first 2 shown]
	s_wait_loadcnt 0x0
	v_mul_i32_i24_e32 v127, v13, v70
	s_delay_alu instid0(VALU_DEP_1) | instskip(SKIP_3) | instid1(VALU_DEP_4)
	v_add3_u32 v68, v68, v127, v128
	v_mul_i32_i24_e32 v127, v13, v240
	v_mul_i32_i24_e32 v128, v14, v242
	;; [unrolled: 1-line block ×3, first 2 shown]
	v_mul_lo_u32 v68, v68, v199
	s_delay_alu instid0(VALU_DEP_1) | instskip(NEXT) | instid1(VALU_DEP_1)
	v_cvt_f32_i32_e32 v68, v68
	v_fma_mix_f32 v15, v1, v68, v15 op_sel_hi:[1,0,0]
	v_mul_i32_i24_e32 v68, v65, v120
	scratch_load_b32 v120, off, off offset:1208 th:TH_LOAD_LU ; 4-byte Folded Reload
	v_fma_f32 v15, v15, v203, -v67
	scratch_load_b32 v67, off, off offset:712 ; 4-byte Folded Reload
	s_wait_loadcnt 0x0
	v_add_f32_e32 v67, v67, v15
	v_mul_i32_i24_e32 v15, v63, v117
	scratch_store_b32 off, v67, off offset:712 ; 4-byte Folded Spill
	v_mul_i32_i24_e32 v67, v64, v118
	v_mad_i32_i24 v15, v50, v119, v15
	s_clause 0x1
	scratch_load_b32 v118, off, off offset:552
	scratch_load_b32 v119, off, off offset:1212 th:TH_LOAD_LU
	v_add3_u32 v15, v15, v67, v68
	v_mul_i32_i24_e32 v67, v51, v121
	v_mul_i32_i24_e32 v68, v52, v138
	v_mov_b32_e32 v138, v177
	v_mul_i32_i24_e32 v96, v37, v183
	scratch_load_b32 v121, off, off offset:564 ; 4-byte Folded Reload
	v_mul_i32_i24_e32 v37, v37, v114
	v_add3_u32 v15, v15, v67, v68
	v_mul_i32_i24_e32 v68, v31, v181
	v_fma_mix_f32 v67, v173, v0, 0 op_sel:[0,1,0] op_sel_hi:[0,1,0]
	v_mul_i32_i24_e32 v31, v31, v129
	v_mov_b32_e32 v134, v183
	v_add3_u32 v15, v15, v78, v79
	v_mul_i32_i24_e32 v78, v32, v204
	v_mul_i32_i24_e32 v79, v33, v207
	v_mad_i32_i24 v68, v16, v205, v68
	v_fma_mix_f32 v67, v244, v1, v67 op_sel:[0,1,0] op_sel_hi:[0,1,0]
	v_add3_u32 v15, v15, v80, v81
	v_mul_i32_i24_e32 v80, v19, v213
	v_mul_i32_i24_e32 v81, v20, v218
	v_add3_u32 v68, v68, v78, v79
	v_mul_i32_i24_e32 v78, v17, v210
	v_mul_i32_i24_e32 v79, v18, v217
	;; [unrolled: 3-line block ×3, first 2 shown]
	v_mul_f32_e32 v67, v67, v246
	v_add3_u32 v68, v68, v78, v79
	v_add3_u32 v15, v15, v84, v85
	v_mul_i32_i24_e32 v84, v23, v221
	v_mul_i32_i24_e32 v85, v24, v222
	;; [unrolled: 1-line block ×3, first 2 shown]
	v_add3_u32 v68, v68, v80, v81
	v_add3_u32 v15, v15, v86, v87
	v_mul_i32_i24_e32 v86, v25, v223
	v_mul_i32_i24_e32 v87, v26, v225
	v_mad_i32_i24 v16, v16, v180, v31
	v_add3_u32 v68, v68, v82, v83
	v_add3_u32 v15, v15, v88, v89
	v_mul_i32_i24_e32 v88, v27, v224
	v_mul_i32_i24_e32 v89, v28, v226
	scratch_load_b32 v31, off, off offset:8 ; 4-byte Folded Reload
	v_add3_u32 v68, v68, v84, v85
	v_add3_u32 v15, v15, v90, v92
	v_mul_i32_i24_e32 v90, v29, v227
	v_mul_i32_i24_e32 v92, v30, v229
	scratch_load_b32 v101, off, off offset:1216 th:TH_LOAD_LU ; 4-byte Folded Reload
	v_add3_u32 v68, v68, v86, v87
	v_add3_u32 v15, v15, v93, v96
	v_mul_i32_i24_e32 v93, v2, v228
	v_mul_i32_i24_e32 v96, v66, v230
	;; [unrolled: 1-line block ×3, first 2 shown]
	v_add3_u32 v68, v68, v88, v89
	v_add3_u32 v15, v15, v99, v103
	v_mul_i32_i24_e32 v99, v3, v231
	v_mul_i32_i24_e32 v103, v4, v233
	scratch_load_b32 v72, off, off offset:1172 th:TH_LOAD_LU ; 4-byte Folded Reload
	v_add3_u32 v68, v68, v90, v92
	v_add3_u32 v15, v15, v104, v105
	v_mul_i32_i24_e32 v104, v5, v232
	v_mul_i32_i24_e32 v105, v6, v234
	scratch_load_b32 v246, off, off offset:1204 th:TH_LOAD_LU ; 4-byte Folded Reload
	v_add3_u32 v68, v68, v93, v96
	v_add3_u32 v15, v15, v106, v122
	v_mul_i32_i24_e32 v106, v7, v235
	v_mul_i32_i24_e32 v122, v8, v237
	;; [unrolled: 1-line block ×3, first 2 shown]
	v_add3_u32 v68, v68, v99, v103
	v_add3_u32 v15, v15, v123, v124
	v_mul_i32_i24_e32 v123, v9, v236
	v_mul_i32_i24_e32 v124, v10, v238
	;; [unrolled: 1-line block ×3, first 2 shown]
	v_add3_u32 v68, v68, v104, v105
	v_add3_u32 v15, v15, v125, v126
	v_mul_i32_i24_e32 v125, v11, v239
	v_mul_i32_i24_e32 v126, v12, v241
	v_mov_b32_e32 v241, v240
	v_add3_u32 v68, v68, v106, v122
	v_mul_lo_u32 v15, v15, v171
	scratch_load_b32 v240, off, off offset:516 ; 4-byte Folded Reload
	v_mul_i32_i24_e32 v19, v19, v107
	v_mul_i32_i24_e32 v20, v20, v102
	v_add3_u32 v68, v68, v123, v124
	v_mul_i32_i24_e32 v22, v22, v94
	v_mul_i32_i24_e32 v24, v24, v95
	;; [unrolled: 1-line block ×3, first 2 shown]
	v_cvt_f32_i32_e32 v15, v15
	v_add3_u32 v68, v68, v125, v126
	v_mul_i32_i24_e32 v26, v26, v91
	v_mul_i32_i24_e32 v27, v27, v77
	;; [unrolled: 1-line block ×3, first 2 shown]
	v_fma_mix_f32 v15, v0, v15, 0 op_sel_hi:[1,0,0]
	v_add3_u32 v68, v68, v127, v128
	v_mul_i32_i24_e32 v2, v2, v142
	v_mul_i32_i24_e32 v11, v11, v164
	;; [unrolled: 1-line block ×3, first 2 shown]
	v_mov_b32_e32 v204, v165
	v_mul_lo_u32 v68, v68, v243
	v_mov_b32_e32 v207, v167
	v_mov_b32_e32 v183, v198
	s_delay_alu instid0(VALU_DEP_3) | instskip(NEXT) | instid1(VALU_DEP_1)
	v_cvt_f32_i32_e32 v68, v68
	v_fma_mix_f32 v15, v1, v68, v15 op_sel_hi:[1,0,0]
	s_delay_alu instid0(VALU_DEP_1)
	v_fma_f32 v15, v15, v245, -v67
	scratch_load_b32 v67, off, off offset:708 ; 4-byte Folded Reload
	s_wait_loadcnt 0x8
	v_mul_i32_i24_e32 v40, v40, v118
	s_wait_loadcnt 0x7
	v_mul_i32_i24_e32 v13, v13, v119
	;; [unrolled: 2-line block ×4, first 2 shown]
	scratch_load_b32 v31, off, off offset:12 ; 4-byte Folded Reload
	s_wait_loadcnt 0x5
	v_mul_i32_i24_e32 v28, v28, v101
	s_wait_loadcnt 0x3
	v_mul_i32_i24_e32 v10, v10, v246
	s_wait_loadcnt 0x1
	v_add_f32_e32 v67, v67, v15
	scratch_load_b32 v15, off, off offset:424 ; 4-byte Folded Reload
	s_wait_loadcnt 0x1
	v_mul_i32_i24_e32 v23, v23, v31
	v_mul_i32_i24_e32 v31, v66, v72
	s_wait_loadcnt 0x0
	v_mul_i32_i24_e32 v15, v63, v15
	v_mul_i32_i24_e32 v63, v64, v182
	;; [unrolled: 1-line block ×3, first 2 shown]
	scratch_load_b32 v65, off, off offset:16 ; 4-byte Folded Reload
	v_mov_b32_e32 v182, v197
	s_wait_loadcnt 0x0
	v_mad_i32_i24 v15, v50, v65, v15
	v_mul_i32_i24_e32 v50, v51, v191
	v_mul_i32_i24_e32 v51, v52, v192
	v_mul_i32_i24_e32 v52, v53, v193
	v_mul_i32_i24_e32 v53, v54, v194
	v_mul_i32_i24_e32 v54, v55, v195
	v_mul_i32_i24_e32 v55, v56, v196
	scratch_load_b32 v56, off, off offset:20 ; 4-byte Folded Reload
	v_add3_u32 v15, v15, v63, v64
	v_mov_b32_e32 v192, v98
	scratch_load_b32 v98, off, off offset:560 ; 4-byte Folded Reload
	v_mov_b32_e32 v195, v186
	v_add3_u32 v15, v15, v50, v51
	s_delay_alu instid0(VALU_DEP_1) | instskip(NEXT) | instid1(VALU_DEP_1)
	v_add3_u32 v15, v15, v52, v53
	v_add3_u32 v15, v15, v54, v55
	s_wait_loadcnt 0x1
	v_mul_i32_i24_e32 v56, v57, v56
	scratch_load_b32 v57, off, off offset:24 ; 4-byte Folded Reload
	s_wait_loadcnt 0x0
	v_mul_i32_i24_e32 v57, v58, v57
	scratch_load_b32 v58, off, off offset:28 ; 4-byte Folded Reload
	v_add3_u32 v15, v15, v56, v57
	s_wait_loadcnt 0x0
	v_mul_i32_i24_e32 v58, v59, v58
	scratch_load_b32 v59, off, off offset:32 ; 4-byte Folded Reload
	s_wait_loadcnt 0x0
	v_mul_i32_i24_e32 v59, v60, v59
	scratch_load_b32 v60, off, off offset:36 ; 4-byte Folded Reload
	v_add3_u32 v15, v15, v58, v59
	s_wait_loadcnt 0x0
	v_mul_i32_i24_e32 v60, v61, v60
	scratch_load_b32 v61, off, off offset:40 ; 4-byte Folded Reload
	s_wait_loadcnt 0x0
	v_mul_i32_i24_e32 v61, v62, v61
	s_delay_alu instid0(VALU_DEP_1) | instskip(NEXT) | instid1(VALU_DEP_1)
	v_add3_u32 v15, v15, v60, v61
	v_add3_u32 v15, v15, v48, v49
	s_delay_alu instid0(VALU_DEP_1) | instskip(SKIP_2) | instid1(VALU_DEP_1)
	v_add3_u32 v15, v15, v34, v35
	scratch_load_b32 v34, off, off offset:644 ; 4-byte Folded Reload
	v_add3_u32 v15, v15, v36, v37
	v_add3_u32 v15, v15, v38, v39
	s_delay_alu instid0(VALU_DEP_1) | instskip(NEXT) | instid1(VALU_DEP_1)
	v_add3_u32 v15, v15, v40, v41
	v_add3_u32 v15, v15, v42, v43
	s_delay_alu instid0(VALU_DEP_1) | instskip(NEXT) | instid1(VALU_DEP_1)
	;; [unrolled: 3-line block ×3, first 2 shown]
	v_mul_lo_u32 v15, v15, v98
	v_cvt_f32_i32_e32 v15, v15
	s_delay_alu instid0(VALU_DEP_1) | instskip(SKIP_1) | instid1(VALU_DEP_1)
	v_fma_mix_f32 v15, v0, v15, 0 op_sel_hi:[1,0,0]
	v_fma_mix_f32 v0, v100, v0, 0 op_sel:[0,1,0] op_sel_hi:[0,1,0]
	v_fma_mix_f32 v0, v71, v1, v0 op_sel:[0,1,0] op_sel_hi:[0,1,0]
	s_wait_loadcnt 0x0
	v_mul_i32_i24_e32 v33, v33, v34
	s_delay_alu instid0(VALU_DEP_1) | instskip(SKIP_2) | instid1(VALU_DEP_1)
	v_add3_u32 v16, v16, v32, v33
	scratch_load_b32 v32, off, off offset:648 ; 4-byte Folded Reload
	v_add3_u32 v16, v16, v17, v18
	v_add3_u32 v16, v16, v19, v20
	s_delay_alu instid0(VALU_DEP_1) | instskip(NEXT) | instid1(VALU_DEP_1)
	v_add3_u32 v16, v16, v21, v22
	v_add3_u32 v16, v16, v23, v24
	s_delay_alu instid0(VALU_DEP_1) | instskip(NEXT) | instid1(VALU_DEP_1)
	;; [unrolled: 3-line block ×3, first 2 shown]
	v_add3_u32 v16, v16, v29, v30
	v_add3_u32 v2, v16, v2, v31
	s_wait_loadcnt 0x0
	v_mul_i32_i24_e32 v3, v3, v32
	scratch_load_b32 v32, off, off offset:656 ; 4-byte Folded Reload
	s_wait_loadcnt 0x0
	v_mul_i32_i24_e32 v4, v4, v32
	scratch_load_b32 v32, off, off offset:652 ; 4-byte Folded Reload
	v_add3_u32 v2, v2, v3, v4
	s_wait_loadcnt 0x0
	v_mul_i32_i24_e32 v5, v5, v32
	scratch_load_b32 v32, off, off offset:660 ; 4-byte Folded Reload
	s_wait_loadcnt 0x0
	v_mul_i32_i24_e32 v6, v6, v32
	scratch_load_b32 v32, off, off offset:664 ; 4-byte Folded Reload
	;; [unrolled: 7-line block ×3, first 2 shown]
	v_add3_u32 v2, v2, v7, v8
	s_wait_loadcnt 0x0
	v_mul_i32_i24_e32 v9, v9, v32
	s_delay_alu instid0(VALU_DEP_1) | instskip(NEXT) | instid1(VALU_DEP_1)
	v_add3_u32 v2, v2, v9, v10
	v_add3_u32 v2, v2, v11, v12
	s_delay_alu instid0(VALU_DEP_1) | instskip(NEXT) | instid1(VALU_DEP_1)
	v_add3_u32 v2, v2, v13, v14
	v_mul_lo_u32 v2, v2, v141
	s_delay_alu instid0(VALU_DEP_1) | instskip(NEXT) | instid1(VALU_DEP_1)
	v_cvt_f32_i32_e32 v2, v2
	v_fma_mix_f32 v2, v1, v2, v15 op_sel_hi:[1,0,0]
	scratch_load_b32 v1, off, off offset:4  ; 4-byte Folded Reload
	s_wait_loadcnt 0x0
	v_mul_f32_e32 v0, v0, v1
	scratch_load_b32 v1, off, off offset:704 ; 4-byte Folded Reload
	scratch_store_b32 off, v189, off offset:1180 ; 4-byte Folded Spill
	v_fma_f32 v0, v2, v160, -v0
	s_wait_loadcnt 0x0
	s_delay_alu instid0(VALU_DEP_1)
	v_add_f32_e32 v1, v1, v0
	scratch_load_b32 v0, off, off offset:1276 ; 4-byte Folded Reload
	s_clause 0x1
	scratch_store_b32 off, v67, off offset:708
	scratch_store_b32 off, v1, off offset:704
	s_wait_loadcnt 0x0
	v_or_b32_e32 v0, s10, v0
	s_delay_alu instid0(VALU_DEP_1)
	v_lshlrev_b32_e32 v1, 2, v0
	v_lshrrev_b32_e32 v4, 1, v0
	ds_load_b128 v[20:23], v1 offset:16896
	ds_load_b128 v[33:36], v1 offset:16912
	;; [unrolled: 1-line block ×4, first 2 shown]
	s_clause 0xf
	scratch_load_b32 v76, off, off offset:1024
	scratch_load_b32 v143, off, off offset:1188
	;; [unrolled: 1-line block ×4, first 2 shown]
	scratch_load_b32 v255, off, off offset:988 th:TH_LOAD_LU
	scratch_load_b32 v177, off, off offset:1176
	scratch_load_b32 v191, off, off offset:1184
	scratch_load_b32 v178, off, off offset:992 th:TH_LOAD_LU
	scratch_load_b32 v155, off, off offset:900
	scratch_load_b32 v133, off, off offset:888
	;; [unrolled: 1-line block ×8, first 2 shown]
	s_wait_dscnt 0x3
	v_bfe_i32 v11, v22, 0, 8
	v_bfe_i32 v12, v22, 8, 8
	;; [unrolled: 1-line block ×3, first 2 shown]
	v_ashrrev_i32_e32 v14, 24, v22
	s_wait_dscnt 0x2
	v_bfe_i32 v22, v33, 0, 8
	v_bfe_i32 v7, v21, 0, 8
	;; [unrolled: 1-line block ×4, first 2 shown]
	v_ashrrev_i32_e32 v10, 24, v21
	v_bfe_i32 v15, v23, 0, 8
	v_bfe_i32 v16, v23, 8, 8
	;; [unrolled: 1-line block ×3, first 2 shown]
	v_ashrrev_i32_e32 v21, 24, v23
	v_bfe_i32 v23, v33, 8, 8
	v_bfe_i32 v24, v33, 16, 8
	v_ashrrev_i32_e32 v25, 24, v33
	v_bfe_i32 v26, v34, 0, 8
	v_bfe_i32 v27, v34, 8, 8
	s_clause 0x8
	scratch_load_b32 v150, off, off offset:1196
	scratch_load_b32 v205, off, off offset:964
	;; [unrolled: 1-line block ×9, first 2 shown]
	v_bfe_i32 v31, v35, 8, 8
	s_clause 0x7
	scratch_load_b32 v208, off, off offset:412
	scratch_load_b32 v188, off, off offset:400
	;; [unrolled: 1-line block ×6, first 2 shown]
	scratch_load_b32 v179, off, off offset:428 th:TH_LOAD_LU
	scratch_load_b32 v190, off, off offset:408
	v_mul_i32_i24_e32 v105, v189, v31
	s_clause 0x18
	scratch_load_b32 v189, off, off offset:404
	scratch_load_b32 v181, off, off offset:396
	;; [unrolled: 1-line block ×25, first 2 shown]
	v_bfe_i32 v28, v34, 16, 8
	v_ashrrev_i32_e32 v29, 24, v34
	v_bfe_i32 v38, v36, 16, 8
	v_ashrrev_i32_e32 v33, 24, v35
	v_bfe_i32 v30, v35, 0, 8
	v_mul_i32_i24_e32 v99, v148, v28
	scratch_load_b32 v148, off, off offset:360 ; 4-byte Folded Reload
	v_mul_i32_i24_e32 v103, v149, v29
	scratch_load_b32 v149, off, off offset:372 ; 4-byte Folded Reload
	;; [unrolled: 2-line block ×4, first 2 shown]
	v_bfe_i32 v18, v20, 0, 8
	s_clause 0x1
	scratch_load_b32 v168, off, off offset:380
	scratch_load_b32 v167, off, off offset:944
	v_bfe_i32 v6, v20, 8, 8
	v_bfe_i32 v19, v20, 16, 8
	v_ashrrev_i32_e32 v20, 24, v20
	s_clause 0x1
	scratch_load_b32 v166, off, off offset:940
	scratch_load_b32 v165, off, off offset:936
	v_bfe_i32 v32, v35, 16, 8
	v_bfe_i32 v34, v36, 0, 8
	;; [unrolled: 1-line block ×3, first 2 shown]
	v_ashrrev_i32_e32 v39, 24, v36
	s_wait_dscnt 0x1
	v_bfe_i32 v36, v50, 0, 8
	v_bfe_i32 v37, v50, 8, 8
	;; [unrolled: 1-line block ×3, first 2 shown]
	v_ashrrev_i32_e32 v41, 24, v50
	v_bfe_i32 v42, v51, 0, 8
	v_bfe_i32 v43, v51, 8, 8
	;; [unrolled: 1-line block ×3, first 2 shown]
	v_ashrrev_i32_e32 v45, 24, v51
	v_bfe_i32 v46, v52, 0, 8
	v_bfe_i32 v47, v52, 8, 8
	v_mul_i32_i24_e32 v83, v206, v14
	v_bfe_i32 v48, v52, 16, 8
	v_ashrrev_i32_e32 v49, 24, v52
	v_mul_i32_i24_e32 v85, v207, v16
	v_bfe_i32 v50, v53, 0, 8
	v_bfe_i32 v51, v53, 8, 8
	v_mul_i32_i24_e32 v86, v204, v17
	v_bfe_i32 v52, v53, 16, 8
	v_ashrrev_i32_e32 v53, 24, v53
	s_wait_dscnt 0x0
	v_bfe_i32 v54, v0, 0, 8
	v_bfe_i32 v55, v0, 8, 8
	;; [unrolled: 1-line block ×3, first 2 shown]
	v_ashrrev_i32_e32 v0, 24, v0
	v_bfe_i32 v57, v1, 0, 8
	v_bfe_i32 v58, v1, 8, 8
	;; [unrolled: 1-line block ×3, first 2 shown]
	v_ashrrev_i32_e32 v1, 24, v1
	v_bfe_i32 v60, v2, 0, 8
	v_bfe_i32 v61, v2, 8, 8
	v_mul_i32_i24_e32 v106, v212, v32
	v_bfe_i32 v62, v2, 16, 8
	v_ashrrev_i32_e32 v2, 24, v2
	v_mul_i32_i24_e32 v124, v211, v35
	v_bfe_i32 v63, v3, 0, 8
	v_bfe_i32 v64, v3, 8, 8
	v_mul_i32_i24_e32 v126, v69, v39
	ds_load_b64 v[4:5], v4 offset:27200
	v_bfe_i32 v65, v3, 16, 8
	v_ashrrev_i32_e32 v3, 24, v3
	s_clause 0x1d
	scratch_load_b32 v69, off, off offset:588
	scratch_load_b32 v217, off, off offset:288
	;; [unrolled: 1-line block ×30, first 2 shown]
	s_wait_loadcnt 0x3e
	v_mul_i32_i24_e32 v80, v76, v11
	scratch_load_b32 v76, off, off offset:1016 ; 4-byte Folded Reload
	v_mul_i32_i24_e32 v78, v143, v9
	v_mul_i32_i24_e32 v79, v144, v10
	;; [unrolled: 1-line block ×5, first 2 shown]
	s_delay_alu instid0(VALU_DEP_2) | instskip(SKIP_1) | instid1(VALU_DEP_1)
	v_mad_i32_i24 v66, v133, v6, v66
	v_mul_i32_i24_e32 v68, v150, v20
	v_add3_u32 v66, v66, v67, v68
	v_mul_i32_i24_e32 v67, v205, v7
	v_mul_i32_i24_e32 v68, v70, v8
	;; [unrolled: 1-line block ×4, first 2 shown]
	s_delay_alu instid0(VALU_DEP_3)
	v_add3_u32 v66, v66, v67, v68
	scratch_load_b32 v67, off, off offset:420 ; 4-byte Folded Reload
	v_add3_u32 v66, v66, v78, v79
	v_mul_i32_i24_e32 v78, v188, v40
	v_mul_i32_i24_e32 v68, v189, v36
	s_wait_loadcnt 0x3e
	v_mul_i32_i24_e32 v79, v181, v41
	s_delay_alu instid0(VALU_DEP_2) | instskip(SKIP_2) | instid1(VALU_DEP_2)
	v_mad_i32_i24 v68, v187, v37, v68
	s_wait_loadcnt 0x3b
	v_mul_i32_i24_e32 v128, v169, v3
	v_add3_u32 v68, v68, v78, v79
	v_mul_i32_i24_e32 v78, v210, v42
	s_wait_loadcnt 0x37
	v_mul_i32_i24_e32 v79, v201, v43
	s_delay_alu instid0(VALU_DEP_1)
	v_add3_u32 v68, v68, v78, v79
	s_wait_loadcnt 0x1f
	v_mul_i32_i24_e32 v78, v9, v69
	scratch_load_b32 v69, off, off offset:592 ; 4-byte Folded Reload
	s_wait_loadcnt 0x2
	v_mul_i32_i24_e32 v81, v76, v12
	scratch_load_b32 v76, off, off offset:1020 ; 4-byte Folded Reload
	v_add3_u32 v66, v66, v80, v81
	v_mul_i32_i24_e32 v80, v209, v44
	v_mul_i32_i24_e32 v81, v200, v45
	s_delay_alu instid0(VALU_DEP_1)
	v_add3_u32 v68, v68, v80, v81
	v_mul_i32_i24_e32 v80, v11, v153
	scratch_load_b32 v153, off, off offset:240 ; 4-byte Folded Reload
	s_wait_loadcnt 0x2
	v_mul_i32_i24_e32 v79, v10, v69
	scratch_load_b32 v69, off, off offset:248 ; 4-byte Folded Reload
	s_wait_loadcnt 0x2
	v_mul_i32_i24_e32 v82, v76, v13
	scratch_load_b32 v76, off, off offset:1040 ; 4-byte Folded Reload
	v_add3_u32 v66, v66, v82, v83
	v_mul_i32_i24_e32 v82, v158, v46
	v_mul_i32_i24_e32 v83, v157, v47
	s_delay_alu instid0(VALU_DEP_3) | instskip(SKIP_2) | instid1(VALU_DEP_4)
	v_add3_u32 v66, v66, v84, v85
	v_mul_i32_i24_e32 v84, v146, v48
	v_mul_i32_i24_e32 v85, v145, v49
	v_add3_u32 v68, v68, v82, v83
	s_wait_loadcnt 0x2
	v_mul_i32_i24_e32 v81, v12, v153
	v_add3_u32 v66, v66, v86, v87
	v_mul_i32_i24_e32 v86, v160, v50
	v_mul_i32_i24_e32 v87, v159, v51
	v_add3_u32 v68, v68, v84, v85
	v_mul_i32_i24_e32 v84, v15, v176
	v_mul_i32_i24_e32 v85, v16, v191
	s_delay_alu instid0(VALU_DEP_3)
	v_add3_u32 v68, v68, v86, v87
	v_mul_i32_i24_e32 v86, v17, v211
	v_mul_i32_i24_e32 v87, v21, v212
	s_wait_loadcnt 0x1
	v_mul_i32_i24_e32 v83, v14, v69
	s_wait_loadcnt 0x0
	v_mul_i32_i24_e32 v88, v76, v22
	scratch_load_b32 v76, off, off offset:1036 ; 4-byte Folded Reload
	s_wait_loadcnt 0x0
	v_mul_i32_i24_e32 v89, v76, v23
	scratch_load_b32 v76, off, off offset:1032 ; 4-byte Folded Reload
	v_add3_u32 v66, v66, v88, v89
	v_mul_i32_i24_e32 v88, v148, v52
	v_mul_i32_i24_e32 v89, v147, v53
	s_delay_alu instid0(VALU_DEP_1)
	v_add3_u32 v68, v68, v88, v89
	v_mul_i32_i24_e32 v88, v22, v213
	v_mul_i32_i24_e32 v89, v23, v214
	s_wait_loadcnt 0x0
	v_mul_i32_i24_e32 v90, v76, v24
	scratch_load_b32 v76, off, off offset:1028 ; 4-byte Folded Reload
	s_wait_loadcnt 0x0
	v_mul_i32_i24_e32 v92, v76, v25
	scratch_load_b32 v76, off, off offset:192 ; 4-byte Folded Reload
	v_add3_u32 v66, v66, v90, v92
	v_mul_i32_i24_e32 v90, v156, v54
	v_mul_i32_i24_e32 v92, v255, v55
	s_delay_alu instid0(VALU_DEP_1)
	v_add3_u32 v68, v68, v90, v92
	v_mul_i32_i24_e32 v90, v24, v215
	v_mul_i32_i24_e32 v92, v25, v216
	s_wait_loadcnt 0x0
	v_mul_i32_i24_e32 v93, v76, v26
	scratch_load_b32 v76, off, off offset:188 ; 4-byte Folded Reload
	s_wait_loadcnt 0x0
	v_mul_i32_i24_e32 v96, v76, v27
	scratch_load_b32 v76, off, off offset:828 ; 4-byte Folded Reload
	v_add3_u32 v66, v66, v93, v96
	v_mul_i32_i24_e32 v93, v152, v56
	v_mul_i32_i24_e32 v96, v149, v0
	s_delay_alu instid0(VALU_DEP_3) | instskip(SKIP_2) | instid1(VALU_DEP_4)
	v_add3_u32 v66, v66, v99, v103
	v_mul_i32_i24_e32 v99, v164, v57
	v_mul_i32_i24_e32 v103, v163, v58
	v_add3_u32 v68, v68, v93, v96
	v_mul_i32_i24_e32 v93, v26, v217
	v_mul_i32_i24_e32 v96, v27, v218
	s_delay_alu instid0(VALU_DEP_3)
	v_add3_u32 v68, v68, v99, v103
	v_mul_i32_i24_e32 v99, v28, v219
	v_mul_i32_i24_e32 v103, v29, v220
	s_wait_loadcnt 0x0
	v_mul_i32_i24_e32 v104, v76, v30
	scratch_load_b32 v76, off, off offset:984 ; 4-byte Folded Reload
	v_add3_u32 v66, v66, v104, v105
	v_mul_i32_i24_e32 v104, v162, v59
	v_mul_i32_i24_e32 v105, v161, v1
	s_delay_alu instid0(VALU_DEP_3) | instskip(SKIP_2) | instid1(VALU_DEP_4)
	v_add3_u32 v66, v66, v106, v122
	v_mul_i32_i24_e32 v106, v168, v60
	v_mul_i32_i24_e32 v122, v167, v61
	v_add3_u32 v68, v68, v104, v105
	v_mul_i32_i24_e32 v104, v30, v221
	v_mul_i32_i24_e32 v105, v31, v222
	s_delay_alu instid0(VALU_DEP_3)
	v_add3_u32 v68, v68, v106, v122
	v_mul_i32_i24_e32 v122, v33, v248
	scratch_load_b32 v248, off, off offset:1044 th:TH_LOAD_LU ; 4-byte Folded Reload
	s_wait_loadcnt 0x1
	v_mul_i32_i24_e32 v123, v76, v34
	scratch_load_b32 v76, off, off offset:624 ; 4-byte Folded Reload
	v_add3_u32 v66, v66, v123, v124
	v_mul_i32_i24_e32 v123, v166, v62
	v_mul_i32_i24_e32 v124, v165, v2
	s_delay_alu instid0(VALU_DEP_3) | instskip(SKIP_2) | instid1(VALU_DEP_4)
	v_add3_u32 v66, v66, v125, v126
	v_mul_i32_i24_e32 v125, v172, v63
	v_mul_i32_i24_e32 v126, v171, v64
	v_add3_u32 v68, v68, v123, v124
	v_mul_i32_i24_e32 v123, v34, v195
	v_mul_lo_u32 v66, v66, v67
	s_wait_dscnt 0x0
	v_fma_mix_f32 v67, v190, v4, 0 op_sel:[0,1,0] op_sel_hi:[0,1,0]
	v_mul_i32_i24_e32 v124, v35, v179
	v_add3_u32 v68, v68, v125, v126
	v_mul_i32_i24_e32 v125, v38, v182
	v_mul_i32_i24_e32 v126, v39, v183
	v_fma_mix_f32 v67, v175, v5, v67 op_sel:[0,1,0] op_sel_hi:[0,1,0]
	s_delay_alu instid0(VALU_DEP_4) | instskip(SKIP_2) | instid1(VALU_DEP_4)
	v_add3_u32 v68, v68, v127, v128
	v_cvt_f32_i32_e32 v66, v66
	v_mul_i32_i24_e32 v127, v65, v237
	v_mul_f32_e32 v67, v67, v177
	s_delay_alu instid0(VALU_DEP_4) | instskip(NEXT) | instid1(VALU_DEP_4)
	v_mul_lo_u32 v68, v68, v180
	v_fma_mix_f32 v66, v4, v66, 0 op_sel_hi:[1,0,0]
	s_delay_alu instid0(VALU_DEP_2) | instskip(NEXT) | instid1(VALU_DEP_1)
	v_cvt_f32_i32_e32 v68, v68
	v_fma_mix_f32 v66, v5, v68, v66 op_sel_hi:[1,0,0]
	scratch_load_b32 v68, off, off offset:580 ; 4-byte Folded Reload
	v_fma_f32 v66, v66, v173, -v67
	scratch_load_b32 v67, off, off offset:700 ; 4-byte Folded Reload
	s_wait_loadcnt 0x2
	v_mul_i32_i24_e32 v106, v32, v76
	scratch_load_b32 v76, off, off offset:148 ; 4-byte Folded Reload
	s_wait_loadcnt 0x2
	v_mul_i32_i24_e32 v68, v20, v68
	s_wait_loadcnt 0x1
	v_add_f32_e32 v67, v67, v66
	scratch_load_b32 v66, off, off offset:572 ; 4-byte Folded Reload
	scratch_store_b32 off, v67, off offset:700 ; 4-byte Folded Spill
	scratch_load_b32 v67, off, off offset:576 ; 4-byte Folded Reload
	s_wait_loadcnt 0x2
	v_mul_i32_i24_e32 v128, v3, v76
	scratch_load_b32 v76, off, off offset:620 ; 4-byte Folded Reload
	s_wait_loadcnt 0x2
	v_mul_i32_i24_e32 v66, v18, v66
	s_wait_loadcnt 0x1
	v_mul_i32_i24_e32 v67, v19, v67
	s_delay_alu instid0(VALU_DEP_2)
	v_mad_i32_i24 v66, v6, v154, v66
	scratch_load_b32 v154, off, off offset:244 ; 4-byte Folded Reload
	v_add3_u32 v66, v66, v67, v68
	s_clause 0x1
	scratch_load_b32 v67, off, off offset:596
	scratch_load_b32 v68, off, off offset:584
	s_wait_loadcnt 0x2
	v_mul_i32_i24_e32 v82, v13, v154
	s_wait_loadcnt 0x1
	v_mul_i32_i24_e32 v67, v7, v67
	s_wait_loadcnt 0x0
	v_mul_i32_i24_e32 v68, v8, v68
	s_delay_alu instid0(VALU_DEP_1)
	v_add3_u32 v66, v66, v67, v68
	v_mul_i32_i24_e32 v68, v36, v253
	v_fma_mix_f32 v67, v254, v4, 0 op_sel:[0,1,0] op_sel_hi:[0,1,0]
	s_clause 0x1
	scratch_load_b32 v253, off, off offset:1000 th:TH_LOAD_LU
	scratch_load_b32 v254, off, off offset:1056 th:TH_LOAD_LU
	v_add3_u32 v66, v66, v78, v79
	v_mul_i32_i24_e32 v78, v40, v247
	v_mul_i32_i24_e32 v79, v41, v223
	v_mad_i32_i24 v68, v37, v178, v68
	v_fma_mix_f32 v67, v250, v5, v67 op_sel:[0,1,0] op_sel_hi:[0,1,0]
	v_add3_u32 v66, v66, v80, v81
	v_mul_i32_i24_e32 v80, v44, v224
	v_mul_i32_i24_e32 v81, v45, v226
	v_add3_u32 v68, v68, v78, v79
	v_mul_i32_i24_e32 v78, v42, v197
	v_mul_i32_i24_e32 v79, v43, v225
	;; [unrolled: 3-line block ×3, first 2 shown]
	v_mul_f32_e32 v67, v67, v251
	v_add3_u32 v68, v68, v78, v79
	v_add3_u32 v66, v66, v84, v85
	v_mul_i32_i24_e32 v84, v48, v198
	v_mul_i32_i24_e32 v85, v49, v227
	scratch_load_b32 v247, off, off offset:232 ; 4-byte Folded Reload
	v_add3_u32 v68, v68, v80, v81
	v_mul_i32_i24_e32 v81, v12, v76
	scratch_load_b32 v76, off, off offset:600 ; 4-byte Folded Reload
	v_add3_u32 v66, v66, v86, v87
	v_mul_i32_i24_e32 v86, v50, v228
	v_add3_u32 v68, v68, v82, v83
	v_mul_i32_i24_e32 v87, v51, v199
	scratch_load_b32 v250, off, off offset:1048 th:TH_LOAD_LU ; 4-byte Folded Reload
	v_add3_u32 v66, v66, v88, v89
	v_mul_i32_i24_e32 v88, v52, v186
	v_add3_u32 v68, v68, v84, v85
	v_mul_i32_i24_e32 v89, v53, v229
	scratch_load_b32 v251, off, off offset:996 th:TH_LOAD_LU ; 4-byte Folded Reload
	v_add3_u32 v66, v66, v90, v92
	v_mul_i32_i24_e32 v90, v54, v230
	v_add3_u32 v68, v68, v86, v87
	v_mul_i32_i24_e32 v92, v55, v194
	v_mul_i32_i24_e32 v12, v12, v142
	v_add3_u32 v66, v66, v93, v96
	v_mul_i32_i24_e32 v93, v56, v193
	v_add3_u32 v68, v68, v88, v89
	v_mul_i32_i24_e32 v96, v0, v202
	s_delay_alu instid0(VALU_DEP_4) | instskip(SKIP_1) | instid1(VALU_DEP_4)
	v_add3_u32 v66, v66, v99, v103
	v_mul_i32_i24_e32 v99, v57, v231
	v_add3_u32 v68, v68, v90, v92
	v_mul_i32_i24_e32 v103, v58, v196
	v_mul_i32_i24_e32 v90, v24, v138
	v_add3_u32 v66, v66, v104, v105
	v_mul_i32_i24_e32 v104, v59, v174
	v_add3_u32 v68, v68, v93, v96
	v_mul_i32_i24_e32 v105, v1, v203
	v_mul_i32_i24_e32 v92, v25, v139
	;; [unrolled: 5-line block ×5, first 2 shown]
	v_mul_lo_u32 v66, v66, v252
	scratch_load_b32 v252, off, off offset:1052 th:TH_LOAD_LU ; 4-byte Folded Reload
	v_add3_u32 v68, v68, v123, v124
	v_mul_i32_i24_e32 v103, v29, v136
	v_mul_i32_i24_e32 v104, v30, v137
	s_clause 0x1
	scratch_load_b32 v139, off, off offset:424 th:TH_LOAD_LU
	scratch_load_b32 v134, off, off offset:16
	v_add3_u32 v68, v68, v125, v126
	v_cvt_f32_i32_e32 v66, v66
	s_clause 0x2
	scratch_load_b32 v135, off, off offset:204
	scratch_load_b32 v136, off, off offset:208
	;; [unrolled: 1-line block ×3, first 2 shown]
	v_add3_u32 v68, v68, v127, v128
	v_fma_mix_f32 v66, v4, v66, 0 op_sel_hi:[1,0,0]
	v_mul_i32_i24_e32 v127, v65, v241
	v_mul_i32_i24_e32 v128, v3, v242
	scratch_load_b32 v138, off, off offset:216 ; 4-byte Folded Reload
	v_mul_lo_u32 v68, v68, v249
	s_clause 0x3
	scratch_load_b32 v249, off, off offset:236
	scratch_load_b32 v140, off, off offset:220
	scratch_load_b32 v241, off, off offset:24
	scratch_load_b32 v242, off, off offset:28
	v_cvt_f32_i32_e32 v68, v68
	s_delay_alu instid0(VALU_DEP_1)
	v_fma_mix_f32 v66, v5, v68, v66 op_sel_hi:[1,0,0]
	scratch_load_b32 v68, off, off offset:172 ; 4-byte Folded Reload
	s_wait_loadcnt 0x11
	v_mul_i32_i24_e32 v79, v10, v253
	s_wait_loadcnt 0x10
	v_mul_i32_i24_e32 v80, v11, v254
	;; [unrolled: 2-line block ×3, first 2 shown]
	scratch_load_b32 v76, off, off offset:604 ; 4-byte Folded Reload
	s_wait_loadcnt 0xc
	v_mul_i32_i24_e32 v78, v9, v252
	s_wait_loadcnt 0x7
	v_mul_i32_i24_e32 v9, v9, v137
	;; [unrolled: 2-line block ×4, first 2 shown]
	s_wait_loadcnt 0x1
	v_fma_f32 v66, v66, v68, -v67
	scratch_load_b32 v67, off, off offset:696 ; 4-byte Folded Reload
	v_mul_i32_i24_e32 v68, v20, v249
	v_mul_i32_i24_e32 v20, v20, v240
	scratch_load_b32 v240, off, off offset:20 ; 4-byte Folded Reload
	s_wait_loadcnt 0x2
	v_mul_i32_i24_e32 v83, v14, v76
	scratch_load_b32 v76, off, off offset:508 ; 4-byte Folded Reload
	v_mul_i32_i24_e32 v14, v14, v241
	s_wait_loadcnt 0x2
	v_add_f32_e32 v67, v67, v66
	v_mul_i32_i24_e32 v66, v18, v117
	v_mul_i32_i24_e32 v18, v18, v139
	s_wait_loadcnt 0x1
	v_mul_i32_i24_e32 v13, v13, v240
	scratch_store_b32 off, v67, off offset:696 ; 4-byte Folded Spill
	v_mul_i32_i24_e32 v67, v19, v247
	v_mad_i32_i24 v66, v6, v248, v66
	v_mul_i32_i24_e32 v19, v19, v141
	v_mad_i32_i24 v6, v6, v134, v18
	s_delay_alu instid0(VALU_DEP_3) | instskip(SKIP_2) | instid1(VALU_DEP_4)
	v_add3_u32 v66, v66, v67, v68
	v_mul_i32_i24_e32 v67, v7, v250
	v_mul_i32_i24_e32 v68, v8, v251
	v_add3_u32 v6, v6, v19, v20
	v_mul_i32_i24_e32 v7, v7, v135
	v_mul_i32_i24_e32 v8, v8, v136
	;; [unrolled: 1-line block ×3, first 2 shown]
	v_add3_u32 v66, v66, v67, v68
	s_clause 0x1
	scratch_load_b32 v67, off, off offset:152
	scratch_load_b32 v68, off, off offset:512
	v_add3_u32 v6, v6, v7, v8
	v_mul_i32_i24_e32 v20, v23, v132
	v_add3_u32 v66, v66, v78, v79
	s_clause 0x1
	scratch_load_b32 v131, off, off offset:1092 th:TH_LOAD_LU
	scratch_load_b32 v132, off, off offset:644 th:TH_LOAD_LU
	v_add3_u32 v6, v6, v9, v10
	v_add3_u32 v66, v66, v80, v81
	s_delay_alu instid0(VALU_DEP_2) | instskip(SKIP_1) | instid1(VALU_DEP_3)
	v_add3_u32 v6, v6, v11, v12
	v_mul_i32_i24_e32 v12, v46, v77
	v_add3_u32 v66, v66, v82, v83
	s_delay_alu instid0(VALU_DEP_3)
	v_add3_u32 v6, v6, v13, v14
	v_mul_i32_i24_e32 v13, v47, v94
	v_mul_i32_i24_e32 v14, v48, v91
	s_wait_loadcnt 0x4
	v_mul_i32_i24_e32 v84, v15, v76
	scratch_load_b32 v76, off, off offset:608 ; 4-byte Folded Reload
	v_mul_i32_i24_e32 v15, v15, v242
	s_wait_loadcnt 0x3
	v_mul_i32_i24_e32 v68, v36, v68
	s_wait_loadcnt 0x2
	;; [unrolled: 2-line block ×4, first 2 shown]
	v_mul_i32_i24_e32 v85, v16, v76
	scratch_load_b32 v76, off, off offset:612 ; 4-byte Folded Reload
	v_add3_u32 v66, v66, v84, v85
	s_wait_loadcnt 0x0
	v_mul_i32_i24_e32 v86, v17, v76
	scratch_load_b32 v76, off, off offset:616 ; 4-byte Folded Reload
	s_wait_loadcnt 0x0
	v_mul_i32_i24_e32 v87, v21, v76
	scratch_load_b32 v76, off, off offset:432 ; 4-byte Folded Reload
	v_add3_u32 v66, v66, v86, v87
	s_wait_loadcnt 0x0
	v_mul_i32_i24_e32 v88, v22, v76
	scratch_load_b32 v76, off, off offset:640 ; 4-byte Folded Reload
	v_mul_i32_i24_e32 v22, v25, v112
	v_mul_i32_i24_e32 v25, v28, v115
	;; [unrolled: 1-line block ×3, first 2 shown]
	v_mov_b32_e32 v130, v129
	s_clause 0x2
	scratch_load_b32 v129, off, off offset:1100 th:TH_LOAD_LU
	scratch_load_b32 v112, off, off offset:656 th:TH_LOAD_LU
	;; [unrolled: 1-line block ×3, first 2 shown]
	v_mul_i32_i24_e32 v7, v36, v130
	s_wait_loadcnt 0x3
	v_mul_i32_i24_e32 v89, v23, v76
	scratch_load_b32 v76, off, off offset:628 ; 4-byte Folded Reload
	v_mul_i32_i24_e32 v23, v26, v113
	v_mul_i32_i24_e32 v26, v29, v116
	;; [unrolled: 1-line block ×3, first 2 shown]
	v_add3_u32 v66, v66, v88, v89
	s_clause 0x1
	scratch_load_b32 v113, off, off offset:660 th:TH_LOAD_LU
	scratch_load_b32 v116, off, off offset:672 th:TH_LOAD_LU
	s_wait_loadcnt 0x5
	v_mad_i32_i24 v7, v37, v129, v7
	scratch_load_b32 v121, off, off offset:1128 th:TH_LOAD_LU ; 4-byte Folded Reload
	v_add3_u32 v66, v66, v90, v92
	v_add3_u32 v7, v7, v8, v9
	s_delay_alu instid0(VALU_DEP_2) | instskip(NEXT) | instid1(VALU_DEP_1)
	v_add3_u32 v66, v66, v93, v96
	v_add3_u32 v66, v66, v99, v103
	s_wait_loadcnt 0x3
	v_mul_i32_i24_e32 v105, v31, v76
	scratch_load_b32 v76, off, off offset:632 ; 4-byte Folded Reload
	v_mul_i32_i24_e32 v31, v34, v192
	scratch_load_b32 v192, off, off offset:4 ; 4-byte Folded Reload
	v_add3_u32 v66, v66, v104, v105
	s_wait_loadcnt 0x2
	v_mul_i32_i24_e32 v3, v3, v121
	s_wait_loadcnt 0x1
	v_mul_i32_i24_e32 v106, v32, v76
	scratch_load_b32 v76, off, off offset:636 ; 4-byte Folded Reload
	v_mul_i32_i24_e32 v32, v35, v73
	v_mov_b32_e32 v73, v108
	scratch_load_b32 v108, off, off offset:1116 th:TH_LOAD_LU ; 4-byte Folded Reload
	v_mul_i32_i24_e32 v8, v42, v73
	s_wait_loadcnt 0x1
	v_mul_i32_i24_e32 v122, v33, v76
	scratch_load_b32 v76, off, off offset:160 ; 4-byte Folded Reload
	v_add3_u32 v66, v66, v106, v122
	s_wait_loadcnt 0x0
	v_mul_i32_i24_e32 v123, v34, v76
	scratch_load_b32 v76, off, off offset:104 ; 4-byte Folded Reload
	v_mul_i32_i24_e32 v34, v39, v75
	v_mov_b32_e32 v75, v109
	v_mov_b32_e32 v109, v72
	scratch_load_b32 v72, off, off offset:184 ; 4-byte Folded Reload
	v_mul_i32_i24_e32 v9, v43, v75
	s_delay_alu instid0(VALU_DEP_1)
	v_add3_u32 v7, v7, v8, v9
	s_wait_loadcnt 0x1
	v_mul_i32_i24_e32 v124, v35, v76
	scratch_load_b32 v76, off, off offset:108 ; 4-byte Folded Reload
	v_add3_u32 v66, v66, v123, v124
	s_wait_loadcnt 0x0
	v_mul_i32_i24_e32 v125, v38, v76
	scratch_load_b32 v76, off, off offset:120 ; 4-byte Folded Reload
	s_wait_loadcnt 0x0
	v_mul_i32_i24_e32 v126, v39, v76
	scratch_load_b32 v76, off, off offset:156 ; 4-byte Folded Reload
	v_add3_u32 v66, v66, v125, v126
	s_delay_alu instid0(VALU_DEP_1) | instskip(SKIP_2) | instid1(VALU_DEP_1)
	v_mul_lo_u32 v66, v66, v67
	scratch_load_b32 v67, off, off offset:164 ; 4-byte Folded Reload
	v_cvt_f32_i32_e32 v66, v66
	v_fma_mix_f32 v66, v4, v66, 0 op_sel_hi:[1,0,0]
	s_wait_loadcnt 0x1
	v_mul_i32_i24_e32 v78, v40, v76
	scratch_load_b32 v76, off, off offset:100 ; 4-byte Folded Reload
	s_wait_loadcnt 0x1
	v_fma_mix_f32 v67, v67, v4, 0 op_sel:[0,1,0] op_sel_hi:[0,1,0]
	s_delay_alu instid0(VALU_DEP_1)
	v_fma_mix_f32 v67, v244, v5, v67 op_sel:[0,1,0] op_sel_hi:[0,1,0]
	scratch_load_b32 v244, off, off offset:36 ; 4-byte Folded Reload
	s_wait_loadcnt 0x1
	v_mul_i32_i24_e32 v79, v41, v76
	scratch_load_b32 v76, off, off offset:168 ; 4-byte Folded Reload
	s_wait_loadcnt 0x1
	v_mul_i32_i24_e32 v17, v17, v244
	s_wait_loadcnt 0x0
	v_mad_i32_i24 v68, v37, v76, v68
	scratch_load_b32 v76, off, off offset:112 ; 4-byte Folded Reload
	v_add3_u32 v68, v68, v78, v79
	s_wait_loadcnt 0x0
	v_mul_i32_i24_e32 v78, v42, v76
	scratch_load_b32 v76, off, off offset:124 ; 4-byte Folded Reload
	s_wait_loadcnt 0x0
	v_mul_i32_i24_e32 v79, v43, v76
	scratch_load_b32 v76, off, off offset:116 ; 4-byte Folded Reload
	v_add3_u32 v68, v68, v78, v79
	s_wait_loadcnt 0x0
	v_mul_i32_i24_e32 v80, v44, v76
	scratch_load_b32 v76, off, off offset:128 ; 4-byte Folded Reload
	s_wait_loadcnt 0x0
	v_mul_i32_i24_e32 v81, v45, v76
	;; [unrolled: 7-line block ×8, first 2 shown]
	scratch_load_b32 v76, off, off offset:468 ; 4-byte Folded Reload
	v_mul_i32_i24_e32 v0, v0, v109
	v_add3_u32 v68, v68, v93, v96
	s_wait_loadcnt 0x0
	v_mul_i32_i24_e32 v99, v57, v76
	scratch_load_b32 v76, off, off offset:476 ; 4-byte Folded Reload
	s_wait_loadcnt 0x0
	v_mul_i32_i24_e32 v103, v58, v76
	scratch_load_b32 v76, off, off offset:472 ; 4-byte Folded Reload
	v_add3_u32 v68, v68, v99, v103
	s_wait_loadcnt 0x0
	v_mul_i32_i24_e32 v104, v59, v76
	scratch_load_b32 v76, off, off offset:480 ; 4-byte Folded Reload
	s_wait_loadcnt 0x0
	v_mul_i32_i24_e32 v105, v1, v76
	scratch_load_b32 v76, off, off offset:484 ; 4-byte Folded Reload
	v_mul_i32_i24_e32 v1, v1, v113
	v_add3_u32 v68, v68, v104, v105
	s_wait_loadcnt 0x0
	v_mul_i32_i24_e32 v106, v60, v76
	scratch_load_b32 v76, off, off offset:492 ; 4-byte Folded Reload
	s_wait_loadcnt 0x0
	v_mul_i32_i24_e32 v122, v61, v76
	scratch_load_b32 v76, off, off offset:488 ; 4-byte Folded Reload
	v_add3_u32 v68, v68, v106, v122
	s_wait_loadcnt 0x0
	v_mul_i32_i24_e32 v123, v62, v76
	scratch_load_b32 v76, off, off offset:496 ; 4-byte Folded Reload
	s_wait_loadcnt 0x0
	v_mul_i32_i24_e32 v124, v2, v76
	scratch_load_b32 v76, off, off offset:500 ; 4-byte Folded Reload
	v_mul_i32_i24_e32 v2, v2, v246
	v_add3_u32 v68, v68, v123, v124
	s_wait_loadcnt 0x0
	v_mul_i32_i24_e32 v125, v63, v76
	scratch_load_b32 v76, off, off offset:504 ; 4-byte Folded Reload
	s_wait_loadcnt 0x0
	v_mul_i32_i24_e32 v126, v64, v76
	v_mov_b32_e32 v76, v102
	scratch_load_b32 v102, off, off offset:1112 th:TH_LOAD_LU ; 4-byte Folded Reload
	v_add3_u32 v68, v68, v125, v126
	v_mul_i32_i24_e32 v11, v45, v76
	s_delay_alu instid0(VALU_DEP_2) | instskip(NEXT) | instid1(VALU_DEP_1)
	v_add3_u32 v68, v68, v127, v128
	v_mul_lo_u32 v68, v68, v243
	scratch_load_b32 v243, off, off offset:32 ; 4-byte Folded Reload
	v_cvt_f32_i32_e32 v68, v68
	s_delay_alu instid0(VALU_DEP_1) | instskip(SKIP_3) | instid1(VALU_DEP_1)
	v_fma_mix_f32 v66, v5, v68, v66 op_sel_hi:[1,0,0]
	scratch_load_b32 v68, off, off offset:180 ; 4-byte Folded Reload
	s_wait_loadcnt 0x1
	v_mul_i32_i24_e32 v16, v16, v243
	v_add3_u32 v6, v6, v15, v16
	v_mul_i32_i24_e32 v15, v49, v95
	v_mul_i32_i24_e32 v16, v50, v97
	s_wait_loadcnt 0x0
	v_mul_f32_e32 v67, v67, v68
	s_delay_alu instid0(VALU_DEP_1)
	v_fma_f32 v66, v66, v245, -v67
	s_clause 0x1
	scratch_load_b32 v67, off, off offset:692
	scratch_load_b32 v245, off, off offset:40
	s_wait_loadcnt 0x1
	v_add_f32_e32 v67, v67, v66
	s_wait_loadcnt 0x0
	v_mul_i32_i24_e32 v18, v21, v245
	v_mul_i32_i24_e32 v21, v24, v110
	v_mul_i32_i24_e32 v24, v27, v114
	v_mul_i32_i24_e32 v27, v30, v118
	v_mul_i32_i24_e32 v30, v33, v111
	v_add3_u32 v6, v6, v17, v18
	v_mul_i32_i24_e32 v33, v38, v74
	v_mov_b32_e32 v74, v107
	s_clause 0x1
	scratch_load_b32 v107, off, off offset:1120 th:TH_LOAD_LU
	scratch_load_b32 v110, off, off offset:648 th:TH_LOAD_LU
	v_add3_u32 v6, v6, v19, v20
	s_clause 0x1
	scratch_load_b32 v111, off, off offset:652 th:TH_LOAD_LU
	scratch_load_b32 v114, off, off offset:664 th:TH_LOAD_LU
	v_mul_i32_i24_e32 v10, v44, v74
	v_mul_i32_i24_e32 v19, v53, v101
	v_add3_u32 v6, v6, v21, v22
	scratch_load_b32 v118, off, off offset:1124 th:TH_LOAD_LU ; 4-byte Folded Reload
	v_mul_i32_i24_e32 v20, v54, v102
	v_add3_u32 v7, v7, v10, v11
	v_mul_i32_i24_e32 v21, v55, v108
	v_add3_u32 v6, v6, v23, v24
	v_mul_i32_i24_e32 v24, v58, v112
	s_delay_alu instid0(VALU_DEP_4) | instskip(NEXT) | instid1(VALU_DEP_3)
	v_add3_u32 v7, v7, v12, v13
	v_add3_u32 v6, v6, v25, v26
	s_delay_alu instid0(VALU_DEP_2) | instskip(NEXT) | instid1(VALU_DEP_2)
	v_add3_u32 v7, v7, v14, v15
	v_add3_u32 v6, v6, v27, v28
	v_mul_i32_i24_e32 v27, v61, v116
	v_mul_i32_i24_e32 v28, v62, v115
	s_delay_alu instid0(VALU_DEP_3) | instskip(SKIP_1) | instid1(VALU_DEP_2)
	v_add3_u32 v6, v6, v29, v30
	v_mul_i32_i24_e32 v30, v64, v120
	v_add3_u32 v6, v6, v31, v32
	v_mul_i32_i24_e32 v31, v65, v119
	s_delay_alu instid0(VALU_DEP_2) | instskip(NEXT) | instid1(VALU_DEP_1)
	v_add3_u32 v6, v6, v33, v34
	v_mul_lo_u32 v6, v6, v98
	scratch_load_b32 v98, off, off offset:1104 th:TH_LOAD_LU ; 4-byte Folded Reload
	v_cvt_f32_i32_e32 v6, v6
	s_delay_alu instid0(VALU_DEP_1)
	v_fma_mix_f32 v6, v4, v6, 0 op_sel_hi:[1,0,0]
	v_fma_mix_f32 v4, v100, v4, 0 op_sel:[0,1,0] op_sel_hi:[0,1,0]
	scratch_load_b32 v100, off, off offset:1108 th:TH_LOAD_LU ; 4-byte Folded Reload
	s_wait_loadcnt 0x6
	v_mul_i32_i24_e32 v22, v56, v107
	s_wait_loadcnt 0x5
	v_mul_i32_i24_e32 v23, v57, v110
	;; [unrolled: 2-line block ×7, first 2 shown]
	s_delay_alu instid0(VALU_DEP_1) | instskip(NEXT) | instid1(VALU_DEP_1)
	v_add3_u32 v7, v7, v16, v17
	v_add3_u32 v7, v7, v18, v19
	s_delay_alu instid0(VALU_DEP_1) | instskip(NEXT) | instid1(VALU_DEP_1)
	v_add3_u32 v7, v7, v20, v21
	v_add3_u32 v0, v7, v22, v0
	;; [unrolled: 3-line block ×3, first 2 shown]
	v_fma_mix_f32 v1, v71, v5, v4 op_sel:[0,1,0] op_sel_hi:[0,1,0]
	s_delay_alu instid0(VALU_DEP_2) | instskip(NEXT) | instid1(VALU_DEP_2)
	v_add3_u32 v0, v0, v26, v27
	v_mul_f32_e32 v1, v1, v192
	s_delay_alu instid0(VALU_DEP_2) | instskip(SKIP_2) | instid1(VALU_DEP_1)
	v_add3_u32 v0, v0, v28, v2
	scratch_load_b32 v2, off, off offset:176 ; 4-byte Folded Reload
	v_add3_u32 v0, v0, v29, v30
	v_add3_u32 v0, v0, v31, v3
	s_delay_alu instid0(VALU_DEP_1) | instskip(NEXT) | instid1(VALU_DEP_1)
	v_mul_lo_u32 v0, v0, v72
	v_cvt_f32_i32_e32 v0, v0
	s_delay_alu instid0(VALU_DEP_1) | instskip(SKIP_1) | instid1(VALU_DEP_1)
	v_fma_mix_f32 v0, v5, v0, v6 op_sel_hi:[1,0,0]
	s_wait_loadcnt 0x0
	v_fma_f32 v0, v0, v2, -v1
	scratch_load_b32 v1, off, off offset:688 ; 4-byte Folded Reload
	s_wait_loadcnt 0x0
	v_add_f32_e32 v1, v1, v0
	scratch_load_b32 v0, off, off offset:1280 ; 4-byte Folded Reload
	s_clause 0x1
	scratch_store_b32 off, v67, off offset:692
	scratch_store_b32 off, v1, off offset:688
	s_wait_loadcnt 0x0
	v_or_b32_e32 v0, s10, v0
	s_delay_alu instid0(VALU_DEP_1)
	v_lshlrev_b32_e32 v1, 2, v0
	v_lshrrev_b32_e32 v4, 1, v0
	ds_load_b128 v[20:23], v1 offset:16896
	ds_load_b128 v[34:37], v1 offset:16912
	;; [unrolled: 1-line block ×4, first 2 shown]
	s_clause 0x6
	scratch_load_b32 v93, off, off offset:192
	scratch_load_b32 v103, off, off offset:816
	;; [unrolled: 1-line block ×7, first 2 shown]
	ds_load_b64 v[4:5], v4 offset:27200
	s_wait_dscnt 0x4
	v_bfe_i32 v18, v20, 0, 8
	v_bfe_i32 v6, v20, 8, 8
	;; [unrolled: 1-line block ×3, first 2 shown]
	v_ashrrev_i32_e32 v20, 24, v20
	v_bfe_i32 v8, v21, 8, 8
	v_mul_i32_i24_e32 v66, v155, v18
	scratch_load_b32 v155, off, off offset:1016 th:TH_LOAD_LU ; 4-byte Folded Reload
	v_mul_i32_i24_e32 v67, v151, v19
	v_mul_i32_i24_e32 v68, v150, v20
	scratch_load_b32 v151, off, off offset:1020 th:TH_LOAD_LU ; 4-byte Folded Reload
	v_mad_i32_i24 v66, v133, v6, v66
	v_bfe_i32 v16, v23, 8, 8
	v_bfe_i32 v7, v21, 0, 8
	v_ashrrev_i32_e32 v14, 24, v22
	scratch_load_b32 v133, off, off offset:1040 th:TH_LOAD_LU ; 4-byte Folded Reload
	v_add3_u32 v66, v66, v67, v68
	v_mul_i32_i24_e32 v68, v70, v8
	scratch_load_b32 v70, off, off offset:1024 th:TH_LOAD_LU ; 4-byte Folded Reload
	v_mul_i32_i24_e32 v85, v207, v16
	scratch_load_b32 v207, off, off offset:1036 th:TH_LOAD_LU ; 4-byte Folded Reload
	v_mul_i32_i24_e32 v67, v205, v7
	v_mul_i32_i24_e32 v83, v206, v14
	s_clause 0x1
	scratch_load_b32 v206, off, off offset:1032 th:TH_LOAD_LU
	scratch_load_b32 v205, off, off offset:1028 th:TH_LOAD_LU
	v_bfe_i32 v9, v21, 16, 8
	v_ashrrev_i32_e32 v10, 24, v21
	v_ashrrev_i32_e32 v21, 24, v23
	v_bfe_i32 v15, v23, 0, 8
	v_bfe_i32 v17, v23, 16, 8
	v_mul_i32_i24_e32 v78, v143, v9
	v_mul_i32_i24_e32 v79, v144, v10
	v_mul_i32_i24_e32 v87, v239, v21
	s_clause 0x2
	scratch_load_b32 v239, off, off offset:1232 th:TH_LOAD_LU
	scratch_load_b32 v144, off, off offset:984 th:TH_LOAD_LU
	;; [unrolled: 1-line block ×3, first 2 shown]
	v_mul_i32_i24_e32 v84, v208, v15
	v_mul_i32_i24_e32 v86, v204, v17
	s_clause 0x2
	scratch_load_b32 v208, off, off offset:1240 th:TH_LOAD_LU
	scratch_load_b32 v204, off, off offset:1236 th:TH_LOAD_LU
	;; [unrolled: 1-line block ×3, first 2 shown]
	s_wait_dscnt 0x2
	v_bfe_i32 v50, v52, 0, 8
	v_bfe_i32 v38, v52, 8, 8
	;; [unrolled: 1-line block ×3, first 2 shown]
	v_ashrrev_i32_e32 v52, 24, v52
	v_add3_u32 v66, v66, v67, v68
	v_mul_i32_i24_e32 v68, v189, v50
	v_bfe_i32 v11, v22, 0, 8
	v_bfe_i32 v12, v22, 8, 8
	;; [unrolled: 1-line block ×4, first 2 shown]
	v_add3_u32 v66, v66, v78, v79
	v_mul_i32_i24_e32 v78, v188, v51
	v_mul_i32_i24_e32 v79, v181, v52
	v_mad_i32_i24 v68, v187, v38, v68
	v_bfe_i32 v13, v22, 16, 8
	v_bfe_i32 v41, v53, 16, 8
	v_ashrrev_i32_e32 v42, 24, v53
	v_bfe_i32 v43, v54, 0, 8
	v_add3_u32 v68, v68, v78, v79
	v_mul_i32_i24_e32 v78, v210, v39
	v_mul_i32_i24_e32 v79, v201, v40
	v_bfe_i32 v44, v54, 8, 8
	v_bfe_i32 v45, v54, 16, 8
	v_ashrrev_i32_e32 v46, 24, v54
	v_bfe_i32 v22, v34, 0, 8
	v_add3_u32 v68, v68, v78, v79
	v_bfe_i32 v23, v34, 8, 8
	v_bfe_i32 v47, v55, 0, 8
	;; [unrolled: 1-line block ×4, first 2 shown]
	v_ashrrev_i32_e32 v25, 24, v34
	v_bfe_i32 v49, v55, 16, 8
	v_ashrrev_i32_e32 v53, 24, v55
	v_bfe_i32 v26, v35, 0, 8
	v_bfe_i32 v27, v35, 8, 8
	s_wait_dscnt 0x1
	v_bfe_i32 v54, v0, 0, 8
	v_bfe_i32 v55, v0, 8, 8
	v_bfe_i32 v28, v35, 16, 8
	v_ashrrev_i32_e32 v29, 24, v35
	v_bfe_i32 v56, v0, 16, 8
	v_ashrrev_i32_e32 v0, 24, v0
	v_bfe_i32 v30, v36, 0, 8
	v_bfe_i32 v31, v36, 8, 8
	v_bfe_i32 v57, v1, 0, 8
	v_bfe_i32 v58, v1, 8, 8
	v_bfe_i32 v32, v36, 16, 8
	v_ashrrev_i32_e32 v33, 24, v36
	v_bfe_i32 v59, v1, 16, 8
	v_ashrrev_i32_e32 v1, 24, v1
	v_bfe_i32 v34, v37, 0, 8
	v_bfe_i32 v35, v37, 8, 8
	;; [unrolled: 8-line block ×3, first 2 shown]
	v_bfe_i32 v65, v3, 16, 8
	v_ashrrev_i32_e32 v3, 24, v3
	s_wait_dscnt 0x0
	v_fma_mix_f32 v67, v190, v4, 0 op_sel:[0,1,0] op_sel_hi:[0,1,0]
	s_clause 0x1
	scratch_load_b32 v210, off, off offset:600 th:TH_LOAD_LU
	scratch_load_b32 v181, off, off offset:1148 th:TH_LOAD_LU
	v_mul_i32_i24_e32 v127, v170, v65
	v_mul_i32_i24_e32 v128, v169, v3
	v_fma_mix_f32 v67, v175, v5, v67 op_sel:[0,1,0] op_sel_hi:[0,1,0]
	s_clause 0x3
	scratch_load_b32 v169, off, off offset:128 th:TH_LOAD_LU
	scratch_load_b32 v170, off, off offset:132 th:TH_LOAD_LU
	;; [unrolled: 1-line block ×4, first 2 shown]
	v_mul_f32_e32 v67, v67, v177
	s_clause 0x2
	scratch_load_b32 v188, off, off offset:628 th:TH_LOAD_LU
	scratch_load_b32 v190, off, off offset:632 th:TH_LOAD_LU
	;; [unrolled: 1-line block ×3, first 2 shown]
	s_wait_loadcnt 0x1c
	v_mul_i32_i24_e32 v93, v93, v26
	s_wait_loadcnt 0x1b
	v_mul_i32_i24_e32 v103, v103, v29
	;; [unrolled: 2-line block ×12, first 2 shown]
	s_delay_alu instid0(VALU_DEP_2)
	v_add3_u32 v66, v66, v80, v81
	v_mul_i32_i24_e32 v80, v209, v41
	v_mul_i32_i24_e32 v81, v200, v42
	s_wait_loadcnt 0x10
	v_mul_i32_i24_e32 v90, v206, v24
	s_wait_loadcnt 0xf
	v_mul_i32_i24_e32 v92, v205, v25
	v_add3_u32 v66, v66, v82, v83
	v_mul_i32_i24_e32 v82, v158, v43
	v_mul_i32_i24_e32 v83, v157, v44
	v_add3_u32 v68, v68, v80, v81
	scratch_load_b32 v157, off, off offset:584 th:TH_LOAD_LU ; 4-byte Folded Reload
	v_add3_u32 v66, v66, v84, v85
	v_mul_i32_i24_e32 v84, v146, v45
	v_mul_i32_i24_e32 v85, v145, v46
	v_add3_u32 v68, v68, v82, v83
	s_wait_loadcnt 0xf
	v_mul_i32_i24_e32 v99, v239, v28
	v_add3_u32 v66, v66, v86, v87
	v_mul_i32_i24_e32 v86, v160, v47
	v_mul_i32_i24_e32 v87, v159, v48
	v_add3_u32 v68, v68, v84, v85
	s_wait_loadcnt 0xe
	v_mul_i32_i24_e32 v123, v144, v34
	;; [unrolled: 6-line block ×5, first 2 shown]
	v_add3_u32 v66, v66, v99, v103
	v_mul_i32_i24_e32 v99, v164, v57
	v_mul_i32_i24_e32 v103, v163, v58
	v_add3_u32 v68, v68, v93, v96
	scratch_load_b32 v145, off, off offset:572 th:TH_LOAD_LU ; 4-byte Folded Reload
	v_add3_u32 v66, v66, v104, v105
	v_mul_i32_i24_e32 v104, v162, v59
	v_mul_i32_i24_e32 v105, v161, v1
	v_add3_u32 v68, v68, v99, v103
	scratch_load_b32 v152, off, off offset:1132 th:TH_LOAD_LU ; 4-byte Folded Reload
	;; [unrolled: 5-line block ×5, first 2 shown]
	s_wait_loadcnt 0xf
	v_mul_lo_u32 v66, v66, v150
	s_clause 0x1
	scratch_load_b32 v158, off, off offset:588 th:TH_LOAD_LU
	scratch_load_b32 v159, off, off offset:592 th:TH_LOAD_LU
	v_add3_u32 v68, v68, v125, v126
	s_clause 0x3
	scratch_load_b32 v161, off, off offset:1140 th:TH_LOAD_LU
	scratch_load_b32 v148, off, off offset:1144 th:TH_LOAD_LU
	;; [unrolled: 1-line block ×4, first 2 shown]
	v_add3_u32 v68, v68, v127, v128
	v_cvt_f32_i32_e32 v66, v66
	s_clause 0x1
	scratch_load_b32 v162, off, off offset:1224 th:TH_LOAD_LU
	scratch_load_b32 v147, off, off offset:148 th:TH_LOAD_LU
	v_mul_i32_i24_e32 v81, v12, v153
	v_mul_lo_u32 v68, v68, v180
	v_fma_mix_f32 v66, v4, v66, 0 op_sel_hi:[1,0,0]
	s_clause 0x4
	scratch_load_b32 v153, off, off offset:1136 th:TH_LOAD_LU
	scratch_load_b32 v163, off, off offset:1064 th:TH_LOAD_LU
	scratch_load_b32 v160, off, off offset:1228 th:TH_LOAD_LU
	scratch_load_b32 v164, off, off offset:1068 th:TH_LOAD_LU
	scratch_load_b32 v165, off, off offset:784
	v_mul_i32_i24_e32 v82, v13, v154
	v_cvt_f32_i32_e32 v68, v68
	scratch_load_b32 v154, off, off offset:172 ; 4-byte Folded Reload
	v_mul_i32_i24_e32 v83, v14, v69
	v_mul_i32_i24_e32 v84, v15, v176
	;; [unrolled: 1-line block ×3, first 2 shown]
	v_fma_mix_f32 v66, v5, v68, v66 op_sel_hi:[1,0,0]
	v_mul_i32_i24_e32 v86, v17, v211
	v_mul_i32_i24_e32 v87, v21, v212
	;; [unrolled: 1-line block ×4, first 2 shown]
	v_fma_f32 v66, v66, v173, -v67
	s_clause 0x1
	scratch_load_b32 v67, off, off offset:684
	scratch_load_b32 v173, off, off offset:508 th:TH_LOAD_LU
	v_mul_i32_i24_e32 v90, v24, v215
	v_mul_i32_i24_e32 v92, v25, v216
	;; [unrolled: 1-line block ×13, first 2 shown]
	s_clause 0x16
	scratch_load_b32 v195, off, off offset:156 th:TH_LOAD_LU
	scratch_load_b32 v215, off, off offset:124 th:TH_LOAD_LU
	;; [unrolled: 1-line block ×23, first 2 shown]
	s_wait_loadcnt 0x29
	v_mul_i32_i24_e32 v68, v20, v167
	s_wait_loadcnt 0x26
	v_mul_i32_i24_e32 v78, v9, v158
	;; [unrolled: 2-line block ×7, first 2 shown]
	s_wait_loadcnt 0x18
	v_add_f32_e32 v67, v67, v66
	v_mul_i32_i24_e32 v66, v18, v145
	scratch_store_b32 off, v67, off offset:684 ; 4-byte Folded Spill
	v_mul_i32_i24_e32 v67, v19, v166
	v_mad_i32_i24 v66, v6, v152, v66
	s_delay_alu instid0(VALU_DEP_1) | instskip(SKIP_2) | instid1(VALU_DEP_1)
	v_add3_u32 v66, v66, v67, v68
	v_mul_i32_i24_e32 v67, v7, v156
	v_mul_i32_i24_e32 v68, v8, v157
	v_add3_u32 v66, v66, v67, v68
	v_mul_i32_i24_e32 v68, v50, v161
	v_fma_mix_f32 v67, v160, v4, 0 op_sel:[0,1,0] op_sel_hi:[0,1,0]
	s_delay_alu instid0(VALU_DEP_3)
	v_add3_u32 v66, v66, v78, v79
	v_mul_i32_i24_e32 v78, v51, v148
	v_mul_i32_i24_e32 v79, v52, v223
	v_mad_i32_i24 v68, v38, v178, v68
	v_fma_mix_f32 v67, v164, v5, v67 op_sel:[0,1,0] op_sel_hi:[0,1,0]
	v_add3_u32 v66, v66, v80, v81
	v_mul_i32_i24_e32 v80, v41, v224
	v_mul_i32_i24_e32 v81, v42, v226
	v_add3_u32 v68, v68, v78, v79
	v_mul_i32_i24_e32 v78, v39, v197
	v_mul_i32_i24_e32 v79, v40, v225
	;; [unrolled: 3-line block ×3, first 2 shown]
	v_mul_f32_e32 v67, v67, v165
	v_add3_u32 v68, v68, v78, v79
	v_add3_u32 v66, v66, v84, v85
	v_mul_i32_i24_e32 v84, v45, v198
	v_mul_i32_i24_e32 v85, v46, v227
	scratch_load_b32 v224, off, off offset:144 th:TH_LOAD_LU ; 4-byte Folded Reload
	v_add3_u32 v68, v68, v80, v81
	v_add3_u32 v66, v66, v86, v87
	v_mul_i32_i24_e32 v86, v47, v228
	v_mul_i32_i24_e32 v87, v48, v199
	;; [unrolled: 1-line block ×3, first 2 shown]
	v_add3_u32 v68, v68, v82, v83
	v_add3_u32 v66, v66, v88, v89
	v_mul_i32_i24_e32 v88, v49, v186
	v_mul_i32_i24_e32 v89, v53, v229
	;; [unrolled: 1-line block ×3, first 2 shown]
	v_add3_u32 v68, v68, v84, v85
	v_add3_u32 v66, v66, v90, v92
	v_mul_i32_i24_e32 v90, v54, v230
	v_mul_i32_i24_e32 v92, v55, v194
	scratch_load_b32 v194, off, off offset:512 th:TH_LOAD_LU ; 4-byte Folded Reload
	v_add3_u32 v68, v68, v86, v87
	v_add3_u32 v66, v66, v93, v96
	v_mul_i32_i24_e32 v93, v56, v193
	v_mul_i32_i24_e32 v96, v0, v202
	v_mul_i32_i24_e32 v80, v11, v254
	v_add3_u32 v68, v68, v88, v89
	v_add3_u32 v66, v66, v99, v103
	v_mul_i32_i24_e32 v99, v57, v231
	v_mul_i32_i24_e32 v103, v58, v196
	scratch_load_b32 v196, off, off offset:168 th:TH_LOAD_LU ; 4-byte Folded Reload
	v_add3_u32 v68, v68, v90, v92
	v_add3_u32 v66, v66, v104, v105
	v_mul_i32_i24_e32 v104, v59, v174
	v_mul_i32_i24_e32 v105, v1, v203
	scratch_load_b32 v174, off, off offset:608 th:TH_LOAD_LU ; 4-byte Folded Reload
	;; [unrolled: 5-line block ×5, first 2 shown]
	v_add3_u32 v68, v68, v106, v122
	v_mul_lo_u32 v66, v66, v153
	s_clause 0x2
	scratch_load_b32 v203, off, off offset:140 th:TH_LOAD_LU
	scratch_load_b32 v225, off, off offset:436 th:TH_LOAD_LU
	;; [unrolled: 1-line block ×3, first 2 shown]
	v_add3_u32 v68, v68, v123, v124
	s_clause 0x2
	scratch_load_b32 v226, off, off offset:440 th:TH_LOAD_LU
	scratch_load_b32 v184, off, off offset:1008 th:TH_LOAD_LU
	scratch_load_b32 v228, off, off offset:452 th:TH_LOAD_LU
	v_cvt_f32_i32_e32 v66, v66
	v_add3_u32 v68, v68, v125, v126
	s_clause 0x2
	scratch_load_b32 v185, off, off offset:1156 th:TH_LOAD_LU
	scratch_load_b32 v186, off, off offset:1160 th:TH_LOAD_LU
	;; [unrolled: 1-line block ×3, first 2 shown]
	v_fma_mix_f32 v66, v4, v66, 0 op_sel_hi:[1,0,0]
	v_add3_u32 v68, v68, v127, v128
	s_clause 0x3
	scratch_load_b32 v197, off, off offset:160 th:TH_LOAD_LU
	scratch_load_b32 v233, off, off offset:104 th:TH_LOAD_LU
	;; [unrolled: 1-line block ×4, first 2 shown]
	v_mul_lo_u32 v68, v68, v163
	s_clause 0x1
	scratch_load_b32 v198, off, off offset:1072 th:TH_LOAD_LU
	scratch_load_b32 v199, off, off offset:1076 th:TH_LOAD_LU
	v_mul_i32_i24_e32 v82, v13, v210
	s_wait_loadcnt 0x2a
	v_mul_i32_i24_e32 v83, v14, v211
	v_mul_i32_i24_e32 v84, v15, v173
	;; [unrolled: 1-line block ×3, first 2 shown]
	s_wait_loadcnt 0x28
	v_mul_i32_i24_e32 v87, v21, v176
	v_cvt_f32_i32_e32 v68, v68
	s_wait_loadcnt 0x27
	v_mul_i32_i24_e32 v89, v23, v180
	v_mul_i32_i24_e32 v90, v24, v181
	s_wait_loadcnt 0x26
	v_mul_i32_i24_e32 v92, v25, v182
	s_wait_loadcnt 0x24
	v_mul_i32_i24_e32 v93, v26, v183
	v_fma_mix_f32 v66, v5, v68, v66 op_sel_hi:[1,0,0]
	v_mul_i32_i24_e32 v68, v20, v249
	v_mov_b32_e32 v249, v250
	v_mul_i32_i24_e32 v104, v30, v187
	v_mul_i32_i24_e32 v105, v31, v188
	v_fma_f32 v66, v66, v154, -v67
	scratch_load_b32 v67, off, off offset:680 ; 4-byte Folded Reload
	v_mul_i32_i24_e32 v106, v32, v190
	s_wait_loadcnt 0x1b
	v_mul_i32_i24_e32 v126, v37, v237
	v_mul_i32_i24_e32 v13, v13, v240
	;; [unrolled: 1-line block ×8, first 2 shown]
	s_wait_loadcnt 0x13
	v_mul_i32_i24_e32 v85, v16, v174
	v_mul_i32_i24_e32 v16, v16, v243
	s_wait_loadcnt 0xb
	v_mul_i32_i24_e32 v96, v27, v184
	s_wait_loadcnt 0x9
	;; [unrolled: 2-line block ×9, first 2 shown]
	v_mul_i32_i24_e32 v128, v3, v199
	v_mul_i32_i24_e32 v3, v3, v121
	s_wait_loadcnt 0x0
	v_add_f32_e32 v67, v67, v66
	v_mul_i32_i24_e32 v66, v18, v117
	scratch_load_b32 v117, off, off offset:620 th:TH_LOAD_LU ; 4-byte Folded Reload
	v_mul_i32_i24_e32 v18, v18, v139
	scratch_store_b32 off, v67, off offset:680 ; 4-byte Folded Spill
	v_mul_i32_i24_e32 v67, v19, v247
	v_mad_i32_i24 v66, v6, v248, v66
	v_dual_mov_b32 v247, v248 :: v_dual_mov_b32 v248, v139
	v_mad_i32_i24 v6, v6, v134, v18
	v_mul_i32_i24_e32 v19, v19, v141
	s_delay_alu instid0(VALU_DEP_4)
	v_add3_u32 v66, v66, v67, v68
	v_mul_i32_i24_e32 v67, v7, v250
	v_mul_i32_i24_e32 v68, v8, v251
	v_dual_mov_b32 v250, v251 :: v_dual_mov_b32 v251, v252
	v_dual_mov_b32 v252, v253 :: v_dual_mov_b32 v253, v254
	scratch_load_b32 v254, off, off offset:432 th:TH_LOAD_LU ; 4-byte Folded Reload
	v_add3_u32 v66, v66, v67, v68
	v_mul_i32_i24_e32 v68, v50, v194
	v_mul_i32_i24_e32 v7, v7, v135
	;; [unrolled: 1-line block ×4, first 2 shown]
	v_add3_u32 v66, v66, v78, v79
	v_mul_i32_i24_e32 v78, v51, v195
	v_mul_i32_i24_e32 v79, v52, v232
	v_mad_i32_i24 v68, v38, v196, v68
	v_fma_mix_f32 v67, v191, v4, 0 op_sel:[0,1,0] op_sel_hi:[0,1,0]
	s_delay_alu instid0(VALU_DEP_2) | instskip(SKIP_2) | instid1(VALU_DEP_1)
	v_add3_u32 v68, v68, v78, v79
	v_mul_i32_i24_e32 v78, v39, v235
	v_mul_i32_i24_e32 v79, v40, v215
	v_add3_u32 v68, v68, v78, v79
	s_wait_loadcnt 0x1
	v_mul_i32_i24_e32 v81, v12, v117
	v_mul_i32_i24_e32 v12, v12, v142
	s_delay_alu instid0(VALU_DEP_2) | instskip(SKIP_2) | instid1(VALU_DEP_3)
	v_add3_u32 v66, v66, v80, v81
	v_mul_i32_i24_e32 v80, v41, v236
	v_mul_i32_i24_e32 v81, v42, v169
	v_add3_u32 v66, v66, v82, v83
	v_mul_i32_i24_e32 v82, v43, v170
	v_mul_i32_i24_e32 v83, v44, v171
	s_delay_alu instid0(VALU_DEP_4) | instskip(NEXT) | instid1(VALU_DEP_4)
	v_add3_u32 v68, v68, v80, v81
	v_add3_u32 v66, v66, v84, v85
	v_mul_i32_i24_e32 v84, v45, v203
	v_mul_i32_i24_e32 v85, v46, v224
	s_delay_alu instid0(VALU_DEP_4)
	v_add3_u32 v68, v68, v82, v83
	s_wait_loadcnt 0x0
	v_mul_i32_i24_e32 v88, v22, v254
	v_add3_u32 v66, v66, v86, v87
	v_mul_i32_i24_e32 v86, v47, v225
	v_mul_i32_i24_e32 v87, v48, v227
	v_add3_u32 v68, v68, v84, v85
	s_delay_alu instid0(VALU_DEP_4) | instskip(SKIP_2) | instid1(VALU_DEP_4)
	v_add3_u32 v66, v66, v88, v89
	v_mul_i32_i24_e32 v88, v49, v226
	v_mul_i32_i24_e32 v89, v53, v172
	v_add3_u32 v68, v68, v86, v87
	s_delay_alu instid0(VALU_DEP_4) | instskip(SKIP_2) | instid1(VALU_DEP_4)
	;; [unrolled: 5-line block ×3, first 2 shown]
	v_add3_u32 v66, v66, v93, v96
	v_mul_i32_i24_e32 v93, v56, v209
	v_mul_i32_i24_e32 v96, v0, v213
	v_add3_u32 v68, v68, v90, v92
	v_mul_i32_i24_e32 v0, v0, v109
	v_add3_u32 v66, v66, v99, v103
	v_mul_i32_i24_e32 v99, v57, v214
	v_mul_i32_i24_e32 v103, v58, v217
	v_add3_u32 v68, v68, v93, v96
	s_delay_alu instid0(VALU_DEP_4) | instskip(SKIP_2) | instid1(VALU_DEP_4)
	v_add3_u32 v66, v66, v104, v105
	v_mul_i32_i24_e32 v104, v59, v216
	v_mul_i32_i24_e32 v105, v1, v218
	v_add3_u32 v68, v68, v99, v103
	v_mul_i32_i24_e32 v1, v1, v113
	v_add3_u32 v66, v66, v106, v122
	v_mul_i32_i24_e32 v106, v60, v219
	v_mul_i32_i24_e32 v122, v61, v221
	v_add3_u32 v68, v68, v104, v105
	s_delay_alu instid0(VALU_DEP_4) | instskip(SKIP_2) | instid1(VALU_DEP_4)
	v_add3_u32 v66, v66, v123, v124
	v_mul_i32_i24_e32 v123, v62, v220
	v_mul_i32_i24_e32 v124, v2, v222
	v_add3_u32 v68, v68, v106, v122
	v_mul_i32_i24_e32 v2, v2, v246
	v_add3_u32 v66, v66, v125, v126
	v_mul_i32_i24_e32 v125, v63, v223
	v_mul_i32_i24_e32 v126, v64, v168
	v_add3_u32 v68, v68, v123, v124
	s_delay_alu instid0(VALU_DEP_4) | instskip(NEXT) | instid1(VALU_DEP_2)
	v_mul_lo_u32 v66, v66, v189
	v_add3_u32 v68, v68, v125, v126
	s_delay_alu instid0(VALU_DEP_1)
	v_add3_u32 v68, v68, v127, v128
	s_clause 0x17
	scratch_load_b32 v127, off, off offset:800 th:TH_LOAD_LU
	scratch_load_b32 v128, off, off offset:1080 th:TH_LOAD_LU
	scratch_load_b32 v139, off, off offset:516 th:TH_LOAD_LU
	scratch_load_b32 v134, off, off offset:520 th:TH_LOAD_LU
	scratch_load_b32 v135, off, off offset:524 th:TH_LOAD_LU
	scratch_load_b32 v141, off, off offset:528 th:TH_LOAD_LU
	scratch_load_b32 v142, off, off offset:532 th:TH_LOAD_LU
	scratch_load_b32 v240, off, off offset:536 th:TH_LOAD_LU
	scratch_load_b32 v241, off, off offset:540 th:TH_LOAD_LU
	scratch_load_b32 v242, off, off offset:544 th:TH_LOAD_LU
	scratch_load_b32 v243, off, off offset:548 th:TH_LOAD_LU
	scratch_load_b32 v202, off, off offset:180
	scratch_load_b32 v229, off, off offset:556 th:TH_LOAD_LU
	scratch_load_b32 v201, off, off offset:1084 th:TH_LOAD_LU
	scratch_load_b32 v231, off, off offset:564 th:TH_LOAD_LU
	scratch_load_b32 v238, off, off offset:1088 th:TH_LOAD_LU
	scratch_load_b32 v200, off, off offset:780
	scratch_load_b32 v230, off, off offset:560 th:TH_LOAD_LU
	scratch_load_b32 v244, off, off offset:552 th:TH_LOAD_LU
	;; [unrolled: 1-line block ×7, first 2 shown]
	v_cvt_f32_i32_e32 v66, v66
	s_delay_alu instid0(VALU_DEP_1)
	v_fma_mix_f32 v66, v4, v66, 0 op_sel_hi:[1,0,0]
	s_wait_loadcnt 0x16
	v_mul_lo_u32 v68, v68, v128
	s_wait_loadcnt 0x15
	v_mul_i32_i24_e32 v20, v20, v139
	s_wait_loadcnt 0x12
	v_mul_i32_i24_e32 v21, v24, v141
	s_delay_alu instid0(VALU_DEP_2)
	v_add3_u32 v6, v6, v19, v20
	v_mul_i32_i24_e32 v19, v22, v134
	v_mul_i32_i24_e32 v20, v23, v135
	s_wait_loadcnt 0x11
	v_mul_i32_i24_e32 v22, v25, v142
	s_wait_loadcnt 0x10
	v_mul_i32_i24_e32 v23, v26, v240
	v_add3_u32 v6, v6, v7, v8
	v_mul_i32_i24_e32 v7, v50, v130
	v_mul_i32_i24_e32 v8, v51, v131
	s_wait_loadcnt 0xf
	v_mul_i32_i24_e32 v24, v27, v241
	s_wait_loadcnt 0xe
	v_mul_i32_i24_e32 v25, v28, v242
	v_add3_u32 v6, v6, v9, v10
	v_mul_i32_i24_e32 v9, v52, v132
	v_mad_i32_i24 v7, v38, v129, v7
	s_wait_loadcnt 0xd
	v_mul_i32_i24_e32 v26, v29, v243
	v_mul_i32_i24_e32 v10, v41, v74
	v_add3_u32 v6, v6, v11, v12
	v_mul_i32_i24_e32 v11, v42, v76
	v_add3_u32 v7, v7, v8, v9
	v_mul_i32_i24_e32 v8, v39, v73
	v_mul_i32_i24_e32 v9, v40, v75
	v_add3_u32 v6, v6, v13, v14
	s_wait_loadcnt 0x5
	v_mul_i32_i24_e32 v27, v30, v244
	v_mul_i32_i24_e32 v28, v31, v229
	;; [unrolled: 1-line block ×3, first 2 shown]
	v_add3_u32 v7, v7, v8, v9
	v_add3_u32 v6, v6, v15, v16
	v_mul_i32_i24_e32 v13, v44, v94
	v_mul_i32_i24_e32 v29, v32, v231
	s_wait_loadcnt 0x4
	v_mul_i32_i24_e32 v30, v33, v136
	v_add3_u32 v7, v7, v10, v11
	v_add3_u32 v6, v6, v17, v18
	v_mul_i32_i24_e32 v14, v45, v91
	v_mul_i32_i24_e32 v15, v46, v95
	s_wait_loadcnt 0x3
	v_mul_i32_i24_e32 v31, v34, v137
	v_add3_u32 v7, v7, v12, v13
	v_add3_u32 v6, v6, v19, v20
	s_wait_loadcnt 0x2
	v_mul_i32_i24_e32 v32, v35, v138
	v_mul_i32_i24_e32 v16, v47, v97
	v_mul_i32_i24_e32 v17, v48, v100
	v_add3_u32 v7, v7, v14, v15
	v_add3_u32 v6, v6, v21, v22
	s_wait_loadcnt 0x1
	v_mul_i32_i24_e32 v33, v36, v245
	s_wait_loadcnt 0x0
	v_mul_i32_i24_e32 v34, v37, v140
	v_mul_i32_i24_e32 v18, v49, v98
	v_mul_i32_i24_e32 v19, v53, v101
	v_add3_u32 v6, v6, v23, v24
	v_add3_u32 v7, v7, v16, v17
	v_mul_i32_i24_e32 v20, v54, v102
	v_mul_i32_i24_e32 v21, v55, v108
	v_mul_i32_i24_e32 v22, v56, v107
	v_add3_u32 v6, v6, v25, v26
	v_add3_u32 v7, v7, v18, v19
	;; [unrolled: 5-line block ×4, first 2 shown]
	v_mul_i32_i24_e32 v29, v63, v118
	v_mul_i32_i24_e32 v30, v64, v120
	v_cvt_f32_i32_e32 v68, v68
	v_add3_u32 v6, v6, v31, v32
	v_add3_u32 v0, v0, v23, v24
	v_mul_i32_i24_e32 v31, v65, v119
	v_fma_mix_f32 v67, v201, v5, v67 op_sel:[0,1,0] op_sel_hi:[0,1,0]
	v_fma_mix_f32 v66, v5, v68, v66 op_sel_hi:[1,0,0]
	v_add3_u32 v6, v6, v33, v34
	v_add3_u32 v0, v0, v25, v1
	s_delay_alu instid0(VALU_DEP_4) | instskip(NEXT) | instid1(VALU_DEP_3)
	v_mul_f32_e32 v67, v67, v202
	v_mul_lo_u32 v6, v6, v230
	s_delay_alu instid0(VALU_DEP_3) | instskip(NEXT) | instid1(VALU_DEP_3)
	v_add3_u32 v0, v0, v26, v27
	v_fma_f32 v66, v66, v200, -v67
	scratch_load_b32 v67, off, off offset:676 ; 4-byte Folded Reload
	v_add3_u32 v0, v0, v28, v2
	v_cvt_f32_i32_e32 v6, v6
	s_delay_alu instid0(VALU_DEP_2) | instskip(NEXT) | instid1(VALU_DEP_2)
	v_add3_u32 v0, v0, v29, v30
	v_fma_mix_f32 v6, v4, v6, 0 op_sel_hi:[1,0,0]
	v_fma_mix_f32 v4, v238, v4, 0 op_sel:[0,1,0] op_sel_hi:[0,1,0]
	s_delay_alu instid0(VALU_DEP_3) | instskip(NEXT) | instid1(VALU_DEP_2)
	v_add3_u32 v0, v0, v31, v3
	v_fma_mix_f32 v1, v71, v5, v4 op_sel:[0,1,0] op_sel_hi:[0,1,0]
	s_delay_alu instid0(VALU_DEP_2) | instskip(NEXT) | instid1(VALU_DEP_2)
	v_mul_lo_u32 v0, v0, v72
	v_mul_f32_e32 v1, v1, v192
	scratch_load_b32 v192, off, off offset:176 ; 4-byte Folded Reload
	v_cvt_f32_i32_e32 v0, v0
	s_delay_alu instid0(VALU_DEP_1)
	v_fma_mix_f32 v0, v5, v0, v6 op_sel_hi:[1,0,0]
	s_wait_loadcnt 0x1
	v_add_f32_e32 v67, v67, v66
	scratch_store_b32 off, v67, off offset:676 ; 4-byte Folded Spill
	s_wait_loadcnt 0x0
	v_fma_f32 v0, v0, v192, -v1
	s_delay_alu instid0(VALU_DEP_1)
	v_add_f32_e32 v127, v127, v0
	scratch_load_b32 v0, off, off offset:1284 ; 4-byte Folded Reload
	s_wait_loadcnt 0x0
	v_or_b32_e32 v0, s10, v0
	s_add_co_i32 s10, s7, 8
	s_cmp_lt_u32 s7, 24
	s_wait_alu 0xfffe
	s_mov_b32 s7, s10
	v_lshlrev_b32_e32 v1, 2, v0
	v_lshrrev_b32_e32 v16, 1, v0
	ds_load_b128 v[8:11], v1 offset:16896
	ds_load_b128 v[12:15], v1 offset:16912
	;; [unrolled: 1-line block ×4, first 2 shown]
	s_clause 0x4
	scratch_load_b32 v66, off, off offset:900 th:TH_LOAD_LU
	scratch_load_b32 v68, off, off offset:1196 th:TH_LOAD_LU
	;; [unrolled: 1-line block ×5, first 2 shown]
	ds_load_b64 v[27:28], v16 offset:27200
	s_wait_dscnt 0x4
	v_bfe_i32 v61, v8, 0, 8
	v_bfe_i32 v65, v8, 8, 8
	;; [unrolled: 1-line block ×3, first 2 shown]
	v_ashrrev_i32_e32 v60, 24, v9
	v_ashrrev_i32_e32 v54, 24, v10
	v_bfe_i32 v53, v11, 0, 8
	v_bfe_i32 v52, v11, 8, 8
	;; [unrolled: 1-line block ×3, first 2 shown]
	v_ashrrev_i32_e32 v50, 24, v11
	s_wait_dscnt 0x3
	v_bfe_i32 v45, v13, 0, 8
	v_bfe_i32 v44, v13, 8, 8
	v_ashrrev_i32_e32 v42, 24, v13
	v_bfe_i32 v41, v14, 0, 8
	v_bfe_i32 v40, v14, 8, 8
	;; [unrolled: 1-line block ×4, first 2 shown]
	v_ashrrev_i32_e32 v56, 24, v8
	v_ashrrev_i32_e32 v38, 24, v14
	v_bfe_i32 v64, v9, 0, 8
	v_bfe_i32 v63, v9, 8, 8
	s_wait_dscnt 0x2
	v_bfe_i32 v17, v4, 16, 8
	v_ashrrev_i32_e32 v16, 24, v4
	v_bfe_i32 v18, v4, 0, 8
	v_bfe_i32 v19, v4, 8, 8
	;; [unrolled: 1-line block ×7, first 2 shown]
	v_ashrrev_i32_e32 v29, 24, v5
	v_bfe_i32 v55, v10, 16, 8
	v_mul_i32_i24_e32 v80, v70, v59
	v_mul_i32_i24_e32 v81, v155, v57
	v_bfe_i32 v30, v6, 0, 8
	v_bfe_i32 v31, v6, 8, 8
	v_mul_i32_i24_e32 v82, v151, v55
	v_bfe_i32 v25, v6, 16, 8
	v_ashrrev_i32_e32 v23, 24, v6
	v_bfe_i32 v24, v7, 0, 8
	v_bfe_i32 v22, v7, 8, 8
	;; [unrolled: 1-line block ×5, first 2 shown]
	v_ashrrev_i32_e32 v20, 24, v7
	v_bfe_i32 v47, v12, 16, 8
	v_mul_i32_i24_e32 v88, v133, v49
	v_mul_i32_i24_e32 v89, v207, v48
	v_ashrrev_i32_e32 v46, 24, v12
	v_bfe_i32 v37, v15, 0, 8
	v_bfe_i32 v36, v15, 8, 8
	;; [unrolled: 1-line block ×3, first 2 shown]
	v_ashrrev_i32_e32 v34, 24, v15
	s_wait_dscnt 0x1
	v_bfe_i32 v15, v0, 0, 8
	v_mul_i32_i24_e32 v90, v206, v47
	v_mul_i32_i24_e32 v92, v205, v46
	v_bfe_i32 v10, v0, 16, 8
	v_bfe_i32 v43, v13, 16, 8
	v_ashrrev_i32_e32 v13, 24, v0
	v_bfe_i32 v11, v1, 0, 8
	v_bfe_i32 v12, v1, 8, 8
	;; [unrolled: 1-line block ×3, first 2 shown]
	v_mul_i32_i24_e32 v99, v239, v43
	v_ashrrev_i32_e32 v9, 24, v1
	v_bfe_i32 v4, v2, 0, 8
	v_bfe_i32 v5, v2, 8, 8
	;; [unrolled: 1-line block ×3, first 2 shown]
	v_ashrrev_i32_e32 v2, 24, v2
	v_bfe_i32 v7, v3, 0, 8
	v_bfe_i32 v1, v3, 8, 8
	;; [unrolled: 1-line block ×4, first 2 shown]
	v_ashrrev_i32_e32 v3, 24, v3
	v_mul_i32_i24_e32 v123, v144, v37
	v_mul_i32_i24_e32 v124, v143, v36
	;; [unrolled: 1-line block ×6, first 2 shown]
	s_wait_loadcnt 0x4
	v_mul_i32_i24_e32 v66, v66, v61
	s_wait_loadcnt 0x3
	v_mul_i32_i24_e32 v68, v68, v56
	;; [unrolled: 2-line block ×3, first 2 shown]
	s_wait_loadcnt 0x1
	v_mad_i32_i24 v66, v69, v65, v66
	scratch_load_b32 v69, off, off offset:1188 th:TH_LOAD_LU ; 4-byte Folded Reload
	v_add3_u32 v66, v66, v67, v68
	s_clause 0x1
	scratch_load_b32 v67, off, off offset:964 th:TH_LOAD_LU
	scratch_load_b32 v68, off, off offset:892 th:TH_LOAD_LU
	s_wait_loadcnt 0x2
	v_mul_i32_i24_e32 v78, v69, v62
	scratch_load_b32 v69, off, off offset:1192 th:TH_LOAD_LU ; 4-byte Folded Reload
	s_wait_loadcnt 0x2
	v_mul_i32_i24_e32 v67, v67, v64
	s_wait_loadcnt 0x1
	v_mul_i32_i24_e32 v68, v68, v63
	s_delay_alu instid0(VALU_DEP_1)
	v_add3_u32 v66, v66, v67, v68
	s_clause 0x1
	scratch_load_b32 v67, off, off offset:408 th:TH_LOAD_LU
	scratch_load_b32 v68, off, off offset:404 th:TH_LOAD_LU
	s_wait_loadcnt 0x2
	v_mul_i32_i24_e32 v79, v69, v60
	scratch_load_b32 v69, off, off offset:968 th:TH_LOAD_LU ; 4-byte Folded Reload
	v_add3_u32 v66, v66, v78, v79
	s_delay_alu instid0(VALU_DEP_1)
	v_add3_u32 v66, v66, v80, v81
	s_wait_loadcnt_dscnt 0x200
	v_fma_mix_f32 v67, v67, v27, 0 op_sel:[0,1,0] op_sel_hi:[0,1,0]
	s_wait_loadcnt 0x1
	v_mul_i32_i24_e32 v68, v68, v18
	s_wait_loadcnt 0x0
	v_mul_i32_i24_e32 v83, v69, v54
	scratch_load_b32 v69, off, off offset:412 th:TH_LOAD_LU ; 4-byte Folded Reload
	v_add3_u32 v66, v66, v82, v83
	s_wait_loadcnt 0x0
	v_mul_i32_i24_e32 v84, v69, v53
	scratch_load_b32 v69, off, off offset:972 th:TH_LOAD_LU ; 4-byte Folded Reload
	s_wait_loadcnt 0x0
	v_mul_i32_i24_e32 v85, v69, v52
	scratch_load_b32 v69, off, off offset:960 th:TH_LOAD_LU ; 4-byte Folded Reload
	v_add3_u32 v66, v66, v84, v85
	s_wait_loadcnt 0x0
	v_mul_i32_i24_e32 v86, v69, v51
	scratch_load_b32 v69, off, off offset:980 th:TH_LOAD_LU ; 4-byte Folded Reload
	s_wait_loadcnt 0x0
	v_mul_i32_i24_e32 v87, v69, v50
	scratch_load_b32 v69, off, off offset:192 th:TH_LOAD_LU ; 4-byte Folded Reload
	v_add3_u32 v66, v66, v86, v87
	s_delay_alu instid0(VALU_DEP_1) | instskip(NEXT) | instid1(VALU_DEP_1)
	v_add3_u32 v66, v66, v88, v89
	v_add3_u32 v66, v66, v90, v92
	v_mul_i32_i24_e32 v92, v255, v14
	s_wait_loadcnt 0x0
	v_mul_i32_i24_e32 v93, v69, v45
	scratch_load_b32 v69, off, off offset:188 th:TH_LOAD_LU ; 4-byte Folded Reload
	s_wait_loadcnt 0x0
	v_mul_i32_i24_e32 v96, v69, v44
	scratch_load_b32 v69, off, off offset:816 th:TH_LOAD_LU ; 4-byte Folded Reload
	v_add3_u32 v66, v66, v93, v96
	s_wait_loadcnt 0x0
	v_mul_i32_i24_e32 v103, v69, v42
	scratch_load_b32 v69, off, off offset:828 th:TH_LOAD_LU ; 4-byte Folded Reload
	v_add3_u32 v66, v66, v99, v103
	s_wait_loadcnt 0x0
	v_mul_i32_i24_e32 v104, v69, v41
	scratch_load_b32 v69, off, off offset:1180 th:TH_LOAD_LU ; 4-byte Folded Reload
	s_wait_loadcnt 0x0
	v_mul_i32_i24_e32 v105, v69, v40
	scratch_load_b32 v69, off, off offset:824 th:TH_LOAD_LU ; 4-byte Folded Reload
	v_add3_u32 v66, v66, v104, v105
	s_wait_loadcnt 0x0
	v_mul_i32_i24_e32 v106, v69, v39
	scratch_load_b32 v69, off, off offset:820 th:TH_LOAD_LU ; 4-byte Folded Reload
	s_wait_loadcnt 0x0
	v_mul_i32_i24_e32 v122, v69, v38
	scratch_load_b32 v69, off, off offset:400 th:TH_LOAD_LU ; 4-byte Folded Reload
	v_add3_u32 v66, v66, v106, v122
	scratch_load_b32 v122, off, off offset:796 th:TH_LOAD_LU ; 4-byte Folded Reload
	v_add3_u32 v66, v66, v123, v124
	s_delay_alu instid0(VALU_DEP_1) | instskip(NEXT) | instid1(VALU_DEP_1)
	v_add3_u32 v66, v66, v125, v126
	v_mul_lo_u32 v66, v66, v150
	s_delay_alu instid0(VALU_DEP_1) | instskip(NEXT) | instid1(VALU_DEP_1)
	v_cvt_f32_i32_e32 v66, v66
	v_fma_mix_f32 v66, v27, v66, 0 op_sel_hi:[1,0,0]
	s_wait_loadcnt 0x1
	v_mul_i32_i24_e32 v78, v69, v17
	scratch_load_b32 v69, off, off offset:396 th:TH_LOAD_LU ; 4-byte Folded Reload
	s_wait_loadcnt 0x0
	v_mul_i32_i24_e32 v79, v69, v16
	scratch_load_b32 v69, off, off offset:344 th:TH_LOAD_LU ; 4-byte Folded Reload
	s_wait_loadcnt 0x0
	v_mad_i32_i24 v68, v69, v19, v68
	scratch_load_b32 v69, off, off offset:416 th:TH_LOAD_LU ; 4-byte Folded Reload
	v_add3_u32 v68, v68, v78, v79
	s_wait_loadcnt 0x0
	v_mul_i32_i24_e32 v78, v69, v33
	scratch_load_b32 v69, off, off offset:96 th:TH_LOAD_LU ; 4-byte Folded Reload
	s_wait_loadcnt 0x0
	v_mul_i32_i24_e32 v79, v69, v32
	scratch_load_b32 v69, off, off offset:976 th:TH_LOAD_LU ; 4-byte Folded Reload
	v_add3_u32 v68, v68, v78, v79
	s_clause 0x1
	scratch_load_b32 v78, off, off offset:880 th:TH_LOAD_LU
	scratch_load_b32 v79, off, off offset:276 th:TH_LOAD_LU
	s_wait_loadcnt 0x2
	v_mul_i32_i24_e32 v80, v69, v26
	scratch_load_b32 v69, off, off offset:348 th:TH_LOAD_LU ; 4-byte Folded Reload
	s_wait_loadcnt 0x2
	v_mul_i32_i24_e32 v78, v50, v78
	s_wait_loadcnt 0x1
	v_mul_i32_i24_e32 v79, v49, v79
	s_wait_loadcnt 0x0
	v_mul_i32_i24_e32 v81, v69, v29
	scratch_load_b32 v69, off, off offset:356 th:TH_LOAD_LU ; 4-byte Folded Reload
	v_add3_u32 v68, v68, v80, v81
	s_clause 0x1
	scratch_load_b32 v80, off, off offset:884 th:TH_LOAD_LU
	scratch_load_b32 v81, off, off offset:280 th:TH_LOAD_LU
	s_wait_loadcnt 0x2
	v_mul_i32_i24_e32 v82, v69, v30
	scratch_load_b32 v69, off, off offset:908 th:TH_LOAD_LU ; 4-byte Folded Reload
	s_wait_loadcnt 0x2
	v_mul_i32_i24_e32 v80, v48, v80
	s_wait_loadcnt 0x1
	v_mul_i32_i24_e32 v81, v47, v81
	;; [unrolled: 14-line block ×5, first 2 shown]
	s_wait_loadcnt 0x0
	v_mul_i32_i24_e32 v89, v69, v20
	scratch_load_b32 v69, off, off offset:916 th:TH_LOAD_LU ; 4-byte Folded Reload
	v_add3_u32 v68, v68, v88, v89
	scratch_load_b32 v88, off, off offset:308 th:TH_LOAD_LU ; 4-byte Folded Reload
	v_mul_i32_i24_e32 v89, v39, v146
	s_wait_loadcnt 0x1
	v_mul_i32_i24_e32 v90, v69, v15
	scratch_load_b32 v69, off, off offset:376 th:TH_LOAD_LU ; 4-byte Folded Reload
	v_add3_u32 v68, v68, v90, v92
	v_mul_i32_i24_e32 v92, v37, v91
	scratch_load_b32 v91, off, off offset:860 th:TH_LOAD_LU ; 4-byte Folded Reload
	s_wait_loadcnt 0x2
	v_mul_i32_i24_e32 v88, v40, v88
	v_mul_i32_i24_e32 v90, v38, v162
	s_wait_loadcnt 0x1
	v_mul_i32_i24_e32 v93, v69, v10
	scratch_load_b32 v69, off, off offset:372 th:TH_LOAD_LU ; 4-byte Folded Reload
	s_wait_loadcnt 0x0
	v_mul_i32_i24_e32 v96, v69, v13
	scratch_load_b32 v69, off, off offset:932 th:TH_LOAD_LU ; 4-byte Folded Reload
	v_add3_u32 v68, v68, v93, v96
	v_mul_i32_i24_e32 v93, v36, v179
	v_mul_i32_i24_e32 v96, v35, v91
	s_wait_loadcnt 0x0
	v_mul_i32_i24_e32 v99, v69, v11
	scratch_load_b32 v69, off, off offset:928 th:TH_LOAD_LU ; 4-byte Folded Reload
	s_wait_loadcnt 0x0
	v_mul_i32_i24_e32 v103, v69, v12
	scratch_load_b32 v69, off, off offset:924 th:TH_LOAD_LU ; 4-byte Folded Reload
	v_add3_u32 v68, v68, v99, v103
	s_wait_loadcnt 0x0
	v_mul_i32_i24_e32 v104, v69, v8
	scratch_load_b32 v69, off, off offset:920 th:TH_LOAD_LU ; 4-byte Folded Reload
	s_wait_loadcnt 0x0
	v_mul_i32_i24_e32 v105, v69, v9
	scratch_load_b32 v69, off, off offset:380 th:TH_LOAD_LU ; 4-byte Folded Reload
	v_add3_u32 v68, v68, v104, v105
	;; [unrolled: 7-line block ×3, first 2 shown]
	s_clause 0x1
	scratch_load_b32 v74, off, off offset:248 th:TH_LOAD_LU
	scratch_load_b32 v76, off, off offset:1184 th:TH_LOAD_LU
	s_wait_loadcnt 0x2
	v_mul_i32_i24_e32 v77, v69, v6
	scratch_load_b32 v69, off, off offset:936 th:TH_LOAD_LU ; 4-byte Folded Reload
	s_wait_loadcnt 0x2
	v_mul_i32_i24_e32 v74, v54, v74
	s_wait_loadcnt 0x1
	v_mul_i32_i24_e32 v76, v52, v76
	;; [unrolled: 2-line block ×3, first 2 shown]
	scratch_load_b32 v69, off, off offset:956 th:TH_LOAD_LU ; 4-byte Folded Reload
	v_add3_u32 v68, v68, v77, v106
	scratch_load_b32 v77, off, off offset:60 th:TH_LOAD_LU ; 4-byte Folded Reload
	s_wait_loadcnt 0x1
	v_mul_i32_i24_e32 v71, v69, v7
	scratch_load_b32 v69, off, off offset:952 th:TH_LOAD_LU ; 4-byte Folded Reload
	s_wait_loadcnt 0x1
	v_mul_i32_i24_e32 v77, v51, v77
	s_wait_loadcnt 0x0
	v_mul_i32_i24_e32 v72, v69, v1
	scratch_load_b32 v69, off, off offset:948 th:TH_LOAD_LU ; 4-byte Folded Reload
	v_add3_u32 v68, v68, v71, v72
	scratch_load_b32 v72, off, off offset:240 th:TH_LOAD_LU ; 4-byte Folded Reload
	v_mul_i32_i24_e32 v71, v59, v149
	s_wait_loadcnt 0x1
	v_mul_i32_i24_e32 v73, v69, v0
	scratch_load_b32 v69, off, off offset:384 th:TH_LOAD_LU ; 4-byte Folded Reload
	s_wait_loadcnt 0x1
	v_mul_i32_i24_e32 v72, v57, v72
	s_wait_loadcnt 0x0
	v_mul_i32_i24_e32 v75, v69, v3
	scratch_load_b32 v69, off, off offset:388 th:TH_LOAD_LU ; 4-byte Folded Reload
	v_add3_u32 v68, v68, v73, v75
	s_clause 0x1
	scratch_load_b32 v73, off, off offset:244 th:TH_LOAD_LU
	scratch_load_b32 v75, off, off offset:856 th:TH_LOAD_LU
	s_wait_loadcnt 0x2
	v_mul_lo_u32 v68, v68, v69
	v_mul_i32_i24_e32 v69, v62, v158
	s_wait_loadcnt 0x1
	v_mul_i32_i24_e32 v73, v55, v73
	s_wait_loadcnt 0x0
	v_mul_i32_i24_e32 v75, v53, v75
	s_delay_alu instid0(VALU_DEP_4) | instskip(NEXT) | instid1(VALU_DEP_1)
	v_cvt_f32_i32_e32 v68, v68
	v_fma_mix_f32 v66, v28, v68, v66 op_sel_hi:[1,0,0]
	scratch_load_b32 v68, off, off offset:392 th:TH_LOAD_LU ; 4-byte Folded Reload
	s_wait_loadcnt 0x0
	v_fma_mix_f32 v67, v68, v28, v67 op_sel:[0,1,0] op_sel_hi:[0,1,0]
	s_clause 0x2
	scratch_load_b32 v68, off, off offset:776
	scratch_load_b32 v179, off, off offset:1316
	scratch_load_b32 v91, off, off offset:864 th:TH_LOAD_LU
	v_mul_f32_e32 v67, v67, v177
	s_wait_loadcnt 0x2
	s_delay_alu instid0(VALU_DEP_1)
	v_fma_f32 v66, v66, v68, -v67
	v_mul_i32_i24_e32 v67, v58, v166
	v_mul_i32_i24_e32 v68, v56, v167
	s_wait_loadcnt 0x0
	v_mul_i32_i24_e32 v99, v34, v91
	v_add_f32_e32 v122, v122, v66
	v_mul_i32_i24_e32 v66, v61, v145
	s_delay_alu instid0(VALU_DEP_1) | instskip(NEXT) | instid1(VALU_DEP_1)
	v_mad_i32_i24 v66, v65, v152, v66
	v_add3_u32 v66, v66, v67, v68
	v_mul_i32_i24_e32 v67, v64, v156
	v_mul_i32_i24_e32 v68, v63, v157
	s_delay_alu instid0(VALU_DEP_1) | instskip(SKIP_2) | instid1(VALU_DEP_3)
	v_add3_u32 v66, v66, v67, v68
	v_mul_i32_i24_e32 v68, v18, v161
	v_fma_mix_f32 v67, v160, v27, 0 op_sel:[0,1,0] op_sel_hi:[0,1,0]
	v_add3_u32 v66, v66, v69, v70
	scratch_load_b32 v70, off, off offset:312 th:TH_LOAD_LU ; 4-byte Folded Reload
	v_mul_i32_i24_e32 v69, v17, v148
	v_mad_i32_i24 v68, v19, v178, v68
	v_fma_mix_f32 v67, v164, v28, v67 op_sel:[0,1,0] op_sel_hi:[0,1,0]
	v_add3_u32 v66, v66, v71, v72
	s_delay_alu instid0(VALU_DEP_2) | instskip(NEXT) | instid1(VALU_DEP_2)
	v_mul_f32_e32 v67, v67, v165
	v_add3_u32 v66, v66, v73, v74
	s_delay_alu instid0(VALU_DEP_1) | instskip(NEXT) | instid1(VALU_DEP_1)
	v_add3_u32 v66, v66, v75, v76
	v_add3_u32 v66, v66, v77, v78
	s_delay_alu instid0(VALU_DEP_1) | instskip(NEXT) | instid1(VALU_DEP_1)
	v_add3_u32 v66, v66, v79, v80
	;; [unrolled: 3-line block ×5, first 2 shown]
	v_add3_u32 v66, v66, v96, v99
	s_delay_alu instid0(VALU_DEP_1) | instskip(NEXT) | instid1(VALU_DEP_1)
	v_mul_lo_u32 v66, v66, v153
	v_cvt_f32_i32_e32 v66, v66
	s_delay_alu instid0(VALU_DEP_1) | instskip(SKIP_2) | instid1(VALU_DEP_1)
	v_fma_mix_f32 v66, v27, v66, 0 op_sel_hi:[1,0,0]
	s_wait_loadcnt 0x0
	v_mul_i32_i24_e32 v70, v16, v70
	v_add3_u32 v68, v68, v69, v70
	s_clause 0x19
	scratch_load_b32 v69, off, off offset:48 th:TH_LOAD_LU
	scratch_load_b32 v158, off, off offset:1296
	scratch_load_b32 v70, off, off offset:320 th:TH_LOAD_LU
	scratch_load_b32 v133, off, off offset:1292
	scratch_load_b32 v71, off, off offset:316 th:TH_LOAD_LU
	scratch_load_b32 v72, off, off offset:324 th:TH_LOAD_LU
	;; [unrolled: 1-line block ×5, first 2 shown]
	scratch_load_b32 v153, off, off offset:804
	scratch_load_b32 v76, off, off offset:328 th:TH_LOAD_LU
	scratch_load_b32 v78, off, off offset:56 th:TH_LOAD_LU
	;; [unrolled: 1-line block ×16, first 2 shown]
	s_wait_loadcnt 0x19
	v_mul_i32_i24_e32 v69, v33, v69
	s_wait_loadcnt 0x17
	v_mul_i32_i24_e32 v70, v32, v70
	;; [unrolled: 2-line block ×6, first 2 shown]
	v_add3_u32 v68, v68, v69, v70
	s_wait_loadcnt 0x11
	v_mul_i32_i24_e32 v75, v25, v75
	s_wait_loadcnt 0xf
	v_mul_i32_i24_e32 v76, v23, v76
	s_wait_loadcnt 0xe
	v_mul_i32_i24_e32 v78, v22, v78
	s_wait_loadcnt 0xd
	v_mul_i32_i24_e32 v82, v14, v82
	v_add3_u32 v68, v68, v71, v72
	s_wait_loadcnt 0xc
	v_mul_i32_i24_e32 v83, v10, v83
	s_wait_loadcnt 0xb
	v_mul_i32_i24_e32 v85, v11, v85
	;; [unrolled: 2-line block ×3, first 2 shown]
	scratch_load_b32 v91, off, off offset:80 th:TH_LOAD_LU ; 4-byte Folded Reload
	v_add3_u32 v68, v68, v73, v74
	s_wait_loadcnt 0x7
	v_mul_i32_i24_e32 v77, v24, v77
	v_mul_i32_i24_e32 v79, v21, v79
	s_wait_loadcnt 0x6
	v_mul_i32_i24_e32 v80, v20, v80
	s_wait_loadcnt 0x5
	v_mul_i32_i24_e32 v81, v15, v81
	v_add3_u32 v68, v68, v75, v76
	s_wait_loadcnt 0x3
	v_mul_i32_i24_e32 v84, v13, v84
	s_wait_loadcnt 0x2
	v_mul_i32_i24_e32 v86, v12, v86
	;; [unrolled: 2-line block ×3, first 2 shown]
	v_mul_i32_i24_e32 v88, v9, v88
	v_add3_u32 v68, v68, v77, v78
	v_mul_i32_i24_e32 v89, v4, v89
	v_mul_i32_i24_e32 v90, v5, v90
	v_mul_i32_i24_e32 v69, v62, v251
	v_mul_i32_i24_e32 v70, v60, v252
	v_add3_u32 v68, v68, v79, v80
	v_mul_i32_i24_e32 v71, v59, v253
	v_mul_i32_i24_e32 v72, v57, v117
	v_mul_i32_i24_e32 v73, v55, v210
	;; [unrolled: 5-line block ×7, first 2 shown]
	v_mul_i32_i24_e32 v46, v46, v142
	v_mul_i32_i24_e32 v45, v45, v240
	;; [unrolled: 1-line block ×9, first 2 shown]
	s_wait_loadcnt 0x0
	v_mul_i32_i24_e32 v93, v2, v91
	scratch_load_b32 v91, off, off offset:84 th:TH_LOAD_LU ; 4-byte Folded Reload
	v_add3_u32 v68, v68, v92, v93
	v_mul_i32_i24_e32 v92, v36, v233
	v_mul_i32_i24_e32 v93, v35, v234
	;; [unrolled: 1-line block ×4, first 2 shown]
	s_wait_loadcnt 0x0
	v_mul_i32_i24_e32 v94, v7, v91
	scratch_load_b32 v91, off, off offset:92 th:TH_LOAD_LU ; 4-byte Folded Reload
	s_wait_loadcnt 0x0
	v_mul_i32_i24_e32 v96, v1, v91
	scratch_load_b32 v91, off, off offset:88 th:TH_LOAD_LU ; 4-byte Folded Reload
	v_add3_u32 v68, v68, v94, v96
	v_mul_i32_i24_e32 v94, v34, v237
	v_mul_i32_i24_e32 v96, v3, v199
	;; [unrolled: 1-line block ×3, first 2 shown]
	s_wait_loadcnt 0x0
	v_mul_i32_i24_e32 v95, v0, v91
	v_mul_i32_i24_e32 v91, v37, v197
	;; [unrolled: 1-line block ×3, first 2 shown]
	s_delay_alu instid0(VALU_DEP_3) | instskip(SKIP_4) | instid1(VALU_DEP_1)
	v_add3_u32 v68, v68, v95, v97
	scratch_load_b32 v97, off, off offset:792 th:TH_LOAD_LU ; 4-byte Folded Reload
	v_mul_i32_i24_e32 v95, v0, v198
	v_mul_i32_i24_e32 v0, v0, v119
	v_mul_lo_u32 v68, v68, v163
	v_cvt_f32_i32_e32 v68, v68
	s_delay_alu instid0(VALU_DEP_1)
	v_fma_mix_f32 v66, v28, v68, v66 op_sel_hi:[1,0,0]
	scratch_load_b32 v68, off, off offset:236 th:TH_LOAD_LU ; 4-byte Folded Reload
	v_fma_f32 v66, v66, v154, -v67
	scratch_load_b32 v67, off, off offset:232 th:TH_LOAD_LU ; 4-byte Folded Reload
	s_wait_loadcnt 0x2
	v_add_f32_e32 v97, v97, v66
	scratch_load_b32 v66, off, off offset:852 th:TH_LOAD_LU ; 4-byte Folded Reload
	s_wait_loadcnt 0x2
	v_mul_i32_i24_e32 v68, v56, v68
	v_mul_i32_i24_e32 v56, v56, v139
	s_wait_loadcnt 0x1
	v_mul_i32_i24_e32 v67, v58, v67
	s_wait_loadcnt 0x0
	v_mul_i32_i24_e32 v66, v61, v66
	v_mul_i32_i24_e32 v61, v61, v248
	s_delay_alu instid0(VALU_DEP_2) | instskip(NEXT) | instid1(VALU_DEP_1)
	v_mad_i32_i24 v66, v65, v247, v66
	v_add3_u32 v66, v66, v67, v68
	v_mul_i32_i24_e32 v67, v64, v249
	v_mul_i32_i24_e32 v68, v63, v250
	s_delay_alu instid0(VALU_DEP_1) | instskip(SKIP_3) | instid1(VALU_DEP_4)
	v_add3_u32 v66, v66, v67, v68
	v_mul_i32_i24_e32 v68, v18, v194
	v_fma_mix_f32 v67, v191, v27, 0 op_sel:[0,1,0] op_sel_hi:[0,1,0]
	v_mul_i32_i24_e32 v18, v18, v130
	v_add3_u32 v66, v66, v69, v70
	v_mul_i32_i24_e32 v69, v17, v195
	v_mul_i32_i24_e32 v70, v16, v232
	v_mad_i32_i24 v68, v19, v196, v68
	v_fma_mix_f32 v67, v201, v28, v67 op_sel:[0,1,0] op_sel_hi:[0,1,0]
	v_add3_u32 v66, v66, v71, v72
	v_mul_i32_i24_e32 v71, v26, v236
	v_mul_i32_i24_e32 v72, v29, v169
	v_add3_u32 v68, v68, v69, v70
	v_mul_i32_i24_e32 v69, v33, v235
	v_mul_i32_i24_e32 v70, v32, v215
	;; [unrolled: 3-line block ×3, first 2 shown]
	v_mul_f32_e32 v67, v67, v202
	v_add3_u32 v68, v68, v69, v70
	v_add3_u32 v66, v66, v75, v76
	v_mul_i32_i24_e32 v75, v25, v203
	v_mul_i32_i24_e32 v76, v23, v224
	s_clause 0x1
	scratch_load_b32 v70, off, off offset:1308
	scratch_load_b32 v69, off, off offset:1288
	v_add3_u32 v68, v68, v71, v72
	v_add3_u32 v66, v66, v77, v78
	v_mul_i32_i24_e32 v77, v24, v225
	v_mul_i32_i24_e32 v78, v22, v227
	;; [unrolled: 1-line block ×3, first 2 shown]
	v_add3_u32 v68, v68, v73, v74
	v_add3_u32 v66, v66, v79, v80
	v_mul_i32_i24_e32 v79, v21, v226
	v_mul_i32_i24_e32 v80, v20, v172
	;; [unrolled: 1-line block ×3, first 2 shown]
	v_add3_u32 v68, v68, v75, v76
	v_add3_u32 v66, v66, v81, v82
	v_mul_i32_i24_e32 v81, v15, v228
	v_mul_i32_i24_e32 v82, v14, v212
	v_mad_i32_i24 v18, v19, v129, v18
	v_add3_u32 v68, v68, v77, v78
	v_add3_u32 v66, v66, v83, v84
	v_mul_i32_i24_e32 v83, v10, v209
	v_mul_i32_i24_e32 v84, v13, v213
	v_mul_i32_i24_e32 v22, v22, v100
	v_add3_u32 v68, v68, v79, v80
	v_add3_u32 v66, v66, v85, v86
	v_mul_i32_i24_e32 v85, v11, v214
	v_mul_i32_i24_e32 v86, v12, v217
	v_mul_i32_i24_e32 v19, v20, v101
	;; [unrolled: 5-line block ×3, first 2 shown]
	v_add3_u32 v68, v68, v83, v84
	v_add3_u32 v66, v66, v89, v90
	v_mul_i32_i24_e32 v89, v4, v219
	v_mul_i32_i24_e32 v90, v5, v221
	scratch_load_b32 v71, off, off offset:1312 ; 4-byte Folded Reload
	v_add3_u32 v68, v68, v85, v86
	v_add3_u32 v66, v66, v91, v92
	v_mul_i32_i24_e32 v91, v6, v220
	v_mul_i32_i24_e32 v92, v2, v222
	s_delay_alu instid0(VALU_DEP_4) | instskip(NEXT) | instid1(VALU_DEP_4)
	v_add3_u32 v68, v68, v87, v88
	v_add3_u32 v66, v66, v93, v94
	v_mul_i32_i24_e32 v93, v7, v223
	v_mul_i32_i24_e32 v94, v1, v168
	s_delay_alu instid0(VALU_DEP_4) | instskip(NEXT) | instid1(VALU_DEP_4)
	v_add3_u32 v68, v68, v89, v90
	v_mul_lo_u32 v66, v66, v189
	s_delay_alu instid0(VALU_DEP_2) | instskip(NEXT) | instid1(VALU_DEP_2)
	v_add3_u32 v68, v68, v91, v92
	v_cvt_f32_i32_e32 v66, v66
	s_delay_alu instid0(VALU_DEP_2) | instskip(NEXT) | instid1(VALU_DEP_2)
	v_add3_u32 v68, v68, v93, v94
	v_fma_mix_f32 v66, v27, v66, 0 op_sel_hi:[1,0,0]
	s_delay_alu instid0(VALU_DEP_2) | instskip(NEXT) | instid1(VALU_DEP_1)
	v_add3_u32 v68, v68, v95, v96
	v_mul_lo_u32 v68, v68, v128
	s_delay_alu instid0(VALU_DEP_1) | instskip(NEXT) | instid1(VALU_DEP_1)
	v_cvt_f32_i32_e32 v68, v68
	v_fma_mix_f32 v66, v28, v68, v66 op_sel_hi:[1,0,0]
	s_delay_alu instid0(VALU_DEP_1)
	v_fma_f32 v66, v66, v200, -v67
	scratch_load_b32 v67, off, off          ; 4-byte Folded Reload
	s_wait_loadcnt 0x0
	v_add_f32_e32 v67, v67, v66
	scratch_store_b32 off, v67, off         ; 4-byte Folded Spill
	s_clause 0x1
	scratch_load_b32 v66, off, off
	scratch_load_b32 v67, off, off offset:228 th:TH_LOAD_LU
	s_wait_loadcnt 0x0
	v_mul_i32_i24_e32 v58, v58, v67
	scratch_load_b32 v67, off, off offset:16 th:TH_LOAD_LU ; 4-byte Folded Reload
	s_wait_loadcnt 0x0
	v_mad_i32_i24 v61, v65, v67, v61
	scratch_load_b32 v65, off, off offset:1256 ; 4-byte Folded Reload
	v_add3_u32 v56, v61, v58, v56
	s_clause 0x1
	scratch_load_b32 v58, off, off offset:204 th:TH_LOAD_LU
	scratch_load_b32 v61, off, off offset:208 th:TH_LOAD_LU
	s_wait_loadcnt 0x1
	v_mul_i32_i24_e32 v58, v64, v58
	s_wait_loadcnt 0x0
	v_mul_i32_i24_e32 v61, v63, v61
	scratch_load_b32 v63, off, off offset:212 th:TH_LOAD_LU ; 4-byte Folded Reload
	v_add3_u32 v56, v56, v58, v61
	s_wait_loadcnt 0x0
	v_mul_i32_i24_e32 v62, v62, v63
	scratch_load_b32 v63, off, off offset:216 th:TH_LOAD_LU ; 4-byte Folded Reload
	s_wait_loadcnt 0x0
	v_mul_i32_i24_e32 v60, v60, v63
	scratch_load_b32 v63, off, off offset:220 th:TH_LOAD_LU ; 4-byte Folded Reload
	v_add3_u32 v56, v56, v62, v60
	s_wait_loadcnt 0x0
	v_mul_i32_i24_e32 v59, v59, v63
	scratch_load_b32 v63, off, off offset:224 th:TH_LOAD_LU ; 4-byte Folded Reload
	;; [unrolled: 7-line block ×5, first 2 shown]
	s_wait_loadcnt 0x0
	v_mul_i32_i24_e32 v50, v50, v63
	s_delay_alu instid0(VALU_DEP_1) | instskip(NEXT) | instid1(VALU_DEP_1)
	v_add3_u32 v50, v52, v51, v50
	v_add3_u32 v48, v50, v49, v48
	s_delay_alu instid0(VALU_DEP_1) | instskip(NEXT) | instid1(VALU_DEP_1)
	v_add3_u32 v46, v48, v47, v46
	v_add3_u32 v44, v46, v45, v44
	;; [unrolled: 3-line block ×3, first 2 shown]
	s_delay_alu instid0(VALU_DEP_1) | instskip(SKIP_2) | instid1(VALU_DEP_1)
	v_add3_u32 v38, v40, v39, v38
	scratch_load_b32 v40, off, off offset:788 th:TH_LOAD_LU ; 4-byte Folded Reload
	v_add3_u32 v36, v38, v37, v36
	v_add3_u32 v34, v36, v35, v34
	;; [unrolled: 1-line block ×3, first 2 shown]
	scratch_load_b32 v16, off, off offset:196 th:TH_LOAD_LU ; 4-byte Folded Reload
	v_mul_i32_i24_e32 v17, v14, v108
	v_mul_i32_i24_e32 v14, v10, v107
	;; [unrolled: 1-line block ×7, first 2 shown]
	v_mul_lo_u32 v34, v34, v230
	s_delay_alu instid0(VALU_DEP_1) | instskip(NEXT) | instid1(VALU_DEP_1)
	v_cvt_f32_i32_e32 v34, v34
	v_fma_mix_f32 v34, v27, v34, 0 op_sel_hi:[1,0,0]
	v_fma_mix_f32 v27, v238, v27, 0 op_sel:[0,1,0] op_sel_hi:[0,1,0]
	s_wait_loadcnt 0x0
	v_mul_i32_i24_e32 v36, v33, v16
	scratch_load_b32 v16, off, off offset:836 th:TH_LOAD_LU ; 4-byte Folded Reload
	s_wait_loadcnt 0x0
	v_mul_i32_i24_e32 v37, v32, v16
	scratch_load_b32 v16, off, off offset:832 th:TH_LOAD_LU ; 4-byte Folded Reload
	v_add3_u32 v3, v35, v36, v37
	s_wait_loadcnt 0x0
	v_mul_i32_i24_e32 v32, v26, v16
	scratch_load_b32 v16, off, off offset:840 th:TH_LOAD_LU ; 4-byte Folded Reload
	s_wait_loadcnt 0x0
	v_mul_i32_i24_e32 v33, v29, v16
	scratch_load_b32 v16, off, off offset:8 th:TH_LOAD_LU ; 4-byte Folded Reload
	v_add3_u32 v3, v3, v32, v33
	;; [unrolled: 7-line block ×4, first 2 shown]
	scratch_load_b32 v25, off, off offset:1248 ; 4-byte Folded Reload
	s_wait_loadcnt 0x1
	v_mul_i32_i24_e32 v23, v24, v16
	v_mul_i32_i24_e32 v16, v15, v102
	;; [unrolled: 1-line block ×5, first 2 shown]
	v_add3_u32 v3, v3, v23, v22
	v_mul_i32_i24_e32 v9, v5, v116
	v_mul_i32_i24_e32 v5, v6, v115
	;; [unrolled: 1-line block ×4, first 2 shown]
	v_add3_u32 v3, v3, v18, v19
	scratch_load_b32 v23, off, off offset:808 ; 4-byte Folded Reload
	v_add3_u32 v3, v3, v16, v17
	s_delay_alu instid0(VALU_DEP_1) | instskip(NEXT) | instid1(VALU_DEP_1)
	v_add3_u32 v3, v3, v14, v15
	v_add3_u32 v3, v3, v13, v12
	s_delay_alu instid0(VALU_DEP_1) | instskip(NEXT) | instid1(VALU_DEP_1)
	v_add3_u32 v3, v3, v10, v11
	;; [unrolled: 3-line block ×3, first 2 shown]
	v_add3_u32 v2, v3, v2, v4
	s_delay_alu instid0(VALU_DEP_1)
	v_add3_u32 v0, v2, v0, v1
	scratch_load_b32 v1, off, off offset:184 th:TH_LOAD_LU ; 4-byte Folded Reload
	s_wait_loadcnt 0x0
	v_mul_lo_u32 v0, v0, v1
	scratch_load_b32 v1, off, off offset:812 th:TH_LOAD_LU ; 4-byte Folded Reload
	v_cvt_f32_i32_e32 v0, v0
	s_delay_alu instid0(VALU_DEP_1)
	v_fma_mix_f32 v0, v28, v0, v34 op_sel_hi:[1,0,0]
	s_wait_loadcnt 0x0
	v_fma_mix_f32 v1, v1, v28, v27 op_sel:[0,1,0] op_sel_hi:[0,1,0]
	s_clause 0x1
	scratch_load_b32 v27, off, off offset:1252
	scratch_load_b32 v2, off, off offset:4
	s_wait_loadcnt 0x0
	v_mul_f32_e32 v1, v1, v2
	s_delay_alu instid0(VALU_DEP_1) | instskip(NEXT) | instid1(VALU_DEP_1)
	v_fma_f32 v0, v0, v192, -v1
	v_add_f32_e32 v40, v40, v0
	s_cbranch_scc1 .LBB172_8
; %bb.9:                                ;   in Loop: Header=BB172_5 Depth=1
	s_clause 0x18
	scratch_load_b32 v67, off, off offset:772
	scratch_load_b32 v64, off, off offset:768
	;; [unrolled: 1-line block ×25, first 2 shown]
	v_mov_b32_e32 v68, v23
	s_add_co_i32 s4, s4, 1
	s_wait_loadcnt 0x0
	s_wait_storecnt 0x0
	s_wait_alu 0xfffe
	s_cmp_eq_u32 s4, s15
	s_barrier_signal -1
	s_barrier_wait -1
	global_inv scope:SCOPE_SE
	s_cbranch_scc0 .LBB172_5
; %bb.10:
	s_clause 0x2
	scratch_load_b32 v1, off, off offset:1680 th:TH_LOAD_LU
	scratch_load_b32 v2, off, off offset:1684 th:TH_LOAD_LU
	scratch_load_b32 v3, off, off offset:1688
.LBB172_11:
	s_mov_b32 s0, exec_lo
	s_wait_loadcnt 0x0
	v_cmpx_gt_u32_e64 s6, v3
	s_cbranch_execz .LBB172_62
; %bb.12:
	v_add_nc_u32_e32 v0, s14, v2
	v_mul_lo_u32 v5, v3, s12
	s_delay_alu instid0(VALU_DEP_2)
	v_cmp_gt_u32_e32 vcc_lo, s12, v0
	s_and_saveexec_b32 s1, vcc_lo
	s_cbranch_execz .LBB172_14
; %bb.13:
	v_bfe_u32 v3, v153, 16, 1
	s_delay_alu instid0(VALU_DEP_3) | instskip(SKIP_1) | instid1(VALU_DEP_3)
	v_add_nc_u32_e32 v2, v0, v5
	v_cmp_o_f32_e64 s0, v153, v153
	v_add3_u32 v4, v153, v3, 0x7fff
	v_mov_b32_e32 v3, 0
	s_delay_alu instid0(VALU_DEP_2) | instskip(NEXT) | instid1(VALU_DEP_2)
	v_lshrrev_b32_e32 v4, 16, v4
	v_lshlrev_b64_e32 v[2:3], 1, v[2:3]
	s_delay_alu instid0(VALU_DEP_2) | instskip(SKIP_1) | instid1(VALU_DEP_2)
	v_cndmask_b32_e64 v4, 0x7fc0, v4, s0
	s_wait_kmcnt 0x0
	v_add_co_u32 v2, s0, s8, v2
	s_wait_alu 0xf1ff
	s_delay_alu instid0(VALU_DEP_3)
	v_add_co_ci_u32_e64 v3, null, s9, v3, s0
	global_store_b16 v[2:3], v4, off
.LBB172_14:
	s_or_b32 exec_lo, exec_lo, s1
	v_add_nc_u32_e32 v2, 32, v0
	s_delay_alu instid0(VALU_DEP_1)
	v_cmp_gt_u32_e64 s0, s12, v2
	s_and_saveexec_b32 s2, s0
	s_cbranch_execz .LBB172_16
; %bb.15:
	v_bfe_u32 v4, v68, 16, 1
	v_add_nc_u32_e32 v3, v2, v5
	v_cmp_o_f32_e64 s1, v68, v68
	s_delay_alu instid0(VALU_DEP_3) | instskip(SKIP_1) | instid1(VALU_DEP_2)
	v_add3_u32 v6, v68, v4, 0x7fff
	v_mov_b32_e32 v4, 0
	v_lshrrev_b32_e32 v6, 16, v6
	s_delay_alu instid0(VALU_DEP_2) | instskip(SKIP_1) | instid1(VALU_DEP_2)
	v_lshlrev_b64_e32 v[3:4], 1, v[3:4]
	s_wait_alu 0xf1ff
	v_cndmask_b32_e64 v6, 0x7fc0, v6, s1
	s_wait_kmcnt 0x0
	s_delay_alu instid0(VALU_DEP_2)
	v_add_co_u32 v3, s1, s8, v3
	s_wait_alu 0xf1ff
	v_add_co_ci_u32_e64 v4, null, s9, v4, s1
	global_store_b16 v[3:4], v6, off
.LBB172_16:
	s_wait_alu 0xfffe
	s_or_b32 exec_lo, exec_lo, s2
	v_add_nc_u32_e32 v3, 64, v0
	s_delay_alu instid0(VALU_DEP_1)
	v_cmp_gt_u32_e64 s1, s12, v3
	s_and_saveexec_b32 s3, s1
	s_cbranch_execz .LBB172_18
; %bb.17:
	v_bfe_u32 v4, v67, 16, 1
	v_dual_mov_b32 v7, 0 :: v_dual_add_nc_u32 v6, v3, v5
	v_cmp_o_f32_e64 s2, v67, v67
	s_delay_alu instid0(VALU_DEP_3) | instskip(NEXT) | instid1(VALU_DEP_3)
	v_add3_u32 v4, v67, v4, 0x7fff
	v_lshlrev_b64_e32 v[6:7], 1, v[6:7]
	s_delay_alu instid0(VALU_DEP_2) | instskip(SKIP_1) | instid1(VALU_DEP_1)
	v_lshrrev_b32_e32 v4, 16, v4
	s_wait_alu 0xf1ff
	v_cndmask_b32_e64 v4, 0x7fc0, v4, s2
	s_wait_kmcnt 0x0
	s_delay_alu instid0(VALU_DEP_3)
	v_add_co_u32 v6, s2, s8, v6
	s_wait_alu 0xf1ff
	v_add_co_ci_u32_e64 v7, null, s9, v7, s2
	global_store_b16 v[6:7], v4, off
.LBB172_18:
	s_wait_alu 0xfffe
	s_or_b32 exec_lo, exec_lo, s3
	v_add_nc_u32_e32 v4, 0x60, v0
	s_delay_alu instid0(VALU_DEP_1)
	v_cmp_gt_u32_e64 s2, s12, v4
	s_and_saveexec_b32 s4, s2
	s_cbranch_execz .LBB172_20
; %bb.19:
	v_bfe_u32 v6, v64, 16, 1
	v_add_nc_u32_e32 v5, v4, v5
	v_cmp_o_f32_e64 s3, v64, v64
	s_delay_alu instid0(VALU_DEP_3) | instskip(SKIP_1) | instid1(VALU_DEP_2)
	v_add3_u32 v7, v64, v6, 0x7fff
	v_mov_b32_e32 v6, 0
	v_lshrrev_b32_e32 v7, 16, v7
	s_delay_alu instid0(VALU_DEP_2) | instskip(SKIP_1) | instid1(VALU_DEP_2)
	v_lshlrev_b64_e32 v[5:6], 1, v[5:6]
	s_wait_alu 0xf1ff
	v_cndmask_b32_e64 v7, 0x7fc0, v7, s3
	s_wait_kmcnt 0x0
	s_delay_alu instid0(VALU_DEP_2)
	v_add_co_u32 v5, s3, s8, v5
	s_wait_alu 0xf1ff
	v_add_co_ci_u32_e64 v6, null, s9, v6, s3
	global_store_b16 v[5:6], v7, off
.LBB172_20:
	s_wait_alu 0xfffe
	s_or_b32 exec_lo, exec_lo, s4
	v_add3_u32 v5, v1, s13, 8
	s_delay_alu instid0(VALU_DEP_1)
	v_cmp_gt_u32_e64 s3, s6, v5
	s_and_b32 exec_lo, exec_lo, s3
	s_cbranch_execz .LBB172_62
; %bb.21:
	v_mul_lo_u32 v5, v5, s12
	s_and_saveexec_b32 s4, vcc_lo
	s_cbranch_execnz .LBB172_63
; %bb.22:
	s_wait_alu 0xfffe
	s_or_b32 exec_lo, exec_lo, s4
	s_and_saveexec_b32 s4, s0
	s_cbranch_execnz .LBB172_64
.LBB172_23:
	s_wait_alu 0xfffe
	s_or_b32 exec_lo, exec_lo, s4
	s_and_saveexec_b32 s4, s1
	s_cbranch_execnz .LBB172_65
.LBB172_24:
	s_wait_alu 0xfffe
	s_or_b32 exec_lo, exec_lo, s4
	s_and_saveexec_b32 s4, s2
	s_cbranch_execz .LBB172_26
.LBB172_25:
	v_bfe_u32 v6, v60, 16, 1
	v_add_nc_u32_e32 v5, v5, v4
	v_cmp_o_f32_e64 s3, v60, v60
	s_delay_alu instid0(VALU_DEP_3) | instskip(SKIP_1) | instid1(VALU_DEP_2)
	v_add3_u32 v7, v60, v6, 0x7fff
	v_mov_b32_e32 v6, 0
	v_lshrrev_b32_e32 v7, 16, v7
	s_delay_alu instid0(VALU_DEP_2) | instskip(SKIP_1) | instid1(VALU_DEP_2)
	v_lshlrev_b64_e32 v[5:6], 1, v[5:6]
	s_wait_alu 0xf1ff
	v_cndmask_b32_e64 v7, 0x7fc0, v7, s3
	s_wait_kmcnt 0x0
	s_delay_alu instid0(VALU_DEP_2)
	v_add_co_u32 v5, s3, s8, v5
	s_wait_alu 0xf1ff
	v_add_co_ci_u32_e64 v6, null, s9, v6, s3
	global_store_b16 v[5:6], v7, off
.LBB172_26:
	s_wait_alu 0xfffe
	s_or_b32 exec_lo, exec_lo, s4
	v_add3_u32 v5, v1, s13, 16
	s_delay_alu instid0(VALU_DEP_1)
	v_cmp_gt_u32_e64 s3, s6, v5
	s_and_b32 exec_lo, exec_lo, s3
	s_cbranch_execz .LBB172_62
; %bb.27:
	v_mul_lo_u32 v5, v5, s12
	s_and_saveexec_b32 s4, vcc_lo
	s_cbranch_execnz .LBB172_66
; %bb.28:
	s_wait_alu 0xfffe
	s_or_b32 exec_lo, exec_lo, s4
	s_and_saveexec_b32 s4, s0
	s_cbranch_execnz .LBB172_67
.LBB172_29:
	s_wait_alu 0xfffe
	s_or_b32 exec_lo, exec_lo, s4
	s_and_saveexec_b32 s4, s1
	s_cbranch_execnz .LBB172_68
.LBB172_30:
	s_wait_alu 0xfffe
	s_or_b32 exec_lo, exec_lo, s4
	s_and_saveexec_b32 s4, s2
	s_cbranch_execz .LBB172_32
.LBB172_31:
	v_bfe_u32 v6, v56, 16, 1
	v_add_nc_u32_e32 v5, v5, v4
	v_cmp_o_f32_e64 s3, v56, v56
	s_delay_alu instid0(VALU_DEP_3) | instskip(SKIP_1) | instid1(VALU_DEP_2)
	v_add3_u32 v7, v56, v6, 0x7fff
	v_mov_b32_e32 v6, 0
	v_lshrrev_b32_e32 v7, 16, v7
	s_delay_alu instid0(VALU_DEP_2) | instskip(SKIP_1) | instid1(VALU_DEP_2)
	v_lshlrev_b64_e32 v[5:6], 1, v[5:6]
	s_wait_alu 0xf1ff
	v_cndmask_b32_e64 v7, 0x7fc0, v7, s3
	s_wait_kmcnt 0x0
	s_delay_alu instid0(VALU_DEP_2)
	v_add_co_u32 v5, s3, s8, v5
	s_wait_alu 0xf1ff
	v_add_co_ci_u32_e64 v6, null, s9, v6, s3
	global_store_b16 v[5:6], v7, off
.LBB172_32:
	s_wait_alu 0xfffe
	s_or_b32 exec_lo, exec_lo, s4
	v_add3_u32 v5, v1, s13, 24
	s_delay_alu instid0(VALU_DEP_1)
	v_cmp_gt_u32_e64 s3, s6, v5
	s_and_b32 exec_lo, exec_lo, s3
	s_cbranch_execz .LBB172_62
; %bb.33:
	v_mul_lo_u32 v5, v5, s12
	s_and_saveexec_b32 s4, vcc_lo
	s_cbranch_execnz .LBB172_69
; %bb.34:
	s_wait_alu 0xfffe
	s_or_b32 exec_lo, exec_lo, s4
	s_and_saveexec_b32 s4, s0
	s_cbranch_execnz .LBB172_70
.LBB172_35:
	s_wait_alu 0xfffe
	s_or_b32 exec_lo, exec_lo, s4
	s_and_saveexec_b32 s4, s1
	s_cbranch_execnz .LBB172_71
.LBB172_36:
	s_wait_alu 0xfffe
	s_or_b32 exec_lo, exec_lo, s4
	s_and_saveexec_b32 s4, s2
	s_cbranch_execz .LBB172_38
.LBB172_37:
	v_bfe_u32 v6, v20, 16, 1
	v_add_nc_u32_e32 v5, v5, v4
	v_cmp_o_f32_e64 s3, v20, v20
	s_delay_alu instid0(VALU_DEP_3) | instskip(SKIP_1) | instid1(VALU_DEP_2)
	v_add3_u32 v7, v20, v6, 0x7fff
	v_mov_b32_e32 v6, 0
	v_lshrrev_b32_e32 v7, 16, v7
	s_delay_alu instid0(VALU_DEP_2) | instskip(SKIP_1) | instid1(VALU_DEP_2)
	v_lshlrev_b64_e32 v[5:6], 1, v[5:6]
	s_wait_alu 0xf1ff
	v_cndmask_b32_e64 v7, 0x7fc0, v7, s3
	s_wait_kmcnt 0x0
	s_delay_alu instid0(VALU_DEP_2)
	v_add_co_u32 v5, s3, s8, v5
	s_wait_alu 0xf1ff
	v_add_co_ci_u32_e64 v6, null, s9, v6, s3
	global_store_b16 v[5:6], v7, off
.LBB172_38:
	s_wait_alu 0xfffe
	s_or_b32 exec_lo, exec_lo, s4
	v_add3_u32 v5, v1, s13, 32
	s_delay_alu instid0(VALU_DEP_1)
	v_cmp_gt_u32_e64 s3, s6, v5
	s_and_b32 exec_lo, exec_lo, s3
	s_cbranch_execz .LBB172_62
; %bb.39:
	v_mul_lo_u32 v5, v5, s12
	s_and_saveexec_b32 s4, vcc_lo
	s_cbranch_execnz .LBB172_72
; %bb.40:
	s_wait_alu 0xfffe
	s_or_b32 exec_lo, exec_lo, s4
	s_and_saveexec_b32 s4, s0
	s_cbranch_execnz .LBB172_73
.LBB172_41:
	s_wait_alu 0xfffe
	s_or_b32 exec_lo, exec_lo, s4
	s_and_saveexec_b32 s4, s1
	s_cbranch_execnz .LBB172_74
.LBB172_42:
	s_wait_alu 0xfffe
	s_or_b32 exec_lo, exec_lo, s4
	s_and_saveexec_b32 s4, s2
	s_cbranch_execz .LBB172_44
.LBB172_43:
	v_bfe_u32 v6, v16, 16, 1
	v_add_nc_u32_e32 v5, v5, v4
	v_cmp_o_f32_e64 s3, v16, v16
	s_delay_alu instid0(VALU_DEP_3) | instskip(SKIP_1) | instid1(VALU_DEP_2)
	v_add3_u32 v7, v16, v6, 0x7fff
	v_mov_b32_e32 v6, 0
	v_lshrrev_b32_e32 v7, 16, v7
	s_delay_alu instid0(VALU_DEP_2) | instskip(SKIP_1) | instid1(VALU_DEP_2)
	v_lshlrev_b64_e32 v[5:6], 1, v[5:6]
	s_wait_alu 0xf1ff
	v_cndmask_b32_e64 v7, 0x7fc0, v7, s3
	s_wait_kmcnt 0x0
	s_delay_alu instid0(VALU_DEP_2)
	v_add_co_u32 v5, s3, s8, v5
	s_wait_alu 0xf1ff
	v_add_co_ci_u32_e64 v6, null, s9, v6, s3
	global_store_b16 v[5:6], v7, off
.LBB172_44:
	s_wait_alu 0xfffe
	s_or_b32 exec_lo, exec_lo, s4
	v_add3_u32 v5, v1, s13, 40
	s_delay_alu instid0(VALU_DEP_1)
	v_cmp_gt_u32_e64 s3, s6, v5
	s_and_b32 exec_lo, exec_lo, s3
	s_cbranch_execz .LBB172_62
; %bb.45:
	v_mul_lo_u32 v5, v5, s12
	s_and_saveexec_b32 s4, vcc_lo
	s_cbranch_execnz .LBB172_75
; %bb.46:
	s_wait_alu 0xfffe
	s_or_b32 exec_lo, exec_lo, s4
	s_and_saveexec_b32 s4, s0
	s_cbranch_execnz .LBB172_76
.LBB172_47:
	s_wait_alu 0xfffe
	s_or_b32 exec_lo, exec_lo, s4
	s_and_saveexec_b32 s4, s1
	s_cbranch_execnz .LBB172_77
.LBB172_48:
	s_wait_alu 0xfffe
	s_or_b32 exec_lo, exec_lo, s4
	s_and_saveexec_b32 s4, s2
	s_cbranch_execz .LBB172_50
.LBB172_49:
	v_bfe_u32 v6, v12, 16, 1
	v_add_nc_u32_e32 v5, v5, v4
	v_cmp_o_f32_e64 s3, v12, v12
	s_delay_alu instid0(VALU_DEP_3) | instskip(SKIP_1) | instid1(VALU_DEP_2)
	v_add3_u32 v7, v12, v6, 0x7fff
	v_mov_b32_e32 v6, 0
	v_lshrrev_b32_e32 v7, 16, v7
	s_delay_alu instid0(VALU_DEP_2) | instskip(SKIP_1) | instid1(VALU_DEP_2)
	v_lshlrev_b64_e32 v[5:6], 1, v[5:6]
	s_wait_alu 0xf1ff
	v_cndmask_b32_e64 v7, 0x7fc0, v7, s3
	s_wait_kmcnt 0x0
	s_delay_alu instid0(VALU_DEP_2)
	v_add_co_u32 v5, s3, s8, v5
	s_wait_alu 0xf1ff
	v_add_co_ci_u32_e64 v6, null, s9, v6, s3
	global_store_b16 v[5:6], v7, off
.LBB172_50:
	s_wait_alu 0xfffe
	s_or_b32 exec_lo, exec_lo, s4
	v_add3_u32 v5, v1, s13, 48
	s_delay_alu instid0(VALU_DEP_1)
	v_cmp_gt_u32_e64 s3, s6, v5
	s_and_b32 exec_lo, exec_lo, s3
	s_cbranch_execz .LBB172_62
; %bb.51:
	v_mul_lo_u32 v5, v5, s12
	s_and_saveexec_b32 s4, vcc_lo
	s_cbranch_execnz .LBB172_78
; %bb.52:
	s_wait_alu 0xfffe
	s_or_b32 exec_lo, exec_lo, s4
	s_and_saveexec_b32 s4, s0
	s_cbranch_execnz .LBB172_79
.LBB172_53:
	s_wait_alu 0xfffe
	s_or_b32 exec_lo, exec_lo, s4
	s_and_saveexec_b32 s4, s1
	s_cbranch_execnz .LBB172_80
.LBB172_54:
	s_wait_alu 0xfffe
	s_or_b32 exec_lo, exec_lo, s4
	s_and_saveexec_b32 s4, s2
	s_cbranch_execz .LBB172_56
.LBB172_55:
	v_bfe_u32 v6, v127, 16, 1
	v_add_nc_u32_e32 v5, v5, v4
	v_cmp_o_f32_e64 s3, v127, v127
	s_delay_alu instid0(VALU_DEP_3) | instskip(SKIP_1) | instid1(VALU_DEP_2)
	v_add3_u32 v7, v127, v6, 0x7fff
	v_mov_b32_e32 v6, 0
	v_lshrrev_b32_e32 v7, 16, v7
	s_delay_alu instid0(VALU_DEP_2) | instskip(SKIP_1) | instid1(VALU_DEP_2)
	v_lshlrev_b64_e32 v[5:6], 1, v[5:6]
	s_wait_alu 0xf1ff
	v_cndmask_b32_e64 v7, 0x7fc0, v7, s3
	s_wait_kmcnt 0x0
	s_delay_alu instid0(VALU_DEP_2)
	v_add_co_u32 v5, s3, s8, v5
	s_wait_alu 0xf1ff
	v_add_co_ci_u32_e64 v6, null, s9, v6, s3
	global_store_b16 v[5:6], v7, off
.LBB172_56:
	s_wait_alu 0xfffe
	s_or_b32 exec_lo, exec_lo, s4
	v_add3_u32 v1, v1, s13, 56
	s_delay_alu instid0(VALU_DEP_1)
	v_cmp_gt_u32_e64 s3, s6, v1
	s_and_b32 exec_lo, exec_lo, s3
	s_cbranch_execz .LBB172_62
; %bb.57:
	v_mul_lo_u32 v1, v1, s12
	s_and_saveexec_b32 s3, vcc_lo
	s_cbranch_execnz .LBB172_81
; %bb.58:
	s_wait_alu 0xfffe
	s_or_b32 exec_lo, exec_lo, s3
	s_and_saveexec_b32 s3, s0
	s_cbranch_execnz .LBB172_82
.LBB172_59:
	s_wait_alu 0xfffe
	s_or_b32 exec_lo, exec_lo, s3
	s_and_saveexec_b32 s0, s1
	s_cbranch_execnz .LBB172_83
.LBB172_60:
	s_wait_alu 0xfffe
	s_or_b32 exec_lo, exec_lo, s0
	s_delay_alu instid0(SALU_CYCLE_1)
	s_and_b32 exec_lo, exec_lo, s2
	s_cbranch_execz .LBB172_62
.LBB172_61:
	v_bfe_u32 v2, v40, 16, 1
	v_dual_mov_b32 v1, 0 :: v_dual_add_nc_u32 v0, v1, v4
	v_cmp_o_f32_e32 vcc_lo, v40, v40
	s_delay_alu instid0(VALU_DEP_3) | instskip(NEXT) | instid1(VALU_DEP_3)
	v_add3_u32 v2, v40, v2, 0x7fff
	v_lshlrev_b64_e32 v[0:1], 1, v[0:1]
	s_delay_alu instid0(VALU_DEP_2) | instskip(SKIP_1) | instid1(VALU_DEP_1)
	v_lshrrev_b32_e32 v2, 16, v2
	s_wait_alu 0xfffd
	v_cndmask_b32_e32 v2, 0x7fc0, v2, vcc_lo
	s_wait_kmcnt 0x0
	s_delay_alu instid0(VALU_DEP_3)
	v_add_co_u32 v0, vcc_lo, s8, v0
	s_wait_alu 0xfffd
	v_add_co_ci_u32_e64 v1, null, s9, v1, vcc_lo
	global_store_b16 v[0:1], v2, off
.LBB172_62:
	s_nop 0
	s_sendmsg sendmsg(MSG_DEALLOC_VGPRS)
	s_endpgm
.LBB172_63:
	v_bfe_u32 v7, v63, 16, 1
	s_delay_alu instid0(VALU_DEP_2) | instskip(SKIP_1) | instid1(VALU_DEP_3)
	v_add_nc_u32_e32 v6, v5, v0
	v_cmp_o_f32_e64 s3, v63, v63
	v_add3_u32 v8, v63, v7, 0x7fff
	v_mov_b32_e32 v7, 0
	s_delay_alu instid0(VALU_DEP_2) | instskip(NEXT) | instid1(VALU_DEP_2)
	v_lshrrev_b32_e32 v8, 16, v8
	v_lshlrev_b64_e32 v[6:7], 1, v[6:7]
	s_wait_alu 0xf1ff
	s_delay_alu instid0(VALU_DEP_2) | instskip(SKIP_1) | instid1(VALU_DEP_2)
	v_cndmask_b32_e64 v8, 0x7fc0, v8, s3
	s_wait_kmcnt 0x0
	v_add_co_u32 v6, s3, s8, v6
	s_wait_alu 0xf1ff
	v_add_co_ci_u32_e64 v7, null, s9, v7, s3
	global_store_b16 v[6:7], v8, off
	s_wait_alu 0xfffe
	s_or_b32 exec_lo, exec_lo, s4
	s_and_saveexec_b32 s4, s0
	s_cbranch_execz .LBB172_23
.LBB172_64:
	v_bfe_u32 v7, v62, 16, 1
	v_add_nc_u32_e32 v6, v5, v2
	v_cmp_o_f32_e64 s3, v62, v62
	s_delay_alu instid0(VALU_DEP_3) | instskip(SKIP_1) | instid1(VALU_DEP_2)
	v_add3_u32 v8, v62, v7, 0x7fff
	v_mov_b32_e32 v7, 0
	v_lshrrev_b32_e32 v8, 16, v8
	s_delay_alu instid0(VALU_DEP_2) | instskip(SKIP_1) | instid1(VALU_DEP_2)
	v_lshlrev_b64_e32 v[6:7], 1, v[6:7]
	s_wait_alu 0xf1ff
	v_cndmask_b32_e64 v8, 0x7fc0, v8, s3
	s_wait_kmcnt 0x0
	s_delay_alu instid0(VALU_DEP_2)
	v_add_co_u32 v6, s3, s8, v6
	s_wait_alu 0xf1ff
	v_add_co_ci_u32_e64 v7, null, s9, v7, s3
	global_store_b16 v[6:7], v8, off
	s_wait_alu 0xfffe
	s_or_b32 exec_lo, exec_lo, s4
	s_and_saveexec_b32 s4, s1
	s_cbranch_execz .LBB172_24
.LBB172_65:
	v_bfe_u32 v7, v61, 16, 1
	v_add_nc_u32_e32 v6, v5, v3
	v_cmp_o_f32_e64 s3, v61, v61
	s_delay_alu instid0(VALU_DEP_3) | instskip(SKIP_1) | instid1(VALU_DEP_2)
	v_add3_u32 v8, v61, v7, 0x7fff
	v_mov_b32_e32 v7, 0
	v_lshrrev_b32_e32 v8, 16, v8
	s_delay_alu instid0(VALU_DEP_2) | instskip(SKIP_1) | instid1(VALU_DEP_2)
	v_lshlrev_b64_e32 v[6:7], 1, v[6:7]
	s_wait_alu 0xf1ff
	v_cndmask_b32_e64 v8, 0x7fc0, v8, s3
	s_wait_kmcnt 0x0
	s_delay_alu instid0(VALU_DEP_2)
	v_add_co_u32 v6, s3, s8, v6
	s_wait_alu 0xf1ff
	v_add_co_ci_u32_e64 v7, null, s9, v7, s3
	global_store_b16 v[6:7], v8, off
	s_wait_alu 0xfffe
	s_or_b32 exec_lo, exec_lo, s4
	s_and_saveexec_b32 s4, s2
	s_cbranch_execnz .LBB172_25
	s_branch .LBB172_26
.LBB172_66:
	v_bfe_u32 v7, v59, 16, 1
	s_delay_alu instid0(VALU_DEP_2) | instskip(SKIP_1) | instid1(VALU_DEP_3)
	v_add_nc_u32_e32 v6, v5, v0
	v_cmp_o_f32_e64 s3, v59, v59
	v_add3_u32 v8, v59, v7, 0x7fff
	v_mov_b32_e32 v7, 0
	s_delay_alu instid0(VALU_DEP_2) | instskip(NEXT) | instid1(VALU_DEP_2)
	v_lshrrev_b32_e32 v8, 16, v8
	v_lshlrev_b64_e32 v[6:7], 1, v[6:7]
	s_wait_alu 0xf1ff
	s_delay_alu instid0(VALU_DEP_2) | instskip(SKIP_1) | instid1(VALU_DEP_2)
	v_cndmask_b32_e64 v8, 0x7fc0, v8, s3
	s_wait_kmcnt 0x0
	v_add_co_u32 v6, s3, s8, v6
	s_wait_alu 0xf1ff
	v_add_co_ci_u32_e64 v7, null, s9, v7, s3
	global_store_b16 v[6:7], v8, off
	s_wait_alu 0xfffe
	s_or_b32 exec_lo, exec_lo, s4
	s_and_saveexec_b32 s4, s0
	s_cbranch_execz .LBB172_29
.LBB172_67:
	v_bfe_u32 v7, v58, 16, 1
	v_add_nc_u32_e32 v6, v5, v2
	v_cmp_o_f32_e64 s3, v58, v58
	s_delay_alu instid0(VALU_DEP_3) | instskip(SKIP_1) | instid1(VALU_DEP_2)
	v_add3_u32 v8, v58, v7, 0x7fff
	v_mov_b32_e32 v7, 0
	v_lshrrev_b32_e32 v8, 16, v8
	s_delay_alu instid0(VALU_DEP_2) | instskip(SKIP_1) | instid1(VALU_DEP_2)
	v_lshlrev_b64_e32 v[6:7], 1, v[6:7]
	s_wait_alu 0xf1ff
	v_cndmask_b32_e64 v8, 0x7fc0, v8, s3
	s_wait_kmcnt 0x0
	s_delay_alu instid0(VALU_DEP_2)
	v_add_co_u32 v6, s3, s8, v6
	s_wait_alu 0xf1ff
	v_add_co_ci_u32_e64 v7, null, s9, v7, s3
	global_store_b16 v[6:7], v8, off
	s_wait_alu 0xfffe
	s_or_b32 exec_lo, exec_lo, s4
	s_and_saveexec_b32 s4, s1
	s_cbranch_execz .LBB172_30
.LBB172_68:
	v_bfe_u32 v7, v57, 16, 1
	v_add_nc_u32_e32 v6, v5, v3
	v_cmp_o_f32_e64 s3, v57, v57
	s_delay_alu instid0(VALU_DEP_3) | instskip(SKIP_1) | instid1(VALU_DEP_2)
	v_add3_u32 v8, v57, v7, 0x7fff
	v_mov_b32_e32 v7, 0
	v_lshrrev_b32_e32 v8, 16, v8
	s_delay_alu instid0(VALU_DEP_2) | instskip(SKIP_1) | instid1(VALU_DEP_2)
	v_lshlrev_b64_e32 v[6:7], 1, v[6:7]
	s_wait_alu 0xf1ff
	v_cndmask_b32_e64 v8, 0x7fc0, v8, s3
	s_wait_kmcnt 0x0
	s_delay_alu instid0(VALU_DEP_2)
	v_add_co_u32 v6, s3, s8, v6
	s_wait_alu 0xf1ff
	v_add_co_ci_u32_e64 v7, null, s9, v7, s3
	global_store_b16 v[6:7], v8, off
	s_wait_alu 0xfffe
	s_or_b32 exec_lo, exec_lo, s4
	s_and_saveexec_b32 s4, s2
	s_cbranch_execnz .LBB172_31
	s_branch .LBB172_32
.LBB172_69:
	v_bfe_u32 v7, v55, 16, 1
	s_delay_alu instid0(VALU_DEP_2) | instskip(SKIP_1) | instid1(VALU_DEP_3)
	v_add_nc_u32_e32 v6, v5, v0
	v_cmp_o_f32_e64 s3, v55, v55
	v_add3_u32 v8, v55, v7, 0x7fff
	v_mov_b32_e32 v7, 0
	s_delay_alu instid0(VALU_DEP_2) | instskip(NEXT) | instid1(VALU_DEP_2)
	v_lshrrev_b32_e32 v8, 16, v8
	v_lshlrev_b64_e32 v[6:7], 1, v[6:7]
	s_wait_alu 0xf1ff
	s_delay_alu instid0(VALU_DEP_2) | instskip(SKIP_1) | instid1(VALU_DEP_2)
	v_cndmask_b32_e64 v8, 0x7fc0, v8, s3
	s_wait_kmcnt 0x0
	v_add_co_u32 v6, s3, s8, v6
	s_wait_alu 0xf1ff
	v_add_co_ci_u32_e64 v7, null, s9, v7, s3
	global_store_b16 v[6:7], v8, off
	s_wait_alu 0xfffe
	s_or_b32 exec_lo, exec_lo, s4
	s_and_saveexec_b32 s4, s0
	s_cbranch_execz .LBB172_35
.LBB172_70:
	v_bfe_u32 v7, v54, 16, 1
	v_add_nc_u32_e32 v6, v5, v2
	v_cmp_o_f32_e64 s3, v54, v54
	s_delay_alu instid0(VALU_DEP_3) | instskip(SKIP_1) | instid1(VALU_DEP_2)
	v_add3_u32 v8, v54, v7, 0x7fff
	v_mov_b32_e32 v7, 0
	v_lshrrev_b32_e32 v8, 16, v8
	s_delay_alu instid0(VALU_DEP_2) | instskip(SKIP_1) | instid1(VALU_DEP_2)
	v_lshlrev_b64_e32 v[6:7], 1, v[6:7]
	s_wait_alu 0xf1ff
	v_cndmask_b32_e64 v8, 0x7fc0, v8, s3
	s_wait_kmcnt 0x0
	s_delay_alu instid0(VALU_DEP_2)
	v_add_co_u32 v6, s3, s8, v6
	s_wait_alu 0xf1ff
	v_add_co_ci_u32_e64 v7, null, s9, v7, s3
	global_store_b16 v[6:7], v8, off
	s_wait_alu 0xfffe
	s_or_b32 exec_lo, exec_lo, s4
	s_and_saveexec_b32 s4, s1
	s_cbranch_execz .LBB172_36
.LBB172_71:
	v_bfe_u32 v7, v53, 16, 1
	v_add_nc_u32_e32 v6, v5, v3
	v_cmp_o_f32_e64 s3, v53, v53
	s_delay_alu instid0(VALU_DEP_3) | instskip(SKIP_1) | instid1(VALU_DEP_2)
	v_add3_u32 v8, v53, v7, 0x7fff
	v_mov_b32_e32 v7, 0
	v_lshrrev_b32_e32 v8, 16, v8
	s_delay_alu instid0(VALU_DEP_2) | instskip(SKIP_1) | instid1(VALU_DEP_2)
	v_lshlrev_b64_e32 v[6:7], 1, v[6:7]
	s_wait_alu 0xf1ff
	v_cndmask_b32_e64 v8, 0x7fc0, v8, s3
	s_wait_kmcnt 0x0
	s_delay_alu instid0(VALU_DEP_2)
	v_add_co_u32 v6, s3, s8, v6
	s_wait_alu 0xf1ff
	v_add_co_ci_u32_e64 v7, null, s9, v7, s3
	global_store_b16 v[6:7], v8, off
	s_wait_alu 0xfffe
	s_or_b32 exec_lo, exec_lo, s4
	s_and_saveexec_b32 s4, s2
	s_cbranch_execnz .LBB172_37
	s_branch .LBB172_38
.LBB172_72:
	v_bfe_u32 v7, v19, 16, 1
	s_delay_alu instid0(VALU_DEP_2) | instskip(SKIP_1) | instid1(VALU_DEP_3)
	v_add_nc_u32_e32 v6, v5, v0
	v_cmp_o_f32_e64 s3, v19, v19
	v_add3_u32 v8, v19, v7, 0x7fff
	v_mov_b32_e32 v7, 0
	s_delay_alu instid0(VALU_DEP_2) | instskip(NEXT) | instid1(VALU_DEP_2)
	v_lshrrev_b32_e32 v8, 16, v8
	v_lshlrev_b64_e32 v[6:7], 1, v[6:7]
	s_wait_alu 0xf1ff
	s_delay_alu instid0(VALU_DEP_2) | instskip(SKIP_1) | instid1(VALU_DEP_2)
	v_cndmask_b32_e64 v8, 0x7fc0, v8, s3
	s_wait_kmcnt 0x0
	v_add_co_u32 v6, s3, s8, v6
	s_wait_alu 0xf1ff
	v_add_co_ci_u32_e64 v7, null, s9, v7, s3
	global_store_b16 v[6:7], v8, off
	s_wait_alu 0xfffe
	s_or_b32 exec_lo, exec_lo, s4
	s_and_saveexec_b32 s4, s0
	s_cbranch_execz .LBB172_41
.LBB172_73:
	v_bfe_u32 v7, v18, 16, 1
	v_add_nc_u32_e32 v6, v5, v2
	v_cmp_o_f32_e64 s3, v18, v18
	s_delay_alu instid0(VALU_DEP_3) | instskip(SKIP_1) | instid1(VALU_DEP_2)
	v_add3_u32 v8, v18, v7, 0x7fff
	v_mov_b32_e32 v7, 0
	v_lshrrev_b32_e32 v8, 16, v8
	s_delay_alu instid0(VALU_DEP_2) | instskip(SKIP_1) | instid1(VALU_DEP_2)
	v_lshlrev_b64_e32 v[6:7], 1, v[6:7]
	s_wait_alu 0xf1ff
	v_cndmask_b32_e64 v8, 0x7fc0, v8, s3
	s_wait_kmcnt 0x0
	s_delay_alu instid0(VALU_DEP_2)
	v_add_co_u32 v6, s3, s8, v6
	s_wait_alu 0xf1ff
	v_add_co_ci_u32_e64 v7, null, s9, v7, s3
	global_store_b16 v[6:7], v8, off
	s_wait_alu 0xfffe
	s_or_b32 exec_lo, exec_lo, s4
	s_and_saveexec_b32 s4, s1
	s_cbranch_execz .LBB172_42
.LBB172_74:
	v_bfe_u32 v7, v17, 16, 1
	v_add_nc_u32_e32 v6, v5, v3
	v_cmp_o_f32_e64 s3, v17, v17
	s_delay_alu instid0(VALU_DEP_3) | instskip(SKIP_1) | instid1(VALU_DEP_2)
	v_add3_u32 v8, v17, v7, 0x7fff
	v_mov_b32_e32 v7, 0
	v_lshrrev_b32_e32 v8, 16, v8
	s_delay_alu instid0(VALU_DEP_2) | instskip(SKIP_1) | instid1(VALU_DEP_2)
	v_lshlrev_b64_e32 v[6:7], 1, v[6:7]
	s_wait_alu 0xf1ff
	v_cndmask_b32_e64 v8, 0x7fc0, v8, s3
	s_wait_kmcnt 0x0
	s_delay_alu instid0(VALU_DEP_2)
	v_add_co_u32 v6, s3, s8, v6
	s_wait_alu 0xf1ff
	v_add_co_ci_u32_e64 v7, null, s9, v7, s3
	global_store_b16 v[6:7], v8, off
	s_wait_alu 0xfffe
	s_or_b32 exec_lo, exec_lo, s4
	s_and_saveexec_b32 s4, s2
	s_cbranch_execnz .LBB172_43
	s_branch .LBB172_44
.LBB172_75:
	v_bfe_u32 v7, v15, 16, 1
	s_delay_alu instid0(VALU_DEP_2) | instskip(SKIP_1) | instid1(VALU_DEP_3)
	v_add_nc_u32_e32 v6, v5, v0
	v_cmp_o_f32_e64 s3, v15, v15
	v_add3_u32 v8, v15, v7, 0x7fff
	v_mov_b32_e32 v7, 0
	s_delay_alu instid0(VALU_DEP_2) | instskip(NEXT) | instid1(VALU_DEP_2)
	v_lshrrev_b32_e32 v8, 16, v8
	v_lshlrev_b64_e32 v[6:7], 1, v[6:7]
	s_wait_alu 0xf1ff
	s_delay_alu instid0(VALU_DEP_2) | instskip(SKIP_1) | instid1(VALU_DEP_2)
	v_cndmask_b32_e64 v8, 0x7fc0, v8, s3
	s_wait_kmcnt 0x0
	v_add_co_u32 v6, s3, s8, v6
	s_wait_alu 0xf1ff
	v_add_co_ci_u32_e64 v7, null, s9, v7, s3
	global_store_b16 v[6:7], v8, off
	s_wait_alu 0xfffe
	s_or_b32 exec_lo, exec_lo, s4
	s_and_saveexec_b32 s4, s0
	s_cbranch_execz .LBB172_47
.LBB172_76:
	v_bfe_u32 v7, v14, 16, 1
	v_add_nc_u32_e32 v6, v5, v2
	v_cmp_o_f32_e64 s3, v14, v14
	s_delay_alu instid0(VALU_DEP_3) | instskip(SKIP_1) | instid1(VALU_DEP_2)
	v_add3_u32 v8, v14, v7, 0x7fff
	v_mov_b32_e32 v7, 0
	v_lshrrev_b32_e32 v8, 16, v8
	s_delay_alu instid0(VALU_DEP_2) | instskip(SKIP_1) | instid1(VALU_DEP_2)
	v_lshlrev_b64_e32 v[6:7], 1, v[6:7]
	s_wait_alu 0xf1ff
	v_cndmask_b32_e64 v8, 0x7fc0, v8, s3
	s_wait_kmcnt 0x0
	s_delay_alu instid0(VALU_DEP_2)
	v_add_co_u32 v6, s3, s8, v6
	s_wait_alu 0xf1ff
	v_add_co_ci_u32_e64 v7, null, s9, v7, s3
	global_store_b16 v[6:7], v8, off
	s_wait_alu 0xfffe
	s_or_b32 exec_lo, exec_lo, s4
	s_and_saveexec_b32 s4, s1
	s_cbranch_execz .LBB172_48
.LBB172_77:
	v_bfe_u32 v7, v13, 16, 1
	v_add_nc_u32_e32 v6, v5, v3
	v_cmp_o_f32_e64 s3, v13, v13
	s_delay_alu instid0(VALU_DEP_3) | instskip(SKIP_1) | instid1(VALU_DEP_2)
	v_add3_u32 v8, v13, v7, 0x7fff
	v_mov_b32_e32 v7, 0
	v_lshrrev_b32_e32 v8, 16, v8
	s_delay_alu instid0(VALU_DEP_2) | instskip(SKIP_1) | instid1(VALU_DEP_2)
	v_lshlrev_b64_e32 v[6:7], 1, v[6:7]
	s_wait_alu 0xf1ff
	v_cndmask_b32_e64 v8, 0x7fc0, v8, s3
	s_wait_kmcnt 0x0
	s_delay_alu instid0(VALU_DEP_2)
	v_add_co_u32 v6, s3, s8, v6
	s_wait_alu 0xf1ff
	v_add_co_ci_u32_e64 v7, null, s9, v7, s3
	global_store_b16 v[6:7], v8, off
	s_wait_alu 0xfffe
	s_or_b32 exec_lo, exec_lo, s4
	s_and_saveexec_b32 s4, s2
	s_cbranch_execnz .LBB172_49
	s_branch .LBB172_50
.LBB172_78:
	v_bfe_u32 v7, v11, 16, 1
	s_delay_alu instid0(VALU_DEP_2) | instskip(SKIP_1) | instid1(VALU_DEP_3)
	v_add_nc_u32_e32 v6, v5, v0
	v_cmp_o_f32_e64 s3, v11, v11
	v_add3_u32 v8, v11, v7, 0x7fff
	v_mov_b32_e32 v7, 0
	s_delay_alu instid0(VALU_DEP_2) | instskip(NEXT) | instid1(VALU_DEP_2)
	v_lshrrev_b32_e32 v8, 16, v8
	v_lshlrev_b64_e32 v[6:7], 1, v[6:7]
	s_wait_alu 0xf1ff
	s_delay_alu instid0(VALU_DEP_2) | instskip(SKIP_1) | instid1(VALU_DEP_2)
	v_cndmask_b32_e64 v8, 0x7fc0, v8, s3
	s_wait_kmcnt 0x0
	v_add_co_u32 v6, s3, s8, v6
	s_wait_alu 0xf1ff
	v_add_co_ci_u32_e64 v7, null, s9, v7, s3
	global_store_b16 v[6:7], v8, off
	s_wait_alu 0xfffe
	s_or_b32 exec_lo, exec_lo, s4
	s_and_saveexec_b32 s4, s0
	s_cbranch_execz .LBB172_53
.LBB172_79:
	v_bfe_u32 v7, v10, 16, 1
	v_add_nc_u32_e32 v6, v5, v2
	v_cmp_o_f32_e64 s3, v10, v10
	s_delay_alu instid0(VALU_DEP_3) | instskip(SKIP_1) | instid1(VALU_DEP_2)
	v_add3_u32 v8, v10, v7, 0x7fff
	v_mov_b32_e32 v7, 0
	v_lshrrev_b32_e32 v8, 16, v8
	s_delay_alu instid0(VALU_DEP_2) | instskip(SKIP_1) | instid1(VALU_DEP_2)
	v_lshlrev_b64_e32 v[6:7], 1, v[6:7]
	s_wait_alu 0xf1ff
	v_cndmask_b32_e64 v8, 0x7fc0, v8, s3
	s_wait_kmcnt 0x0
	s_delay_alu instid0(VALU_DEP_2)
	v_add_co_u32 v6, s3, s8, v6
	s_wait_alu 0xf1ff
	v_add_co_ci_u32_e64 v7, null, s9, v7, s3
	global_store_b16 v[6:7], v8, off
	s_wait_alu 0xfffe
	s_or_b32 exec_lo, exec_lo, s4
	s_and_saveexec_b32 s4, s1
	s_cbranch_execz .LBB172_54
.LBB172_80:
	v_bfe_u32 v7, v9, 16, 1
	v_add_nc_u32_e32 v6, v5, v3
	v_cmp_o_f32_e64 s3, v9, v9
	s_delay_alu instid0(VALU_DEP_3) | instskip(SKIP_1) | instid1(VALU_DEP_2)
	v_add3_u32 v8, v9, v7, 0x7fff
	v_mov_b32_e32 v7, 0
	v_lshrrev_b32_e32 v8, 16, v8
	s_delay_alu instid0(VALU_DEP_2) | instskip(SKIP_1) | instid1(VALU_DEP_2)
	v_lshlrev_b64_e32 v[6:7], 1, v[6:7]
	s_wait_alu 0xf1ff
	v_cndmask_b32_e64 v8, 0x7fc0, v8, s3
	s_wait_kmcnt 0x0
	s_delay_alu instid0(VALU_DEP_2)
	v_add_co_u32 v6, s3, s8, v6
	s_wait_alu 0xf1ff
	v_add_co_ci_u32_e64 v7, null, s9, v7, s3
	global_store_b16 v[6:7], v8, off
	s_wait_alu 0xfffe
	s_or_b32 exec_lo, exec_lo, s4
	s_and_saveexec_b32 s4, s2
	s_cbranch_execnz .LBB172_55
	s_branch .LBB172_56
.LBB172_81:
	v_bfe_u32 v6, v122, 16, 1
	s_delay_alu instid0(VALU_DEP_2) | instskip(SKIP_1) | instid1(VALU_DEP_3)
	v_add_nc_u32_e32 v5, v1, v0
	v_cmp_o_f32_e32 vcc_lo, v122, v122
	v_add3_u32 v0, v122, v6, 0x7fff
	v_mov_b32_e32 v6, 0
	s_delay_alu instid0(VALU_DEP_2) | instskip(NEXT) | instid1(VALU_DEP_2)
	v_lshrrev_b32_e32 v0, 16, v0
	v_lshlrev_b64_e32 v[5:6], 1, v[5:6]
	s_wait_alu 0xfffd
	s_delay_alu instid0(VALU_DEP_2) | instskip(SKIP_1) | instid1(VALU_DEP_2)
	v_cndmask_b32_e32 v0, 0x7fc0, v0, vcc_lo
	s_wait_kmcnt 0x0
	v_add_co_u32 v5, vcc_lo, s8, v5
	s_wait_alu 0xfffd
	v_add_co_ci_u32_e64 v6, null, s9, v6, vcc_lo
	global_store_b16 v[5:6], v0, off
	s_wait_alu 0xfffe
	s_or_b32 exec_lo, exec_lo, s3
	s_and_saveexec_b32 s3, s0
	s_cbranch_execz .LBB172_59
.LBB172_82:
	v_bfe_u32 v0, v97, 16, 1
	v_dual_mov_b32 v6, 0 :: v_dual_add_nc_u32 v5, v1, v2
	v_cmp_o_f32_e32 vcc_lo, v97, v97
	s_delay_alu instid0(VALU_DEP_3) | instskip(NEXT) | instid1(VALU_DEP_3)
	v_add3_u32 v0, v97, v0, 0x7fff
	v_lshlrev_b64_e32 v[5:6], 1, v[5:6]
	s_delay_alu instid0(VALU_DEP_2) | instskip(SKIP_1) | instid1(VALU_DEP_1)
	v_lshrrev_b32_e32 v0, 16, v0
	s_wait_alu 0xfffd
	v_cndmask_b32_e32 v0, 0x7fc0, v0, vcc_lo
	s_wait_kmcnt 0x0
	s_delay_alu instid0(VALU_DEP_3)
	v_add_co_u32 v5, vcc_lo, s8, v5
	s_wait_alu 0xfffd
	v_add_co_ci_u32_e64 v6, null, s9, v6, vcc_lo
	global_store_b16 v[5:6], v0, off
	s_wait_alu 0xfffe
	s_or_b32 exec_lo, exec_lo, s3
	s_and_saveexec_b32 s0, s1
	s_cbranch_execz .LBB172_60
.LBB172_83:
	v_bfe_u32 v0, v66, 16, 1
	v_dual_mov_b32 v3, 0 :: v_dual_add_nc_u32 v2, v1, v3
	v_cmp_o_f32_e32 vcc_lo, v66, v66
	s_delay_alu instid0(VALU_DEP_3) | instskip(NEXT) | instid1(VALU_DEP_3)
	v_add3_u32 v0, v66, v0, 0x7fff
	v_lshlrev_b64_e32 v[2:3], 1, v[2:3]
	s_delay_alu instid0(VALU_DEP_2) | instskip(SKIP_1) | instid1(VALU_DEP_1)
	v_lshrrev_b32_e32 v0, 16, v0
	s_wait_alu 0xfffd
	v_cndmask_b32_e32 v0, 0x7fc0, v0, vcc_lo
	s_wait_kmcnt 0x0
	s_delay_alu instid0(VALU_DEP_3)
	v_add_co_u32 v2, vcc_lo, s8, v2
	s_wait_alu 0xfffd
	v_add_co_ci_u32_e64 v3, null, s9, v3, vcc_lo
	global_store_b16 v[2:3], v0, off
	s_wait_alu 0xfffe
	s_or_b32 exec_lo, exec_lo, s0
	s_delay_alu instid0(SALU_CYCLE_1)
	s_and_b32 exec_lo, exec_lo, s2
	s_cbranch_execnz .LBB172_61
	s_branch .LBB172_62
	.section	.rodata,"a",@progbits
	.p2align	6, 0x0
	.amdhsa_kernel _ZL12mul_mat_q4_KIN3c108BFloat16ELb1EEvPKvS3_PT_iiiii
		.amdhsa_group_segment_fixed_size 28752
		.amdhsa_private_segment_fixed_size 1696
		.amdhsa_kernarg_size 44
		.amdhsa_user_sgpr_count 2
		.amdhsa_user_sgpr_dispatch_ptr 0
		.amdhsa_user_sgpr_queue_ptr 0
		.amdhsa_user_sgpr_kernarg_segment_ptr 1
		.amdhsa_user_sgpr_dispatch_id 0
		.amdhsa_user_sgpr_private_segment_size 0
		.amdhsa_wavefront_size32 1
		.amdhsa_uses_dynamic_stack 0
		.amdhsa_enable_private_segment 1
		.amdhsa_system_sgpr_workgroup_id_x 1
		.amdhsa_system_sgpr_workgroup_id_y 1
		.amdhsa_system_sgpr_workgroup_id_z 0
		.amdhsa_system_sgpr_workgroup_info 0
		.amdhsa_system_vgpr_workitem_id 1
		.amdhsa_next_free_vgpr 256
		.amdhsa_next_free_sgpr 18
		.amdhsa_reserve_vcc 1
		.amdhsa_float_round_mode_32 0
		.amdhsa_float_round_mode_16_64 0
		.amdhsa_float_denorm_mode_32 3
		.amdhsa_float_denorm_mode_16_64 3
		.amdhsa_fp16_overflow 0
		.amdhsa_workgroup_processor_mode 1
		.amdhsa_memory_ordered 1
		.amdhsa_forward_progress 1
		.amdhsa_inst_pref_size 255
		.amdhsa_round_robin_scheduling 0
		.amdhsa_exception_fp_ieee_invalid_op 0
		.amdhsa_exception_fp_denorm_src 0
		.amdhsa_exception_fp_ieee_div_zero 0
		.amdhsa_exception_fp_ieee_overflow 0
		.amdhsa_exception_fp_ieee_underflow 0
		.amdhsa_exception_fp_ieee_inexact 0
		.amdhsa_exception_int_div_zero 0
	.end_amdhsa_kernel
	.section	.text._ZL12mul_mat_q4_KIN3c108BFloat16ELb1EEvPKvS3_PT_iiiii,"axG",@progbits,_ZL12mul_mat_q4_KIN3c108BFloat16ELb1EEvPKvS3_PT_iiiii,comdat
.Lfunc_end172:
	.size	_ZL12mul_mat_q4_KIN3c108BFloat16ELb1EEvPKvS3_PT_iiiii, .Lfunc_end172-_ZL12mul_mat_q4_KIN3c108BFloat16ELb1EEvPKvS3_PT_iiiii
                                        ; -- End function
	.set _ZL12mul_mat_q4_KIN3c108BFloat16ELb1EEvPKvS3_PT_iiiii.num_vgpr, 256
	.set _ZL12mul_mat_q4_KIN3c108BFloat16ELb1EEvPKvS3_PT_iiiii.num_agpr, 0
	.set _ZL12mul_mat_q4_KIN3c108BFloat16ELb1EEvPKvS3_PT_iiiii.numbered_sgpr, 18
	.set _ZL12mul_mat_q4_KIN3c108BFloat16ELb1EEvPKvS3_PT_iiiii.num_named_barrier, 0
	.set _ZL12mul_mat_q4_KIN3c108BFloat16ELb1EEvPKvS3_PT_iiiii.private_seg_size, 1696
	.set _ZL12mul_mat_q4_KIN3c108BFloat16ELb1EEvPKvS3_PT_iiiii.uses_vcc, 1
	.set _ZL12mul_mat_q4_KIN3c108BFloat16ELb1EEvPKvS3_PT_iiiii.uses_flat_scratch, 1
	.set _ZL12mul_mat_q4_KIN3c108BFloat16ELb1EEvPKvS3_PT_iiiii.has_dyn_sized_stack, 0
	.set _ZL12mul_mat_q4_KIN3c108BFloat16ELb1EEvPKvS3_PT_iiiii.has_recursion, 0
	.set _ZL12mul_mat_q4_KIN3c108BFloat16ELb1EEvPKvS3_PT_iiiii.has_indirect_call, 0
	.section	.AMDGPU.csdata,"",@progbits
; Kernel info:
; codeLenInByte = 106640
; TotalNumSgprs: 20
; NumVgprs: 256
; ScratchSize: 1696
; MemoryBound: 0
; FloatMode: 240
; IeeeMode: 1
; LDSByteSize: 28752 bytes/workgroup (compile time only)
; SGPRBlocks: 0
; VGPRBlocks: 31
; NumSGPRsForWavesPerEU: 20
; NumVGPRsForWavesPerEU: 256
; Occupancy: 5
; WaveLimiterHint : 0
; COMPUTE_PGM_RSRC2:SCRATCH_EN: 1
; COMPUTE_PGM_RSRC2:USER_SGPR: 2
; COMPUTE_PGM_RSRC2:TRAP_HANDLER: 0
; COMPUTE_PGM_RSRC2:TGID_X_EN: 1
; COMPUTE_PGM_RSRC2:TGID_Y_EN: 1
; COMPUTE_PGM_RSRC2:TGID_Z_EN: 0
; COMPUTE_PGM_RSRC2:TIDIG_COMP_CNT: 1
	.section	.text._ZL12mul_mat_q5_KIN3c108BFloat16ELb0EEvPKvS3_PT_iiiii,"axG",@progbits,_ZL12mul_mat_q5_KIN3c108BFloat16ELb0EEvPKvS3_PT_iiiii,comdat
	.globl	_ZL12mul_mat_q5_KIN3c108BFloat16ELb0EEvPKvS3_PT_iiiii ; -- Begin function _ZL12mul_mat_q5_KIN3c108BFloat16ELb0EEvPKvS3_PT_iiiii
	.p2align	8
	.type	_ZL12mul_mat_q5_KIN3c108BFloat16ELb0EEvPKvS3_PT_iiiii,@function
_ZL12mul_mat_q5_KIN3c108BFloat16ELb0EEvPKvS3_PT_iiiii: ; @_ZL12mul_mat_q5_KIN3c108BFloat16ELb0EEvPKvS3_PT_iiiii
; %bb.0:
	s_clause 0x1
	s_load_b32 s10, s[0:1], 0x18
	s_load_b96 s[4:6], s[0:1], 0x20
	v_bfe_u32 v1, v0, 10, 10
	v_and_b32_e32 v32, 0x3ff, v0
	s_lshl_b32 s7, ttmp7, 6
	scratch_store_b32 off, v1, off offset:84 ; 4-byte Folded Spill
	s_wait_kmcnt 0x0
	s_cmp_gt_i32 s10, 0xff
	s_cbranch_scc1 .LBB173_2
; %bb.1:
	v_bfe_u32 v1, v0, 10, 10
	v_and_b32_e32 v2, 0x3ff, v0
	s_mov_b32 s2, 0
	s_delay_alu instid0(VALU_DEP_2)
	v_add_nc_u32_e32 v3, s7, v1
	s_branch .LBB173_3
.LBB173_2:
	s_mov_b32 s2, -1
                                        ; implicit-def: $vgpr1
                                        ; implicit-def: $vgpr2
                                        ; implicit-def: $vgpr3
.LBB173_3:
	s_load_b64 s[8:9], s[0:1], 0x10
	v_dual_mov_b32 v72, 0 :: v_dual_mov_b32 v99, 0
	v_dual_mov_b32 v76, 0 :: v_dual_mov_b32 v73, 0
	;; [unrolled: 1-line block ×15, first 2 shown]
	v_mov_b32_e32 v104, 0
	v_mov_b32_e32 v100, 0
	s_and_not1_b32 vcc_lo, exec_lo, s2
	s_lshl_b32 s14, ttmp9, 7
	s_cbranch_vccnz .LBB173_11
; %bb.4:
	s_ashr_i32 s11, s10, 31
	v_bfe_u32 v31, v0, 10, 10
	s_lshr_b32 s11, s11, 24
	s_add_co_i32 s16, s4, -1
	s_add_co_i32 s10, s10, s11
	s_delay_alu instid0(VALU_DEP_1) | instskip(SKIP_3) | instid1(VALU_DEP_2)
	v_dual_mov_b32 v100, 0 :: v_dual_add_nc_u32 v17, s7, v31
	s_ashr_i32 s15, s10, 8
	v_cvt_f64_i32_e32 v[1:2], s16
	s_lshl_b32 s17, s15, 3
	v_dual_mov_b32 v104, 0 :: v_dual_add_nc_u32 v7, 16, v17
	s_wait_alu 0xfffe
	v_mad_i32_i24 v6, s15, v31, s17
	v_add_nc_u32_e32 v5, 8, v17
	v_cvt_f64_u32_e32 v[3:4], v17
	v_mov_b32_e32 v93, 0
	v_dual_mov_b32 v98, 0 :: v_dual_add_nc_u32 v9, 24, v17
	v_add_nc_u32_e32 v10, s17, v6
	scratch_store_b32 off, v6, off offset:88 ; 4-byte Folded Spill
	v_mov_b32_e32 v87, 0
	v_cvt_f64_u32_e32 v[5:6], v5
	v_dual_mov_b32 v92, 0 :: v_dual_add_nc_u32 v11, 32, v17
	v_dual_mov_b32 v83, 0 :: v_dual_add_nc_u32 v14, s17, v10
	v_cvt_f64_u32_e32 v[7:8], v7
	v_dual_mov_b32 v86, 0 :: v_dual_add_nc_u32 v13, 40, v17
	s_delay_alu instid0(VALU_DEP_3)
	v_add_nc_u32_e32 v18, s17, v14
	s_clause 0x1
	scratch_store_b32 off, v10, off offset:92
	scratch_store_b32 off, v14, off offset:96
	v_cvt_f64_u32_e32 v[9:10], v9
	v_dual_mov_b32 v82, 0 :: v_dual_add_nc_u32 v15, 48, v17
	v_dual_mov_b32 v74, 0 :: v_dual_add_nc_u32 v19, s17, v18
	v_cvt_f64_u32_e32 v[11:12], v11
	scratch_store_b32 off, v18, off offset:100 ; 4-byte Folded Spill
	v_cvt_f64_u32_e32 v[13:14], v13
	v_add_nc_u32_e32 v21, s17, v19
	scratch_store_b32 off, v19, off offset:104 ; 4-byte Folded Spill
	v_mov_b32_e32 v127, 0
	v_cvt_f64_u32_e32 v[15:16], v15
	v_dual_mov_b32 v75, 0 :: v_dual_and_b32 v20, 7, v0
	v_add_nc_u32_e32 v22, s17, v21
	v_mov_b32_e32 v108, 0
	v_mov_b32_e32 v78, 0
	s_delay_alu instid0(VALU_DEP_4) | instskip(NEXT) | instid1(VALU_DEP_4)
	v_dual_mov_b32 v103, 0 :: v_dual_lshlrev_b32 v20, 2, v20
	v_add_nc_u32_e32 v23, s17, v22
	s_clause 0x1
	scratch_store_b32 off, v21, off offset:112
	scratch_store_b32 off, v17, off offset:208
	v_add_nc_u32_e32 v17, 56, v17
	v_dual_mov_b32 v118, 0 :: v_dual_lshlrev_b32 v21, 3, v32
	v_min_num_f64_e32 v[3:4], v[3:4], v[1:2]
	scratch_store_b32 off, v23, off offset:120 ; 4-byte Folded Spill
	v_cvt_f64_u32_e32 v[17:18], v17
	v_and_or_b32 v20, 0xc0, v21, v20
	v_dual_mov_b32 v94, 0 :: v_dual_add_nc_u32 v21, s17, v23
	v_min_num_f64_e32 v[5:6], v[5:6], v[1:2]
	v_min_num_f64_e32 v[7:8], v[7:8], v[1:2]
	v_dual_mov_b32 v81, 0 :: v_dual_lshlrev_b32 v124, 5, v31
	s_delay_alu instid0(VALU_DEP_4) | instskip(SKIP_2) | instid1(VALU_DEP_4)
	v_dual_mov_b32 v88, 0 :: v_dual_add_nc_u32 v23, s17, v21
	v_mov_b32_e32 v85, 0
	v_min_num_f64_e32 v[9:10], v[9:10], v[1:2]
	v_dual_mov_b32 v76, 0 :: v_dual_add_nc_u32 v25, v124, v32
	s_delay_alu instid0(VALU_DEP_4) | instskip(SKIP_2) | instid1(VALU_DEP_3)
	v_dual_mov_b32 v77, 0 :: v_dual_add_nc_u32 v24, s17, v23
	v_min_num_f64_e32 v[11:12], v[11:12], v[1:2]
	v_dual_mov_b32 v79, 0 :: v_dual_lshlrev_b32 v112, 2, v32
	v_add_nc_u32_e32 v26, s17, v24
	v_min_num_f64_e32 v[13:14], v[13:14], v[1:2]
	v_bfe_u32 v19, v0, 2, 8
	v_min_num_f64_e32 v[15:16], v[15:16], v[1:2]
	v_lshlrev_b32_e32 v30, 3, v31
	v_add_nc_u32_e32 v28, s17, v26
	scratch_store_b32 off, v26, off offset:136 ; 4-byte Folded Spill
	v_lshrrev_b32_e32 v26, 3, v25
	v_and_b32_e32 v25, 0x7f, v25
	v_dual_mov_b32 v96, 0 :: v_dual_and_b32 v115, 6, v19
	v_dual_mov_b32 v72, 0 :: v_dual_add_nc_u32 v35, s17, v28
	s_delay_alu instid0(VALU_DEP_3)
	v_lshlrev_b32_e32 v29, 2, v25
	v_mul_i32_i24_e32 v25, s15, v25
	scratch_store_b32 off, v28, off offset:140 ; 4-byte Folded Spill
	v_and_b32_e32 v26, 12, v26
	v_cvt_i32_f64_e32 v3, v[3:4]
	s_ashr_i32 s12, s5, 31
	v_min_num_f64_e32 v[1:2], v[17:18], v[1:2]
	v_and_b32_e32 v17, 3, v0
	scratch_store_b32 off, v25, off offset:152 ; 4-byte Folded Spill
	v_add3_u32 v25, v29, v26, 0xae40
	v_cvt_i32_f64_e32 v4, v[5:6]
	v_cvt_i32_f64_e32 v6, v[7:8]
	v_add_nc_u32_e32 v28, 0xfe, v17
	v_cmp_gt_u32_e32 vcc_lo, 2, v17
	s_lshr_b32 s11, s12, 27
	v_dual_mov_b32 v99, 0 :: v_dual_add_nc_u32 v18, 48, v31
	s_delay_alu instid0(VALU_DEP_3)
	v_and_b32_e32 v28, 0xff, v28
	v_cvt_i32_f64_e32 v7, v[9:10]
	s_add_co_i32 s5, s5, s11
	v_bfe_u32 v33, v0, 5, 5
	s_ashr_i32 s5, s5, 5
	v_cndmask_b32_e32 v26, v28, v17, vcc_lo
	v_cmp_ne_u32_e32 vcc_lo, 0, v17
	v_and_b32_e32 v28, 4, v112
	s_load_b128 s[0:3], s[0:1], 0x0
	v_cvt_i32_f64_e32 v10, v[13:14]
	v_lshlrev_b32_e32 v14, 2, v17
	v_add_co_ci_u32_e64 v5, null, 0, v26, vcc_lo
	v_cmp_lt_u32_e32 vcc_lo, 1, v17
	v_add_nc_u32_e32 v27, 56, v31
	v_dual_mov_b32 v97, 0 :: v_dual_and_b32 v34, 28, v112
	s_mul_i32 s10, s15, s14
	s_wait_alu 0xfffd
	v_cndmask_b32_e32 v8, 0, v28, vcc_lo
	scratch_store_b32 off, v25, off offset:156 ; 4-byte Folded Spill
	v_add_nc_u32_e32 v25, v19, v30
	v_cndmask_b32_e64 v13, 0, 1, vcc_lo
	s_ashr_i32 s11, s10, 31
	scratch_store_b32 off, v8, off offset:160 ; 4-byte Folded Spill
	v_cvt_i32_f64_e32 v8, v[11:12]
	v_and_b32_e32 v9, 0x7f, v25
	v_add_nc_u16 v11, v19, v30
	v_cvt_i32_f64_e32 v12, v[15:16]
	v_cvt_i32_f64_e32 v16, v[1:2]
	v_lshlrev_b32_e32 v1, 1, v26
	v_xor_b32_e32 v15, 64, v9
	v_lshrrev_b16 v11, 1, v11
	v_and_b32_e32 v19, 63, v25
	v_lshlrev_b32_e32 v159, 5, v18
	scratch_store_b32 off, v1, off offset:164 ; 4-byte Folded Spill
	v_lshl_or_b32 v1, v9, 4, v14
	v_lshrrev_b32_e32 v2, 1, v15
	v_and_b32_e32 v11, 60, v11
	v_mul_i32_i24_e32 v9, s15, v9
	v_or_b32_e32 v25, s7, v19
	v_lshlrev_b32_e32 v160, 5, v27
	v_and_b32_e32 v2, 60, v2
	v_add3_u32 v1, v1, v11, 0xa200
	scratch_store_b32 off, v9, off offset:168 ; 4-byte Folded Spill
	v_lshl_or_b32 v9, v15, 4, v14
	v_mul_i32_i24_e32 v11, s15, v15
	v_lshlrev_b32_e32 v15, 7, v27
	scratch_store_b32 off, v1, off offset:172 ; 4-byte Folded Spill
	v_and_b32_e32 v1, 31, v0
	v_add3_u32 v2, v9, v2, 0xa200
	scratch_store_b32 off, v11, off offset:176 ; 4-byte Folded Spill
	v_lshl_or_b32 v9, v19, 4, v14
	v_lshlrev_b32_e32 v14, 7, v18
	v_lshl_or_b32 v11, v1, 2, 0x8200
	scratch_store_b32 off, v2, off offset:180 ; 4-byte Folded Spill
	v_min_i32_e32 v2, s16, v25
	v_add_nc_u32_e32 v255, 0xaa40, v9
	v_lshlrev_b32_e32 v9, 7, v31
	v_bfe_u32 v0, v0, 3, 7
	v_mul_u32_u24_e32 v161, 0x104, v32
	v_mad_co_u64_u32 v[1:2], null, v2, s5, v[17:18]
	s_mul_u64 s[12:13], s[10:11], 0xb0
	s_mov_b32 s11, 0
	v_mov_b32_e32 v101, 0
	v_mov_b32_e32 v89, 0
	s_wait_kmcnt 0x0
	s_add_nc_u64 s[0:1], s[0:1], s[12:13]
	v_mov_b32_e32 v84, 0
	scratch_store_b64 off, v[1:2], off offset:184 ; 8-byte Folded Spill
	v_mul_lo_u32 v1, s5, v3
	v_add_nc_u32_e32 v2, 32, v32
	v_add_nc_u32_e32 v3, 64, v32
	s_mov_b32 s10, s11
	v_dual_mov_b32 v80, 0 :: v_dual_mov_b32 v73, 0
	s_delay_alu instid0(VALU_DEP_3) | instskip(NEXT) | instid1(VALU_DEP_3)
	v_lshrrev_b32_e32 v147, 3, v2
	v_lshrrev_b32_e32 v148, 3, v3
	scratch_store_b32 off, v1, off          ; 4-byte Folded Spill
	v_mul_lo_u32 v1, s5, v4
	scratch_store_b32 off, v22, off offset:116 ; 4-byte Folded Spill
	v_and_b32_e32 v17, 60, v147
	v_and_b32_e32 v19, 60, v148
	v_mul_u32_u24_e32 v22, 0x41, v31
	v_lshlrev_b32_e32 v162, 4, v2
	v_lshlrev_b32_e32 v164, 4, v3
	s_clause 0x1
	scratch_store_b32 off, v32, off offset:204
	scratch_store_b32 off, v1, off offset:4
	v_mul_lo_u32 v1, s5, v6
	scratch_store_b32 off, v21, off offset:124 ; 4-byte Folded Spill
	v_lshl_add_u32 v121, v22, 2, v20
	v_add_nc_u32_e32 v20, 8, v31
	v_add_nc_u32_e32 v21, 16, v31
	;; [unrolled: 1-line block ×3, first 2 shown]
	s_clause 0x1
	scratch_store_b32 off, v255, off offset:192
	scratch_store_b32 off, v1, off offset:8
	v_mul_lo_u32 v1, s5, v7
	scratch_store_b32 off, v23, off offset:128 ; 4-byte Folded Spill
	v_lshlrev_b32_e32 v4, 7, v20
	v_lshlrev_b32_e32 v6, 7, v21
	v_add_nc_u32_e32 v23, 32, v31
	v_lshlrev_b32_e32 v7, 7, v22
	v_lshlrev_b32_e32 v154, 5, v20
	;; [unrolled: 1-line block ×3, first 2 shown]
	scratch_store_b32 off, v1, off offset:12 ; 4-byte Folded Spill
	v_mul_lo_u32 v1, s5, v8
	scratch_store_b32 off, v24, off offset:132 ; 4-byte Folded Spill
	v_add_nc_u32_e32 v24, 40, v31
	v_lshlrev_b32_e32 v8, 7, v23
	v_lshlrev_b32_e32 v156, 5, v22
	;; [unrolled: 1-line block ×3, first 2 shown]
	s_delay_alu instid0(VALU_DEP_4)
	v_lshlrev_b32_e32 v158, 5, v24
	scratch_store_b32 off, v1, off offset:16 ; 4-byte Folded Spill
	v_mul_lo_u32 v1, s5, v10
	scratch_store_b32 off, v35, off offset:144 ; 4-byte Folded Spill
	v_add_nc_u32_e32 v35, s17, v35
	v_lshlrev_b32_e32 v10, 7, v24
	scratch_store_b32 off, v1, off offset:20 ; 4-byte Folded Spill
	v_mul_lo_u32 v1, s5, v12
	scratch_store_b32 off, v35, off offset:148 ; 4-byte Folded Spill
	v_add_nc_u32_e32 v12, 0x60, v32
	s_delay_alu instid0(VALU_DEP_1)
	v_lshrrev_b32_e32 v149, 3, v12
	scratch_store_b32 off, v1, off offset:24 ; 4-byte Folded Spill
	v_mul_lo_u32 v1, s5, v16
	v_lshlrev_b32_e32 v16, 2, v33
	s_movk_i32 s5, 0x2080
	v_and_b32_e32 v25, 60, v149
	s_wait_alu 0xfffe
	v_mad_u32_u24 v163, 0x104, v32, s5
	s_movk_i32 s5, 0x4100
	v_lshlrev_b32_e32 v166, 4, v12
	s_wait_alu 0xfffe
	v_mad_u32_u24 v165, 0x104, v32, s5
	scratch_store_b32 off, v1, off offset:28 ; 4-byte Folded Spill
	v_add3_u32 v1, v16, v112, 0xae40
	s_movk_i32 s5, 0x6180
	s_wait_alu 0xfffe
	v_mad_u32_u24 v167, 0x104, v32, s5
	v_add_co_u32 v2, s5, s2, v34
	scratch_store_b32 off, v1, off offset:32 ; 4-byte Folded Spill
	v_add3_u32 v1, v112, v17, 0xae40
	s_wait_alu 0xf1ff
	v_add_co_ci_u32_e64 v3, null, s3, 0, s5
	scratch_store_b32 off, v1, off offset:36 ; 4-byte Folded Spill
	v_add3_u32 v1, v112, v19, 0xae40
	scratch_store_b32 off, v1, off offset:40 ; 4-byte Folded Spill
	v_add3_u32 v1, v112, v25, 0xae40
	scratch_store_b32 off, v1, off offset:44 ; 4-byte Folded Spill
	v_lshlrev_b32_e32 v1, 2, v5
	s_clause 0x1
	scratch_store_b32 off, v33, off offset:108
	scratch_store_b32 off, v1, off offset:196
	v_lshlrev_b32_e32 v1, 2, v13
	scratch_store_b32 off, v1, off offset:200 ; 4-byte Folded Spill
	v_add_nc_u32_e32 v1, v11, v9
	scratch_store_b32 off, v1, off offset:48 ; 4-byte Folded Spill
	v_add_nc_u32_e32 v1, v11, v4
	;; [unrolled: 2-line block ×8, first 2 shown]
	scratch_store_b32 off, v1, off offset:76 ; 4-byte Folded Spill
.LBB173_5:                              ; =>This Loop Header: Depth=1
                                        ;     Child Loop BB173_6 Depth 2
                                        ;     Child Loop BB173_8 Depth 2
	scratch_load_b32 v1, off, off offset:108 ; 4-byte Folded Reload
	s_mul_u64 s[12:13], s[10:11], 0xb0
	v_and_b32_e32 v48, 0x7c, v112
	s_wait_alu 0xfffe
	s_add_nc_u64 s[12:13], s[0:1], s[12:13]
	v_and_b32_e32 v49, 28, v112
	s_lshl_b32 s5, s10, 3
	s_mov_b32 s16, 0
	s_wait_loadcnt 0x0
	s_wait_alu 0xfffe
	v_mad_co_u64_u32 v[12:13], null, 0xb0, v1, s[12:13]
	scratch_load_b32 v1, off, off offset:84 ; 4-byte Folded Reload
	s_wait_loadcnt 0x0
	v_mul_i32_i24_e32 v4, s15, v1
	scratch_load_b32 v1, off, off offset:88 ; 4-byte Folded Reload
	v_mad_co_u64_u32 v[4:5], null, 0xb0, v4, v[12:13]
	s_delay_alu instid0(VALU_DEP_1) | instskip(SKIP_1) | instid1(VALU_DEP_2)
	v_add_co_u32 v10, vcc_lo, v4, v48
	s_wait_alu 0xfffd
	v_add_co_ci_u32_e64 v11, null, 0, v5, vcc_lo
	v_add_co_u32 v4, vcc_lo, v4, v49
	s_wait_alu 0xfffd
	v_add_co_ci_u32_e64 v5, null, 0, v5, vcc_lo
	s_wait_loadcnt 0x0
	v_mad_co_u64_u32 v[6:7], null, 0xb0, v1, v[12:13]
	scratch_load_b32 v1, off, off offset:92 ; 4-byte Folded Reload
	v_add_co_u32 v14, vcc_lo, v6, v48
	s_wait_alu 0xfffd
	v_add_co_ci_u32_e64 v15, null, 0, v7, vcc_lo
	v_add_co_u32 v6, vcc_lo, v6, v49
	s_wait_alu 0xfffd
	v_add_co_ci_u32_e64 v7, null, 0, v7, vcc_lo
	s_wait_loadcnt 0x0
	v_mad_co_u64_u32 v[8:9], null, 0xb0, v1, v[12:13]
	scratch_load_b32 v1, off, off offset:96 ; 4-byte Folded Reload
	;; [unrolled: 9-line block ×3, first 2 shown]
	v_add_co_u32 v22, vcc_lo, v16, v48
	s_wait_alu 0xfffd
	v_add_co_ci_u32_e64 v23, null, 0, v17, vcc_lo
	v_add_co_u32 v16, vcc_lo, v16, v49
	s_wait_alu 0xfffd
	v_add_co_ci_u32_e64 v17, null, 0, v17, vcc_lo
	s_wait_loadcnt 0x0
	v_mad_co_u64_u32 v[24:25], null, 0xb0, v1, v[12:13]
	s_clause 0x7
	global_load_b32 v11, v[10:11], off offset:48
	global_load_b32 v10, v[4:5], off offset:16
	global_load_b32 v9, v[14:15], off offset:48
	global_load_b32 v8, v[6:7], off offset:16
	global_load_b32 v7, v[18:19], off offset:48
	global_load_b32 v6, v[20:21], off offset:16
	global_load_b32 v5, v[22:23], off offset:48
	global_load_b32 v4, v[16:17], off offset:16
	scratch_load_b32 v1, off, off offset:104 ; 4-byte Folded Reload
	v_add_co_u32 v16, vcc_lo, v24, v48
	s_wait_alu 0xfffd
	v_add_co_ci_u32_e64 v17, null, 0, v25, vcc_lo
	v_add_co_u32 v18, vcc_lo, v24, v49
	s_wait_alu 0xfffd
	v_add_co_ci_u32_e64 v19, null, 0, v25, vcc_lo
	s_wait_loadcnt 0x2
	v_and_b32_e32 v60, 0xf0f0f0f, v5
	v_lshrrev_b32_e32 v5, 4, v5
	s_wait_loadcnt 0x0
	v_mad_co_u64_u32 v[14:15], null, 0xb0, v1, v[12:13]
	scratch_load_b32 v1, off, off offset:112 ; 4-byte Folded Reload
	v_ashrrev_i32_e32 v61, v115, v4
	v_and_b32_e32 v5, 0xf0f0f0f, v5
	v_add_co_u32 v20, vcc_lo, v14, v48
	s_wait_alu 0xfffd
	v_add_co_ci_u32_e64 v21, null, 0, v15, vcc_lo
	v_add_co_u32 v14, vcc_lo, v14, v49
	s_wait_alu 0xfffd
	v_add_co_ci_u32_e64 v15, null, 0, v15, vcc_lo
	v_lshlrev_b32_e32 v61, 4, v61
	s_wait_loadcnt 0x0
	v_mad_co_u64_u32 v[22:23], null, 0xb0, v1, v[12:13]
	scratch_load_b32 v1, off, off offset:116 ; 4-byte Folded Reload
	v_add_co_u32 v26, vcc_lo, v22, v48
	s_wait_alu 0xfffd
	v_add_co_ci_u32_e64 v27, null, 0, v23, vcc_lo
	v_add_co_u32 v22, vcc_lo, v22, v49
	s_wait_alu 0xfffd
	v_add_co_ci_u32_e64 v23, null, 0, v23, vcc_lo
	s_wait_loadcnt 0x0
	v_mad_co_u64_u32 v[24:25], null, 0xb0, v1, v[12:13]
	scratch_load_b32 v1, off, off offset:120 ; 4-byte Folded Reload
	v_add_co_u32 v28, vcc_lo, v24, v48
	s_wait_alu 0xfffd
	v_add_co_ci_u32_e64 v29, null, 0, v25, vcc_lo
	v_add_co_u32 v24, vcc_lo, v24, v49
	s_wait_alu 0xfffd
	v_add_co_ci_u32_e64 v25, null, 0, v25, vcc_lo
	s_wait_loadcnt 0x0
	v_mad_co_u64_u32 v[30:31], null, 0xb0, v1, v[12:13]
	s_clause 0x7
	global_load_b32 v32, v[16:17], off offset:48
	global_load_b32 v33, v[18:19], off offset:16
	;; [unrolled: 1-line block ×8, first 2 shown]
	scratch_load_b32 v1, off, off offset:124 ; 4-byte Folded Reload
	v_add_co_u32 v16, vcc_lo, v30, v48
	s_wait_alu 0xfffd
	v_add_co_ci_u32_e64 v17, null, 0, v31, vcc_lo
	v_add_co_u32 v18, vcc_lo, v30, v49
	s_wait_alu 0xfffd
	v_add_co_ci_u32_e64 v19, null, 0, v31, vcc_lo
	s_wait_loadcnt 0x8
	v_and_b32_e32 v62, 0xf0f0f0f, v32
	v_lshrrev_b32_e32 v32, 4, v32
	s_wait_loadcnt 0x7
	v_ashrrev_i32_e32 v63, v115, v33
	s_wait_loadcnt 0x6
	v_and_b32_e32 v64, 0xf0f0f0f, v34
	v_lshrrev_b32_e32 v34, 4, v34
	s_wait_loadcnt 0x5
	v_ashrrev_i32_e32 v65, v115, v35
	s_wait_loadcnt 0x4
	v_and_b32_e32 v66, 0xf0f0f0f, v36
	v_lshrrev_b32_e32 v36, 4, v36
	s_wait_loadcnt 0x0
	v_mad_co_u64_u32 v[14:15], null, 0xb0, v1, v[12:13]
	scratch_load_b32 v1, off, off offset:128 ; 4-byte Folded Reload
	v_ashrrev_i32_e32 v67, v115, v37
	v_and_b32_e32 v68, 0xf0f0f0f, v38
	v_lshrrev_b32_e32 v38, 4, v38
	v_ashrrev_i32_e32 v69, v115, v39
	v_and_b32_e32 v32, 0xf0f0f0f, v32
	v_add_co_u32 v20, vcc_lo, v14, v48
	s_wait_alu 0xfffd
	v_add_co_ci_u32_e64 v21, null, 0, v15, vcc_lo
	v_add_co_u32 v14, vcc_lo, v14, v49
	s_clause 0x2
	global_load_b32 v40, v[16:17], off offset:48
	global_load_b32 v41, v[18:19], off offset:16
	;; [unrolled: 1-line block ×3, first 2 shown]
	s_wait_alu 0xfffd
	v_add_co_ci_u32_e64 v15, null, 0, v15, vcc_lo
	v_lshlrev_b32_e32 v63, 4, v63
	v_and_b32_e32 v34, 0xf0f0f0f, v34
	v_lshlrev_b32_e32 v65, 4, v65
	v_and_b32_e32 v36, 0xf0f0f0f, v36
	;; [unrolled: 2-line block ×3, first 2 shown]
	v_lshlrev_b32_e32 v69, 4, v69
	s_wait_loadcnt 0x3
	v_mad_co_u64_u32 v[22:23], null, 0xb0, v1, v[12:13]
	s_delay_alu instid0(VALU_DEP_1) | instskip(SKIP_1) | instid1(VALU_DEP_2)
	v_add_co_u32 v16, vcc_lo, v22, v48
	s_wait_alu 0xfffd
	v_add_co_ci_u32_e64 v17, null, 0, v23, vcc_lo
	v_add_co_u32 v18, vcc_lo, v22, v49
	s_wait_alu 0xfffd
	v_add_co_ci_u32_e64 v19, null, 0, v23, vcc_lo
	s_clause 0x2
	global_load_b32 v43, v[14:15], off offset:16
	global_load_b32 v44, v[16:17], off offset:48
	;; [unrolled: 1-line block ×3, first 2 shown]
	scratch_load_b32 v1, off, off offset:132 ; 4-byte Folded Reload
	s_wait_loadcnt 0x6
	v_and_b32_e32 v70, 0xf0f0f0f, v40
	v_lshrrev_b32_e32 v40, 4, v40
	s_wait_loadcnt 0x5
	v_ashrrev_i32_e32 v71, v115, v41
	s_wait_loadcnt 0x4
	v_and_b32_e32 v178, 0xf0f0f0f, v42
	v_lshrrev_b32_e32 v42, 4, v42
	v_and_b32_e32 v40, 0xf0f0f0f, v40
	v_lshlrev_b32_e32 v71, 4, v71
	s_delay_alu instid0(VALU_DEP_3)
	v_and_b32_e32 v42, 0xf0f0f0f, v42
	s_wait_loadcnt 0x3
	v_ashrrev_i32_e32 v179, v115, v43
	s_wait_loadcnt 0x2
	v_and_b32_e32 v180, 0xf0f0f0f, v44
	v_lshrrev_b32_e32 v44, 4, v44
	s_wait_loadcnt 0x0
	v_mad_co_u64_u32 v[14:15], null, 0xb0, v1, v[12:13]
	scratch_load_b32 v1, off, off offset:136 ; 4-byte Folded Reload
	v_ashrrev_i32_e32 v181, v115, v45
	v_lshlrev_b32_e32 v179, 4, v179
	v_add_co_u32 v16, vcc_lo, v14, v48
	s_wait_alu 0xfffd
	v_add_co_ci_u32_e64 v17, null, 0, v15, vcc_lo
	v_add_co_u32 v14, vcc_lo, v14, v49
	s_wait_alu 0xfffd
	v_add_co_ci_u32_e64 v15, null, 0, v15, vcc_lo
	v_lshlrev_b32_e32 v181, 4, v181
	s_wait_loadcnt 0x0
	v_mad_co_u64_u32 v[18:19], null, 0xb0, v1, v[12:13]
	s_clause 0x1
	global_load_b32 v46, v[16:17], off offset:48
	global_load_b32 v47, v[14:15], off offset:16
	scratch_load_b32 v1, off, off offset:140 ; 4-byte Folded Reload
	v_add_co_u32 v16, vcc_lo, v18, v48
	s_wait_alu 0xfffd
	v_add_co_ci_u32_e64 v17, null, 0, v19, vcc_lo
	v_add_co_u32 v18, vcc_lo, v18, v49
	s_wait_alu 0xfffd
	v_add_co_ci_u32_e64 v19, null, 0, v19, vcc_lo
	s_wait_loadcnt 0x0
	v_mad_co_u64_u32 v[14:15], null, 0xb0, v1, v[12:13]
	scratch_load_b32 v1, off, off offset:144 ; 4-byte Folded Reload
	v_add_co_u32 v20, vcc_lo, v14, v48
	s_wait_alu 0xfffd
	v_add_co_ci_u32_e64 v21, null, 0, v15, vcc_lo
	v_add_co_u32 v14, vcc_lo, v14, v49
	s_wait_alu 0xfffd
	v_add_co_ci_u32_e64 v15, null, 0, v15, vcc_lo
	s_wait_loadcnt 0x0
	v_mad_co_u64_u32 v[22:23], null, 0xb0, v1, v[12:13]
	;; [unrolled: 9-line block ×4, first 2 shown]
	s_clause 0x7
	global_load_b32 v48, v[16:17], off offset:48
	global_load_b32 v49, v[18:19], off offset:16
	;; [unrolled: 1-line block ×8, first 2 shown]
	scratch_load_b32 v1, off, off offset:152 ; 4-byte Folded Reload
	v_add_nc_u32_e32 v24, s5, v0
	scratch_load_b32 v22, off, off offset:200 ; 4-byte Folded Reload
	s_wait_loadcnt 0x1
	v_mad_co_u64_u32 v[12:13], null, 0xb0, v1, s[12:13]
	scratch_load_b32 v1, off, off offset:176 ; 4-byte Folded Reload
	s_wait_loadcnt 0x0
	v_mad_co_u64_u32 v[14:15], null, 0xb0, v1, s[12:13]
	scratch_load_b32 v1, off, off offset:196 ; 4-byte Folded Reload
	s_mov_b32 s12, -1
	s_wait_loadcnt 0x0
	v_add_co_u32 v16, vcc_lo, v28, v1
	s_wait_alu 0xfffd
	v_add_co_ci_u32_e64 v17, null, 0, v29, vcc_lo
	v_add_co_u32 v18, vcc_lo, v28, v22
	s_wait_alu 0xfffd
	v_add_co_ci_u32_e64 v19, null, 0, v29, vcc_lo
	v_add_co_u32 v20, vcc_lo, v14, v1
	scratch_load_b32 v1, off, off           ; 4-byte Folded Reload
	s_wait_alu 0xfffd
	v_add_co_ci_u32_e64 v21, null, 0, v15, vcc_lo
	v_add_co_u32 v14, vcc_lo, v14, v22
	s_wait_alu 0xfffd
	v_add_co_ci_u32_e64 v15, null, 0, v15, vcc_lo
	s_clause 0x3
	global_load_b32 v56, v[16:17], off offset:4
	global_load_b32 v57, v[18:19], off offset:4
	;; [unrolled: 1-line block ×4, first 2 shown]
	scratch_load_b64 v[14:15], off, off offset:184 ; 8-byte Folded Reload
	s_wait_loadcnt 0x5
	v_add_nc_u32_e32 v22, v24, v1
	scratch_load_b32 v1, off, off offset:4  ; 4-byte Folded Reload
	s_wait_loadcnt 0x1
	v_add_nc_u32_e32 v30, s5, v14
	v_mad_co_i64_i32 v[14:15], null, v22, 36, v[2:3]
	scratch_store_b32 off, v30, off offset:80 ; 4-byte Folded Spill
	v_mad_co_u64_u32 v[30:31], null, v30, 36, s[2:3]
	s_wait_loadcnt 0x0
	v_add_nc_u32_e32 v16, v24, v1
	scratch_load_b32 v1, off, off offset:8  ; 4-byte Folded Reload
	v_mad_co_i64_i32 v[16:17], null, v16, 36, v[2:3]
	s_wait_loadcnt 0x0
	v_add_nc_u32_e32 v18, v24, v1
	scratch_load_b32 v1, off, off offset:12 ; 4-byte Folded Reload
	v_mad_co_i64_i32 v[18:19], null, v18, 36, v[2:3]
	s_wait_loadcnt 0x0
	v_add_nc_u32_e32 v20, v24, v1
	scratch_load_b32 v1, off, off offset:16 ; 4-byte Folded Reload
	;; [unrolled: 4-line block ×4, first 2 shown]
	s_wait_loadcnt 0x0
	v_add_nc_u32_e32 v26, v24, v1
	scratch_load_b32 v1, off, off offset:28 ; 4-byte Folded Reload
	v_mad_co_i64_i32 v[26:27], null, v26, 36, v[2:3]
	s_wait_loadcnt 0x0
	v_add_nc_u32_e32 v28, v24, v1
	v_or_b32_e32 v1, 1, v115
	v_mad_co_i64_i32 v[24:25], null, v25, 36, v[2:3]
	s_delay_alu instid0(VALU_DEP_3)
	v_mad_co_i64_i32 v[28:29], null, v28, 36, v[2:3]
	global_load_b32 v12, v[12:13], off
	s_clause 0x8
	global_load_b32 v13, v[14:15], off offset:4
	global_load_b32 v14, v[18:19], off offset:4
	;; [unrolled: 1-line block ×8, first 2 shown]
	global_load_b32 v17, v[30:31], off
	v_and_b32_e32 v26, 0xf0f0f0f, v11
	v_lshrrev_b32_e32 v11, 4, v11
	v_ashrrev_i32_e32 v27, v115, v10
	v_ashrrev_i32_e32 v10, v1, v10
	v_and_b32_e32 v28, 0xf0f0f0f, v9
	v_lshrrev_b32_e32 v9, 4, v9
	v_ashrrev_i32_e32 v29, v115, v8
	v_ashrrev_i32_e32 v8, v1, v8
	;; [unrolled: 4-line block ×3, first 2 shown]
	v_ashrrev_i32_e32 v4, v1, v4
	v_ashrrev_i32_e32 v33, v1, v33
	;; [unrolled: 1-line block ×3, first 2 shown]
	v_and_b32_e32 v11, 0xf0f0f0f, v11
	v_lshlrev_b32_e32 v27, 4, v27
	v_lshlrev_b32_e32 v10, 4, v10
	v_ashrrev_i32_e32 v37, v1, v37
	v_and_b32_e32 v9, 0xf0f0f0f, v9
	v_lshlrev_b32_e32 v29, 4, v29
	v_lshlrev_b32_e32 v8, 4, v8
	v_ashrrev_i32_e32 v39, v1, v39
	;; [unrolled: 4-line block ×3, first 2 shown]
	v_lshlrev_b32_e32 v4, 4, v4
	v_lshlrev_b32_e32 v33, 4, v33
	;; [unrolled: 1-line block ×3, first 2 shown]
	v_and_or_b32 v26, 0x10101010, v27, v26
	v_and_or_b32 v10, 0x10101010, v10, v11
	v_add_nc_u32_e32 v21, 0x800, v121
	v_lshlrev_b32_e32 v37, 4, v37
	v_and_or_b32 v11, 0x10101010, v29, v28
	v_and_or_b32 v8, 0x10101010, v8, v9
	v_add_nc_u32_e32 v23, 0x1000, v121
	v_lshlrev_b32_e32 v39, 4, v39
	v_and_or_b32 v9, 0x10101010, v31, v30
	v_and_or_b32 v6, 0x10101010, v6, v7
	v_add_nc_u32_e32 v24, 0x1800, v121
	v_ashrrev_i32_e32 v43, v1, v43
	v_lshlrev_b32_e32 v41, 4, v41
	v_and_or_b32 v7, 0x10101010, v61, v60
	v_and_or_b32 v4, 0x10101010, v4, v5
	v_add_nc_u32_e32 v25, 0x2000, v121
	v_ashrrev_i32_e32 v45, v1, v45
	v_and_or_b32 v5, 0x10101010, v63, v62
	v_and_or_b32 v27, 0x10101010, v33, v32
	v_and_or_b32 v28, 0x10101010, v65, v64
	v_and_or_b32 v29, 0x10101010, v35, v34
	ds_store_2addr_b32 v121, v26, v10 offset1:8
	ds_store_2addr_b32 v21, v11, v8 offset0:8 offset1:16
	ds_store_2addr_b32 v23, v9, v6 offset0:16 offset1:24
	;; [unrolled: 1-line block ×3, first 2 shown]
	v_add_nc_u32_e32 v4, 0x2800, v121
	v_and_or_b32 v30, 0x10101010, v67, v66
	v_and_or_b32 v31, 0x10101010, v37, v36
	v_add_nc_u32_e32 v6, 0x3000, v121
	v_and_or_b32 v32, 0x10101010, v69, v68
	v_and_or_b32 v33, 0x10101010, v39, v38
	v_add_nc_u32_e32 v7, 0x3800, v121
	v_lshlrev_b32_e32 v43, 4, v43
	v_and_or_b32 v34, 0x10101010, v71, v70
	v_and_or_b32 v35, 0x10101010, v41, v40
	v_add_nc_u32_e32 v8, 0x4000, v121
	ds_store_2addr_b32 v25, v5, v27 offset0:32 offset1:40
	ds_store_2addr_b32 v4, v28, v29 offset0:40 offset1:48
	;; [unrolled: 1-line block ×5, first 2 shown]
	v_and_b32_e32 v4, 0xf0f0f0f, v44
	v_lshlrev_b32_e32 v5, 4, v45
	v_lshrrev_b32_e32 v7, 4, v46
	v_ashrrev_i32_e32 v9, v115, v47
	v_ashrrev_i32_e32 v10, v1, v47
	v_lshrrev_b32_e32 v11, 4, v48
	v_ashrrev_i32_e32 v21, v115, v49
	v_ashrrev_i32_e32 v23, v1, v49
	v_and_or_b32 v36, 0x10101010, v179, v178
	v_and_or_b32 v6, 0x10101010, v43, v42
	v_add_nc_u32_e32 v25, 0x4800, v121
	v_and_or_b32 v4, 0x10101010, v5, v4
	v_and_b32_e32 v5, 0xf0f0f0f, v46
	v_and_b32_e32 v7, 0xf0f0f0f, v7
	v_lshlrev_b32_e32 v9, 4, v9
	v_lshlrev_b32_e32 v10, 4, v10
	v_and_b32_e32 v24, 0xf0f0f0f, v48
	v_and_b32_e32 v11, 0xf0f0f0f, v11
	v_lshlrev_b32_e32 v21, 4, v21
	v_lshlrev_b32_e32 v23, 4, v23
	v_and_or_b32 v8, 0x10101010, v181, v180
	ds_store_2addr_b32 v25, v36, v6 offset0:72 offset1:80
	v_add_nc_u32_e32 v6, 0x5000, v121
	v_and_or_b32 v5, 0x10101010, v9, v5
	v_and_or_b32 v7, 0x10101010, v10, v7
	v_add_nc_u32_e32 v9, 0x5800, v121
	v_and_or_b32 v10, 0x10101010, v21, v24
	v_and_or_b32 v11, 0x10101010, v23, v11
	v_add_nc_u32_e32 v21, 0x6000, v121
	ds_store_2addr_b32 v6, v8, v4 offset0:80 offset1:88
	ds_store_2addr_b32 v9, v5, v7 offset0:88 offset1:96
	v_ashrrev_i32_e32 v6, v1, v51
	v_ashrrev_i32_e32 v5, v115, v51
	v_ashrrev_i32_e32 v8, v115, v53
	ds_store_2addr_b32 v21, v10, v11 offset0:96 offset1:104
	v_ashrrev_i32_e32 v11, v1, v53
	v_ashrrev_i32_e32 v21, v1, v55
	scratch_load_b32 v1, off, off offset:160 ; 4-byte Folded Reload
	v_lshrrev_b32_e32 v4, 4, v50
	v_and_b32_e32 v7, 0xf0f0f0f, v50
	v_lshlrev_b32_e32 v5, 4, v5
	v_and_b32_e32 v9, 0xf0f0f0f, v52
	v_lshlrev_b32_e32 v8, 4, v8
	;; [unrolled: 2-line block ×3, first 2 shown]
	v_lshrrev_b32_e32 v10, 4, v52
	v_and_or_b32 v5, 0x10101010, v5, v7
	v_lshlrev_b32_e32 v7, 4, v11
	v_ashrrev_i32_e32 v11, v115, v55
	v_and_or_b32 v8, 0x10101010, v8, v9
	v_lshrrev_b32_e32 v9, 4, v54
	v_and_or_b32 v4, 0x10101010, v6, v4
	v_and_b32_e32 v6, 0xf0f0f0f, v10
	v_and_b32_e32 v10, 0xf0f0f0f, v54
	v_lshlrev_b32_e32 v11, 4, v11
	v_and_b32_e32 v9, 0xf0f0f0f, v9
	v_lshlrev_b32_e32 v21, 4, v21
	v_and_or_b32 v6, 0x10101010, v7, v6
	s_delay_alu instid0(VALU_DEP_4)
	v_and_or_b32 v7, 0x10101010, v11, v10
	v_add_nc_u32_e32 v10, 0x6800, v121
	v_add_nc_u32_e32 v11, 0x7000, v121
	v_and_or_b32 v9, 0x10101010, v21, v9
	v_add_nc_u32_e32 v21, 0x7800, v121
	s_wait_loadcnt 0x0
	v_ashrrev_i32_e32 v23, v1, v56
	v_ashrrev_i32_e32 v24, v1, v58
	scratch_load_b32 v1, off, off offset:164 ; 4-byte Folded Reload
	ds_store_2addr_b32 v10, v5, v4 offset0:104 offset1:112
	ds_store_2addr_b32 v11, v8, v6 offset0:112 offset1:120
	;; [unrolled: 1-line block ×3, first 2 shown]
	v_and_b32_e32 v23, 0xf0f0f0f, v23
	v_and_b32_e32 v24, 0xf0f0f0f, v24
	s_wait_loadcnt 0x0
	v_ashrrev_i32_e32 v25, v1, v57
	v_ashrrev_i32_e32 v26, v1, v59
	scratch_load_b32 v1, off, off offset:172 ; 4-byte Folded Reload
	v_and_or_b32 v23, 0x30303030, v25, v23
	v_and_or_b32 v24, 0x30303030, v26, v24
	s_wait_loadcnt 0x0
	ds_store_b32 v1, v23
	scratch_load_b32 v1, off, off offset:180 ; 4-byte Folded Reload
	s_wait_loadcnt 0x0
	ds_store_b32 v1, v24
	scratch_load_b32 v1, off, off offset:48 ; 4-byte Folded Reload
	;; [unrolled: 3-line block ×10, first 2 shown]
	s_wait_loadcnt 0x0
	ds_store_b32 v1, v19
	ds_store_b32 v255, v17
	s_wait_storecnt_dscnt 0x0
	s_barrier_signal -1
	s_barrier_wait -1
	global_inv scope:SCOPE_SE
	scratch_load_b32 v1, off, off offset:32 ; 4-byte Folded Reload
	s_wait_loadcnt 0x0
	ds_load_b32 v4, v1
	scratch_load_b32 v1, off, off offset:36 ; 4-byte Folded Reload
	s_wait_dscnt 0x0
	v_lshrrev_b32_e32 v8, 16, v4
	v_cvt_f32_f16_e64 v185, v4
	s_delay_alu instid0(VALU_DEP_2)
	v_cvt_f32_f16_e64 v184, v8
	s_wait_loadcnt 0x0
	ds_load_b32 v5, v1 offset:128
	scratch_load_b32 v1, off, off offset:40 ; 4-byte Folded Reload
	s_wait_dscnt 0x0
	v_lshrrev_b32_e32 v8, 16, v5
	v_cvt_f32_f16_e64 v186, v5
	s_delay_alu instid0(VALU_DEP_2)
	v_cvt_f32_f16_e64 v187, v8
	s_wait_loadcnt 0x0
	ds_load_b32 v6, v1 offset:256
	;; [unrolled: 8-line block ×3, first 2 shown]
	s_wait_dscnt 0x0
	v_lshrrev_b32_e32 v5, 16, v7
	v_cvt_f32_f16_e64 v190, v7
	s_delay_alu instid0(VALU_DEP_2)
	v_cvt_f32_f16_e64 v191, v5
.LBB173_6:                              ;   Parent Loop BB173_5 Depth=1
                                        ; =>  This Inner Loop Header: Depth=2
	v_lshlrev_b32_e32 v178, 2, v0
	v_lshlrev_b32_e32 v179, 2, v112
	;; [unrolled: 1-line block ×3, first 2 shown]
	s_lshl_b32 s13, s16, 1
	s_lshr_b32 s18, s16, 2
	v_lshlrev_b32_e32 v180, 2, v147
	v_lshlrev_b32_e32 v182, 2, v149
	s_lshl_b32 s17, s16, 3
	s_add_co_i32 s16, s18, 0xa200
	s_wait_alu 0xfffe
	v_or_b32_e32 v199, s13, v154
	v_add_nc_u32_e32 v10, s17, v167
	v_add3_u32 v192, s16, v178, v179
	v_add_nc_u32_e32 v201, s17, v163
	v_add3_u32 v246, s16, v181, v164
	v_add_nc_u32_e32 v14, s17, v161
	v_add_nc_u32_e32 v24, s17, v165
	v_add3_u32 v12, s16, v180, v162
	v_add3_u32 v25, s16, v182, v166
	v_lshlrev_b32_e32 v200, 2, v199
	ds_load_u16 v193, v192 offset:8
	ds_load_2addr_b32 v[4:5], v14 offset1:1
	ds_load_2addr_b32 v[22:23], v10 offset0:14 offset1:15
	ds_load_b128 v[6:9], v200 offset:33280
	ds_load_2addr_b32 v[34:35], v201 offset0:2 offset1:3
	ds_load_2addr_b32 v[26:27], v201 offset0:4 offset1:5
	ds_load_u16 v194, v12 offset:8
	ds_load_2addr_b32 v[48:49], v201 offset1:1
	ds_load_u16 v195, v246 offset:8
	ds_load_2addr_b32 v[58:59], v24 offset1:1
	ds_load_2addr_b32 v[54:55], v10 offset0:2 offset1:3
	ds_load_2addr_b32 v[32:33], v10 offset0:4 offset1:5
	ds_load_u16 v196, v25 offset:8
	ds_load_2addr_b32 v[62:63], v10 offset1:1
	ds_load_2addr_b32 v[16:17], v14 offset0:2 offset1:3
	ds_load_2addr_b32 v[18:19], v14 offset0:4 offset1:5
	;; [unrolled: 1-line block ×6, first 2 shown]
	v_or_b32_e32 v136, s13, v156
	v_or_b32_e32 v90, s13, v158
	;; [unrolled: 1-line block ×3, first 2 shown]
	v_lshrrev_b32_e32 v199, 1, v199
	s_mov_b32 s16, 8
	v_lshlrev_b32_e32 v137, 2, v136
	v_lshlrev_b32_e32 v132, 2, v90
	;; [unrolled: 1-line block ×3, first 2 shown]
	v_lshrrev_b32_e32 v136, 1, v136
	v_lshrrev_b32_e32 v90, 1, v90
	;; [unrolled: 1-line block ×3, first 2 shown]
	s_and_b32 vcc_lo, exec_lo, s12
	s_mov_b32 s12, 0
	s_wait_dscnt 0x10
	v_dot4_i32_iu8 v11, v4, v6, 0 neg_lo:[1,1,0]
	s_wait_dscnt 0xc
	v_dot4_i32_iu8 v13, v6, v48, 0 neg_lo:[1,1,0]
	;; [unrolled: 2-line block ×4, first 2 shown]
	v_dot4_i32_iu8 v11, v5, v7, v11 neg_lo:[1,1,0]
	v_dot4_i32_iu8 v13, v7, v49, v13 neg_lo:[1,1,0]
	;; [unrolled: 1-line block ×3, first 2 shown]
	s_delay_alu instid0(VALU_DEP_4)
	v_dot4_i32_iu8 v6, v7, v63, v6 neg_lo:[1,1,0]
	s_wait_dscnt 0x5
	v_dot4_i32_iu8 v7, v16, v8, v11 neg_lo:[1,1,0]
	v_dot4_i32_iu8 v11, v8, v34, v13 neg_lo:[1,1,0]
	s_wait_dscnt 0x2
	v_dot4_i32_iu8 v13, v8, v64, v15 neg_lo:[1,1,0]
	v_dot4_i32_iu8 v6, v8, v54, v6 neg_lo:[1,1,0]
	;; [unrolled: 1-line block ×4, first 2 shown]
	s_delay_alu instid0(VALU_DEP_4) | instskip(NEXT) | instid1(VALU_DEP_4)
	v_dot4_i32_iu8 v249, v9, v65, v13 neg_lo:[1,1,0]
	v_dot4_i32_iu8 v250, v9, v55, v6 neg_lo:[1,1,0]
	ds_load_u16 v198, v12
	ds_load_u16 v197, v25
	ds_load_2addr_b32 v[8:9], v14 offset0:8 offset1:9
	ds_load_b128 v[202:205], v200 offset:33312
	ds_load_b128 v[206:209], v200 offset:33296
	ds_load_2addr_b32 v[42:43], v201 offset0:8 offset1:9
	ds_load_2addr_b32 v[38:39], v201 offset0:10 offset1:11
	;; [unrolled: 1-line block ×9, first 2 shown]
	s_wait_dscnt 0xa
	v_dot4_i32_iu8 v6, v8, v202, 0 neg_lo:[1,1,0]
	s_wait_dscnt 0x3
	v_dot4_i32_iu8 v10, v202, v56, 0 neg_lo:[1,1,0]
	v_dot4_i32_iu8 v7, v202, v42, 0 neg_lo:[1,1,0]
	;; [unrolled: 1-line block ×4, first 2 shown]
	s_delay_alu instid0(VALU_DEP_4) | instskip(NEXT) | instid1(VALU_DEP_4)
	v_dot4_i32_iu8 v70, v203, v57, v10 neg_lo:[1,1,0]
	v_dot4_i32_iu8 v7, v203, v43, v7 neg_lo:[1,1,0]
	s_delay_alu instid0(VALU_DEP_4)
	v_dot4_i32_iu8 v25, v203, v51, v11 neg_lo:[1,1,0]
	ds_load_2addr_b32 v[10:11], v14 offset0:10 offset1:11
	ds_load_2addr_b32 v[12:13], v14 offset0:12 offset1:13
	;; [unrolled: 1-line block ×6, first 2 shown]
	v_dot4_i32_iu8 v7, v204, v38, v7 neg_lo:[1,1,0]
	s_delay_alu instid0(VALU_DEP_1)
	v_dot4_i32_iu8 v252, v205, v39, v7 neg_lo:[1,1,0]
	s_wait_dscnt 0x5
	v_dot4_i32_iu8 v6, v10, v204, v6 neg_lo:[1,1,0]
	s_wait_dscnt 0x2
	v_dot4_i32_iu8 v24, v204, v60, v25 neg_lo:[1,1,0]
	v_dot4_i32_iu8 v25, v204, v46, v70 neg_lo:[1,1,0]
	s_delay_alu instid0(VALU_DEP_3) | instskip(SKIP_1) | instid1(VALU_DEP_4)
	v_dot4_i32_iu8 v251, v11, v205, v6 neg_lo:[1,1,0]
	v_or_b32_e32 v6, s13, v155
	v_dot4_i32_iu8 v253, v205, v61, v24 neg_lo:[1,1,0]
	s_delay_alu instid0(VALU_DEP_4) | instskip(NEXT) | instid1(VALU_DEP_3)
	v_dot4_i32_iu8 v254, v205, v47, v25 neg_lo:[1,1,0]
	v_lshlrev_b32_e32 v7, 2, v6
	ds_load_b128 v[202:205], v7 offset:33280
	ds_load_b128 v[210:213], v7 offset:33296
	v_lshrrev_b32_e32 v6, 1, v6
	s_wait_dscnt 0x1
	v_dot4_i32_iu8 v24, v4, v202, 0 neg_lo:[1,1,0]
	v_dot4_i32_iu8 v25, v202, v48, 0 neg_lo:[1,1,0]
	v_dot4_i32_iu8 v70, v202, v58, 0 neg_lo:[1,1,0]
	v_dot4_i32_iu8 v71, v202, v62, 0 neg_lo:[1,1,0]
	s_delay_alu instid0(VALU_DEP_4) | instskip(NEXT) | instid1(VALU_DEP_4)
	v_dot4_i32_iu8 v24, v5, v203, v24 neg_lo:[1,1,0]
	v_dot4_i32_iu8 v25, v203, v49, v25 neg_lo:[1,1,0]
	s_delay_alu instid0(VALU_DEP_4) | instskip(NEXT) | instid1(VALU_DEP_4)
	v_dot4_i32_iu8 v70, v203, v59, v70 neg_lo:[1,1,0]
	v_dot4_i32_iu8 v71, v203, v63, v71 neg_lo:[1,1,0]
	;; [unrolled: 3-line block ×6, first 2 shown]
	ds_load_b128 v[202:205], v7 offset:33312
	ds_load_b128 v[214:217], v7 offset:33328
	s_wait_dscnt 0x2
	v_dot4_i32_iu8 v95, v210, v26, v95 neg_lo:[1,1,0]
	v_dot4_i32_iu8 v91, v210, v52, v91 neg_lo:[1,1,0]
	;; [unrolled: 1-line block ×3, first 2 shown]
	s_delay_alu instid0(VALU_DEP_3) | instskip(NEXT) | instid1(VALU_DEP_3)
	v_dot4_i32_iu8 v95, v211, v27, v95 neg_lo:[1,1,0]
	v_dot4_i32_iu8 v91, v211, v53, v91 neg_lo:[1,1,0]
	s_delay_alu instid0(VALU_DEP_3) | instskip(NEXT) | instid1(VALU_DEP_3)
	v_dot4_i32_iu8 v129, v211, v33, v129 neg_lo:[1,1,0]
	v_dot4_i32_iu8 v95, v212, v66, v95 neg_lo:[1,1,0]
	s_delay_alu instid0(VALU_DEP_3) | instskip(NEXT) | instid1(VALU_DEP_3)
	v_dot4_i32_iu8 v91, v212, v44, v91 neg_lo:[1,1,0]
	v_dot4_i32_iu8 v129, v212, v68, v129 neg_lo:[1,1,0]
	s_delay_alu instid0(VALU_DEP_3) | instskip(NEXT) | instid1(VALU_DEP_3)
	v_dot4_i32_iu8 v95, v213, v67, v95 neg_lo:[1,1,0]
	v_dot4_i32_iu8 v91, v213, v45, v91 neg_lo:[1,1,0]
	s_wait_dscnt 0x1
	v_dot4_i32_iu8 v7, v8, v202, 0 neg_lo:[1,1,0]
	v_dot4_i32_iu8 v24, v202, v42, 0 neg_lo:[1,1,0]
	;; [unrolled: 1-line block ×9, first 2 shown]
	s_delay_alu instid0(VALU_DEP_4) | instskip(NEXT) | instid1(VALU_DEP_4)
	v_dot4_i32_iu8 v7, v10, v204, v7 neg_lo:[1,1,0]
	v_dot4_i32_iu8 v24, v204, v38, v24 neg_lo:[1,1,0]
	s_delay_alu instid0(VALU_DEP_4) | instskip(NEXT) | instid1(VALU_DEP_4)
	v_dot4_i32_iu8 v25, v204, v60, v25 neg_lo:[1,1,0]
	v_dot4_i32_iu8 v70, v204, v46, v70 neg_lo:[1,1,0]
	;; [unrolled: 3-line block ×4, first 2 shown]
	ds_load_b64 v[6:7], v6 offset:43584
	ds_load_b128 v[202:205], v137 offset:33280
	s_wait_dscnt 0x2
	v_dot4_i32_iu8 v130, v12, v214, v130 neg_lo:[1,1,0]
	v_dot4_i32_iu8 v131, v214, v28, v131 neg_lo:[1,1,0]
	;; [unrolled: 1-line block ×4, first 2 shown]
	s_delay_alu instid0(VALU_DEP_4) | instskip(NEXT) | instid1(VALU_DEP_4)
	v_dot4_i32_iu8 v130, v13, v215, v130 neg_lo:[1,1,0]
	v_dot4_i32_iu8 v131, v215, v29, v131 neg_lo:[1,1,0]
	s_delay_alu instid0(VALU_DEP_4) | instskip(NEXT) | instid1(VALU_DEP_4)
	v_dot4_i32_iu8 v134, v215, v41, v134 neg_lo:[1,1,0]
	v_dot4_i32_iu8 v135, v215, v31, v135 neg_lo:[1,1,0]
	s_delay_alu instid0(VALU_DEP_4) | instskip(NEXT) | instid1(VALU_DEP_3)
	v_dot4_i32_iu8 v130, v14, v216, v130 neg_lo:[1,1,0]
	v_dot4_i32_iu8 v134, v216, v36, v134 neg_lo:[1,1,0]
	s_delay_alu instid0(VALU_DEP_3) | instskip(NEXT) | instid1(VALU_DEP_3)
	v_dot4_i32_iu8 v135, v216, v22, v135 neg_lo:[1,1,0]
	v_dot4_i32_iu8 v130, v15, v217, v130 neg_lo:[1,1,0]
	s_delay_alu instid0(VALU_DEP_3) | instskip(NEXT) | instid1(VALU_DEP_3)
	v_dot4_i32_iu8 v134, v217, v37, v134 neg_lo:[1,1,0]
	v_dot4_i32_iu8 v135, v217, v23, v135 neg_lo:[1,1,0]
	s_wait_dscnt 0x0
	v_dot4_i32_iu8 v24, v4, v202, 0 neg_lo:[1,1,0]
	v_dot4_i32_iu8 v25, v202, v48, 0 neg_lo:[1,1,0]
	;; [unrolled: 1-line block ×4, first 2 shown]
	s_delay_alu instid0(VALU_DEP_4) | instskip(NEXT) | instid1(VALU_DEP_4)
	v_dot4_i32_iu8 v24, v5, v203, v24 neg_lo:[1,1,0]
	v_dot4_i32_iu8 v25, v203, v49, v25 neg_lo:[1,1,0]
	s_delay_alu instid0(VALU_DEP_4) | instskip(NEXT) | instid1(VALU_DEP_4)
	v_dot4_i32_iu8 v70, v203, v59, v70 neg_lo:[1,1,0]
	v_dot4_i32_iu8 v71, v203, v63, v71 neg_lo:[1,1,0]
	;; [unrolled: 3-line block ×6, first 2 shown]
	ds_load_b128 v[202:205], v137 offset:33312
	ds_load_b128 v[218:221], v137 offset:33296
	s_wait_dscnt 0x1
	v_dot4_i32_iu8 v24, v8, v202, 0 neg_lo:[1,1,0]
	v_dot4_i32_iu8 v25, v202, v42, 0 neg_lo:[1,1,0]
	;; [unrolled: 1-line block ×4, first 2 shown]
	s_wait_dscnt 0x0
	v_dot4_i32_iu8 v102, v218, v26, v102 neg_lo:[1,1,0]
	v_dot4_i32_iu8 v24, v9, v203, v24 neg_lo:[1,1,0]
	;; [unrolled: 1-line block ×12, first 2 shown]
	v_or_b32_e32 v24, s13, v157
	v_dot4_i32_iu8 v109, v205, v39, v25 neg_lo:[1,1,0]
	v_dot4_i32_iu8 v110, v205, v61, v70 neg_lo:[1,1,0]
	;; [unrolled: 1-line block ×4, first 2 shown]
	v_lshlrev_b32_e32 v25, 2, v24
	ds_load_b128 v[202:205], v25 offset:33280
	ds_load_b128 v[222:225], v25 offset:33296
	v_lshrrev_b32_e32 v24, 1, v24
	v_dot4_i32_iu8 v105, v219, v53, v105 neg_lo:[1,1,0]
	v_dot4_i32_iu8 v106, v219, v33, v106 neg_lo:[1,1,0]
	;; [unrolled: 1-line block ×4, first 2 shown]
	s_delay_alu instid0(VALU_DEP_4) | instskip(NEXT) | instid1(VALU_DEP_4)
	v_dot4_i32_iu8 v105, v220, v44, v105 neg_lo:[1,1,0]
	v_dot4_i32_iu8 v106, v220, v68, v106 neg_lo:[1,1,0]
	s_delay_alu instid0(VALU_DEP_4) | instskip(NEXT) | instid1(VALU_DEP_4)
	v_dot4_i32_iu8 v102, v221, v67, v102 neg_lo:[1,1,0]
	v_dot4_i32_iu8 v1, v19, v219, v1 neg_lo:[1,1,0]
	;; [unrolled: 3-line block ×3, first 2 shown]
	s_delay_alu instid0(VALU_DEP_3)
	v_dot4_i32_iu8 v1, v20, v220, v1 neg_lo:[1,1,0]
	s_wait_dscnt 0x1
	v_dot4_i32_iu8 v70, v4, v202, 0 neg_lo:[1,1,0]
	v_dot4_i32_iu8 v71, v202, v48, 0 neg_lo:[1,1,0]
	v_dot4_i32_iu8 v226, v202, v58, 0 neg_lo:[1,1,0]
	v_dot4_i32_iu8 v202, v202, v62, 0 neg_lo:[1,1,0]
	v_dot4_i32_iu8 v1, v21, v221, v1 neg_lo:[1,1,0]
	v_dot4_i32_iu8 v70, v5, v203, v70 neg_lo:[1,1,0]
	v_dot4_i32_iu8 v71, v203, v49, v71 neg_lo:[1,1,0]
	v_dot4_i32_iu8 v226, v203, v59, v226 neg_lo:[1,1,0]
	v_dot4_i32_iu8 v202, v203, v63, v202 neg_lo:[1,1,0]
	s_delay_alu instid0(VALU_DEP_4) | instskip(NEXT) | instid1(VALU_DEP_4)
	v_dot4_i32_iu8 v70, v16, v204, v70 neg_lo:[1,1,0]
	v_dot4_i32_iu8 v71, v204, v34, v71 neg_lo:[1,1,0]
	s_delay_alu instid0(VALU_DEP_4) | instskip(NEXT) | instid1(VALU_DEP_4)
	v_dot4_i32_iu8 v203, v204, v64, v226 neg_lo:[1,1,0]
	v_dot4_i32_iu8 v202, v204, v54, v202 neg_lo:[1,1,0]
	s_delay_alu instid0(VALU_DEP_4) | instskip(NEXT) | instid1(VALU_DEP_4)
	v_dot4_i32_iu8 v113, v17, v205, v70 neg_lo:[1,1,0]
	v_dot4_i32_iu8 v116, v205, v35, v71 neg_lo:[1,1,0]
	s_delay_alu instid0(VALU_DEP_4) | instskip(NEXT) | instid1(VALU_DEP_4)
	v_dot4_i32_iu8 v120, v205, v65, v203 neg_lo:[1,1,0]
	v_dot4_i32_iu8 v122, v205, v55, v202 neg_lo:[1,1,0]
	ds_load_b128 v[202:205], v25 offset:33312
	ds_load_b128 v[226:229], v25 offset:33328
	s_wait_dscnt 0x2
	v_dot4_i32_iu8 v113, v18, v222, v113 neg_lo:[1,1,0]
	v_dot4_i32_iu8 v116, v222, v26, v116 neg_lo:[1,1,0]
	;; [unrolled: 1-line block ×4, first 2 shown]
	s_delay_alu instid0(VALU_DEP_4) | instskip(NEXT) | instid1(VALU_DEP_4)
	v_dot4_i32_iu8 v113, v19, v223, v113 neg_lo:[1,1,0]
	v_dot4_i32_iu8 v116, v223, v27, v116 neg_lo:[1,1,0]
	s_delay_alu instid0(VALU_DEP_4) | instskip(NEXT) | instid1(VALU_DEP_4)
	v_dot4_i32_iu8 v120, v223, v53, v120 neg_lo:[1,1,0]
	v_dot4_i32_iu8 v122, v223, v33, v122 neg_lo:[1,1,0]
	;; [unrolled: 3-line block ×5, first 2 shown]
	s_delay_alu instid0(VALU_DEP_4)
	v_dot4_i32_iu8 v120, v225, v45, v120 neg_lo:[1,1,0]
	s_wait_dscnt 0x1
	v_dot4_i32_iu8 v25, v8, v202, 0 neg_lo:[1,1,0]
	v_dot4_i32_iu8 v70, v202, v42, 0 neg_lo:[1,1,0]
	;; [unrolled: 1-line block ×9, first 2 shown]
	s_delay_alu instid0(VALU_DEP_4) | instskip(NEXT) | instid1(VALU_DEP_4)
	v_dot4_i32_iu8 v25, v10, v204, v25 neg_lo:[1,1,0]
	v_dot4_i32_iu8 v70, v204, v38, v70 neg_lo:[1,1,0]
	s_delay_alu instid0(VALU_DEP_4) | instskip(NEXT) | instid1(VALU_DEP_4)
	v_dot4_i32_iu8 v71, v204, v60, v71 neg_lo:[1,1,0]
	v_dot4_i32_iu8 v202, v204, v46, v202 neg_lo:[1,1,0]
	;; [unrolled: 3-line block ×4, first 2 shown]
	ds_load_b64 v[24:25], v24 offset:43584
	ds_load_b128 v[202:205], v132 offset:33280
	s_wait_dscnt 0x2
	v_dot4_i32_iu8 v123, v12, v226, v123 neg_lo:[1,1,0]
	v_dot4_i32_iu8 v125, v226, v28, v125 neg_lo:[1,1,0]
	v_dot4_i32_iu8 v126, v226, v40, v126 neg_lo:[1,1,0]
	v_dot4_i32_iu8 v128, v226, v30, v128 neg_lo:[1,1,0]
	s_delay_alu instid0(VALU_DEP_4) | instskip(NEXT) | instid1(VALU_DEP_4)
	v_dot4_i32_iu8 v123, v13, v227, v123 neg_lo:[1,1,0]
	v_dot4_i32_iu8 v125, v227, v29, v125 neg_lo:[1,1,0]
	s_delay_alu instid0(VALU_DEP_4) | instskip(NEXT) | instid1(VALU_DEP_4)
	v_dot4_i32_iu8 v126, v227, v41, v126 neg_lo:[1,1,0]
	v_dot4_i32_iu8 v128, v227, v31, v128 neg_lo:[1,1,0]
	s_delay_alu instid0(VALU_DEP_4) | instskip(NEXT) | instid1(VALU_DEP_3)
	v_dot4_i32_iu8 v123, v14, v228, v123 neg_lo:[1,1,0]
	v_dot4_i32_iu8 v126, v228, v36, v126 neg_lo:[1,1,0]
	s_delay_alu instid0(VALU_DEP_3) | instskip(NEXT) | instid1(VALU_DEP_3)
	v_dot4_i32_iu8 v128, v228, v22, v128 neg_lo:[1,1,0]
	v_dot4_i32_iu8 v123, v15, v229, v123 neg_lo:[1,1,0]
	s_delay_alu instid0(VALU_DEP_3) | instskip(NEXT) | instid1(VALU_DEP_3)
	v_dot4_i32_iu8 v126, v229, v37, v126 neg_lo:[1,1,0]
	v_dot4_i32_iu8 v128, v229, v23, v128 neg_lo:[1,1,0]
	s_wait_dscnt 0x0
	v_dot4_i32_iu8 v70, v4, v202, 0 neg_lo:[1,1,0]
	v_dot4_i32_iu8 v71, v202, v48, 0 neg_lo:[1,1,0]
	v_dot4_i32_iu8 v230, v202, v58, 0 neg_lo:[1,1,0]
	v_dot4_i32_iu8 v202, v202, v62, 0 neg_lo:[1,1,0]
	s_delay_alu instid0(VALU_DEP_4) | instskip(NEXT) | instid1(VALU_DEP_4)
	v_dot4_i32_iu8 v70, v5, v203, v70 neg_lo:[1,1,0]
	v_dot4_i32_iu8 v71, v203, v49, v71 neg_lo:[1,1,0]
	s_delay_alu instid0(VALU_DEP_4) | instskip(NEXT) | instid1(VALU_DEP_4)
	v_dot4_i32_iu8 v230, v203, v59, v230 neg_lo:[1,1,0]
	v_dot4_i32_iu8 v202, v203, v63, v202 neg_lo:[1,1,0]
	;; [unrolled: 3-line block ×6, first 2 shown]
	ds_load_b128 v[202:205], v132 offset:33312
	ds_load_b128 v[230:233], v132 offset:33296
	s_wait_dscnt 0x1
	v_dot4_i32_iu8 v70, v8, v202, 0 neg_lo:[1,1,0]
	v_dot4_i32_iu8 v71, v202, v42, 0 neg_lo:[1,1,0]
	;; [unrolled: 1-line block ×4, first 2 shown]
	s_wait_dscnt 0x0
	v_dot4_i32_iu8 v133, v18, v230, v133 neg_lo:[1,1,0]
	v_dot4_i32_iu8 v70, v9, v203, v70 neg_lo:[1,1,0]
	;; [unrolled: 1-line block ×12, first 2 shown]
	v_or_b32_e32 v70, s13, v159
	v_dot4_i32_iu8 v142, v205, v39, v71 neg_lo:[1,1,0]
	v_dot4_i32_iu8 v143, v205, v61, v203 neg_lo:[1,1,0]
	;; [unrolled: 1-line block ×4, first 2 shown]
	v_lshlrev_b32_e32 v71, 2, v70
	ds_load_b128 v[202:205], v71 offset:33280
	ds_load_b128 v[234:237], v71 offset:33296
	v_lshrrev_b32_e32 v70, 1, v70
	s_wait_dscnt 0x1
	v_dot4_i32_iu8 v238, v4, v202, 0 neg_lo:[1,1,0]
	v_dot4_i32_iu8 v239, v202, v48, 0 neg_lo:[1,1,0]
	;; [unrolled: 1-line block ×4, first 2 shown]
	s_delay_alu instid0(VALU_DEP_4) | instskip(NEXT) | instid1(VALU_DEP_4)
	v_dot4_i32_iu8 v238, v5, v203, v238 neg_lo:[1,1,0]
	v_dot4_i32_iu8 v239, v203, v49, v239 neg_lo:[1,1,0]
	s_delay_alu instid0(VALU_DEP_4) | instskip(NEXT) | instid1(VALU_DEP_4)
	v_dot4_i32_iu8 v240, v203, v59, v240 neg_lo:[1,1,0]
	v_dot4_i32_iu8 v202, v203, v63, v202 neg_lo:[1,1,0]
	;; [unrolled: 3-line block ×6, first 2 shown]
	ds_load_b128 v[202:205], v71 offset:33312
	ds_load_b128 v[238:241], v71 offset:33328
	s_wait_dscnt 0x1
	v_dot4_i32_iu8 v71, v8, v202, 0 neg_lo:[1,1,0]
	v_dot4_i32_iu8 v242, v202, v42, 0 neg_lo:[1,1,0]
	;; [unrolled: 1-line block ×4, first 2 shown]
	s_delay_alu instid0(VALU_DEP_4) | instskip(NEXT) | instid1(VALU_DEP_4)
	v_dot4_i32_iu8 v71, v9, v203, v71 neg_lo:[1,1,0]
	v_dot4_i32_iu8 v242, v203, v43, v242 neg_lo:[1,1,0]
	s_delay_alu instid0(VALU_DEP_4) | instskip(NEXT) | instid1(VALU_DEP_4)
	v_dot4_i32_iu8 v243, v203, v51, v243 neg_lo:[1,1,0]
	v_dot4_i32_iu8 v202, v203, v57, v202 neg_lo:[1,1,0]
	;; [unrolled: 3-line block ×6, first 2 shown]
	ds_load_b64 v[70:71], v70 offset:43584
	ds_load_b128 v[202:205], v171 offset:33280
	s_wait_dscnt 0x0
	v_dot4_i32_iu8 v242, v202, v48, 0 neg_lo:[1,1,0]
	v_dot4_i32_iu8 v243, v202, v58, 0 neg_lo:[1,1,0]
	;; [unrolled: 1-line block ×4, first 2 shown]
	s_delay_alu instid0(VALU_DEP_4) | instskip(NEXT) | instid1(VALU_DEP_4)
	v_dot4_i32_iu8 v242, v203, v49, v242 neg_lo:[1,1,0]
	v_dot4_i32_iu8 v243, v203, v59, v243 neg_lo:[1,1,0]
	s_delay_alu instid0(VALU_DEP_4) | instskip(NEXT) | instid1(VALU_DEP_4)
	v_dot4_i32_iu8 v244, v203, v63, v244 neg_lo:[1,1,0]
	v_dot4_i32_iu8 v202, v5, v203, v202 neg_lo:[1,1,0]
	;; [unrolled: 3-line block ×6, first 2 shown]
	ds_load_b128 v[202:205], v171 offset:33312
	ds_load_b128 v[242:245], v171 offset:33296
	s_wait_dscnt 0x1
	v_dot4_i32_iu8 v176, v8, v202, 0 neg_lo:[1,1,0]
	v_dot4_i32_iu8 v177, v202, v42, 0 neg_lo:[1,1,0]
	;; [unrolled: 1-line block ×4, first 2 shown]
	s_delay_alu instid0(VALU_DEP_4) | instskip(NEXT) | instid1(VALU_DEP_4)
	v_dot4_i32_iu8 v176, v9, v203, v176 neg_lo:[1,1,0]
	v_dot4_i32_iu8 v177, v203, v43, v177 neg_lo:[1,1,0]
	s_delay_alu instid0(VALU_DEP_4) | instskip(NEXT) | instid1(VALU_DEP_4)
	v_dot4_i32_iu8 v183, v203, v51, v183 neg_lo:[1,1,0]
	v_dot4_i32_iu8 v202, v203, v57, v202 neg_lo:[1,1,0]
	;; [unrolled: 1-line block ×16, first 2 shown]
	s_delay_alu instid0(VALU_DEP_4) | instskip(NEXT) | instid1(VALU_DEP_4)
	v_dot4_i32_iu8 v202, v19, v207, v202 neg_lo:[1,1,0]
	v_dot4_i32_iu8 v205, v207, v33, v205 neg_lo:[1,1,0]
	s_delay_alu instid0(VALU_DEP_4) | instskip(NEXT) | instid1(VALU_DEP_4)
	v_dot4_i32_iu8 v203, v208, v66, v203 neg_lo:[1,1,0]
	v_dot4_i32_iu8 v204, v208, v44, v204 neg_lo:[1,1,0]
	;; [unrolled: 3-line block ×5, first 2 shown]
	ds_load_u16 v117, v246
	ds_load_b64 v[207:208], v199 offset:43584
	ds_load_b128 v[202:205], v200 offset:33328
	ds_load_2addr_b32 v[246:247], v201 offset0:14 offset1:15
	s_wait_dscnt 0x1
	v_dot4_i32_iu8 v199, v12, v202, v251 neg_lo:[1,1,0]
	v_dot4_i32_iu8 v200, v202, v28, v252 neg_lo:[1,1,0]
	;; [unrolled: 1-line block ×4, first 2 shown]
	s_wait_dscnt 0x0
	v_dot4_i32_iu8 v131, v216, v246, v131 neg_lo:[1,1,0]
	v_dot4_i32_iu8 v199, v13, v203, v199 neg_lo:[1,1,0]
	;; [unrolled: 1-line block ×18, first 2 shown]
	s_delay_alu instid0(VALU_DEP_1) | instskip(NEXT) | instid1(VALU_DEP_1)
	v_dot4_i32_iu8 v199, v20, v212, v199 neg_lo:[1,1,0]
	v_dot4_i32_iu8 v255, v21, v213, v199 neg_lo:[1,1,0]
	ds_load_b64 v[209:210], v136 offset:43584
	ds_load_b128 v[199:202], v137 offset:33328
	v_dot4_i32_iu8 v136, v230, v26, v138 neg_lo:[1,1,0]
	v_dot4_i32_iu8 v137, v230, v52, v139 neg_lo:[1,1,0]
	;; [unrolled: 1-line block ×3, first 2 shown]
	s_delay_alu instid0(VALU_DEP_3) | instskip(NEXT) | instid1(VALU_DEP_3)
	v_dot4_i32_iu8 v136, v231, v27, v136 neg_lo:[1,1,0]
	v_dot4_i32_iu8 v137, v231, v53, v137 neg_lo:[1,1,0]
	s_delay_alu instid0(VALU_DEP_3) | instskip(NEXT) | instid1(VALU_DEP_3)
	v_dot4_i32_iu8 v138, v231, v33, v138 neg_lo:[1,1,0]
	v_dot4_i32_iu8 v136, v232, v66, v136 neg_lo:[1,1,0]
	;; [unrolled: 3-line block ×4, first 2 shown]
	s_delay_alu instid0(VALU_DEP_3)
	v_dot4_i32_iu8 v138, v233, v69, v138 neg_lo:[1,1,0]
	s_wait_dscnt 0x0
	v_dot4_i32_iu8 v107, v12, v199, v107 neg_lo:[1,1,0]
	v_dot4_i32_iu8 v109, v199, v28, v109 neg_lo:[1,1,0]
	v_dot4_i32_iu8 v110, v199, v40, v110 neg_lo:[1,1,0]
	v_dot4_i32_iu8 v111, v199, v30, v111 neg_lo:[1,1,0]
	s_delay_alu instid0(VALU_DEP_4) | instskip(NEXT) | instid1(VALU_DEP_4)
	v_dot4_i32_iu8 v107, v13, v200, v107 neg_lo:[1,1,0]
	v_dot4_i32_iu8 v109, v200, v29, v109 neg_lo:[1,1,0]
	s_delay_alu instid0(VALU_DEP_4) | instskip(NEXT) | instid1(VALU_DEP_4)
	v_dot4_i32_iu8 v110, v200, v41, v110 neg_lo:[1,1,0]
	v_dot4_i32_iu8 v111, v200, v31, v111 neg_lo:[1,1,0]
	;; [unrolled: 3-line block ×6, first 2 shown]
	ds_load_b64 v[211:212], v90 offset:43584
	ds_load_b128 v[199:202], v132 offset:33328
	s_wait_dscnt 0x0
	v_dot4_i32_iu8 v90, v12, v199, v141 neg_lo:[1,1,0]
	v_dot4_i32_iu8 v132, v199, v28, v142 neg_lo:[1,1,0]
	;; [unrolled: 1-line block ×19, first 2 shown]
	ds_load_b64 v[213:214], v170 offset:43584
	ds_load_b128 v[199:202], v171 offset:33328
	v_dot4_i32_iu8 v143, v234, v52, v150 neg_lo:[1,1,0]
	v_dot4_i32_iu8 v150, v238, v40, v168 neg_lo:[1,1,0]
	;; [unrolled: 1-line block ×3, first 2 shown]
	v_or_b32_e32 v173, s13, v124
	v_dot4_i32_iu8 v144, v234, v32, v151 neg_lo:[1,1,0]
	v_dot4_i32_iu8 v151, v238, v30, v169 neg_lo:[1,1,0]
	;; [unrolled: 1-line block ×4, first 2 shown]
	v_lshlrev_b32_e32 v174, 2, v173
	v_dot4_i32_iu8 v153, v243, v27, v153 neg_lo:[1,1,0]
	v_dot4_i32_iu8 v143, v235, v53, v143 neg_lo:[1,1,0]
	;; [unrolled: 1-line block ×10, first 2 shown]
	s_wait_dscnt 0x0
	v_dot4_i32_iu8 v170, v12, v199, v176 neg_lo:[1,1,0]
	v_dot4_i32_iu8 v171, v199, v28, v177 neg_lo:[1,1,0]
	;; [unrolled: 1-line block ×19, first 2 shown]
	ds_load_b128 v[199:202], v174 offset:33280
	ds_load_b128 v[203:206], v174 offset:33296
	v_dot4_i32_iu8 v168, v245, v45, v168 neg_lo:[1,1,0]
	v_dot4_i32_iu8 v142, v236, v66, v142 neg_lo:[1,1,0]
	v_dot4_i32_iu8 v153, v244, v66, v153 neg_lo:[1,1,0]
	v_dot4_i32_iu8 v151, v239, v31, v151 neg_lo:[1,1,0]
	v_dot4_i32_iu8 v141, v19, v235, v141 neg_lo:[1,1,0]
	v_dot4_i32_iu8 v152, v19, v243, v152 neg_lo:[1,1,0]
	v_dot4_i32_iu8 v142, v237, v67, v142 neg_lo:[1,1,0]
	v_dot4_i32_iu8 v153, v245, v67, v153 neg_lo:[1,1,0]
	v_dot4_i32_iu8 v151, v240, v22, v151 neg_lo:[1,1,0]
	v_dot4_i32_iu8 v144, v236, v68, v144 neg_lo:[1,1,0]
	v_dot4_i32_iu8 v169, v244, v68, v169 neg_lo:[1,1,0]
	v_dot4_i32_iu8 v150, v240, v36, v150 neg_lo:[1,1,0]
	v_dot4_i32_iu8 v141, v20, v236, v141 neg_lo:[1,1,0]
	v_dot4_i32_iu8 v151, v241, v23, v151 neg_lo:[1,1,0]
	v_dot4_i32_iu8 v144, v237, v69, v144 neg_lo:[1,1,0]
	v_dot4_i32_iu8 v169, v245, v69, v169 neg_lo:[1,1,0]
	v_dot4_i32_iu8 v150, v241, v37, v150 neg_lo:[1,1,0]
	v_dot4_i32_iu8 v152, v20, v244, v152 neg_lo:[1,1,0]
	s_wait_dscnt 0x1
	v_dot4_i32_iu8 v48, v199, v48, 0 neg_lo:[1,1,0]
	v_perm_b32 v175, v202, v201, 0x6020c0c
	s_wait_dscnt 0x0
	v_perm_b32 v176, v204, v203, 0xc0c0501
	v_perm_b32 v177, v206, v205, 0x5010c0c
	v_dot4_i32_iu8 v145, v13, v239, v145 neg_lo:[1,1,0]
	v_dot4_i32_iu8 v48, v200, v49, v48 neg_lo:[1,1,0]
	v_dot4_i32_iu8 v49, v199, v58, 0 neg_lo:[1,1,0]
	v_dot4_i32_iu8 v58, v199, v62, 0 neg_lo:[1,1,0]
	v_perm_b32 v62, v202, v201, 0x7030c0c
	v_dot4_i32_iu8 v145, v14, v240, v145 neg_lo:[1,1,0]
	v_dot4_i32_iu8 v34, v201, v34, v48 neg_lo:[1,1,0]
	;; [unrolled: 1-line block ×4, first 2 shown]
	v_perm_b32 v63, v199, v200, 0xc0c0400
	v_perm_b32 v59, v199, v200, 0xc0c0703
	v_dot4_i32_iu8 v34, v202, v35, v34 neg_lo:[1,1,0]
	v_dot4_i32_iu8 v35, v201, v64, v49 neg_lo:[1,1,0]
	v_dot4_i32_iu8 v48, v201, v54, v58 neg_lo:[1,1,0]
	v_perm_b32 v64, v202, v201, 0x4000c0c
	v_perm_b32 v49, v199, v200, 0xc0c0501
	v_dot4_i32_iu8 v26, v203, v26, v34 neg_lo:[1,1,0]
	v_dot4_i32_iu8 v35, v202, v65, v35 neg_lo:[1,1,0]
	v_dot4_i32_iu8 v48, v202, v55, v48 neg_lo:[1,1,0]
	;; [unrolled: 5-line block ×3, first 2 shown]
	v_perm_b32 v48, v206, v205, 0x6020c0c
	v_dot4_i32_iu8 v145, v15, v241, v145 neg_lo:[1,1,0]
	v_dot4_i32_iu8 v26, v205, v66, v26 neg_lo:[1,1,0]
	;; [unrolled: 1-line block ×4, first 2 shown]
	v_perm_b32 v66, v204, v203, 0xc0c0400
	v_dot4_i32_iu8 v141, v21, v237, v141 neg_lo:[1,1,0]
	v_dot4_i32_iu8 v26, v206, v67, v26 neg_lo:[1,1,0]
	;; [unrolled: 1-line block ×4, first 2 shown]
	v_perm_b32 v67, v206, v205, 0x4000c0c
	v_perm_b32 v68, v204, v203, 0xc0c0703
	v_dot4_i32_iu8 v152, v21, v245, v152 neg_lo:[1,1,0]
	v_dot4_i32_iu8 v27, v206, v45, v27 neg_lo:[1,1,0]
	;; [unrolled: 1-line block ×3, first 2 shown]
	ds_load_b128 v[32:35], v174 offset:33312
	ds_load_b128 v[52:55], v174 offset:33328
	v_perm_b32 v45, v204, v203, 0xc0c0602
	v_perm_b32 v69, v206, v205, 0x7030c0c
	v_dot4_i32_iu8 v146, v240, v246, v146 neg_lo:[1,1,0]
	s_delay_alu instid0(VALU_DEP_1) | instskip(SKIP_2) | instid1(VALU_DEP_1)
	v_dot4_i32_iu8 v146, v241, v247, v146 neg_lo:[1,1,0]
	s_wait_dscnt 0x1
	v_dot4_i32_iu8 v42, v32, v42, 0 neg_lo:[1,1,0]
	v_dot4_i32_iu8 v42, v33, v43, v42 neg_lo:[1,1,0]
	;; [unrolled: 1-line block ×4, first 2 shown]
	v_perm_b32 v56, v35, v34, 0x4000c0c
	s_delay_alu instid0(VALU_DEP_4) | instskip(NEXT) | instid1(VALU_DEP_4)
	v_dot4_i32_iu8 v38, v34, v38, v42 neg_lo:[1,1,0]
	v_dot4_i32_iu8 v43, v33, v51, v43 neg_lo:[1,1,0]
	s_delay_alu instid0(VALU_DEP_4) | instskip(SKIP_1) | instid1(VALU_DEP_4)
	v_dot4_i32_iu8 v50, v33, v57, v50 neg_lo:[1,1,0]
	v_perm_b32 v51, v32, v33, 0xc0c0400
	v_dot4_i32_iu8 v38, v35, v39, v38 neg_lo:[1,1,0]
	s_delay_alu instid0(VALU_DEP_4) | instskip(NEXT) | instid1(VALU_DEP_4)
	v_dot4_i32_iu8 v39, v34, v60, v43 neg_lo:[1,1,0]
	v_dot4_i32_iu8 v42, v34, v46, v50 neg_lo:[1,1,0]
	v_perm_b32 v43, v32, v33, 0xc0c0501
	v_perm_b32 v46, v35, v34, 0x5010c0c
	s_wait_dscnt 0x0
	v_dot4_i32_iu8 v28, v52, v28, v38 neg_lo:[1,1,0]
	v_dot4_i32_iu8 v39, v35, v61, v39 neg_lo:[1,1,0]
	;; [unrolled: 1-line block ×3, first 2 shown]
	v_perm_b32 v47, v32, v33, 0xc0c0703
	v_perm_b32 v32, v32, v33, 0xc0c0602
	v_dot4_i32_iu8 v28, v53, v29, v28 neg_lo:[1,1,0]
	v_dot4_i32_iu8 v29, v52, v40, v39 neg_lo:[1,1,0]
	v_perm_b32 v39, v4, v5, 0xc0c0602
	v_perm_b32 v40, v17, v16, 0x6020c0c
	v_dot4_i32_iu8 v30, v52, v30, v42 neg_lo:[1,1,0]
	v_or_b32_e32 v42, v48, v45
	v_dot4_i32_iu8 v29, v53, v41, v29 neg_lo:[1,1,0]
	v_perm_b32 v41, v21, v20, 0x6020c0c
	v_or_b32_e32 v39, v40, v39
	v_perm_b32 v40, v19, v18, 0xc0c0602
	v_or_b32_e32 v45, v67, v66
	v_dot4_i32_iu8 v30, v53, v31, v30 neg_lo:[1,1,0]
	v_perm_b32 v33, v35, v34, 0x6020c0c
	v_perm_b32 v50, v35, v34, 0x7030c0c
	v_or_b32_e32 v40, v41, v40
	v_or_b32_e32 v41, v175, v65
	v_dot4_i32_iu8 v22, v54, v22, v30 neg_lo:[1,1,0]
	v_perm_b32 v30, v55, v54, 0x6020c0c
	v_perm_b32 v31, v53, v52, 0xc0c0400
	;; [unrolled: 1-line block ×3, first 2 shown]
	v_dot4_i32_iu8 v39, v39, v41, 0 neg_lo:[1,1,0]
	v_perm_b32 v41, v17, v16, 0x4000c0c
	v_dot4_i32_iu8 v22, v55, v23, v22 neg_lo:[1,1,0]
	v_perm_b32 v23, v53, v52, 0xc0c0602
	v_dot4_i32_iu8 v29, v54, v36, v29 neg_lo:[1,1,0]
	v_dot4_i32_iu8 v39, v40, v42, v39 neg_lo:[1,1,0]
	v_perm_b32 v40, v4, v5, 0xc0c0400
	v_perm_b32 v42, v21, v20, 0x4000c0c
	;; [unrolled: 1-line block ×3, first 2 shown]
	v_dot4_i32_iu8 v29, v55, v37, v29 neg_lo:[1,1,0]
	v_perm_b32 v36, v55, v54, 0x7030c0c
	v_or_b32_e32 v40, v41, v40
	v_perm_b32 v41, v19, v18, 0xc0c0400
	v_perm_b32 v37, v53, v52, 0xc0c0501
	;; [unrolled: 1-line block ×3, first 2 shown]
	v_or_b32_e32 v48, v69, v68
	v_dot4_i32_iu8 v28, v54, v246, v28 neg_lo:[1,1,0]
	v_or_b32_e32 v41, v42, v41
	v_or_b32_e32 v42, v64, v63
	s_delay_alu instid0(VALU_DEP_3) | instskip(NEXT) | instid1(VALU_DEP_2)
	v_dot4_i32_iu8 v28, v55, v247, v28 neg_lo:[1,1,0]
	v_dot4_i32_iu8 v40, v40, v42, 0 neg_lo:[1,1,0]
	v_perm_b32 v42, v17, v16, 0x7030c0c
	s_delay_alu instid0(VALU_DEP_2)
	v_dot4_i32_iu8 v40, v41, v45, v40 neg_lo:[1,1,0]
	v_perm_b32 v41, v4, v5, 0xc0c0703
	v_perm_b32 v4, v4, v5, 0xc0c0501
	;; [unrolled: 1-line block ×5, first 2 shown]
	v_or_b32_e32 v41, v42, v41
	v_perm_b32 v42, v19, v18, 0xc0c0703
	v_or_b32_e32 v4, v5, v4
	v_or_b32_e32 v18, v30, v23
	;; [unrolled: 1-line block ×6, first 2 shown]
	v_perm_b32 v45, v21, v20, 0x7030c0c
	v_or_b32_e32 v20, v36, v35
	v_dot4_i32_iu8 v4, v4, v16, 0 neg_lo:[1,1,0]
	v_perm_b32 v16, v11, v10, 0x6020c0c
	v_cvt_f32_ubyte1_e32 v21, v193
	v_or_b32_e32 v42, v45, v42
	v_or_b32_e32 v45, v62, v59
	v_dot4_i32_iu8 v4, v5, v17, v4 neg_lo:[1,1,0]
	v_perm_b32 v5, v8, v9, 0xc0c0602
	v_perm_b32 v17, v15, v14, 0x6020c0c
	v_cvt_f32_ubyte1_e32 v23, v194
	v_dot4_i32_iu8 v41, v41, v45, 0 neg_lo:[1,1,0]
	s_delay_alu instid0(VALU_DEP_4) | instskip(SKIP_1) | instid1(VALU_DEP_3)
	v_or_b32_e32 v5, v16, v5
	v_perm_b32 v16, v13, v12, 0xc0c0602
	v_dot4_i32_iu8 v41, v42, v48, v41 neg_lo:[1,1,0]
	s_delay_alu instid0(VALU_DEP_2) | instskip(SKIP_1) | instid1(VALU_DEP_3)
	v_or_b32_e32 v16, v17, v16
	v_or_b32_e32 v17, v33, v32
	v_add_nc_u32_e32 v4, v4, v41
	s_delay_alu instid0(VALU_DEP_2) | instskip(SKIP_1) | instid1(VALU_DEP_2)
	v_dot4_i32_iu8 v5, v5, v17, 0 neg_lo:[1,1,0]
	v_perm_b32 v17, v11, v10, 0x4000c0c
	v_dot4_i32_iu8 v5, v16, v18, v5 neg_lo:[1,1,0]
	v_perm_b32 v16, v8, v9, 0xc0c0400
	v_perm_b32 v18, v15, v14, 0x4000c0c
	s_delay_alu instid0(VALU_DEP_2) | instskip(SKIP_1) | instid1(VALU_DEP_1)
	v_or_b32_e32 v16, v17, v16
	v_perm_b32 v17, v13, v12, 0xc0c0400
	v_or_b32_e32 v17, v18, v17
	v_or_b32_e32 v18, v56, v51
	s_delay_alu instid0(VALU_DEP_1) | instskip(SKIP_1) | instid1(VALU_DEP_2)
	v_dot4_i32_iu8 v16, v16, v18, 0 neg_lo:[1,1,0]
	v_perm_b32 v18, v11, v10, 0x7030c0c
	v_dot4_i32_iu8 v16, v17, v19, v16 neg_lo:[1,1,0]
	v_perm_b32 v17, v8, v9, 0xc0c0703
	v_perm_b32 v19, v15, v14, 0x7030c0c
	;; [unrolled: 1-line block ×5, first 2 shown]
	v_or_b32_e32 v17, v18, v17
	v_perm_b32 v18, v13, v12, 0xc0c0703
	v_perm_b32 v11, v15, v14, 0x5010c0c
	v_or_b32_e32 v8, v9, v8
	v_and_b32_e32 v12, 0xff, v198
	v_and_b32_e32 v15, 0xff, v117
	v_or_b32_e32 v18, v19, v18
	v_or_b32_e32 v19, v50, v47
	;; [unrolled: 1-line block ×5, first 2 shown]
	v_mul_lo_u32 v13, v26, v12
	v_dot4_i32_iu8 v17, v17, v19, 0 neg_lo:[1,1,0]
	v_cvt_f32_ubyte0_e32 v26, v195
	v_dot4_i32_iu8 v8, v8, v10, 0 neg_lo:[1,1,0]
	s_delay_alu instid0(VALU_DEP_3) | instskip(SKIP_1) | instid1(VALU_DEP_3)
	v_dot4_i32_iu8 v17, v18, v20, v17 neg_lo:[1,1,0]
	v_and_b32_e32 v18, 0xff, v197
	v_dot4_i32_iu8 v8, v9, v11, v8 neg_lo:[1,1,0]
	v_add3_u32 v9, v40, v39, v4
	v_cvt_f32_i32_e32 v13, v13
	v_fma_mix_f32 v46, v26, v6, 0 op_sel:[0,1,0] op_sel_hi:[0,1,0]
	v_mul_lo_u32 v19, v44, v18
	v_add_nc_u32_e32 v4, v8, v17
	v_fma_mix_f32 v59, v26, v24, 0 op_sel:[0,1,0] op_sel_hi:[0,1,0]
	v_fma_mix_f32 v38, v26, v207, 0 op_sel:[0,1,0] op_sel_hi:[0,1,0]
	;; [unrolled: 1-line block ×4, first 2 shown]
	v_add3_u32 v8, v16, v5, v4
	v_lshrrev_b32_e32 v4, 1, v173
	ds_load_u16 v10, v192
	ds_load_b64 v[4:5], v4 offset:43584
	v_mul_lo_u32 v16, v27, v15
	v_cvt_f32_i32_e32 v19, v19
	v_cvt_f32_ubyte1_e32 v27, v195
	s_delay_alu instid0(VALU_DEP_1) | instskip(NEXT) | instid1(VALU_DEP_4)
	v_fma_mix_f32 v46, v27, v7, v46 op_sel:[0,1,0] op_sel_hi:[0,1,0]
	v_cvt_f32_i32_e32 v16, v16
	v_fma_mix_f32 v59, v27, v25, v59 op_sel:[0,1,0] op_sel_hi:[0,1,0]
	v_fma_mix_f32 v51, v27, v210, v51 op_sel:[0,1,0] op_sel_hi:[0,1,0]
	;; [unrolled: 1-line block ×4, first 2 shown]
	s_wait_dscnt 0x1
	v_lshrrev_b16 v11, 8, v10
	v_and_b32_e32 v10, 0xff, v10
	s_wait_dscnt 0x0
	v_fma_mix_f32 v13, v4, v13, 0 op_sel_hi:[1,0,0]
	v_fma_mix_f32 v16, v4, v16, 0 op_sel_hi:[1,0,0]
	;; [unrolled: 1-line block ×3, first 2 shown]
	v_and_b32_e32 v11, 0xffff, v11
	v_mul_lo_u32 v9, v9, v10
	v_mul_lo_u32 v40, v255, v10
	;; [unrolled: 1-line block ×3, first 2 shown]
	v_fma_mix_f32 v32, v4, v26, 0 op_sel:[1,0,0] op_sel_hi:[1,0,0]
	v_mul_lo_u32 v8, v8, v11
	v_mul_lo_u32 v41, v130, v11
	;; [unrolled: 1-line block ×4, first 2 shown]
	v_cvt_f32_i32_e32 v9, v9
	v_cvt_f32_i32_e32 v40, v40
	;; [unrolled: 1-line block ×3, first 2 shown]
	v_fma_mix_f32 v32, v5, v27, v32 op_sel:[1,0,0] op_sel_hi:[1,0,0]
	v_cvt_f32_i32_e32 v8, v8
	v_fma_mix_f32 v9, v9, v4, 0 op_sel_hi:[0,1,0]
	v_cvt_f32_i32_e32 v41, v41
	v_fma_mix_f32 v40, v6, v40, 0 op_sel_hi:[1,0,0]
	;; [unrolled: 2-line block ×3, first 2 shown]
	v_fma_mix_f32 v8, v8, v5, v9 op_sel_hi:[0,1,0]
	v_lshrrev_b16 v9, 8, v198
	v_fma_mix_f32 v40, v7, v41, v40 op_sel_hi:[1,0,0]
	v_mul_lo_u32 v41, v95, v12
	v_fma_mix_f32 v53, v25, v54, v53 op_sel_hi:[1,0,0]
	v_mul_lo_u32 v54, v116, v12
	v_and_b32_e32 v9, 0xffff, v9
	v_mul_lo_u32 v67, v141, v10
	v_cvt_f32_i32_e32 v1, v1
	v_mul_lo_u32 v33, v251, v11
	v_mul_lo_u32 v60, v90, v11
	;; [unrolled: 1-line block ×4, first 2 shown]
	v_cvt_f32_i32_e32 v41, v41
	v_cvt_f32_ubyte0_e32 v28, v196
	v_cvt_f32_i32_e32 v54, v54
	v_mul_lo_u32 v68, v145, v11
	v_fma_mix_f32 v1, v209, v1, 0 op_sel_hi:[1,0,0]
	v_fma_mix_f32 v41, v6, v41, 0 op_sel_hi:[1,0,0]
	v_cvt_f32_i32_e32 v14, v14
	v_cvt_f32_i32_e32 v42, v42
	v_fma_mix_f32 v54, v24, v54, 0 op_sel_hi:[1,0,0]
	v_cvt_f32_i32_e32 v67, v67
	v_cvt_f32_i32_e32 v33, v33
	v_fma_mix_f32 v13, v5, v14, v13 op_sel_hi:[1,0,0]
	v_lshrrev_b16 v14, 8, v117
	v_fma_mix_f32 v41, v7, v42, v41 op_sel_hi:[1,0,0]
	v_mul_lo_u32 v42, v91, v15
	v_cvt_f32_i32_e32 v60, v60
	v_cvt_f32_i32_e32 v68, v68
	v_and_b32_e32 v14, 0xffff, v14
	v_fma_mix_f32 v67, v70, v67, 0 op_sel_hi:[1,0,0]
	v_fma_mix_f32 v39, v28, v207, 0 op_sel:[0,1,0] op_sel_hi:[0,1,0]
	v_fma_mix_f32 v52, v28, v209, 0 op_sel:[0,1,0] op_sel_hi:[0,1,0]
	;; [unrolled: 1-line block ×3, first 2 shown]
	v_mul_lo_u32 v17, v29, v14
	v_mul_lo_u32 v43, v134, v14
	v_cvt_f32_i32_e32 v42, v42
	v_cvt_f32_ubyte1_e32 v29, v196
	v_mul_lo_u32 v56, v126, v14
	v_fma_mix_f32 v67, v71, v68, v67 op_sel_hi:[1,0,0]
	v_mul_lo_u32 v68, v142, v12
	v_fma_mix_f32 v42, v6, v42, 0 op_sel_hi:[1,0,0]
	v_cvt_f32_i32_e32 v17, v17
	v_cvt_f32_i32_e32 v43, v43
	v_mul_lo_u32 v48, v110, v14
	v_mul_lo_u32 v35, v253, v14
	v_cvt_f32_i32_e32 v56, v56
	v_fma_mix_f32 v16, v5, v17, v16 op_sel_hi:[1,0,0]
	v_lshrrev_b16 v17, 8, v197
	v_fma_mix_f32 v42, v7, v43, v42 op_sel_hi:[1,0,0]
	v_mul_lo_u32 v43, v129, v18
	v_cvt_f32_i32_e32 v68, v68
	v_mul_lo_u32 v62, v139, v14
	v_and_b32_e32 v17, 0xffff, v17
	v_mul_lo_u32 v90, v150, v14
	v_cvt_f32_i32_e32 v48, v48
	v_fma_mix_f32 v68, v70, v68, 0 op_sel_hi:[1,0,0]
	v_cvt_f32_i32_e32 v35, v35
	v_mul_lo_u32 v20, v22, v17
	v_mul_lo_u32 v44, v135, v17
	v_cvt_f32_i32_e32 v43, v43
	v_cvt_f32_ubyte0_e32 v22, v194
	v_mul_lo_u32 v57, v128, v17
	v_cvt_f32_i32_e32 v62, v62
	v_cvt_f32_i32_e32 v90, v90
	v_fma_mix_f32 v43, v6, v43, 0 op_sel_hi:[1,0,0]
	v_cvt_f32_i32_e32 v20, v20
	v_cvt_f32_i32_e32 v44, v44
	v_fma_mix_f32 v45, v22, v6, 0 op_sel:[0,1,0] op_sel_hi:[0,1,0]
	v_fma_mix_f32 v31, v4, v22, 0 op_sel:[1,0,0] op_sel_hi:[1,0,0]
	v_cvt_f32_i32_e32 v57, v57
	v_fma_mix_f32 v19, v5, v20, v19 op_sel_hi:[1,0,0]
	v_cvt_f32_ubyte0_e32 v20, v193
	v_fma_mix_f32 v43, v7, v44, v43 op_sel_hi:[1,0,0]
	v_fma_mix_f32 v58, v22, v24, 0 op_sel:[0,1,0] op_sel_hi:[0,1,0]
	v_fma_mix_f32 v31, v5, v23, v31 op_sel:[1,0,0] op_sel_hi:[1,0,0]
	v_fma_mix_f32 v45, v23, v7, v45 op_sel:[0,1,0] op_sel_hi:[0,1,0]
	v_fma_mix_f32 v44, v20, v6, 0 op_sel:[0,1,0] op_sel_hi:[0,1,0]
	v_fma_mix_f32 v6, v28, v6, 0 op_sel:[0,1,0] op_sel_hi:[0,1,0]
	v_fma_mix_f32 v30, v20, v4, 0 op_sel:[0,1,0] op_sel_hi:[0,1,0]
	v_fma_mix_f32 v4, v4, v28, 0 op_sel:[1,0,0] op_sel_hi:[1,0,0]
	v_fma_mix_f32 v58, v23, v25, v58 op_sel:[0,1,0] op_sel_hi:[0,1,0]
	v_fma_mix_f32 v44, v21, v7, v44 op_sel:[0,1,0] op_sel_hi:[0,1,0]
	v_fma_mix_f32 v6, v29, v7, v6 op_sel:[0,1,0] op_sel_hi:[0,1,0]
	v_fma_mix_f32 v30, v21, v5, v30 op_sel:[0,1,0] op_sel_hi:[0,1,0]
	v_fma_mix_f32 v4, v5, v29, v4 op_sel:[1,0,0] op_sel_hi:[1,0,0]
	v_mul_lo_u32 v5, v248, v10
	v_mul_lo_u32 v7, v107, v11
	v_mul_f32_e32 v6, v6, v191
	v_mul_lo_u32 v55, v125, v9
	v_mul_lo_u32 v47, v109, v9
	;; [unrolled: 1-line block ×5, first 2 shown]
	v_cvt_f32_i32_e32 v5, v5
	v_cvt_f32_i32_e32 v7, v7
	v_mul_lo_u32 v49, v111, v17
	v_cvt_f32_i32_e32 v55, v55
	v_cvt_f32_i32_e32 v47, v47
	v_fma_mix_f32 v5, v207, v5, 0 op_sel_hi:[1,0,0]
	v_fma_mix_f32 v1, v210, v7, v1 op_sel_hi:[1,0,0]
	v_mul_lo_u32 v7, v102, v12
	v_fma_mix_f32 v54, v25, v55, v54 op_sel_hi:[1,0,0]
	v_mul_lo_u32 v55, v120, v15
	;; [unrolled: 2-line block ×3, first 2 shown]
	v_cvt_f32_i32_e32 v34, v34
	v_cvt_f32_i32_e32 v61, v61
	;; [unrolled: 1-line block ×4, first 2 shown]
	v_mul_lo_u32 v36, v254, v17
	v_cvt_f32_i32_e32 v55, v55
	v_mul_lo_u32 v63, v140, v17
	v_cvt_f32_i32_e32 v33, v33
	v_fma_mix_f32 v7, v209, v7, 0 op_sel_hi:[1,0,0]
	v_fma_mix_f32 v68, v71, v69, v68 op_sel_hi:[1,0,0]
	;; [unrolled: 1-line block ×3, first 2 shown]
	v_mul_lo_u32 v69, v143, v15
	v_fma_mix_f32 v33, v207, v33, 0 op_sel_hi:[1,0,0]
	v_fma_mix_f32 v7, v210, v47, v7 op_sel_hi:[1,0,0]
	v_mul_lo_u32 v47, v105, v15
	v_fma_mix_f32 v55, v25, v56, v55 op_sel_hi:[1,0,0]
	v_mul_lo_u32 v56, v122, v18
	v_fma_mix_f32 v33, v208, v34, v33 op_sel_hi:[1,0,0]
	v_mul_lo_u32 v34, v250, v15
	v_cvt_f32_i32_e32 v69, v69
	v_mul_lo_u32 v91, v151, v17
	v_cvt_f32_i32_e32 v49, v49
	v_cvt_f32_i32_e32 v47, v47
	;; [unrolled: 1-line block ×4, first 2 shown]
	v_fma_mix_f32 v69, v70, v69, 0 op_sel_hi:[1,0,0]
	v_cvt_f32_i32_e32 v34, v34
	v_fma_mix_f32 v47, v209, v47, 0 op_sel_hi:[1,0,0]
	v_cvt_f32_i32_e32 v63, v63
	v_fma_mix_f32 v56, v24, v56, 0 op_sel_hi:[1,0,0]
	v_fma_mix_f32 v69, v71, v90, v69 op_sel_hi:[1,0,0]
	;; [unrolled: 1-line block ×4, first 2 shown]
	v_mul_lo_u32 v48, v106, v18
	v_fma_mix_f32 v56, v25, v57, v56 op_sel_hi:[1,0,0]
	v_fma_mix_f32 v57, v20, v24, 0 op_sel:[0,1,0] op_sel_hi:[0,1,0]
	v_fma_mix_f32 v24, v28, v24, 0 op_sel:[0,1,0] op_sel_hi:[0,1,0]
	v_fma_mix_f32 v34, v208, v35, v34 op_sel_hi:[1,0,0]
	v_mul_lo_u32 v35, v119, v18
	v_mul_lo_u32 v90, v144, v18
	v_fma_mix_f32 v57, v21, v25, v57 op_sel:[0,1,0] op_sel_hi:[0,1,0]
	v_fma_mix_f32 v24, v29, v25, v24 op_sel:[0,1,0] op_sel_hi:[0,1,0]
	v_mul_lo_u32 v25, v133, v10
	v_cvt_f32_i32_e32 v48, v48
	v_cvt_f32_i32_e32 v91, v91
	v_mul_lo_u32 v10, v152, v10
	v_cvt_f32_i32_e32 v35, v35
	v_cvt_f32_i32_e32 v90, v90
	v_fma_mix_f32 v48, v209, v48, 0 op_sel_hi:[1,0,0]
	v_fma_mix_f32 v37, v22, v207, 0 op_sel:[0,1,0] op_sel_hi:[0,1,0]
	v_cvt_f32_i32_e32 v25, v25
	v_fma_mix_f32 v35, v207, v35, 0 op_sel_hi:[1,0,0]
	v_fma_mix_f32 v90, v70, v90, 0 op_sel_hi:[1,0,0]
	;; [unrolled: 1-line block ×3, first 2 shown]
	v_fma_mix_f32 v49, v20, v209, 0 op_sel:[0,1,0] op_sel_hi:[0,1,0]
	v_fma_mix_f32 v25, v211, v25, 0 op_sel_hi:[1,0,0]
	v_fma_mix_f32 v35, v208, v36, v35 op_sel_hi:[1,0,0]
	v_fma_mix_f32 v36, v20, v207, 0 op_sel:[0,1,0] op_sel_hi:[0,1,0]
	v_fma_mix_f32 v90, v71, v91, v90 op_sel_hi:[1,0,0]
	v_fma_mix_f32 v49, v21, v210, v49 op_sel:[0,1,0] op_sel_hi:[0,1,0]
	v_fma_mix_f32 v25, v212, v60, v25 op_sel_hi:[1,0,0]
	v_mul_lo_u32 v60, v136, v12
	v_fma_mix_f32 v91, v20, v70, 0 op_sel:[0,1,0] op_sel_hi:[0,1,0]
	v_fma_mix_f32 v36, v21, v208, v36 op_sel:[0,1,0] op_sel_hi:[0,1,0]
	;; [unrolled: 1-line block ×7, first 2 shown]
	v_cvt_f32_i32_e32 v60, v60
	v_cvt_f32_i32_e32 v10, v10
	v_mul_lo_u32 v12, v153, v12
	v_fma_mix_f32 v50, v23, v210, v50 op_sel:[0,1,0] op_sel_hi:[0,1,0]
	v_mul_lo_u32 v9, v171, v9
	v_fma_mix_f32 v60, v211, v60, 0 op_sel_hi:[1,0,0]
	v_fma_mix_f32 v10, v213, v10, 0 op_sel_hi:[1,0,0]
	v_mul_lo_u32 v14, v172, v14
	v_fma_mix_f32 v37, v23, v208, v37 op_sel:[0,1,0] op_sel_hi:[0,1,0]
	v_fma_mix_f32 v64, v23, v212, v64 op_sel:[0,1,0] op_sel_hi:[0,1,0]
	v_fma_mix_f32 v60, v212, v61, v60 op_sel_hi:[1,0,0]
	v_mul_lo_u32 v61, v137, v15
	v_cvt_f32_i32_e32 v9, v9
	v_fma_mix_f32 v95, v23, v71, v95 op_sel:[0,1,0] op_sel_hi:[0,1,0]
	v_fma_mix_f32 v70, v28, v70, 0 op_sel:[0,1,0] op_sel_hi:[0,1,0]
	;; [unrolled: 1-line block ×6, first 2 shown]
	v_cvt_f32_i32_e32 v61, v61
	v_fma_mix_f32 v70, v29, v71, v70 op_sel:[0,1,0] op_sel_hi:[0,1,0]
	v_mul_f32_e32 v4, v4, v191
	v_fma_f32 v6, v43, v190, -v6
	s_delay_alu instid0(VALU_DEP_4) | instskip(NEXT) | instid1(VALU_DEP_3)
	v_fma_mix_f32 v61, v211, v61, 0 op_sel_hi:[1,0,0]
	v_fma_f32 v4, v19, v190, -v4
	v_mul_f32_e32 v19, v46, v189
	s_delay_alu instid0(VALU_DEP_4) | instskip(NEXT) | instid1(VALU_DEP_4)
	v_add_f32_e32 v94, v94, v6
	v_fma_mix_f32 v61, v212, v62, v61 op_sel_hi:[1,0,0]
	v_mul_lo_u32 v62, v138, v18
	v_mul_lo_u32 v18, v169, v18
	v_fma_f32 v19, v42, v188, -v19
	s_delay_alu instid0(VALU_DEP_1) | instskip(NEXT) | instid1(VALU_DEP_4)
	v_add_f32_e32 v96, v96, v19
	v_cvt_f32_i32_e32 v62, v62
	s_delay_alu instid0(VALU_DEP_1) | instskip(NEXT) | instid1(VALU_DEP_1)
	v_fma_mix_f32 v62, v211, v62, 0 op_sel_hi:[1,0,0]
	v_fma_mix_f32 v62, v212, v63, v62 op_sel_hi:[1,0,0]
	v_fma_mix_f32 v63, v20, v211, 0 op_sel:[0,1,0] op_sel_hi:[0,1,0]
	v_fma_mix_f32 v20, v20, v213, 0 op_sel:[0,1,0] op_sel_hi:[0,1,0]
	s_delay_alu instid0(VALU_DEP_2) | instskip(NEXT) | instid1(VALU_DEP_2)
	v_fma_mix_f32 v63, v21, v212, v63 op_sel:[0,1,0] op_sel_hi:[0,1,0]
	v_fma_mix_f32 v20, v21, v214, v20 op_sel:[0,1,0] op_sel_hi:[0,1,0]
	;; [unrolled: 1-line block ×4, first 2 shown]
	v_mul_f32_e32 v26, v49, v184
	v_mul_lo_u32 v11, v170, v11
	s_delay_alu instid0(VALU_DEP_4) | instskip(SKIP_1) | instid1(VALU_DEP_4)
	v_fma_mix_f32 v21, v23, v214, v21 op_sel:[0,1,0] op_sel_hi:[0,1,0]
	v_fma_mix_f32 v23, v28, v213, 0 op_sel:[0,1,0] op_sel_hi:[0,1,0]
	v_fma_f32 v1, v1, v185, -v26
	v_mul_f32_e32 v26, v50, v187
	v_mul_lo_u32 v15, v168, v15
	v_mul_f32_e32 v28, v57, v184
	v_cvt_f32_i32_e32 v11, v11
	v_mul_lo_u32 v17, v114, v17
	v_fma_f32 v7, v7, v186, -v26
	v_fma_mix_f32 v22, v27, v214, v22 op_sel:[0,1,0] op_sel_hi:[0,1,0]
	v_fma_f32 v28, v53, v185, -v28
	v_fma_mix_f32 v10, v214, v11, v10 op_sel_hi:[1,0,0]
	v_cvt_f32_i32_e32 v11, v12
	v_cvt_f32_i32_e32 v12, v14
	v_fma_mix_f32 v23, v29, v214, v23 op_sel:[0,1,0] op_sel_hi:[0,1,0]
	v_cvt_f32_i32_e32 v14, v17
	v_add_f32_e32 v87, v87, v28
	v_fma_mix_f32 v11, v213, v11, 0 op_sel_hi:[1,0,0]
	v_mul_f32_e32 v17, v44, v184
	v_mul_f32_e32 v27, v52, v191
	;; [unrolled: 1-line block ×3, first 2 shown]
	v_dual_mul_f32 v24, v24, v191 :: v_dual_add_f32 v93, v93, v1
	v_fma_mix_f32 v9, v214, v9, v11 op_sel_hi:[1,0,0]
	v_cvt_f32_i32_e32 v11, v15
	v_mul_f32_e32 v15, v38, v189
	v_fma_f32 v17, v40, v185, -v17
	v_fma_f32 v27, v48, v190, -v27
	;; [unrolled: 1-line block ×3, first 2 shown]
	v_fma_mix_f32 v11, v213, v11, 0 op_sel_hi:[1,0,0]
	v_fma_f32 v15, v34, v188, -v15
	v_fma_f32 v24, v56, v190, -v24
	v_add_f32_e32 v98, v98, v17
	v_add_f32_e32 v92, v92, v7
	v_fma_mix_f32 v11, v214, v12, v11 op_sel_hi:[1,0,0]
	v_cvt_f32_i32_e32 v12, v18
	v_mul_f32_e32 v18, v45, v187
	v_add_f32_e32 v101, v101, v15
	v_add_f32_e32 v88, v88, v27
	;; [unrolled: 1-line block ×3, first 2 shown]
	v_fma_mix_f32 v12, v213, v12, 0 op_sel_hi:[1,0,0]
	v_fma_f32 v18, v41, v186, -v18
	v_mul_f32_e32 v26, v51, v189
	v_add_f32_e32 v84, v84, v24
	s_delay_alu instid0(VALU_DEP_4) | instskip(NEXT) | instid1(VALU_DEP_4)
	v_fma_mix_f32 v12, v214, v14, v12 op_sel_hi:[1,0,0]
	v_dual_mul_f32 v14, v30, v184 :: v_dual_add_f32 v97, v97, v18
	s_delay_alu instid0(VALU_DEP_4) | instskip(SKIP_1) | instid1(VALU_DEP_3)
	v_fma_f32 v26, v47, v188, -v26
	v_mul_f32_e32 v30, v59, v189
	v_fma_f32 v8, v8, v185, -v14
	s_delay_alu instid0(VALU_DEP_3) | instskip(NEXT) | instid1(VALU_DEP_3)
	v_dual_mul_f32 v14, v36, v184 :: v_dual_add_f32 v89, v89, v26
	v_fma_f32 v30, v55, v188, -v30
	v_mul_f32_e32 v34, v91, v184
	s_delay_alu instid0(VALU_DEP_4)
	v_add_f32_e32 v100, v100, v8
	v_mul_f32_e32 v8, v31, v187
	v_mul_f32_e32 v31, v63, v184
	v_add_f32_e32 v85, v85, v30
	v_fma_f32 v34, v67, v185, -v34
	v_fma_f32 v5, v5, v185, -v14
	;; [unrolled: 1-line block ×3, first 2 shown]
	v_mul_f32_e32 v13, v32, v189
	v_fma_f32 v25, v25, v185, -v31
	v_mul_f32_e32 v32, v65, v189
	v_mul_f32_e32 v20, v20, v184
	v_mul_f32_e32 v14, v37, v187
	v_fma_f32 v13, v16, v188, -v13
	v_add_f32_e32 v83, v83, v25
	v_fma_f32 v32, v61, v188, -v32
	v_mul_f32_e32 v36, v102, v189
	v_fma_f32 v10, v10, v185, -v20
	v_dual_mul_f32 v20, v21, v187 :: v_dual_add_f32 v79, v79, v34
	s_delay_alu instid0(VALU_DEP_4) | instskip(NEXT) | instid1(VALU_DEP_4)
	v_dual_mul_f32 v16, v39, v191 :: v_dual_add_f32 v81, v81, v32
	v_fma_f32 v36, v69, v188, -v36
	s_delay_alu instid0(VALU_DEP_3)
	v_fma_f32 v9, v9, v186, -v20
	v_mul_f32_e32 v20, v22, v189
	v_fma_f32 v14, v33, v186, -v14
	v_fma_f32 v16, v35, v190, -v16
	v_mul_f32_e32 v31, v64, v187
	v_mul_f32_e32 v33, v66, v191
	;; [unrolled: 1-line block ×4, first 2 shown]
	v_add_f32_e32 v77, v77, v36
	v_fma_f32 v11, v11, v188, -v20
	v_mul_f32_e32 v20, v23, v191
	v_fma_f32 v31, v60, v186, -v31
	v_fma_f32 v33, v62, v190, -v33
	;; [unrolled: 1-line block ×5, first 2 shown]
	v_dual_add_f32 v127, v127, v8 :: v_dual_add_f32 v118, v118, v13
	v_dual_add_f32 v75, v75, v10 :: v_dual_add_f32 v108, v108, v4
	;; [unrolled: 1-line block ×3, first 2 shown]
	v_add_f32_e32 v103, v103, v14
	v_dual_add_f32 v99, v99, v16 :: v_dual_add_f32 v82, v82, v31
	v_add_f32_e32 v80, v80, v33
	v_add_f32_e32 v78, v78, v35
	;; [unrolled: 1-line block ×5, first 2 shown]
	s_wait_alu 0xfffe
	s_cbranch_vccnz .LBB173_6
; %bb.7:                                ;   in Loop: Header=BB173_5 Depth=1
	s_barrier_signal -1
	s_barrier_wait -1
	scratch_load_b32 v4, off, off           ; 4-byte Folded Reload
	s_wait_loadcnt 0x0
	global_inv scope:SCOPE_SE
	s_clause 0x3
	scratch_load_b32 v5, off, off offset:4
	scratch_load_b32 v9, off, off offset:12
	;; [unrolled: 1-line block ×4, first 2 shown]
	v_add_nc_u32_e32 v1, s5, v147
	s_mov_b32 s5, 16
	s_clause 0x1
	scratch_load_b32 v11, off, off offset:16
	scratch_load_b32 v17, off, off offset:80 th:TH_LOAD_LU
	v_add_nc_u32_e32 v4, v1, v4
	s_wait_loadcnt 0x5
	v_add_nc_u32_e32 v6, v1, v5
	scratch_load_b32 v5, off, off offset:8  ; 4-byte Folded Reload
	s_wait_loadcnt 0x4
	v_add_nc_u32_e32 v14, v1, v13
	s_wait_loadcnt 0x3
	v_add_nc_u32_e32 v16, v1, v15
	scratch_load_b32 v15, off, off offset:24 ; 4-byte Folded Reload
	v_add_nc_u32_e32 v10, v1, v9
	v_mad_co_i64_i32 v[6:7], null, v6, 36, v[2:3]
	s_wait_loadcnt 0x3
	v_add_nc_u32_e32 v12, v1, v11
	s_wait_loadcnt 0x2
	v_add_nc_u32_e32 v20, 4, v17
	v_mad_co_i64_i32 v[10:11], null, v10, 36, v[2:3]
	v_mad_co_i64_i32 v[16:17], null, v16, 36, v[2:3]
	v_mad_co_i64_i32 v[12:13], null, v12, 36, v[2:3]
	s_delay_alu instid0(VALU_DEP_4)
	v_mad_co_u64_u32 v[20:21], null, v20, 36, s[2:3]
	s_wait_loadcnt 0x1
	v_add_nc_u32_e32 v8, v1, v5
	v_mad_co_i64_i32 v[4:5], null, v4, 36, v[2:3]
	s_wait_loadcnt 0x0
	v_add_nc_u32_e32 v1, v1, v15
	v_mad_co_i64_i32 v[14:15], null, v14, 36, v[2:3]
	v_mad_co_i64_i32 v[8:9], null, v8, 36, v[2:3]
	s_delay_alu instid0(VALU_DEP_3)
	v_mad_co_i64_i32 v[18:19], null, v1, 36, v[2:3]
	s_clause 0x8
	global_load_b32 v1, v[14:15], off offset:4
	global_load_b32 v4, v[4:5], off offset:4
	;; [unrolled: 1-line block ×8, first 2 shown]
	global_load_b32 v11, v[20:21], off
	s_clause 0x1
	scratch_load_b32 v12, off, off offset:76
	scratch_load_b32 v255, off, off offset:192
	s_wait_loadcnt 0x1
	ds_store_b32 v12, v1
	scratch_load_b32 v1, off, off offset:48 ; 4-byte Folded Reload
	s_wait_loadcnt 0x1
	ds_store_b32 v255, v11
	s_wait_loadcnt 0x0
	ds_store_b32 v1, v4
	scratch_load_b32 v1, off, off offset:52 ; 4-byte Folded Reload
	s_wait_loadcnt 0x0
	ds_store_b32 v1, v5
	scratch_load_b32 v1, off, off offset:56 ; 4-byte Folded Reload
	;; [unrolled: 3-line block ×6, first 2 shown]
	s_wait_loadcnt 0x0
	ds_store_b32 v1, v10
	s_wait_dscnt 0x0
	s_barrier_signal -1
	s_barrier_wait -1
	global_inv scope:SCOPE_SE
	s_clause 0x3
	scratch_load_b32 v1, off, off offset:32
	scratch_load_b32 v4, off, off offset:36
	;; [unrolled: 1-line block ×4, first 2 shown]
	s_wait_loadcnt 0x3
	ds_load_b32 v1, v1
	s_wait_loadcnt 0x2
	ds_load_b32 v4, v4 offset:128
	s_wait_loadcnt 0x1
	ds_load_b32 v5, v5 offset:256
	;; [unrolled: 2-line block ×3, first 2 shown]
	s_wait_dscnt 0x3
	v_lshrrev_b32_e32 v7, 16, v1
	v_cvt_f32_f16_e64 v183, v1
	s_wait_dscnt 0x2
	v_cvt_f32_f16_e64 v184, v4
	v_lshrrev_b32_e32 v1, 16, v4
	s_wait_dscnt 0x1
	v_cvt_f32_f16_e64 v185, v5
	v_lshrrev_b32_e32 v4, 16, v5
	s_wait_dscnt 0x0
	v_lshrrev_b32_e32 v5, 16, v6
	v_cvt_f32_f16_e64 v186, v6
	v_cvt_f32_f16_e64 v187, v7
	;; [unrolled: 1-line block ×5, first 2 shown]
.LBB173_8:                              ;   Parent Loop BB173_5 Depth=1
                                        ; =>  This Inner Loop Header: Depth=2
	s_wait_alu 0xfffe
	s_lshl_b32 s12, s5, 1
	s_lshr_b32 s13, s5, 2
	s_wait_alu 0xfffe
	s_and_b32 s12, s12, 16
	s_and_b32 s13, s13, 0x3ffffffe
	s_lshl_b32 s16, s5, 3
	s_wait_alu 0xfffe
	s_add_co_i32 s13, s13, 0xa200
	v_or_b32_e32 v198, s12, v154
	v_add_nc_u32_e32 v4, s16, v167
	s_wait_alu 0xfffe
	v_add3_u32 v191, s13, v178, v179
	v_add_nc_u32_e32 v200, s16, v163
	v_add3_u32 v90, s13, v181, v164
	v_add_nc_u32_e32 v1, s16, v161
	v_add_nc_u32_e32 v26, s16, v165
	v_add3_u32 v12, s13, v180, v162
	v_add3_u32 v15, s13, v182, v166
	v_lshlrev_b32_e32 v199, 2, v198
	ds_load_u16 v192, v191 offset:8
	ds_load_2addr_b32 v[6:7], v1 offset1:1
	ds_load_2addr_b32 v[22:23], v4 offset0:14 offset1:15
	ds_load_b128 v[8:11], v199 offset:33280
	ds_load_2addr_b32 v[40:41], v200 offset0:2 offset1:3
	ds_load_2addr_b32 v[24:25], v200 offset0:4 offset1:5
	ds_load_u16 v193, v12 offset:8
	ds_load_2addr_b32 v[48:49], v200 offset1:1
	ds_load_u16 v194, v90 offset:8
	ds_load_2addr_b32 v[52:53], v26 offset1:1
	ds_load_2addr_b32 v[50:51], v4 offset0:2 offset1:3
	ds_load_2addr_b32 v[28:29], v4 offset0:4 offset1:5
	ds_load_u16 v195, v15 offset:8
	ds_load_2addr_b32 v[54:55], v4 offset1:1
	ds_load_2addr_b32 v[16:17], v1 offset0:2 offset1:3
	ds_load_2addr_b32 v[18:19], v1 offset0:4 offset1:5
	;; [unrolled: 1-line block ×6, first 2 shown]
	v_or_b32_e32 v122, s12, v156
	v_or_b32_e32 v142, s12, v158
	;; [unrolled: 1-line block ×3, first 2 shown]
	v_lshrrev_b32_e32 v198, 1, v198
	s_delay_alu instid0(VALU_DEP_4) | instskip(NEXT) | instid1(VALU_DEP_4)
	v_lshlrev_b32_e32 v123, 2, v122
	v_lshlrev_b32_e32 v143, 2, v142
	s_delay_alu instid0(VALU_DEP_4)
	v_lshlrev_b32_e32 v247, 2, v177
	v_lshrrev_b32_e32 v122, 1, v122
	v_lshrrev_b32_e32 v142, 1, v142
	;; [unrolled: 1-line block ×3, first 2 shown]
	s_wait_dscnt 0x10
	v_dot4_i32_iu8 v5, v6, v8, 0 neg_lo:[1,1,0]
	s_wait_dscnt 0xc
	v_dot4_i32_iu8 v13, v8, v48, 0 neg_lo:[1,1,0]
	;; [unrolled: 2-line block ×4, first 2 shown]
	v_dot4_i32_iu8 v5, v7, v9, v5 neg_lo:[1,1,0]
	v_dot4_i32_iu8 v13, v9, v49, v13 neg_lo:[1,1,0]
	;; [unrolled: 1-line block ×3, first 2 shown]
	s_delay_alu instid0(VALU_DEP_4)
	v_dot4_i32_iu8 v8, v9, v55, v8 neg_lo:[1,1,0]
	s_wait_dscnt 0x5
	v_dot4_i32_iu8 v5, v16, v10, v5 neg_lo:[1,1,0]
	v_dot4_i32_iu8 v9, v10, v40, v13 neg_lo:[1,1,0]
	s_wait_dscnt 0x2
	v_dot4_i32_iu8 v13, v10, v58, v14 neg_lo:[1,1,0]
	v_dot4_i32_iu8 v8, v10, v50, v8 neg_lo:[1,1,0]
	;; [unrolled: 1-line block ×4, first 2 shown]
	s_delay_alu instid0(VALU_DEP_4) | instskip(NEXT) | instid1(VALU_DEP_4)
	v_dot4_i32_iu8 v102, v11, v59, v13 neg_lo:[1,1,0]
	v_dot4_i32_iu8 v105, v11, v51, v8 neg_lo:[1,1,0]
	ds_load_u16 v197, v12
	ds_load_u16 v196, v15
	ds_load_2addr_b32 v[8:9], v1 offset0:8 offset1:9
	ds_load_b128 v[68:71], v199 offset:33312
	ds_load_b128 v[201:204], v199 offset:33296
	ds_load_2addr_b32 v[60:61], v200 offset0:8 offset1:9
	ds_load_2addr_b32 v[56:57], v200 offset0:10 offset1:11
	;; [unrolled: 1-line block ×9, first 2 shown]
	s_wait_dscnt 0x8
	v_dot4_i32_iu8 v10, v68, v60, 0 neg_lo:[1,1,0]
	v_dot4_i32_iu8 v5, v8, v68, 0 neg_lo:[1,1,0]
	s_wait_dscnt 0x3
	v_dot4_i32_iu8 v4, v68, v66, 0 neg_lo:[1,1,0]
	v_dot4_i32_iu8 v91, v18, v201, v91 neg_lo:[1,1,0]
	;; [unrolled: 1-line block ×10, first 2 shown]
	ds_load_2addr_b32 v[10:11], v1 offset0:10 offset1:11
	ds_load_2addr_b32 v[12:13], v1 offset0:12 offset1:13
	;; [unrolled: 1-line block ×6, first 2 shown]
	s_wait_dscnt 0x8
	v_dot4_i32_iu8 v4, v70, v62, v4 neg_lo:[1,1,0]
	v_dot4_i32_iu8 v91, v19, v202, v91 neg_lo:[1,1,0]
	;; [unrolled: 1-line block ×6, first 2 shown]
	v_or_b32_e32 v4, s12, v155
	v_dot4_i32_iu8 v91, v20, v203, v91 neg_lo:[1,1,0]
	v_dot4_i32_iu8 v95, v203, v42, v95 neg_lo:[1,1,0]
	;; [unrolled: 1-line block ×3, first 2 shown]
	s_wait_dscnt 0x6
	v_dot4_i32_iu8 v105, v203, v46, v105 neg_lo:[1,1,0]
	v_dot4_i32_iu8 v91, v21, v204, v91 neg_lo:[1,1,0]
	;; [unrolled: 1-line block ×4, first 2 shown]
	s_delay_alu instid0(VALU_DEP_4)
	v_dot4_i32_iu8 v105, v204, v47, v105 neg_lo:[1,1,0]
	s_wait_dscnt 0x5
	v_dot4_i32_iu8 v1, v10, v70, v5 neg_lo:[1,1,0]
	v_dot4_i32_iu8 v5, v70, v56, v27 neg_lo:[1,1,0]
	s_wait_dscnt 0x2
	v_dot4_i32_iu8 v26, v70, v68, v106 neg_lo:[1,1,0]
	s_delay_alu instid0(VALU_DEP_3) | instskip(NEXT) | instid1(VALU_DEP_3)
	v_dot4_i32_iu8 v1, v11, v71, v1 neg_lo:[1,1,0]
	v_dot4_i32_iu8 v106, v71, v57, v5 neg_lo:[1,1,0]
	v_lshlrev_b32_e32 v5, 2, v4
	ds_load_b128 v[205:208], v5 offset:33280
	ds_load_b128 v[209:212], v5 offset:33296
	v_dot4_i32_iu8 v107, v71, v69, v26 neg_lo:[1,1,0]
	v_lshrrev_b32_e32 v4, 1, v4
	s_wait_dscnt 0x1
	v_dot4_i32_iu8 v26, v6, v205, 0 neg_lo:[1,1,0]
	v_dot4_i32_iu8 v27, v205, v48, 0 neg_lo:[1,1,0]
	;; [unrolled: 1-line block ×4, first 2 shown]
	s_delay_alu instid0(VALU_DEP_4) | instskip(NEXT) | instid1(VALU_DEP_4)
	v_dot4_i32_iu8 v26, v7, v206, v26 neg_lo:[1,1,0]
	v_dot4_i32_iu8 v27, v206, v49, v27 neg_lo:[1,1,0]
	s_delay_alu instid0(VALU_DEP_4) | instskip(NEXT) | instid1(VALU_DEP_4)
	v_dot4_i32_iu8 v70, v206, v53, v70 neg_lo:[1,1,0]
	v_dot4_i32_iu8 v71, v206, v55, v71 neg_lo:[1,1,0]
	;; [unrolled: 3-line block ×6, first 2 shown]
	ds_load_b128 v[205:208], v5 offset:33312
	ds_load_b128 v[213:216], v5 offset:33328
	s_wait_dscnt 0x2
	v_dot4_i32_iu8 v110, v18, v209, v110 neg_lo:[1,1,0]
	v_dot4_i32_iu8 v111, v209, v24, v111 neg_lo:[1,1,0]
	v_dot4_i32_iu8 v113, v209, v34, v113 neg_lo:[1,1,0]
	v_dot4_i32_iu8 v114, v209, v28, v114 neg_lo:[1,1,0]
	s_delay_alu instid0(VALU_DEP_4) | instskip(NEXT) | instid1(VALU_DEP_4)
	v_dot4_i32_iu8 v110, v19, v210, v110 neg_lo:[1,1,0]
	v_dot4_i32_iu8 v111, v210, v25, v111 neg_lo:[1,1,0]
	s_delay_alu instid0(VALU_DEP_4) | instskip(NEXT) | instid1(VALU_DEP_4)
	v_dot4_i32_iu8 v113, v210, v35, v113 neg_lo:[1,1,0]
	v_dot4_i32_iu8 v114, v210, v29, v114 neg_lo:[1,1,0]
	;; [unrolled: 3-line block ×5, first 2 shown]
	s_delay_alu instid0(VALU_DEP_4)
	v_dot4_i32_iu8 v113, v212, v31, v113 neg_lo:[1,1,0]
	s_wait_dscnt 0x1
	v_dot4_i32_iu8 v5, v8, v205, 0 neg_lo:[1,1,0]
	v_dot4_i32_iu8 v26, v205, v60, 0 neg_lo:[1,1,0]
	;; [unrolled: 1-line block ×9, first 2 shown]
	s_delay_alu instid0(VALU_DEP_4) | instskip(NEXT) | instid1(VALU_DEP_4)
	v_dot4_i32_iu8 v5, v10, v207, v5 neg_lo:[1,1,0]
	v_dot4_i32_iu8 v26, v207, v56, v26 neg_lo:[1,1,0]
	s_delay_alu instid0(VALU_DEP_4) | instskip(NEXT) | instid1(VALU_DEP_4)
	v_dot4_i32_iu8 v27, v207, v68, v27 neg_lo:[1,1,0]
	v_dot4_i32_iu8 v70, v207, v62, v70 neg_lo:[1,1,0]
	;; [unrolled: 3-line block ×4, first 2 shown]
	ds_load_b64 v[4:5], v4 offset:43584
	ds_load_b128 v[205:208], v123 offset:33280
	s_wait_dscnt 0x2
	v_dot4_i32_iu8 v116, v12, v213, v116 neg_lo:[1,1,0]
	v_dot4_i32_iu8 v117, v213, v32, v117 neg_lo:[1,1,0]
	;; [unrolled: 1-line block ×4, first 2 shown]
	s_delay_alu instid0(VALU_DEP_4) | instskip(NEXT) | instid1(VALU_DEP_4)
	v_dot4_i32_iu8 v116, v13, v214, v116 neg_lo:[1,1,0]
	v_dot4_i32_iu8 v117, v214, v33, v117 neg_lo:[1,1,0]
	s_delay_alu instid0(VALU_DEP_4) | instskip(NEXT) | instid1(VALU_DEP_4)
	v_dot4_i32_iu8 v119, v214, v45, v119 neg_lo:[1,1,0]
	v_dot4_i32_iu8 v120, v214, v37, v120 neg_lo:[1,1,0]
	s_delay_alu instid0(VALU_DEP_4) | instskip(NEXT) | instid1(VALU_DEP_3)
	v_dot4_i32_iu8 v116, v14, v215, v116 neg_lo:[1,1,0]
	v_dot4_i32_iu8 v119, v215, v38, v119 neg_lo:[1,1,0]
	s_delay_alu instid0(VALU_DEP_3) | instskip(NEXT) | instid1(VALU_DEP_3)
	v_dot4_i32_iu8 v120, v215, v22, v120 neg_lo:[1,1,0]
	v_dot4_i32_iu8 v116, v15, v216, v116 neg_lo:[1,1,0]
	s_delay_alu instid0(VALU_DEP_3) | instskip(NEXT) | instid1(VALU_DEP_3)
	v_dot4_i32_iu8 v119, v216, v39, v119 neg_lo:[1,1,0]
	v_dot4_i32_iu8 v120, v216, v23, v120 neg_lo:[1,1,0]
	s_wait_dscnt 0x0
	v_dot4_i32_iu8 v26, v6, v205, 0 neg_lo:[1,1,0]
	v_dot4_i32_iu8 v27, v205, v48, 0 neg_lo:[1,1,0]
	;; [unrolled: 1-line block ×4, first 2 shown]
	s_delay_alu instid0(VALU_DEP_4) | instskip(NEXT) | instid1(VALU_DEP_4)
	v_dot4_i32_iu8 v26, v7, v206, v26 neg_lo:[1,1,0]
	v_dot4_i32_iu8 v27, v206, v49, v27 neg_lo:[1,1,0]
	s_delay_alu instid0(VALU_DEP_4) | instskip(NEXT) | instid1(VALU_DEP_4)
	v_dot4_i32_iu8 v70, v206, v53, v70 neg_lo:[1,1,0]
	v_dot4_i32_iu8 v71, v206, v55, v71 neg_lo:[1,1,0]
	;; [unrolled: 3-line block ×6, first 2 shown]
	ds_load_b128 v[205:208], v123 offset:33312
	ds_load_b128 v[217:220], v123 offset:33296
	s_wait_dscnt 0x1
	v_dot4_i32_iu8 v26, v8, v205, 0 neg_lo:[1,1,0]
	v_dot4_i32_iu8 v27, v205, v60, 0 neg_lo:[1,1,0]
	;; [unrolled: 1-line block ×4, first 2 shown]
	s_wait_dscnt 0x0
	v_dot4_i32_iu8 v125, v18, v217, v125 neg_lo:[1,1,0]
	v_dot4_i32_iu8 v26, v9, v206, v26 neg_lo:[1,1,0]
	;; [unrolled: 1-line block ×12, first 2 shown]
	v_or_b32_e32 v26, s12, v157
	v_dot4_i32_iu8 v131, v208, v57, v27 neg_lo:[1,1,0]
	v_dot4_i32_iu8 v132, v208, v69, v70 neg_lo:[1,1,0]
	;; [unrolled: 1-line block ×4, first 2 shown]
	v_lshlrev_b32_e32 v27, 2, v26
	ds_load_b128 v[205:208], v27 offset:33280
	ds_load_b128 v[221:224], v27 offset:33296
	v_lshrrev_b32_e32 v26, 1, v26
	v_or_b32_e32 v217, s12, v124
	v_dot4_i32_iu8 v125, v19, v218, v125 neg_lo:[1,1,0]
	v_dot4_i32_iu8 v126, v218, v25, v126 neg_lo:[1,1,0]
	;; [unrolled: 1-line block ×4, first 2 shown]
	v_lshlrev_b32_e32 v218, 2, v217
	v_dot4_i32_iu8 v125, v20, v219, v125 neg_lo:[1,1,0]
	v_dot4_i32_iu8 v126, v219, v42, v126 neg_lo:[1,1,0]
	;; [unrolled: 1-line block ×4, first 2 shown]
	s_delay_alu instid0(VALU_DEP_4) | instskip(NEXT) | instid1(VALU_DEP_4)
	v_dot4_i32_iu8 v125, v21, v220, v125 neg_lo:[1,1,0]
	v_dot4_i32_iu8 v126, v220, v43, v126 neg_lo:[1,1,0]
	s_delay_alu instid0(VALU_DEP_4) | instskip(NEXT) | instid1(VALU_DEP_4)
	v_dot4_i32_iu8 v128, v220, v31, v128 neg_lo:[1,1,0]
	v_dot4_i32_iu8 v129, v220, v47, v129 neg_lo:[1,1,0]
	s_wait_dscnt 0x1
	v_dot4_i32_iu8 v70, v6, v205, 0 neg_lo:[1,1,0]
	v_dot4_i32_iu8 v71, v205, v48, 0 neg_lo:[1,1,0]
	;; [unrolled: 1-line block ×4, first 2 shown]
	s_delay_alu instid0(VALU_DEP_4) | instskip(NEXT) | instid1(VALU_DEP_4)
	v_dot4_i32_iu8 v70, v7, v206, v70 neg_lo:[1,1,0]
	v_dot4_i32_iu8 v71, v206, v49, v71 neg_lo:[1,1,0]
	s_delay_alu instid0(VALU_DEP_4) | instskip(NEXT) | instid1(VALU_DEP_4)
	v_dot4_i32_iu8 v134, v206, v53, v134 neg_lo:[1,1,0]
	v_dot4_i32_iu8 v135, v206, v55, v135 neg_lo:[1,1,0]
	;; [unrolled: 3-line block ×6, first 2 shown]
	ds_load_b128 v[205:208], v27 offset:33312
	ds_load_b128 v[225:228], v27 offset:33328
	s_wait_dscnt 0x2
	v_dot4_i32_iu8 v134, v221, v34, v134 neg_lo:[1,1,0]
	v_dot4_i32_iu8 v135, v221, v28, v135 neg_lo:[1,1,0]
	s_delay_alu instid0(VALU_DEP_2) | instskip(NEXT) | instid1(VALU_DEP_2)
	v_dot4_i32_iu8 v134, v222, v35, v134 neg_lo:[1,1,0]
	v_dot4_i32_iu8 v135, v222, v29, v135 neg_lo:[1,1,0]
	s_delay_alu instid0(VALU_DEP_2) | instskip(NEXT) | instid1(VALU_DEP_2)
	v_dot4_i32_iu8 v134, v223, v30, v134 neg_lo:[1,1,0]
	v_dot4_i32_iu8 v135, v223, v46, v135 neg_lo:[1,1,0]
	s_delay_alu instid0(VALU_DEP_2)
	v_dot4_i32_iu8 v134, v224, v31, v134 neg_lo:[1,1,0]
	s_wait_dscnt 0x1
	v_dot4_i32_iu8 v27, v8, v205, 0 neg_lo:[1,1,0]
	v_dot4_i32_iu8 v70, v205, v60, 0 neg_lo:[1,1,0]
	;; [unrolled: 1-line block ×9, first 2 shown]
	s_delay_alu instid0(VALU_DEP_4) | instskip(NEXT) | instid1(VALU_DEP_4)
	v_dot4_i32_iu8 v27, v10, v207, v27 neg_lo:[1,1,0]
	v_dot4_i32_iu8 v70, v207, v56, v70 neg_lo:[1,1,0]
	s_delay_alu instid0(VALU_DEP_4) | instskip(NEXT) | instid1(VALU_DEP_4)
	v_dot4_i32_iu8 v71, v207, v68, v71 neg_lo:[1,1,0]
	v_dot4_i32_iu8 v138, v207, v62, v138 neg_lo:[1,1,0]
	;; [unrolled: 3-line block ×4, first 2 shown]
	ds_load_b64 v[26:27], v26 offset:43584
	ds_load_b128 v[205:208], v143 offset:33280
	s_wait_dscnt 0x2
	v_dot4_i32_iu8 v138, v225, v36, v138 neg_lo:[1,1,0]
	s_delay_alu instid0(VALU_DEP_1) | instskip(NEXT) | instid1(VALU_DEP_1)
	v_dot4_i32_iu8 v138, v226, v37, v138 neg_lo:[1,1,0]
	v_dot4_i32_iu8 v138, v227, v22, v138 neg_lo:[1,1,0]
	s_delay_alu instid0(VALU_DEP_1)
	v_dot4_i32_iu8 v138, v228, v23, v138 neg_lo:[1,1,0]
	s_wait_dscnt 0x0
	v_dot4_i32_iu8 v70, v6, v205, 0 neg_lo:[1,1,0]
	v_dot4_i32_iu8 v71, v205, v48, 0 neg_lo:[1,1,0]
	;; [unrolled: 1-line block ×4, first 2 shown]
	s_delay_alu instid0(VALU_DEP_4) | instskip(NEXT) | instid1(VALU_DEP_4)
	v_dot4_i32_iu8 v70, v7, v206, v70 neg_lo:[1,1,0]
	v_dot4_i32_iu8 v71, v206, v49, v71 neg_lo:[1,1,0]
	s_delay_alu instid0(VALU_DEP_4) | instskip(NEXT) | instid1(VALU_DEP_4)
	v_dot4_i32_iu8 v144, v206, v53, v144 neg_lo:[1,1,0]
	v_dot4_i32_iu8 v145, v206, v55, v145 neg_lo:[1,1,0]
	;; [unrolled: 3-line block ×6, first 2 shown]
	ds_load_b128 v[205:208], v143 offset:33312
	ds_load_b128 v[229:232], v143 offset:33296
	s_wait_dscnt 0x1
	v_dot4_i32_iu8 v70, v8, v205, 0 neg_lo:[1,1,0]
	v_dot4_i32_iu8 v71, v205, v60, 0 neg_lo:[1,1,0]
	;; [unrolled: 1-line block ×4, first 2 shown]
	s_wait_dscnt 0x0
	v_dot4_i32_iu8 v145, v229, v28, v145 neg_lo:[1,1,0]
	v_dot4_i32_iu8 v70, v9, v206, v70 neg_lo:[1,1,0]
	;; [unrolled: 1-line block ×12, first 2 shown]
	v_or_b32_e32 v70, s12, v159
	v_dot4_i32_iu8 v168, v208, v57, v71 neg_lo:[1,1,0]
	v_dot4_i32_iu8 v151, v208, v69, v151 neg_lo:[1,1,0]
	;; [unrolled: 1-line block ×4, first 2 shown]
	v_lshlrev_b32_e32 v71, 2, v70
	ds_load_b128 v[205:208], v71 offset:33280
	ds_load_b128 v[233:236], v71 offset:33296
	v_lshrrev_b32_e32 v70, 1, v70
	v_dot4_i32_iu8 v145, v232, v47, v145 neg_lo:[1,1,0]
	v_dot4_i32_iu8 v144, v230, v35, v144 neg_lo:[1,1,0]
	s_add_co_i32 s12, s5, 8
	s_cmp_lt_u32 s5, 24
	s_wait_alu 0xfffe
	s_mov_b32 s5, s12
	v_dot4_i32_iu8 v144, v231, v30, v144 neg_lo:[1,1,0]
	s_delay_alu instid0(VALU_DEP_1)
	v_dot4_i32_iu8 v144, v232, v31, v144 neg_lo:[1,1,0]
	s_wait_dscnt 0x1
	v_dot4_i32_iu8 v169, v6, v205, 0 neg_lo:[1,1,0]
	v_dot4_i32_iu8 v170, v205, v48, 0 neg_lo:[1,1,0]
	;; [unrolled: 1-line block ×4, first 2 shown]
	s_delay_alu instid0(VALU_DEP_4) | instskip(NEXT) | instid1(VALU_DEP_4)
	v_dot4_i32_iu8 v169, v7, v206, v169 neg_lo:[1,1,0]
	v_dot4_i32_iu8 v170, v206, v49, v170 neg_lo:[1,1,0]
	s_delay_alu instid0(VALU_DEP_4) | instskip(NEXT) | instid1(VALU_DEP_4)
	v_dot4_i32_iu8 v171, v206, v53, v171 neg_lo:[1,1,0]
	v_dot4_i32_iu8 v172, v206, v55, v172 neg_lo:[1,1,0]
	;; [unrolled: 3-line block ×6, first 2 shown]
	ds_load_b128 v[205:208], v71 offset:33312
	ds_load_b128 v[237:240], v71 offset:33328
	s_wait_dscnt 0x1
	v_dot4_i32_iu8 v71, v8, v205, 0 neg_lo:[1,1,0]
	v_dot4_i32_iu8 v173, v205, v60, 0 neg_lo:[1,1,0]
	;; [unrolled: 1-line block ×4, first 2 shown]
	s_delay_alu instid0(VALU_DEP_4) | instskip(NEXT) | instid1(VALU_DEP_4)
	v_dot4_i32_iu8 v71, v9, v206, v71 neg_lo:[1,1,0]
	v_dot4_i32_iu8 v173, v206, v61, v173 neg_lo:[1,1,0]
	s_delay_alu instid0(VALU_DEP_4) | instskip(NEXT) | instid1(VALU_DEP_4)
	v_dot4_i32_iu8 v174, v206, v65, v174 neg_lo:[1,1,0]
	v_dot4_i32_iu8 v175, v206, v67, v175 neg_lo:[1,1,0]
	;; [unrolled: 3-line block ×6, first 2 shown]
	ds_load_b64 v[70:71], v70 offset:43584
	ds_load_b128 v[205:208], v247 offset:33280
	s_wait_dscnt 0x0
	v_dot4_i32_iu8 v241, v205, v48, 0 neg_lo:[1,1,0]
	v_dot4_i32_iu8 v242, v205, v52, 0 neg_lo:[1,1,0]
	v_dot4_i32_iu8 v243, v205, v54, 0 neg_lo:[1,1,0]
	v_dot4_i32_iu8 v205, v6, v205, 0 neg_lo:[1,1,0]
	s_delay_alu instid0(VALU_DEP_4) | instskip(NEXT) | instid1(VALU_DEP_4)
	v_dot4_i32_iu8 v241, v206, v49, v241 neg_lo:[1,1,0]
	v_dot4_i32_iu8 v242, v206, v53, v242 neg_lo:[1,1,0]
	s_delay_alu instid0(VALU_DEP_4) | instskip(NEXT) | instid1(VALU_DEP_4)
	v_dot4_i32_iu8 v243, v206, v55, v243 neg_lo:[1,1,0]
	v_dot4_i32_iu8 v205, v7, v206, v205 neg_lo:[1,1,0]
	;; [unrolled: 3-line block ×6, first 2 shown]
	ds_load_b128 v[205:208], v247 offset:33312
	ds_load_b128 v[241:244], v247 offset:33296
	s_wait_dscnt 0x1
	v_dot4_i32_iu8 v245, v8, v205, 0 neg_lo:[1,1,0]
	v_dot4_i32_iu8 v246, v205, v60, 0 neg_lo:[1,1,0]
	;; [unrolled: 1-line block ×4, first 2 shown]
	s_delay_alu instid0(VALU_DEP_4) | instskip(NEXT) | instid1(VALU_DEP_4)
	v_dot4_i32_iu8 v245, v9, v206, v245 neg_lo:[1,1,0]
	v_dot4_i32_iu8 v246, v206, v61, v246 neg_lo:[1,1,0]
	s_delay_alu instid0(VALU_DEP_4) | instskip(NEXT) | instid1(VALU_DEP_4)
	v_dot4_i32_iu8 v252, v206, v65, v252 neg_lo:[1,1,0]
	v_dot4_i32_iu8 v205, v206, v67, v205 neg_lo:[1,1,0]
	;; [unrolled: 3-line block ×4, first 2 shown]
	s_delay_alu instid0(VALU_DEP_4)
	v_dot4_i32_iu8 v252, v11, v208, v206 neg_lo:[1,1,0]
	ds_load_u16 v90, v90
	ds_load_b64 v[206:207], v198 offset:43584
	ds_load_b128 v[201:204], v199 offset:33328
	v_dot4_i32_iu8 v253, v208, v57, v245 neg_lo:[1,1,0]
	v_dot4_i32_iu8 v254, v208, v69, v246 neg_lo:[1,1,0]
	;; [unrolled: 1-line block ×3, first 2 shown]
	ds_load_2addr_b32 v[245:246], v200 offset0:14 offset1:15
	s_wait_dscnt 0x1
	v_dot4_i32_iu8 v1, v12, v201, v1 neg_lo:[1,1,0]
	v_dot4_i32_iu8 v106, v201, v32, v106 neg_lo:[1,1,0]
	;; [unrolled: 1-line block ×4, first 2 shown]
	ds_load_b64 v[208:209], v122 offset:43584
	ds_load_b128 v[198:201], v123 offset:33328
	v_dot4_i32_iu8 v1, v13, v202, v1 neg_lo:[1,1,0]
	v_dot4_i32_iu8 v106, v202, v33, v106 neg_lo:[1,1,0]
	;; [unrolled: 1-line block ×4, first 2 shown]
	s_wait_dscnt 0x2
	v_dot4_i32_iu8 v117, v215, v245, v117 neg_lo:[1,1,0]
	v_dot4_i32_iu8 v1, v14, v203, v1 neg_lo:[1,1,0]
	;; [unrolled: 1-line block ×10, first 2 shown]
	s_wait_dscnt 0x0
	v_dot4_i32_iu8 v122, v12, v198, v130 neg_lo:[1,1,0]
	v_dot4_i32_iu8 v123, v198, v32, v131 neg_lo:[1,1,0]
	;; [unrolled: 1-line block ×19, first 2 shown]
	ds_load_b64 v[210:211], v142 offset:43584
	ds_load_b128 v[198:201], v143 offset:33328
	v_dot4_i32_iu8 v137, v225, v32, v140 neg_lo:[1,1,0]
	v_dot4_i32_iu8 v139, v225, v44, v141 neg_lo:[1,1,0]
	;; [unrolled: 1-line block ×19, first 2 shown]
	s_wait_dscnt 0x0
	v_dot4_i32_iu8 v142, v12, v198, v153 neg_lo:[1,1,0]
	v_dot4_i32_iu8 v143, v198, v32, v168 neg_lo:[1,1,0]
	;; [unrolled: 1-line block ×19, first 2 shown]
	ds_load_b64 v[212:213], v177 offset:43584
	ds_load_b128 v[198:201], v247 offset:33328
	v_dot4_i32_iu8 v176, v241, v28, v250 neg_lo:[1,1,0]
	v_dot4_i32_iu8 v168, v234, v29, v168 neg_lo:[1,1,0]
	v_dot4_i32_iu8 v152, v233, v24, v170 neg_lo:[1,1,0]
	v_dot4_i32_iu8 v153, v233, v34, v171 neg_lo:[1,1,0]
	v_dot4_i32_iu8 v171, v237, v44, v174 neg_lo:[1,1,0]
	v_dot4_i32_iu8 v176, v242, v29, v176 neg_lo:[1,1,0]
	v_dot4_i32_iu8 v168, v235, v46, v168 neg_lo:[1,1,0]
	v_dot4_i32_iu8 v174, v241, v24, v248 neg_lo:[1,1,0]
	v_dot4_i32_iu8 v152, v234, v25, v152 neg_lo:[1,1,0]
	v_dot4_i32_iu8 v172, v237, v36, v175 neg_lo:[1,1,0]
	v_dot4_i32_iu8 v176, v243, v46, v176 neg_lo:[1,1,0]
	v_dot4_i32_iu8 v168, v236, v47, v168 neg_lo:[1,1,0]
	v_dot4_i32_iu8 v175, v241, v34, v249 neg_lo:[1,1,0]
	v_dot4_i32_iu8 v174, v242, v25, v174 neg_lo:[1,1,0]
	v_dot4_i32_iu8 v153, v234, v35, v153 neg_lo:[1,1,0]
	v_dot4_i32_iu8 v176, v244, v47, v176 neg_lo:[1,1,0]
	v_dot4_i32_iu8 v152, v235, v42, v152 neg_lo:[1,1,0]
	v_dot4_i32_iu8 v175, v242, v35, v175 neg_lo:[1,1,0]
	v_dot4_i32_iu8 v174, v243, v42, v174 neg_lo:[1,1,0]
	s_wait_dscnt 0x0
	v_dot4_i32_iu8 v177, v12, v198, v252 neg_lo:[1,1,0]
	v_dot4_i32_iu8 v202, v198, v32, v253 neg_lo:[1,1,0]
	;; [unrolled: 1-line block ×19, first 2 shown]
	ds_load_b128 v[198:201], v218 offset:33280
	ds_load_b128 v[202:205], v218 offset:33296
	v_dot4_i32_iu8 v175, v244, v31, v175 neg_lo:[1,1,0]
	v_dot4_i32_iu8 v172, v238, v37, v172 neg_lo:[1,1,0]
	v_dot4_i32_iu8 v170, v237, v32, v173 neg_lo:[1,1,0]
	v_dot4_i32_iu8 v173, v18, v241, v251 neg_lo:[1,1,0]
	v_dot4_i32_iu8 v171, v238, v45, v171 neg_lo:[1,1,0]
	v_dot4_i32_iu8 v151, v19, v234, v151 neg_lo:[1,1,0]
	v_dot4_i32_iu8 v172, v239, v22, v172 neg_lo:[1,1,0]
	v_dot4_i32_iu8 v170, v238, v33, v170 neg_lo:[1,1,0]
	v_dot4_i32_iu8 v173, v19, v242, v173 neg_lo:[1,1,0]
	v_dot4_i32_iu8 v171, v239, v38, v171 neg_lo:[1,1,0]
	v_dot4_i32_iu8 v152, v236, v43, v152 neg_lo:[1,1,0]
	v_dot4_i32_iu8 v172, v240, v23, v172 neg_lo:[1,1,0]
	v_dot4_i32_iu8 v174, v244, v43, v174 neg_lo:[1,1,0]
	v_dot4_i32_iu8 v151, v20, v235, v151 neg_lo:[1,1,0]
	v_dot4_i32_iu8 v171, v240, v39, v171 neg_lo:[1,1,0]
	v_dot4_i32_iu8 v173, v20, v243, v173 neg_lo:[1,1,0]
	v_dot4_i32_iu8 v169, v13, v238, v169 neg_lo:[1,1,0]
	v_dot4_i32_iu8 v136, v14, v227, v136 neg_lo:[1,1,0]
	s_wait_dscnt 0x1
	v_dot4_i32_iu8 v48, v198, v48, 0 neg_lo:[1,1,0]
	v_perm_b32 v220, v198, v199, 0xc0c0703
	v_perm_b32 v222, v198, v199, 0xc0c0400
	;; [unrolled: 1-line block ×4, first 2 shown]
	v_dot4_i32_iu8 v48, v199, v49, v48 neg_lo:[1,1,0]
	v_dot4_i32_iu8 v49, v198, v52, 0 neg_lo:[1,1,0]
	;; [unrolled: 1-line block ×3, first 2 shown]
	v_perm_b32 v221, v201, v200, 0x7030c0c
	v_dot4_i32_iu8 v169, v14, v239, v169 neg_lo:[1,1,0]
	v_dot4_i32_iu8 v40, v200, v40, v48 neg_lo:[1,1,0]
	;; [unrolled: 1-line block ×11, first 2 shown]
	s_wait_dscnt 0x0
	v_dot4_i32_iu8 v24, v202, v24, v40 neg_lo:[1,1,0]
	v_dot4_i32_iu8 v41, v201, v59, v41 neg_lo:[1,1,0]
	;; [unrolled: 1-line block ×3, first 2 shown]
	ds_load_b128 v[48:51], v218 offset:33312
	ds_load_b128 v[52:55], v218 offset:33328
	v_perm_b32 v59, v198, v199, 0xc0c0501
	v_dot4_i32_iu8 v24, v203, v25, v24 neg_lo:[1,1,0]
	v_dot4_i32_iu8 v25, v202, v34, v41 neg_lo:[1,1,0]
	;; [unrolled: 1-line block ×3, first 2 shown]
	v_perm_b32 v198, v198, v199, 0xc0c0602
	v_perm_b32 v199, v201, v200, 0x6020c0c
	;; [unrolled: 1-line block ×3, first 2 shown]
	v_dot4_i32_iu8 v25, v203, v35, v25 neg_lo:[1,1,0]
	v_dot4_i32_iu8 v28, v203, v29, v28 neg_lo:[1,1,0]
	v_perm_b32 v29, v203, v202, 0xc0c0602
	v_dot4_i32_iu8 v24, v204, v42, v24 neg_lo:[1,1,0]
	v_perm_b32 v41, v203, v202, 0xc0c0501
	v_dot4_i32_iu8 v25, v204, v30, v25 neg_lo:[1,1,0]
	v_dot4_i32_iu8 v28, v204, v46, v28 neg_lo:[1,1,0]
	v_perm_b32 v46, v6, v7, 0xc0c0602
	v_perm_b32 v30, v205, v204, 0x6020c0c
	;; [unrolled: 1-line block ×3, first 2 shown]
	v_dot4_i32_iu8 v25, v205, v31, v25 neg_lo:[1,1,0]
	s_wait_dscnt 0x1
	v_dot4_i32_iu8 v60, v48, v60, 0 neg_lo:[1,1,0]
	v_dot4_i32_iu8 v28, v205, v47, v28 neg_lo:[1,1,0]
	v_perm_b32 v47, v17, v16, 0x6020c0c
	v_or_b32_e32 v29, v30, v29
	v_perm_b32 v31, v203, v202, 0xc0c0400
	v_dot4_i32_iu8 v60, v49, v61, v60 neg_lo:[1,1,0]
	v_dot4_i32_iu8 v61, v48, v64, 0 neg_lo:[1,1,0]
	;; [unrolled: 1-line block ×3, first 2 shown]
	v_perm_b32 v66, v51, v50, 0x4000c0c
	v_or_b32_e32 v46, v47, v46
	v_dot4_i32_iu8 v56, v50, v56, v60 neg_lo:[1,1,0]
	v_dot4_i32_iu8 v61, v49, v65, v61 neg_lo:[1,1,0]
	;; [unrolled: 1-line block ×3, first 2 shown]
	v_perm_b32 v65, v48, v49, 0xc0c0400
	v_perm_b32 v47, v19, v18, 0xc0c0602
	v_dot4_i32_iu8 v56, v51, v57, v56 neg_lo:[1,1,0]
	v_dot4_i32_iu8 v57, v50, v68, v61 neg_lo:[1,1,0]
	;; [unrolled: 1-line block ×3, first 2 shown]
	v_perm_b32 v61, v48, v49, 0xc0c0501
	v_perm_b32 v62, v51, v50, 0x5010c0c
	;; [unrolled: 1-line block ×3, first 2 shown]
	v_or_b32_e32 v31, v34, v31
	v_dot4_i32_iu8 v60, v51, v63, v60 neg_lo:[1,1,0]
	v_perm_b32 v63, v48, v49, 0xc0c0703
	v_perm_b32 v48, v48, v49, 0xc0c0602
	;; [unrolled: 1-line block ×5, first 2 shown]
	s_wait_dscnt 0x0
	v_dot4_i32_iu8 v36, v52, v36, v60 neg_lo:[1,1,0]
	v_dot4_i32_iu8 v57, v51, v69, v57 neg_lo:[1,1,0]
	;; [unrolled: 1-line block ×3, first 2 shown]
	v_or_b32_e32 v47, v50, v47
	v_or_b32_e32 v50, v199, v198
	v_dot4_i32_iu8 v36, v53, v37, v36 neg_lo:[1,1,0]
	v_perm_b32 v37, v53, v52, 0xc0c0400
	v_dot4_i32_iu8 v32, v53, v33, v32 neg_lo:[1,1,0]
	v_dot4_i32_iu8 v33, v52, v44, v57 neg_lo:[1,1,0]
	;; [unrolled: 1-line block ×3, first 2 shown]
	v_perm_b32 v46, v17, v16, 0x4000c0c
	v_dot4_i32_iu8 v22, v54, v22, v36 neg_lo:[1,1,0]
	v_perm_b32 v36, v55, v54, 0x6020c0c
	v_dot4_i32_iu8 v33, v53, v45, v33 neg_lo:[1,1,0]
	v_dot4_i32_iu8 v29, v47, v29, v30 neg_lo:[1,1,0]
	v_perm_b32 v30, v6, v7, 0xc0c0400
	v_perm_b32 v47, v21, v20, 0x4000c0c
	v_dot4_i32_iu8 v22, v55, v23, v22 neg_lo:[1,1,0]
	v_perm_b32 v23, v53, v52, 0xc0c0602
	v_dot4_i32_iu8 v33, v54, v38, v33 neg_lo:[1,1,0]
	v_or_b32_e32 v30, v46, v30
	v_perm_b32 v46, v19, v18, 0xc0c0400
	v_perm_b32 v38, v55, v54, 0x4000c0c
	;; [unrolled: 1-line block ×4, first 2 shown]
	v_dot4_i32_iu8 v24, v205, v43, v24 neg_lo:[1,1,0]
	v_or_b32_e32 v46, v47, v46
	v_or_b32_e32 v47, v223, v222
	v_dot4_i32_iu8 v33, v55, v39, v33 neg_lo:[1,1,0]
	v_perm_b32 v39, v53, v52, 0xc0c0703
	v_perm_b32 v43, v55, v54, 0x7030c0c
	;; [unrolled: 1-line block ×3, first 2 shown]
	v_dot4_i32_iu8 v30, v30, v47, 0 neg_lo:[1,1,0]
	v_perm_b32 v45, v55, v54, 0x5010c0c
	v_or_b32_e32 v35, v40, v35
	v_dot4_i32_iu8 v32, v54, v245, v32 neg_lo:[1,1,0]
	v_dot4_i32_iu8 v137, v228, v246, v137 neg_lo:[1,1,0]
	;; [unrolled: 1-line block ×3, first 2 shown]
	v_perm_b32 v31, v6, v7, 0xc0c0703
	v_perm_b32 v6, v6, v7, 0xc0c0501
	;; [unrolled: 1-line block ×5, first 2 shown]
	v_or_b32_e32 v31, v34, v31
	v_perm_b32 v34, v19, v18, 0xc0c0703
	v_or_b32_e32 v6, v7, v6
	v_or_b32_e32 v18, v36, v23
	;; [unrolled: 1-line block ×6, first 2 shown]
	v_perm_b32 v46, v21, v20, 0x7030c0c
	v_or_b32_e32 v20, v43, v39
	v_dot4_i32_iu8 v6, v6, v16, 0 neg_lo:[1,1,0]
	v_perm_b32 v16, v11, v10, 0x6020c0c
	v_dot4_i32_iu8 v32, v55, v246, v32 neg_lo:[1,1,0]
	v_or_b32_e32 v34, v46, v34
	v_or_b32_e32 v46, v221, v220
	v_dot4_i32_iu8 v6, v7, v17, v6 neg_lo:[1,1,0]
	v_perm_b32 v7, v8, v9, 0xc0c0602
	v_perm_b32 v17, v15, v14, 0x6020c0c
	v_dot4_i32_iu8 v140, v21, v232, v140 neg_lo:[1,1,0]
	v_dot4_i32_iu8 v31, v31, v46, 0 neg_lo:[1,1,0]
	;; [unrolled: 1-line block ×3, first 2 shown]
	v_or_b32_e32 v7, v16, v7
	v_perm_b32 v16, v13, v12, 0xc0c0602
	v_dot4_i32_iu8 v173, v21, v244, v173 neg_lo:[1,1,0]
	v_dot4_i32_iu8 v31, v34, v35, v31 neg_lo:[1,1,0]
	v_cvt_f32_ubyte1_e32 v21, v192
	v_cvt_f32_ubyte1_e32 v23, v193
	v_or_b32_e32 v16, v17, v16
	v_or_b32_e32 v17, v49, v48
	v_add_nc_u32_e32 v6, v6, v31
	v_dot4_i32_iu8 v170, v239, v245, v170 neg_lo:[1,1,0]
	s_delay_alu instid0(VALU_DEP_3) | instskip(SKIP_1) | instid1(VALU_DEP_3)
	v_dot4_i32_iu8 v7, v7, v17, 0 neg_lo:[1,1,0]
	v_perm_b32 v17, v11, v10, 0x4000c0c
	v_dot4_i32_iu8 v170, v240, v246, v170 neg_lo:[1,1,0]
	s_delay_alu instid0(VALU_DEP_3) | instskip(SKIP_2) | instid1(VALU_DEP_2)
	v_dot4_i32_iu8 v7, v16, v18, v7 neg_lo:[1,1,0]
	v_perm_b32 v16, v8, v9, 0xc0c0400
	v_perm_b32 v18, v15, v14, 0x4000c0c
	v_or_b32_e32 v16, v17, v16
	v_perm_b32 v17, v13, v12, 0xc0c0400
	s_delay_alu instid0(VALU_DEP_1) | instskip(SKIP_1) | instid1(VALU_DEP_1)
	v_or_b32_e32 v17, v18, v17
	v_or_b32_e32 v18, v66, v65
	v_dot4_i32_iu8 v16, v16, v18, 0 neg_lo:[1,1,0]
	v_perm_b32 v18, v11, v10, 0x7030c0c
	s_delay_alu instid0(VALU_DEP_2)
	v_dot4_i32_iu8 v16, v17, v19, v16 neg_lo:[1,1,0]
	v_perm_b32 v17, v8, v9, 0xc0c0703
	v_perm_b32 v19, v15, v14, 0x7030c0c
	;; [unrolled: 1-line block ×5, first 2 shown]
	v_or_b32_e32 v17, v18, v17
	v_perm_b32 v18, v13, v12, 0xc0c0703
	v_perm_b32 v11, v15, v14, 0x5010c0c
	v_or_b32_e32 v8, v9, v8
	v_and_b32_e32 v12, 0xff, v197
	v_and_b32_e32 v15, 0xff, v90
	v_or_b32_e32 v18, v19, v18
	v_or_b32_e32 v19, v64, v63
	;; [unrolled: 1-line block ×5, first 2 shown]
	v_mul_lo_u32 v13, v24, v12
	v_dot4_i32_iu8 v17, v17, v19, 0 neg_lo:[1,1,0]
	v_cvt_f32_ubyte0_e32 v24, v194
	v_dot4_i32_iu8 v8, v8, v10, 0 neg_lo:[1,1,0]
	s_delay_alu instid0(VALU_DEP_3) | instskip(NEXT) | instid1(VALU_DEP_3)
	v_dot4_i32_iu8 v17, v18, v20, v17 neg_lo:[1,1,0]
	v_fma_mix_f32 v45, v24, v4, 0 op_sel:[0,1,0] op_sel_hi:[0,1,0]
	s_delay_alu instid0(VALU_DEP_3)
	v_dot4_i32_iu8 v8, v9, v11, v8 neg_lo:[1,1,0]
	v_add3_u32 v9, v30, v29, v6
	v_cvt_f32_i32_e32 v13, v13
	v_and_b32_e32 v18, 0xff, v196
	v_cvt_f32_ubyte1_e32 v29, v195
	v_add_nc_u32_e32 v6, v8, v17
	v_fma_mix_f32 v59, v24, v26, 0 op_sel:[0,1,0] op_sel_hi:[0,1,0]
	v_fma_mix_f32 v51, v24, v208, 0 op_sel:[0,1,0] op_sel_hi:[0,1,0]
	v_mul_lo_u32 v19, v28, v18
	v_cvt_f32_ubyte0_e32 v28, v195
	v_add3_u32 v8, v16, v7, v6
	v_lshrrev_b32_e32 v6, 1, v217
	ds_load_u16 v10, v191
	ds_load_b64 v[6:7], v6 offset:43584
	v_mul_lo_u32 v16, v25, v15
	v_cvt_f32_ubyte1_e32 v25, v194
	v_cvt_f32_i32_e32 v19, v19
	v_fma_mix_f32 v38, v28, v206, 0 op_sel:[0,1,0] op_sel_hi:[0,1,0]
	v_fma_mix_f32 v52, v28, v208, 0 op_sel:[0,1,0] op_sel_hi:[0,1,0]
	;; [unrolled: 1-line block ×5, first 2 shown]
	v_cvt_f32_i32_e32 v16, v16
	v_fma_mix_f32 v38, v29, v207, v38 op_sel:[0,1,0] op_sel_hi:[0,1,0]
	v_fma_mix_f32 v52, v29, v209, v52 op_sel:[0,1,0] op_sel_hi:[0,1,0]
	;; [unrolled: 1-line block ×6, first 2 shown]
	s_wait_dscnt 0x1
	v_lshrrev_b16 v11, 8, v10
	v_and_b32_e32 v10, 0xff, v10
	s_wait_dscnt 0x0
	v_fma_mix_f32 v13, v6, v13, 0 op_sel_hi:[1,0,0]
	v_fma_mix_f32 v16, v6, v16, 0 op_sel_hi:[1,0,0]
	;; [unrolled: 1-line block ×3, first 2 shown]
	v_and_b32_e32 v11, 0xffff, v11
	v_mul_lo_u32 v9, v9, v10
	v_mul_lo_u32 v39, v110, v10
	;; [unrolled: 1-line block ×8, first 2 shown]
	v_cvt_f32_i32_e32 v9, v9
	v_cvt_f32_i32_e32 v39, v39
	;; [unrolled: 1-line block ×3, first 2 shown]
	v_mul_lo_u32 v46, v122, v11
	v_cvt_f32_i32_e32 v8, v8
	v_fma_mix_f32 v9, v9, v6, 0 op_sel_hi:[0,1,0]
	v_cvt_f32_i32_e32 v40, v40
	v_fma_mix_f32 v39, v4, v39, 0 op_sel_hi:[1,0,0]
	;; [unrolled: 2-line block ×3, first 2 shown]
	v_fma_mix_f32 v8, v8, v7, v9 op_sel_hi:[0,1,0]
	v_lshrrev_b16 v9, 8, v197
	v_fma_mix_f32 v39, v5, v40, v39 op_sel_hi:[1,0,0]
	v_mul_lo_u32 v40, v111, v12
	v_fma_mix_f32 v53, v27, v54, v53 op_sel_hi:[1,0,0]
	v_mul_lo_u32 v54, v133, v12
	v_and_b32_e32 v9, 0xffff, v9
	v_mul_lo_u32 v60, v142, v11
	v_mul_lo_u32 v68, v169, v11
	v_cvt_f32_i32_e32 v67, v67
	v_cvt_f32_i32_e32 v1, v1
	v_mul_lo_u32 v14, v32, v9
	v_mul_lo_u32 v41, v117, v9
	v_cvt_f32_i32_e32 v40, v40
	v_cvt_f32_i32_e32 v54, v54
	v_fma_mix_f32 v32, v6, v24, 0 op_sel:[1,0,0] op_sel_hi:[1,0,0]
	v_cvt_f32_i32_e32 v46, v46
	v_cvt_f32_i32_e32 v60, v60
	v_fma_mix_f32 v40, v4, v40, 0 op_sel_hi:[1,0,0]
	v_cvt_f32_i32_e32 v14, v14
	v_cvt_f32_i32_e32 v41, v41
	v_fma_mix_f32 v54, v26, v54, 0 op_sel_hi:[1,0,0]
	v_fma_mix_f32 v32, v7, v25, v32 op_sel:[1,0,0] op_sel_hi:[1,0,0]
	v_cvt_f32_i32_e32 v68, v68
	v_fma_mix_f32 v13, v7, v14, v13 op_sel_hi:[1,0,0]
	v_lshrrev_b16 v14, 8, v90
	v_fma_mix_f32 v40, v5, v41, v40 op_sel_hi:[1,0,0]
	v_mul_lo_u32 v41, v113, v15
	v_fma_mix_f32 v67, v70, v67, 0 op_sel_hi:[1,0,0]
	v_mul_lo_u32 v11, v177, v11
	v_and_b32_e32 v14, 0xffff, v14
	v_fma_mix_f32 v37, v25, v207, v37 op_sel:[0,1,0] op_sel_hi:[0,1,0]
	v_fma_mix_f32 v65, v25, v211, v65 op_sel:[0,1,0] op_sel_hi:[0,1,0]
	v_fma_mix_f32 v67, v71, v68, v67 op_sel_hi:[1,0,0]
	v_mul_lo_u32 v68, v152, v12
	v_mul_lo_u32 v17, v33, v14
	;; [unrolled: 1-line block ×3, first 2 shown]
	v_cvt_f32_i32_e32 v41, v41
	v_mul_lo_u32 v56, v139, v14
	v_mul_lo_u32 v34, v107, v14
	;; [unrolled: 1-line block ×4, first 2 shown]
	v_fma_mix_f32 v41, v4, v41, 0 op_sel_hi:[1,0,0]
	v_cvt_f32_i32_e32 v17, v17
	v_cvt_f32_i32_e32 v42, v42
	v_cvt_f32_i32_e32 v68, v68
	v_cvt_f32_i32_e32 v56, v56
	v_mul_lo_u32 v90, v171, v14
	v_fma_mix_f32 v16, v7, v17, v16 op_sel_hi:[1,0,0]
	v_lshrrev_b16 v17, 8, v196
	v_fma_mix_f32 v41, v5, v42, v41 op_sel_hi:[1,0,0]
	v_mul_lo_u32 v42, v114, v18
	v_fma_mix_f32 v68, v70, v68, 0 op_sel_hi:[1,0,0]
	v_cvt_f32_i32_e32 v34, v34
	v_and_b32_e32 v17, 0xffff, v17
	v_cvt_f32_i32_e32 v48, v48
	v_cvt_f32_i32_e32 v62, v62
	v_cvt_f32_i32_e32 v90, v90
	v_cvt_f32_i32_e32 v11, v11
	v_mul_lo_u32 v20, v22, v17
	v_mul_lo_u32 v43, v120, v17
	v_cvt_f32_i32_e32 v42, v42
	v_cvt_f32_ubyte0_e32 v22, v193
	v_mul_lo_u32 v57, v138, v17
	v_mul_lo_u32 v35, v109, v17
	;; [unrolled: 1-line block ×3, first 2 shown]
	v_fma_mix_f32 v42, v4, v42, 0 op_sel_hi:[1,0,0]
	v_cvt_f32_i32_e32 v20, v20
	v_cvt_f32_i32_e32 v43, v43
	v_fma_mix_f32 v44, v22, v4, 0 op_sel:[0,1,0] op_sel_hi:[0,1,0]
	v_fma_mix_f32 v31, v6, v22, 0 op_sel:[1,0,0] op_sel_hi:[1,0,0]
	v_cvt_f32_i32_e32 v57, v57
	v_fma_mix_f32 v19, v7, v20, v19 op_sel_hi:[1,0,0]
	v_cvt_f32_ubyte0_e32 v20, v192
	v_fma_mix_f32 v42, v5, v43, v42 op_sel_hi:[1,0,0]
	v_fma_mix_f32 v58, v22, v26, 0 op_sel:[0,1,0] op_sel_hi:[0,1,0]
	v_fma_mix_f32 v31, v7, v23, v31 op_sel:[1,0,0] op_sel_hi:[1,0,0]
	v_fma_mix_f32 v44, v23, v5, v44 op_sel:[0,1,0] op_sel_hi:[0,1,0]
	v_fma_mix_f32 v43, v20, v4, 0 op_sel:[0,1,0] op_sel_hi:[0,1,0]
	v_fma_mix_f32 v4, v28, v4, 0 op_sel:[0,1,0] op_sel_hi:[0,1,0]
	v_fma_mix_f32 v30, v20, v6, 0 op_sel:[0,1,0] op_sel_hi:[0,1,0]
	v_fma_mix_f32 v6, v6, v28, 0 op_sel:[1,0,0] op_sel_hi:[1,0,0]
	v_fma_mix_f32 v58, v23, v27, v58 op_sel:[0,1,0] op_sel_hi:[0,1,0]
	v_fma_mix_f32 v43, v21, v5, v43 op_sel:[0,1,0] op_sel_hi:[0,1,0]
	v_fma_mix_f32 v4, v29, v5, v4 op_sel:[0,1,0] op_sel_hi:[0,1,0]
	v_fma_mix_f32 v30, v21, v7, v30 op_sel:[0,1,0] op_sel_hi:[0,1,0]
	v_fma_mix_f32 v6, v7, v29, v6 op_sel:[1,0,0] op_sel_hi:[1,0,0]
	v_mul_lo_u32 v7, v91, v10
	v_mul_lo_u32 v5, v125, v10
	v_mul_f32_e32 v4, v4, v190
	v_mul_lo_u32 v55, v137, v9
	v_mul_lo_u32 v33, v106, v9
	;; [unrolled: 1-line block ×5, first 2 shown]
	v_cvt_f32_i32_e32 v7, v7
	v_cvt_f32_i32_e32 v5, v5
	v_mul_lo_u32 v63, v150, v17
	v_cvt_f32_i32_e32 v55, v55
	v_cvt_f32_i32_e32 v33, v33
	v_fma_mix_f32 v7, v206, v7, 0 op_sel_hi:[1,0,0]
	v_fma_mix_f32 v5, v208, v5, 0 op_sel_hi:[1,0,0]
	v_cvt_f32_i32_e32 v47, v47
	v_fma_mix_f32 v54, v27, v55, v54 op_sel_hi:[1,0,0]
	v_mul_lo_u32 v55, v134, v15
	v_fma_mix_f32 v1, v207, v1, v7 op_sel_hi:[1,0,0]
	v_mul_lo_u32 v7, v95, v12
	;; [unrolled: 2-line block ×3, first 2 shown]
	v_cvt_f32_i32_e32 v61, v61
	v_cvt_f32_i32_e32 v69, v69
	v_mul_lo_u32 v91, v172, v17
	v_cvt_f32_i32_e32 v55, v55
	v_cvt_f32_i32_e32 v35, v35
	;; [unrolled: 1-line block ×3, first 2 shown]
	v_fma_mix_f32 v68, v71, v69, v68 op_sel_hi:[1,0,0]
	v_cvt_f32_i32_e32 v46, v46
	v_fma_mix_f32 v55, v26, v55, 0 op_sel_hi:[1,0,0]
	v_mul_lo_u32 v69, v153, v15
	v_fma_mix_f32 v7, v206, v7, 0 op_sel_hi:[1,0,0]
	v_cvt_f32_i32_e32 v49, v49
	v_fma_mix_f32 v46, v208, v46, 0 op_sel_hi:[1,0,0]
	v_fma_mix_f32 v55, v27, v56, v55 op_sel_hi:[1,0,0]
	v_mul_lo_u32 v56, v135, v18
	v_fma_mix_f32 v7, v207, v33, v7 op_sel_hi:[1,0,0]
	v_mul_lo_u32 v33, v102, v15
	;; [unrolled: 2-line block ×3, first 2 shown]
	v_cvt_f32_i32_e32 v69, v69
	v_cvt_f32_i32_e32 v63, v63
	;; [unrolled: 1-line block ×4, first 2 shown]
	v_fma_mix_f32 v36, v22, v206, 0 op_sel:[0,1,0] op_sel_hi:[0,1,0]
	v_cvt_f32_i32_e32 v33, v33
	v_fma_mix_f32 v69, v70, v69, 0 op_sel_hi:[1,0,0]
	v_cvt_f32_i32_e32 v47, v47
	v_fma_mix_f32 v56, v26, v56, 0 op_sel_hi:[1,0,0]
	v_fma_mix_f32 v50, v22, v208, 0 op_sel:[0,1,0] op_sel_hi:[0,1,0]
	v_fma_mix_f32 v33, v206, v33, 0 op_sel_hi:[1,0,0]
	v_fma_mix_f32 v69, v71, v90, v69 op_sel_hi:[1,0,0]
	;; [unrolled: 1-line block ×4, first 2 shown]
	v_fma_mix_f32 v57, v20, v26, 0 op_sel:[0,1,0] op_sel_hi:[0,1,0]
	v_fma_mix_f32 v26, v28, v26, 0 op_sel:[0,1,0] op_sel_hi:[0,1,0]
	v_fma_mix_f32 v33, v207, v34, v33 op_sel_hi:[1,0,0]
	v_mul_lo_u32 v34, v105, v18
	v_fma_mix_f32 v47, v209, v48, v47 op_sel_hi:[1,0,0]
	v_fma_mix_f32 v57, v21, v27, v57 op_sel:[0,1,0] op_sel_hi:[0,1,0]
	v_fma_mix_f32 v26, v29, v27, v26 op_sel:[0,1,0] op_sel_hi:[0,1,0]
	v_mul_lo_u32 v27, v140, v10
	v_mul_lo_u32 v48, v129, v18
	;; [unrolled: 1-line block ×3, first 2 shown]
	v_fma_mix_f32 v64, v22, v210, 0 op_sel:[0,1,0] op_sel_hi:[0,1,0]
	v_cvt_f32_i32_e32 v34, v34
	v_fma_mix_f32 v95, v22, v70, 0 op_sel:[0,1,0] op_sel_hi:[0,1,0]
	v_fma_mix_f32 v36, v23, v207, v36 op_sel:[0,1,0] op_sel_hi:[0,1,0]
	;; [unrolled: 1-line block ×3, first 2 shown]
	v_cvt_f32_i32_e32 v27, v27
	v_cvt_f32_i32_e32 v48, v48
	;; [unrolled: 1-line block ×3, first 2 shown]
	v_fma_mix_f32 v34, v206, v34, 0 op_sel_hi:[1,0,0]
	v_fma_mix_f32 v64, v23, v211, v64 op_sel:[0,1,0] op_sel_hi:[0,1,0]
	v_fma_mix_f32 v27, v210, v27, 0 op_sel_hi:[1,0,0]
	v_fma_mix_f32 v48, v208, v48, 0 op_sel_hi:[1,0,0]
	;; [unrolled: 1-line block ×4, first 2 shown]
	v_fma_mix_f32 v35, v20, v206, 0 op_sel:[0,1,0] op_sel_hi:[0,1,0]
	v_fma_mix_f32 v27, v211, v60, v27 op_sel_hi:[1,0,0]
	v_mul_lo_u32 v60, v141, v12
	v_fma_mix_f32 v48, v209, v49, v48 op_sel_hi:[1,0,0]
	v_fma_mix_f32 v49, v20, v208, 0 op_sel:[0,1,0] op_sel_hi:[0,1,0]
	v_fma_mix_f32 v90, v71, v91, v90 op_sel_hi:[1,0,0]
	v_fma_mix_f32 v91, v20, v70, 0 op_sel:[0,1,0] op_sel_hi:[0,1,0]
	v_fma_mix_f32 v35, v21, v207, v35 op_sel:[0,1,0] op_sel_hi:[0,1,0]
	;; [unrolled: 1-line block ×4, first 2 shown]
	v_cvt_f32_i32_e32 v60, v60
	v_fma_mix_f32 v91, v21, v71, v91 op_sel:[0,1,0] op_sel_hi:[0,1,0]
	v_fma_mix_f32 v102, v24, v70, 0 op_sel:[0,1,0] op_sel_hi:[0,1,0]
	;; [unrolled: 1-line block ×3, first 2 shown]
	v_mul_lo_u32 v12, v174, v12
	v_fma_mix_f32 v60, v210, v60, 0 op_sel_hi:[1,0,0]
	v_mul_lo_u32 v9, v214, v9
	v_mul_lo_u32 v14, v215, v14
	v_fma_mix_f32 v70, v29, v71, v70 op_sel:[0,1,0] op_sel_hi:[0,1,0]
	v_mul_f32_e32 v6, v6, v190
	v_fma_mix_f32 v60, v211, v61, v60 op_sel_hi:[1,0,0]
	v_mul_lo_u32 v61, v144, v15
	v_fma_mix_f32 v102, v25, v71, v102 op_sel:[0,1,0] op_sel_hi:[0,1,0]
	v_mul_f32_e32 v26, v26, v190
	v_cvt_f32_i32_e32 v9, v9
	v_fma_f32 v6, v19, v186, -v6
	v_mul_f32_e32 v19, v49, v187
	v_fma_f32 v4, v42, v186, -v4
	v_cvt_f32_i32_e32 v61, v61
	s_delay_alu instid0(VALU_DEP_3) | instskip(SKIP_1) | instid1(VALU_DEP_3)
	v_fma_f32 v5, v5, v183, -v19
	v_mul_f32_e32 v19, v50, v188
	v_fma_mix_f32 v61, v210, v61, 0 op_sel_hi:[1,0,0]
	s_delay_alu instid0(VALU_DEP_3) | instskip(NEXT) | instid1(VALU_DEP_3)
	v_add_f32_e32 v93, v93, v5
	v_fma_f32 v19, v46, v184, -v19
	s_delay_alu instid0(VALU_DEP_3) | instskip(SKIP_2) | instid1(VALU_DEP_2)
	v_fma_mix_f32 v61, v211, v62, v61 op_sel_hi:[1,0,0]
	v_mul_lo_u32 v62, v145, v18
	v_mul_lo_u32 v18, v176, v18
	v_cvt_f32_i32_e32 v62, v62
	s_delay_alu instid0(VALU_DEP_1) | instskip(NEXT) | instid1(VALU_DEP_1)
	v_fma_mix_f32 v62, v210, v62, 0 op_sel_hi:[1,0,0]
	v_fma_mix_f32 v62, v211, v63, v62 op_sel_hi:[1,0,0]
	v_fma_mix_f32 v63, v20, v210, 0 op_sel:[0,1,0] op_sel_hi:[0,1,0]
	v_fma_mix_f32 v20, v20, v212, 0 op_sel:[0,1,0] op_sel_hi:[0,1,0]
	s_delay_alu instid0(VALU_DEP_2) | instskip(NEXT) | instid1(VALU_DEP_2)
	v_fma_mix_f32 v63, v21, v211, v63 op_sel:[0,1,0] op_sel_hi:[0,1,0]
	v_fma_mix_f32 v20, v21, v213, v20 op_sel:[0,1,0] op_sel_hi:[0,1,0]
	;; [unrolled: 1-line block ×4, first 2 shown]
	v_mul_f32_e32 v24, v51, v189
	v_mul_lo_u32 v15, v175, v15
	s_delay_alu instid0(VALU_DEP_4)
	v_fma_mix_f32 v21, v23, v213, v21 op_sel:[0,1,0] op_sel_hi:[0,1,0]
	v_fma_mix_f32 v23, v28, v212, 0 op_sel:[0,1,0] op_sel_hi:[0,1,0]
	v_mul_f32_e32 v28, v57, v187
	v_mul_lo_u32 v17, v216, v17
	v_fma_mix_f32 v22, v25, v213, v22 op_sel:[0,1,0] op_sel_hi:[0,1,0]
	v_fma_f32 v24, v47, v185, -v24
	v_fma_mix_f32 v23, v29, v213, v23 op_sel:[0,1,0] op_sel_hi:[0,1,0]
	v_mul_f32_e32 v29, v58, v188
	v_mul_lo_u32 v10, v173, v10
	v_mul_f32_e32 v25, v52, v190
	v_add_f32_e32 v89, v89, v24
	v_fma_f32 v28, v53, v183, -v28
	v_fma_f32 v29, v54, v184, -v29
	s_delay_alu instid0(VALU_DEP_4) | instskip(SKIP_1) | instid1(VALU_DEP_3)
	v_fma_f32 v25, v48, v186, -v25
	v_cvt_f32_i32_e32 v10, v10
	v_dual_add_f32 v87, v87, v28 :: v_dual_add_f32 v86, v86, v29
	s_delay_alu instid0(VALU_DEP_2) | instskip(NEXT) | instid1(VALU_DEP_1)
	v_fma_mix_f32 v10, v212, v10, 0 op_sel_hi:[1,0,0]
	v_fma_mix_f32 v10, v213, v11, v10 op_sel_hi:[1,0,0]
	v_cvt_f32_i32_e32 v11, v12
	v_cvt_f32_i32_e32 v12, v14
	;; [unrolled: 1-line block ×3, first 2 shown]
	v_mul_f32_e32 v17, v44, v188
	s_delay_alu instid0(VALU_DEP_4) | instskip(NEXT) | instid1(VALU_DEP_2)
	v_fma_mix_f32 v11, v212, v11, 0 op_sel_hi:[1,0,0]
	v_fma_f32 v17, v40, v184, -v17
	v_mul_f32_e32 v20, v20, v187
	s_delay_alu instid0(VALU_DEP_3)
	v_fma_mix_f32 v9, v213, v9, v11 op_sel_hi:[1,0,0]
	v_cvt_f32_i32_e32 v11, v15
	v_mul_f32_e32 v15, v38, v190
	v_add_f32_e32 v97, v97, v17
	v_fma_f32 v10, v10, v183, -v20
	v_add_f32_e32 v94, v94, v4
	v_fma_mix_f32 v11, v212, v11, 0 op_sel_hi:[1,0,0]
	v_fma_f32 v15, v34, v186, -v15
	s_delay_alu instid0(VALU_DEP_4) | instskip(NEXT) | instid1(VALU_DEP_3)
	v_dual_mul_f32 v20, v21, v188 :: v_dual_add_f32 v75, v75, v10
	v_fma_mix_f32 v11, v213, v12, v11 op_sel_hi:[1,0,0]
	v_cvt_f32_i32_e32 v12, v18
	s_delay_alu instid0(VALU_DEP_4) | instskip(NEXT) | instid1(VALU_DEP_4)
	v_add_f32_e32 v99, v99, v15
	v_fma_f32 v9, v9, v184, -v20
	v_mul_f32_e32 v20, v22, v189
	v_mul_f32_e32 v18, v45, v189
	v_fma_mix_f32 v12, v212, v12, 0 op_sel_hi:[1,0,0]
	s_delay_alu instid0(VALU_DEP_4) | instskip(NEXT) | instid1(VALU_DEP_4)
	v_add_f32_e32 v74, v74, v9
	v_fma_f32 v11, v11, v185, -v20
	v_mul_f32_e32 v20, v23, v190
	s_delay_alu instid0(VALU_DEP_4) | instskip(SKIP_4) | instid1(VALU_DEP_4)
	v_fma_mix_f32 v12, v213, v14, v12 op_sel_hi:[1,0,0]
	v_mul_f32_e32 v14, v30, v187
	v_mul_f32_e32 v30, v59, v189
	v_fma_f32 v18, v41, v185, -v18
	v_dual_add_f32 v88, v88, v25 :: v_dual_add_f32 v73, v73, v11
	v_fma_f32 v8, v8, v183, -v14
	v_mul_f32_e32 v14, v35, v187
	v_mul_f32_e32 v35, v95, v188
	v_fma_f32 v26, v56, v186, -v26
	v_fma_f32 v12, v12, v186, -v20
	v_add_f32_e32 v100, v100, v8
	v_mul_f32_e32 v8, v31, v188
	v_fma_f32 v1, v1, v183, -v14
	v_dual_mul_f32 v14, v36, v188 :: v_dual_mul_f32 v31, v63, v187
	v_fma_f32 v35, v68, v184, -v35
	s_delay_alu instid0(VALU_DEP_4) | instskip(SKIP_1) | instid1(VALU_DEP_4)
	v_fma_f32 v8, v13, v184, -v8
	v_mul_f32_e32 v13, v32, v189
	v_fma_f32 v7, v7, v184, -v14
	v_mul_f32_e32 v14, v37, v189
	;; [unrolled: 2-line block ×4, first 2 shown]
	v_fma_f32 v14, v33, v185, -v14
	v_dual_mul_f32 v32, v65, v189 :: v_dual_add_f32 v127, v127, v8
	v_dual_mul_f32 v33, v66, v190 :: v_dual_mul_f32 v34, v91, v187
	s_delay_alu instid0(VALU_DEP_3)
	v_dual_add_f32 v101, v101, v14 :: v_dual_mul_f32 v36, v102, v189
	v_add_f32_e32 v103, v103, v7
	v_mul_f32_e32 v37, v70, v190
	v_fma_f32 v16, v39, v183, -v16
	v_fma_f32 v30, v55, v185, -v30
	v_fma_f32 v31, v60, v184, -v31
	v_fma_f32 v32, v61, v185, -v32
	v_fma_f32 v33, v62, v186, -v33
	v_fma_f32 v34, v67, v183, -v34
	v_fma_f32 v36, v69, v185, -v36
	v_fma_f32 v37, v90, v186, -v37
	v_add_f32_e32 v118, v118, v13
	v_dual_add_f32 v108, v108, v6 :: v_dual_add_f32 v83, v83, v27
	v_dual_add_f32 v104, v104, v1 :: v_dual_add_f32 v85, v85, v30
	;; [unrolled: 1-line block ×5, first 2 shown]
	v_add_f32_e32 v84, v84, v26
	v_add_f32_e32 v82, v82, v31
	v_add_f32_e32 v80, v80, v33
	v_add_f32_e32 v78, v78, v35
	v_add_f32_e32 v76, v76, v37
	v_add_f32_e32 v72, v72, v12
	s_cbranch_scc1 .LBB173_8
; %bb.9:                                ;   in Loop: Header=BB173_5 Depth=1
	s_add_co_i32 s10, s10, 1
	s_delay_alu instid0(SALU_CYCLE_1)
	s_cmp_eq_u32 s10, s15
	s_barrier_signal -1
	s_barrier_wait -1
	global_inv scope:SCOPE_SE
	s_cbranch_scc0 .LBB173_5
; %bb.10:
	s_clause 0x2
	scratch_load_b32 v1, off, off offset:84 th:TH_LOAD_LU
	scratch_load_b32 v2, off, off offset:204 th:TH_LOAD_LU
	scratch_load_b32 v3, off, off offset:208
.LBB173_11:
	s_mov_b32 s0, exec_lo
	s_wait_loadcnt 0x0
	v_cmpx_gt_u32_e64 s4, v3
	s_cbranch_execz .LBB173_62
; %bb.12:
	v_add_nc_u32_e32 v0, s14, v2
	v_mul_lo_u32 v5, v3, s6
	s_delay_alu instid0(VALU_DEP_2)
	v_cmp_gt_u32_e32 vcc_lo, s6, v0
	s_and_saveexec_b32 s1, vcc_lo
	s_cbranch_execz .LBB173_14
; %bb.13:
	v_bfe_u32 v3, v100, 16, 1
	s_delay_alu instid0(VALU_DEP_3) | instskip(SKIP_1) | instid1(VALU_DEP_3)
	v_add_nc_u32_e32 v2, v0, v5
	v_cmp_o_f32_e64 s0, v100, v100
	v_add3_u32 v4, v100, v3, 0x7fff
	v_mov_b32_e32 v3, 0
	s_delay_alu instid0(VALU_DEP_2) | instskip(NEXT) | instid1(VALU_DEP_2)
	v_lshrrev_b32_e32 v4, 16, v4
	v_lshlrev_b64_e32 v[2:3], 1, v[2:3]
	s_delay_alu instid0(VALU_DEP_2) | instskip(SKIP_1) | instid1(VALU_DEP_2)
	v_cndmask_b32_e64 v4, 0x7fc0, v4, s0
	s_wait_kmcnt 0x0
	v_add_co_u32 v2, s0, s8, v2
	s_wait_alu 0xf1ff
	s_delay_alu instid0(VALU_DEP_3)
	v_add_co_ci_u32_e64 v3, null, s9, v3, s0
	global_store_b16 v[2:3], v4, off
.LBB173_14:
	s_or_b32 exec_lo, exec_lo, s1
	v_add_nc_u32_e32 v2, 32, v0
	s_delay_alu instid0(VALU_DEP_1)
	v_cmp_gt_u32_e64 s0, s6, v2
	s_and_saveexec_b32 s2, s0
	s_cbranch_execz .LBB173_16
; %bb.15:
	v_bfe_u32 v4, v127, 16, 1
	v_add_nc_u32_e32 v3, v2, v5
	v_cmp_o_f32_e64 s1, v127, v127
	s_delay_alu instid0(VALU_DEP_3) | instskip(SKIP_1) | instid1(VALU_DEP_2)
	v_add3_u32 v6, v127, v4, 0x7fff
	v_mov_b32_e32 v4, 0
	v_lshrrev_b32_e32 v6, 16, v6
	s_delay_alu instid0(VALU_DEP_2) | instskip(SKIP_1) | instid1(VALU_DEP_2)
	v_lshlrev_b64_e32 v[3:4], 1, v[3:4]
	s_wait_alu 0xf1ff
	v_cndmask_b32_e64 v6, 0x7fc0, v6, s1
	s_wait_kmcnt 0x0
	s_delay_alu instid0(VALU_DEP_2)
	v_add_co_u32 v3, s1, s8, v3
	s_wait_alu 0xf1ff
	v_add_co_ci_u32_e64 v4, null, s9, v4, s1
	global_store_b16 v[3:4], v6, off
.LBB173_16:
	s_wait_alu 0xfffe
	s_or_b32 exec_lo, exec_lo, s2
	v_add_nc_u32_e32 v3, 64, v0
	s_delay_alu instid0(VALU_DEP_1)
	v_cmp_gt_u32_e64 s1, s6, v3
	s_and_saveexec_b32 s3, s1
	s_cbranch_execz .LBB173_18
; %bb.17:
	v_bfe_u32 v4, v118, 16, 1
	v_dual_mov_b32 v7, 0 :: v_dual_add_nc_u32 v6, v3, v5
	v_cmp_o_f32_e64 s2, v118, v118
	s_delay_alu instid0(VALU_DEP_3) | instskip(NEXT) | instid1(VALU_DEP_3)
	v_add3_u32 v4, v118, v4, 0x7fff
	v_lshlrev_b64_e32 v[6:7], 1, v[6:7]
	s_delay_alu instid0(VALU_DEP_2) | instskip(SKIP_1) | instid1(VALU_DEP_1)
	v_lshrrev_b32_e32 v4, 16, v4
	s_wait_alu 0xf1ff
	v_cndmask_b32_e64 v4, 0x7fc0, v4, s2
	s_wait_kmcnt 0x0
	s_delay_alu instid0(VALU_DEP_3)
	v_add_co_u32 v6, s2, s8, v6
	s_wait_alu 0xf1ff
	v_add_co_ci_u32_e64 v7, null, s9, v7, s2
	global_store_b16 v[6:7], v4, off
.LBB173_18:
	s_wait_alu 0xfffe
	s_or_b32 exec_lo, exec_lo, s3
	v_add_nc_u32_e32 v4, 0x60, v0
	s_delay_alu instid0(VALU_DEP_1)
	v_cmp_gt_u32_e64 s2, s6, v4
	s_and_saveexec_b32 s5, s2
	s_cbranch_execz .LBB173_20
; %bb.19:
	v_bfe_u32 v6, v108, 16, 1
	v_add_nc_u32_e32 v5, v4, v5
	v_cmp_o_f32_e64 s3, v108, v108
	s_delay_alu instid0(VALU_DEP_3) | instskip(SKIP_1) | instid1(VALU_DEP_2)
	v_add3_u32 v7, v108, v6, 0x7fff
	v_mov_b32_e32 v6, 0
	v_lshrrev_b32_e32 v7, 16, v7
	s_delay_alu instid0(VALU_DEP_2) | instskip(SKIP_1) | instid1(VALU_DEP_2)
	v_lshlrev_b64_e32 v[5:6], 1, v[5:6]
	s_wait_alu 0xf1ff
	v_cndmask_b32_e64 v7, 0x7fc0, v7, s3
	s_wait_kmcnt 0x0
	s_delay_alu instid0(VALU_DEP_2)
	v_add_co_u32 v5, s3, s8, v5
	s_wait_alu 0xf1ff
	v_add_co_ci_u32_e64 v6, null, s9, v6, s3
	global_store_b16 v[5:6], v7, off
.LBB173_20:
	s_wait_alu 0xfffe
	s_or_b32 exec_lo, exec_lo, s5
	v_add3_u32 v5, v1, s7, 8
	s_delay_alu instid0(VALU_DEP_1)
	v_cmp_gt_u32_e64 s3, s4, v5
	s_and_b32 exec_lo, exec_lo, s3
	s_cbranch_execz .LBB173_62
; %bb.21:
	v_mul_lo_u32 v5, v5, s6
	s_and_saveexec_b32 s5, vcc_lo
	s_cbranch_execnz .LBB173_63
; %bb.22:
	s_wait_alu 0xfffe
	s_or_b32 exec_lo, exec_lo, s5
	s_and_saveexec_b32 s5, s0
	s_cbranch_execnz .LBB173_64
.LBB173_23:
	s_wait_alu 0xfffe
	s_or_b32 exec_lo, exec_lo, s5
	s_and_saveexec_b32 s5, s1
	s_cbranch_execnz .LBB173_65
.LBB173_24:
	s_wait_alu 0xfffe
	s_or_b32 exec_lo, exec_lo, s5
	s_and_saveexec_b32 s5, s2
	s_cbranch_execz .LBB173_26
.LBB173_25:
	v_bfe_u32 v6, v99, 16, 1
	v_add_nc_u32_e32 v5, v5, v4
	v_cmp_o_f32_e64 s3, v99, v99
	s_delay_alu instid0(VALU_DEP_3) | instskip(SKIP_1) | instid1(VALU_DEP_2)
	v_add3_u32 v7, v99, v6, 0x7fff
	v_mov_b32_e32 v6, 0
	v_lshrrev_b32_e32 v7, 16, v7
	s_delay_alu instid0(VALU_DEP_2) | instskip(SKIP_1) | instid1(VALU_DEP_2)
	v_lshlrev_b64_e32 v[5:6], 1, v[5:6]
	s_wait_alu 0xf1ff
	v_cndmask_b32_e64 v7, 0x7fc0, v7, s3
	s_wait_kmcnt 0x0
	s_delay_alu instid0(VALU_DEP_2)
	v_add_co_u32 v5, s3, s8, v5
	s_wait_alu 0xf1ff
	v_add_co_ci_u32_e64 v6, null, s9, v6, s3
	global_store_b16 v[5:6], v7, off
.LBB173_26:
	s_wait_alu 0xfffe
	s_or_b32 exec_lo, exec_lo, s5
	v_add3_u32 v5, v1, s7, 16
	s_delay_alu instid0(VALU_DEP_1)
	v_cmp_gt_u32_e64 s3, s4, v5
	s_and_b32 exec_lo, exec_lo, s3
	s_cbranch_execz .LBB173_62
; %bb.27:
	v_mul_lo_u32 v5, v5, s6
	s_and_saveexec_b32 s5, vcc_lo
	s_cbranch_execnz .LBB173_66
; %bb.28:
	s_wait_alu 0xfffe
	s_or_b32 exec_lo, exec_lo, s5
	s_and_saveexec_b32 s5, s0
	s_cbranch_execnz .LBB173_67
.LBB173_29:
	s_wait_alu 0xfffe
	s_or_b32 exec_lo, exec_lo, s5
	s_and_saveexec_b32 s5, s1
	s_cbranch_execnz .LBB173_68
.LBB173_30:
	s_wait_alu 0xfffe
	s_or_b32 exec_lo, exec_lo, s5
	s_and_saveexec_b32 s5, s2
	s_cbranch_execz .LBB173_32
.LBB173_31:
	v_bfe_u32 v6, v94, 16, 1
	v_add_nc_u32_e32 v5, v5, v4
	v_cmp_o_f32_e64 s3, v94, v94
	s_delay_alu instid0(VALU_DEP_3) | instskip(SKIP_1) | instid1(VALU_DEP_2)
	v_add3_u32 v7, v94, v6, 0x7fff
	v_mov_b32_e32 v6, 0
	v_lshrrev_b32_e32 v7, 16, v7
	s_delay_alu instid0(VALU_DEP_2) | instskip(SKIP_1) | instid1(VALU_DEP_2)
	v_lshlrev_b64_e32 v[5:6], 1, v[5:6]
	s_wait_alu 0xf1ff
	v_cndmask_b32_e64 v7, 0x7fc0, v7, s3
	s_wait_kmcnt 0x0
	s_delay_alu instid0(VALU_DEP_2)
	v_add_co_u32 v5, s3, s8, v5
	s_wait_alu 0xf1ff
	v_add_co_ci_u32_e64 v6, null, s9, v6, s3
	global_store_b16 v[5:6], v7, off
.LBB173_32:
	s_wait_alu 0xfffe
	s_or_b32 exec_lo, exec_lo, s5
	v_add3_u32 v5, v1, s7, 24
	s_delay_alu instid0(VALU_DEP_1)
	v_cmp_gt_u32_e64 s3, s4, v5
	s_and_b32 exec_lo, exec_lo, s3
	s_cbranch_execz .LBB173_62
; %bb.33:
	v_mul_lo_u32 v5, v5, s6
	s_and_saveexec_b32 s5, vcc_lo
	s_cbranch_execnz .LBB173_69
; %bb.34:
	s_wait_alu 0xfffe
	s_or_b32 exec_lo, exec_lo, s5
	s_and_saveexec_b32 s5, s0
	s_cbranch_execnz .LBB173_70
.LBB173_35:
	s_wait_alu 0xfffe
	s_or_b32 exec_lo, exec_lo, s5
	s_and_saveexec_b32 s5, s1
	s_cbranch_execnz .LBB173_71
.LBB173_36:
	s_wait_alu 0xfffe
	s_or_b32 exec_lo, exec_lo, s5
	s_and_saveexec_b32 s5, s2
	s_cbranch_execz .LBB173_38
.LBB173_37:
	v_bfe_u32 v6, v88, 16, 1
	v_add_nc_u32_e32 v5, v5, v4
	v_cmp_o_f32_e64 s3, v88, v88
	s_delay_alu instid0(VALU_DEP_3) | instskip(SKIP_1) | instid1(VALU_DEP_2)
	v_add3_u32 v7, v88, v6, 0x7fff
	v_mov_b32_e32 v6, 0
	v_lshrrev_b32_e32 v7, 16, v7
	s_delay_alu instid0(VALU_DEP_2) | instskip(SKIP_1) | instid1(VALU_DEP_2)
	v_lshlrev_b64_e32 v[5:6], 1, v[5:6]
	s_wait_alu 0xf1ff
	v_cndmask_b32_e64 v7, 0x7fc0, v7, s3
	s_wait_kmcnt 0x0
	s_delay_alu instid0(VALU_DEP_2)
	v_add_co_u32 v5, s3, s8, v5
	s_wait_alu 0xf1ff
	v_add_co_ci_u32_e64 v6, null, s9, v6, s3
	global_store_b16 v[5:6], v7, off
.LBB173_38:
	s_wait_alu 0xfffe
	s_or_b32 exec_lo, exec_lo, s5
	v_add3_u32 v5, v1, s7, 32
	s_delay_alu instid0(VALU_DEP_1)
	v_cmp_gt_u32_e64 s3, s4, v5
	s_and_b32 exec_lo, exec_lo, s3
	s_cbranch_execz .LBB173_62
; %bb.39:
	v_mul_lo_u32 v5, v5, s6
	s_and_saveexec_b32 s5, vcc_lo
	s_cbranch_execnz .LBB173_72
; %bb.40:
	s_wait_alu 0xfffe
	s_or_b32 exec_lo, exec_lo, s5
	s_and_saveexec_b32 s5, s0
	s_cbranch_execnz .LBB173_73
.LBB173_41:
	s_wait_alu 0xfffe
	s_or_b32 exec_lo, exec_lo, s5
	s_and_saveexec_b32 s5, s1
	s_cbranch_execnz .LBB173_74
.LBB173_42:
	s_wait_alu 0xfffe
	s_or_b32 exec_lo, exec_lo, s5
	s_and_saveexec_b32 s5, s2
	s_cbranch_execz .LBB173_44
.LBB173_43:
	v_bfe_u32 v6, v84, 16, 1
	v_add_nc_u32_e32 v5, v5, v4
	v_cmp_o_f32_e64 s3, v84, v84
	s_delay_alu instid0(VALU_DEP_3) | instskip(SKIP_1) | instid1(VALU_DEP_2)
	v_add3_u32 v7, v84, v6, 0x7fff
	v_mov_b32_e32 v6, 0
	v_lshrrev_b32_e32 v7, 16, v7
	s_delay_alu instid0(VALU_DEP_2) | instskip(SKIP_1) | instid1(VALU_DEP_2)
	v_lshlrev_b64_e32 v[5:6], 1, v[5:6]
	s_wait_alu 0xf1ff
	v_cndmask_b32_e64 v7, 0x7fc0, v7, s3
	s_wait_kmcnt 0x0
	s_delay_alu instid0(VALU_DEP_2)
	v_add_co_u32 v5, s3, s8, v5
	s_wait_alu 0xf1ff
	v_add_co_ci_u32_e64 v6, null, s9, v6, s3
	global_store_b16 v[5:6], v7, off
.LBB173_44:
	s_wait_alu 0xfffe
	s_or_b32 exec_lo, exec_lo, s5
	v_add3_u32 v5, v1, s7, 40
	s_delay_alu instid0(VALU_DEP_1)
	v_cmp_gt_u32_e64 s3, s4, v5
	s_and_b32 exec_lo, exec_lo, s3
	s_cbranch_execz .LBB173_62
; %bb.45:
	v_mul_lo_u32 v5, v5, s6
	s_and_saveexec_b32 s5, vcc_lo
	s_cbranch_execnz .LBB173_75
; %bb.46:
	s_wait_alu 0xfffe
	s_or_b32 exec_lo, exec_lo, s5
	s_and_saveexec_b32 s5, s0
	s_cbranch_execnz .LBB173_76
.LBB173_47:
	s_wait_alu 0xfffe
	s_or_b32 exec_lo, exec_lo, s5
	s_and_saveexec_b32 s5, s1
	s_cbranch_execnz .LBB173_77
.LBB173_48:
	s_wait_alu 0xfffe
	s_or_b32 exec_lo, exec_lo, s5
	s_and_saveexec_b32 s5, s2
	s_cbranch_execz .LBB173_50
.LBB173_49:
	v_bfe_u32 v6, v80, 16, 1
	v_add_nc_u32_e32 v5, v5, v4
	v_cmp_o_f32_e64 s3, v80, v80
	s_delay_alu instid0(VALU_DEP_3) | instskip(SKIP_1) | instid1(VALU_DEP_2)
	v_add3_u32 v7, v80, v6, 0x7fff
	v_mov_b32_e32 v6, 0
	v_lshrrev_b32_e32 v7, 16, v7
	s_delay_alu instid0(VALU_DEP_2) | instskip(SKIP_1) | instid1(VALU_DEP_2)
	v_lshlrev_b64_e32 v[5:6], 1, v[5:6]
	s_wait_alu 0xf1ff
	v_cndmask_b32_e64 v7, 0x7fc0, v7, s3
	s_wait_kmcnt 0x0
	s_delay_alu instid0(VALU_DEP_2)
	v_add_co_u32 v5, s3, s8, v5
	s_wait_alu 0xf1ff
	v_add_co_ci_u32_e64 v6, null, s9, v6, s3
	global_store_b16 v[5:6], v7, off
.LBB173_50:
	s_wait_alu 0xfffe
	s_or_b32 exec_lo, exec_lo, s5
	v_add3_u32 v5, v1, s7, 48
	s_delay_alu instid0(VALU_DEP_1)
	v_cmp_gt_u32_e64 s3, s4, v5
	s_and_b32 exec_lo, exec_lo, s3
	s_cbranch_execz .LBB173_62
; %bb.51:
	v_mul_lo_u32 v5, v5, s6
	s_and_saveexec_b32 s5, vcc_lo
	s_cbranch_execnz .LBB173_78
; %bb.52:
	s_wait_alu 0xfffe
	s_or_b32 exec_lo, exec_lo, s5
	s_and_saveexec_b32 s5, s0
	s_cbranch_execnz .LBB173_79
.LBB173_53:
	s_wait_alu 0xfffe
	s_or_b32 exec_lo, exec_lo, s5
	s_and_saveexec_b32 s5, s1
	s_cbranch_execnz .LBB173_80
.LBB173_54:
	s_wait_alu 0xfffe
	s_or_b32 exec_lo, exec_lo, s5
	s_and_saveexec_b32 s5, s2
	s_cbranch_execz .LBB173_56
.LBB173_55:
	v_bfe_u32 v6, v76, 16, 1
	v_add_nc_u32_e32 v5, v5, v4
	v_cmp_o_f32_e64 s3, v76, v76
	s_delay_alu instid0(VALU_DEP_3) | instskip(SKIP_1) | instid1(VALU_DEP_2)
	v_add3_u32 v7, v76, v6, 0x7fff
	v_mov_b32_e32 v6, 0
	v_lshrrev_b32_e32 v7, 16, v7
	s_delay_alu instid0(VALU_DEP_2) | instskip(SKIP_1) | instid1(VALU_DEP_2)
	v_lshlrev_b64_e32 v[5:6], 1, v[5:6]
	s_wait_alu 0xf1ff
	v_cndmask_b32_e64 v7, 0x7fc0, v7, s3
	s_wait_kmcnt 0x0
	s_delay_alu instid0(VALU_DEP_2)
	v_add_co_u32 v5, s3, s8, v5
	s_wait_alu 0xf1ff
	v_add_co_ci_u32_e64 v6, null, s9, v6, s3
	global_store_b16 v[5:6], v7, off
.LBB173_56:
	s_wait_alu 0xfffe
	s_or_b32 exec_lo, exec_lo, s5
	v_add3_u32 v1, v1, s7, 56
	s_delay_alu instid0(VALU_DEP_1)
	v_cmp_gt_u32_e64 s3, s4, v1
	s_and_b32 exec_lo, exec_lo, s3
	s_cbranch_execz .LBB173_62
; %bb.57:
	v_mul_lo_u32 v1, v1, s6
	s_and_saveexec_b32 s3, vcc_lo
	s_cbranch_execnz .LBB173_81
; %bb.58:
	s_wait_alu 0xfffe
	s_or_b32 exec_lo, exec_lo, s3
	s_and_saveexec_b32 s3, s0
	s_cbranch_execnz .LBB173_82
.LBB173_59:
	s_wait_alu 0xfffe
	s_or_b32 exec_lo, exec_lo, s3
	s_and_saveexec_b32 s0, s1
	s_cbranch_execnz .LBB173_83
.LBB173_60:
	s_wait_alu 0xfffe
	s_or_b32 exec_lo, exec_lo, s0
	s_delay_alu instid0(SALU_CYCLE_1)
	s_and_b32 exec_lo, exec_lo, s2
	s_cbranch_execz .LBB173_62
.LBB173_61:
	v_bfe_u32 v2, v72, 16, 1
	v_dual_mov_b32 v1, 0 :: v_dual_add_nc_u32 v0, v1, v4
	v_cmp_o_f32_e32 vcc_lo, v72, v72
	s_delay_alu instid0(VALU_DEP_3) | instskip(NEXT) | instid1(VALU_DEP_3)
	v_add3_u32 v2, v72, v2, 0x7fff
	v_lshlrev_b64_e32 v[0:1], 1, v[0:1]
	s_delay_alu instid0(VALU_DEP_2) | instskip(SKIP_1) | instid1(VALU_DEP_1)
	v_lshrrev_b32_e32 v2, 16, v2
	s_wait_alu 0xfffd
	v_cndmask_b32_e32 v2, 0x7fc0, v2, vcc_lo
	s_wait_kmcnt 0x0
	s_delay_alu instid0(VALU_DEP_3)
	v_add_co_u32 v0, vcc_lo, s8, v0
	s_wait_alu 0xfffd
	v_add_co_ci_u32_e64 v1, null, s9, v1, vcc_lo
	global_store_b16 v[0:1], v2, off
.LBB173_62:
	s_nop 0
	s_sendmsg sendmsg(MSG_DEALLOC_VGPRS)
	s_endpgm
.LBB173_63:
	v_bfe_u32 v7, v104, 16, 1
	s_delay_alu instid0(VALU_DEP_2) | instskip(SKIP_1) | instid1(VALU_DEP_3)
	v_add_nc_u32_e32 v6, v5, v0
	v_cmp_o_f32_e64 s3, v104, v104
	v_add3_u32 v8, v104, v7, 0x7fff
	v_mov_b32_e32 v7, 0
	s_delay_alu instid0(VALU_DEP_2) | instskip(NEXT) | instid1(VALU_DEP_2)
	v_lshrrev_b32_e32 v8, 16, v8
	v_lshlrev_b64_e32 v[6:7], 1, v[6:7]
	s_wait_alu 0xf1ff
	s_delay_alu instid0(VALU_DEP_2) | instskip(SKIP_1) | instid1(VALU_DEP_2)
	v_cndmask_b32_e64 v8, 0x7fc0, v8, s3
	s_wait_kmcnt 0x0
	v_add_co_u32 v6, s3, s8, v6
	s_wait_alu 0xf1ff
	v_add_co_ci_u32_e64 v7, null, s9, v7, s3
	global_store_b16 v[6:7], v8, off
	s_wait_alu 0xfffe
	s_or_b32 exec_lo, exec_lo, s5
	s_and_saveexec_b32 s5, s0
	s_cbranch_execz .LBB173_23
.LBB173_64:
	v_bfe_u32 v7, v103, 16, 1
	v_add_nc_u32_e32 v6, v5, v2
	v_cmp_o_f32_e64 s3, v103, v103
	s_delay_alu instid0(VALU_DEP_3) | instskip(SKIP_1) | instid1(VALU_DEP_2)
	v_add3_u32 v8, v103, v7, 0x7fff
	v_mov_b32_e32 v7, 0
	v_lshrrev_b32_e32 v8, 16, v8
	s_delay_alu instid0(VALU_DEP_2) | instskip(SKIP_1) | instid1(VALU_DEP_2)
	v_lshlrev_b64_e32 v[6:7], 1, v[6:7]
	s_wait_alu 0xf1ff
	v_cndmask_b32_e64 v8, 0x7fc0, v8, s3
	s_wait_kmcnt 0x0
	s_delay_alu instid0(VALU_DEP_2)
	v_add_co_u32 v6, s3, s8, v6
	s_wait_alu 0xf1ff
	v_add_co_ci_u32_e64 v7, null, s9, v7, s3
	global_store_b16 v[6:7], v8, off
	s_wait_alu 0xfffe
	s_or_b32 exec_lo, exec_lo, s5
	s_and_saveexec_b32 s5, s1
	s_cbranch_execz .LBB173_24
.LBB173_65:
	v_bfe_u32 v7, v101, 16, 1
	v_add_nc_u32_e32 v6, v5, v3
	v_cmp_o_f32_e64 s3, v101, v101
	s_delay_alu instid0(VALU_DEP_3) | instskip(SKIP_1) | instid1(VALU_DEP_2)
	v_add3_u32 v8, v101, v7, 0x7fff
	v_mov_b32_e32 v7, 0
	v_lshrrev_b32_e32 v8, 16, v8
	s_delay_alu instid0(VALU_DEP_2) | instskip(SKIP_1) | instid1(VALU_DEP_2)
	v_lshlrev_b64_e32 v[6:7], 1, v[6:7]
	s_wait_alu 0xf1ff
	v_cndmask_b32_e64 v8, 0x7fc0, v8, s3
	s_wait_kmcnt 0x0
	s_delay_alu instid0(VALU_DEP_2)
	v_add_co_u32 v6, s3, s8, v6
	s_wait_alu 0xf1ff
	v_add_co_ci_u32_e64 v7, null, s9, v7, s3
	global_store_b16 v[6:7], v8, off
	s_wait_alu 0xfffe
	s_or_b32 exec_lo, exec_lo, s5
	s_and_saveexec_b32 s5, s2
	s_cbranch_execnz .LBB173_25
	s_branch .LBB173_26
.LBB173_66:
	v_bfe_u32 v7, v98, 16, 1
	s_delay_alu instid0(VALU_DEP_2) | instskip(SKIP_1) | instid1(VALU_DEP_3)
	v_add_nc_u32_e32 v6, v5, v0
	v_cmp_o_f32_e64 s3, v98, v98
	v_add3_u32 v8, v98, v7, 0x7fff
	v_mov_b32_e32 v7, 0
	s_delay_alu instid0(VALU_DEP_2) | instskip(NEXT) | instid1(VALU_DEP_2)
	v_lshrrev_b32_e32 v8, 16, v8
	v_lshlrev_b64_e32 v[6:7], 1, v[6:7]
	s_wait_alu 0xf1ff
	s_delay_alu instid0(VALU_DEP_2) | instskip(SKIP_1) | instid1(VALU_DEP_2)
	v_cndmask_b32_e64 v8, 0x7fc0, v8, s3
	s_wait_kmcnt 0x0
	v_add_co_u32 v6, s3, s8, v6
	s_wait_alu 0xf1ff
	v_add_co_ci_u32_e64 v7, null, s9, v7, s3
	global_store_b16 v[6:7], v8, off
	s_wait_alu 0xfffe
	s_or_b32 exec_lo, exec_lo, s5
	s_and_saveexec_b32 s5, s0
	s_cbranch_execz .LBB173_29
.LBB173_67:
	v_bfe_u32 v7, v97, 16, 1
	v_add_nc_u32_e32 v6, v5, v2
	v_cmp_o_f32_e64 s3, v97, v97
	s_delay_alu instid0(VALU_DEP_3) | instskip(SKIP_1) | instid1(VALU_DEP_2)
	v_add3_u32 v8, v97, v7, 0x7fff
	v_mov_b32_e32 v7, 0
	v_lshrrev_b32_e32 v8, 16, v8
	s_delay_alu instid0(VALU_DEP_2) | instskip(SKIP_1) | instid1(VALU_DEP_2)
	v_lshlrev_b64_e32 v[6:7], 1, v[6:7]
	s_wait_alu 0xf1ff
	v_cndmask_b32_e64 v8, 0x7fc0, v8, s3
	s_wait_kmcnt 0x0
	s_delay_alu instid0(VALU_DEP_2)
	v_add_co_u32 v6, s3, s8, v6
	s_wait_alu 0xf1ff
	v_add_co_ci_u32_e64 v7, null, s9, v7, s3
	global_store_b16 v[6:7], v8, off
	s_wait_alu 0xfffe
	s_or_b32 exec_lo, exec_lo, s5
	s_and_saveexec_b32 s5, s1
	s_cbranch_execz .LBB173_30
.LBB173_68:
	v_bfe_u32 v7, v96, 16, 1
	v_add_nc_u32_e32 v6, v5, v3
	v_cmp_o_f32_e64 s3, v96, v96
	s_delay_alu instid0(VALU_DEP_3) | instskip(SKIP_1) | instid1(VALU_DEP_2)
	v_add3_u32 v8, v96, v7, 0x7fff
	v_mov_b32_e32 v7, 0
	v_lshrrev_b32_e32 v8, 16, v8
	s_delay_alu instid0(VALU_DEP_2) | instskip(SKIP_1) | instid1(VALU_DEP_2)
	v_lshlrev_b64_e32 v[6:7], 1, v[6:7]
	s_wait_alu 0xf1ff
	v_cndmask_b32_e64 v8, 0x7fc0, v8, s3
	s_wait_kmcnt 0x0
	s_delay_alu instid0(VALU_DEP_2)
	v_add_co_u32 v6, s3, s8, v6
	s_wait_alu 0xf1ff
	v_add_co_ci_u32_e64 v7, null, s9, v7, s3
	global_store_b16 v[6:7], v8, off
	s_wait_alu 0xfffe
	s_or_b32 exec_lo, exec_lo, s5
	s_and_saveexec_b32 s5, s2
	s_cbranch_execnz .LBB173_31
	s_branch .LBB173_32
.LBB173_69:
	v_bfe_u32 v7, v93, 16, 1
	s_delay_alu instid0(VALU_DEP_2) | instskip(SKIP_1) | instid1(VALU_DEP_3)
	v_add_nc_u32_e32 v6, v5, v0
	v_cmp_o_f32_e64 s3, v93, v93
	v_add3_u32 v8, v93, v7, 0x7fff
	v_mov_b32_e32 v7, 0
	s_delay_alu instid0(VALU_DEP_2) | instskip(NEXT) | instid1(VALU_DEP_2)
	v_lshrrev_b32_e32 v8, 16, v8
	v_lshlrev_b64_e32 v[6:7], 1, v[6:7]
	s_wait_alu 0xf1ff
	s_delay_alu instid0(VALU_DEP_2) | instskip(SKIP_1) | instid1(VALU_DEP_2)
	v_cndmask_b32_e64 v8, 0x7fc0, v8, s3
	s_wait_kmcnt 0x0
	v_add_co_u32 v6, s3, s8, v6
	s_wait_alu 0xf1ff
	v_add_co_ci_u32_e64 v7, null, s9, v7, s3
	global_store_b16 v[6:7], v8, off
	s_wait_alu 0xfffe
	s_or_b32 exec_lo, exec_lo, s5
	s_and_saveexec_b32 s5, s0
	s_cbranch_execz .LBB173_35
.LBB173_70:
	v_bfe_u32 v7, v92, 16, 1
	v_add_nc_u32_e32 v6, v5, v2
	v_cmp_o_f32_e64 s3, v92, v92
	s_delay_alu instid0(VALU_DEP_3) | instskip(SKIP_1) | instid1(VALU_DEP_2)
	v_add3_u32 v8, v92, v7, 0x7fff
	v_mov_b32_e32 v7, 0
	v_lshrrev_b32_e32 v8, 16, v8
	s_delay_alu instid0(VALU_DEP_2) | instskip(SKIP_1) | instid1(VALU_DEP_2)
	v_lshlrev_b64_e32 v[6:7], 1, v[6:7]
	s_wait_alu 0xf1ff
	v_cndmask_b32_e64 v8, 0x7fc0, v8, s3
	s_wait_kmcnt 0x0
	s_delay_alu instid0(VALU_DEP_2)
	v_add_co_u32 v6, s3, s8, v6
	s_wait_alu 0xf1ff
	v_add_co_ci_u32_e64 v7, null, s9, v7, s3
	global_store_b16 v[6:7], v8, off
	s_wait_alu 0xfffe
	s_or_b32 exec_lo, exec_lo, s5
	s_and_saveexec_b32 s5, s1
	s_cbranch_execz .LBB173_36
.LBB173_71:
	v_bfe_u32 v7, v89, 16, 1
	v_add_nc_u32_e32 v6, v5, v3
	v_cmp_o_f32_e64 s3, v89, v89
	s_delay_alu instid0(VALU_DEP_3) | instskip(SKIP_1) | instid1(VALU_DEP_2)
	v_add3_u32 v8, v89, v7, 0x7fff
	v_mov_b32_e32 v7, 0
	v_lshrrev_b32_e32 v8, 16, v8
	s_delay_alu instid0(VALU_DEP_2) | instskip(SKIP_1) | instid1(VALU_DEP_2)
	v_lshlrev_b64_e32 v[6:7], 1, v[6:7]
	s_wait_alu 0xf1ff
	v_cndmask_b32_e64 v8, 0x7fc0, v8, s3
	s_wait_kmcnt 0x0
	s_delay_alu instid0(VALU_DEP_2)
	v_add_co_u32 v6, s3, s8, v6
	s_wait_alu 0xf1ff
	v_add_co_ci_u32_e64 v7, null, s9, v7, s3
	global_store_b16 v[6:7], v8, off
	s_wait_alu 0xfffe
	s_or_b32 exec_lo, exec_lo, s5
	s_and_saveexec_b32 s5, s2
	s_cbranch_execnz .LBB173_37
	s_branch .LBB173_38
.LBB173_72:
	v_bfe_u32 v7, v87, 16, 1
	s_delay_alu instid0(VALU_DEP_2) | instskip(SKIP_1) | instid1(VALU_DEP_3)
	v_add_nc_u32_e32 v6, v5, v0
	v_cmp_o_f32_e64 s3, v87, v87
	v_add3_u32 v8, v87, v7, 0x7fff
	v_mov_b32_e32 v7, 0
	s_delay_alu instid0(VALU_DEP_2) | instskip(NEXT) | instid1(VALU_DEP_2)
	v_lshrrev_b32_e32 v8, 16, v8
	v_lshlrev_b64_e32 v[6:7], 1, v[6:7]
	s_wait_alu 0xf1ff
	s_delay_alu instid0(VALU_DEP_2) | instskip(SKIP_1) | instid1(VALU_DEP_2)
	v_cndmask_b32_e64 v8, 0x7fc0, v8, s3
	s_wait_kmcnt 0x0
	v_add_co_u32 v6, s3, s8, v6
	s_wait_alu 0xf1ff
	v_add_co_ci_u32_e64 v7, null, s9, v7, s3
	global_store_b16 v[6:7], v8, off
	s_wait_alu 0xfffe
	s_or_b32 exec_lo, exec_lo, s5
	s_and_saveexec_b32 s5, s0
	s_cbranch_execz .LBB173_41
.LBB173_73:
	v_bfe_u32 v7, v86, 16, 1
	v_add_nc_u32_e32 v6, v5, v2
	v_cmp_o_f32_e64 s3, v86, v86
	s_delay_alu instid0(VALU_DEP_3) | instskip(SKIP_1) | instid1(VALU_DEP_2)
	v_add3_u32 v8, v86, v7, 0x7fff
	v_mov_b32_e32 v7, 0
	v_lshrrev_b32_e32 v8, 16, v8
	s_delay_alu instid0(VALU_DEP_2) | instskip(SKIP_1) | instid1(VALU_DEP_2)
	v_lshlrev_b64_e32 v[6:7], 1, v[6:7]
	s_wait_alu 0xf1ff
	v_cndmask_b32_e64 v8, 0x7fc0, v8, s3
	s_wait_kmcnt 0x0
	s_delay_alu instid0(VALU_DEP_2)
	v_add_co_u32 v6, s3, s8, v6
	s_wait_alu 0xf1ff
	v_add_co_ci_u32_e64 v7, null, s9, v7, s3
	global_store_b16 v[6:7], v8, off
	s_wait_alu 0xfffe
	s_or_b32 exec_lo, exec_lo, s5
	s_and_saveexec_b32 s5, s1
	s_cbranch_execz .LBB173_42
.LBB173_74:
	v_bfe_u32 v7, v85, 16, 1
	v_add_nc_u32_e32 v6, v5, v3
	v_cmp_o_f32_e64 s3, v85, v85
	s_delay_alu instid0(VALU_DEP_3) | instskip(SKIP_1) | instid1(VALU_DEP_2)
	v_add3_u32 v8, v85, v7, 0x7fff
	v_mov_b32_e32 v7, 0
	v_lshrrev_b32_e32 v8, 16, v8
	s_delay_alu instid0(VALU_DEP_2) | instskip(SKIP_1) | instid1(VALU_DEP_2)
	v_lshlrev_b64_e32 v[6:7], 1, v[6:7]
	s_wait_alu 0xf1ff
	v_cndmask_b32_e64 v8, 0x7fc0, v8, s3
	s_wait_kmcnt 0x0
	s_delay_alu instid0(VALU_DEP_2)
	v_add_co_u32 v6, s3, s8, v6
	s_wait_alu 0xf1ff
	v_add_co_ci_u32_e64 v7, null, s9, v7, s3
	global_store_b16 v[6:7], v8, off
	s_wait_alu 0xfffe
	s_or_b32 exec_lo, exec_lo, s5
	s_and_saveexec_b32 s5, s2
	s_cbranch_execnz .LBB173_43
	s_branch .LBB173_44
.LBB173_75:
	v_bfe_u32 v7, v83, 16, 1
	s_delay_alu instid0(VALU_DEP_2) | instskip(SKIP_1) | instid1(VALU_DEP_3)
	v_add_nc_u32_e32 v6, v5, v0
	v_cmp_o_f32_e64 s3, v83, v83
	v_add3_u32 v8, v83, v7, 0x7fff
	v_mov_b32_e32 v7, 0
	s_delay_alu instid0(VALU_DEP_2) | instskip(NEXT) | instid1(VALU_DEP_2)
	v_lshrrev_b32_e32 v8, 16, v8
	v_lshlrev_b64_e32 v[6:7], 1, v[6:7]
	s_wait_alu 0xf1ff
	s_delay_alu instid0(VALU_DEP_2) | instskip(SKIP_1) | instid1(VALU_DEP_2)
	v_cndmask_b32_e64 v8, 0x7fc0, v8, s3
	s_wait_kmcnt 0x0
	v_add_co_u32 v6, s3, s8, v6
	s_wait_alu 0xf1ff
	v_add_co_ci_u32_e64 v7, null, s9, v7, s3
	global_store_b16 v[6:7], v8, off
	s_wait_alu 0xfffe
	s_or_b32 exec_lo, exec_lo, s5
	s_and_saveexec_b32 s5, s0
	s_cbranch_execz .LBB173_47
.LBB173_76:
	v_bfe_u32 v7, v82, 16, 1
	v_add_nc_u32_e32 v6, v5, v2
	v_cmp_o_f32_e64 s3, v82, v82
	s_delay_alu instid0(VALU_DEP_3) | instskip(SKIP_1) | instid1(VALU_DEP_2)
	v_add3_u32 v8, v82, v7, 0x7fff
	v_mov_b32_e32 v7, 0
	v_lshrrev_b32_e32 v8, 16, v8
	s_delay_alu instid0(VALU_DEP_2) | instskip(SKIP_1) | instid1(VALU_DEP_2)
	v_lshlrev_b64_e32 v[6:7], 1, v[6:7]
	s_wait_alu 0xf1ff
	v_cndmask_b32_e64 v8, 0x7fc0, v8, s3
	s_wait_kmcnt 0x0
	s_delay_alu instid0(VALU_DEP_2)
	v_add_co_u32 v6, s3, s8, v6
	s_wait_alu 0xf1ff
	v_add_co_ci_u32_e64 v7, null, s9, v7, s3
	global_store_b16 v[6:7], v8, off
	s_wait_alu 0xfffe
	s_or_b32 exec_lo, exec_lo, s5
	s_and_saveexec_b32 s5, s1
	s_cbranch_execz .LBB173_48
.LBB173_77:
	v_bfe_u32 v7, v81, 16, 1
	v_add_nc_u32_e32 v6, v5, v3
	v_cmp_o_f32_e64 s3, v81, v81
	s_delay_alu instid0(VALU_DEP_3) | instskip(SKIP_1) | instid1(VALU_DEP_2)
	v_add3_u32 v8, v81, v7, 0x7fff
	v_mov_b32_e32 v7, 0
	v_lshrrev_b32_e32 v8, 16, v8
	s_delay_alu instid0(VALU_DEP_2) | instskip(SKIP_1) | instid1(VALU_DEP_2)
	v_lshlrev_b64_e32 v[6:7], 1, v[6:7]
	s_wait_alu 0xf1ff
	v_cndmask_b32_e64 v8, 0x7fc0, v8, s3
	s_wait_kmcnt 0x0
	s_delay_alu instid0(VALU_DEP_2)
	v_add_co_u32 v6, s3, s8, v6
	s_wait_alu 0xf1ff
	v_add_co_ci_u32_e64 v7, null, s9, v7, s3
	global_store_b16 v[6:7], v8, off
	s_wait_alu 0xfffe
	s_or_b32 exec_lo, exec_lo, s5
	s_and_saveexec_b32 s5, s2
	s_cbranch_execnz .LBB173_49
	s_branch .LBB173_50
.LBB173_78:
	v_bfe_u32 v7, v79, 16, 1
	s_delay_alu instid0(VALU_DEP_2) | instskip(SKIP_1) | instid1(VALU_DEP_3)
	v_add_nc_u32_e32 v6, v5, v0
	v_cmp_o_f32_e64 s3, v79, v79
	v_add3_u32 v8, v79, v7, 0x7fff
	v_mov_b32_e32 v7, 0
	s_delay_alu instid0(VALU_DEP_2) | instskip(NEXT) | instid1(VALU_DEP_2)
	v_lshrrev_b32_e32 v8, 16, v8
	v_lshlrev_b64_e32 v[6:7], 1, v[6:7]
	s_wait_alu 0xf1ff
	s_delay_alu instid0(VALU_DEP_2) | instskip(SKIP_1) | instid1(VALU_DEP_2)
	v_cndmask_b32_e64 v8, 0x7fc0, v8, s3
	s_wait_kmcnt 0x0
	v_add_co_u32 v6, s3, s8, v6
	s_wait_alu 0xf1ff
	v_add_co_ci_u32_e64 v7, null, s9, v7, s3
	global_store_b16 v[6:7], v8, off
	s_wait_alu 0xfffe
	s_or_b32 exec_lo, exec_lo, s5
	s_and_saveexec_b32 s5, s0
	s_cbranch_execz .LBB173_53
.LBB173_79:
	v_bfe_u32 v7, v78, 16, 1
	v_add_nc_u32_e32 v6, v5, v2
	v_cmp_o_f32_e64 s3, v78, v78
	s_delay_alu instid0(VALU_DEP_3) | instskip(SKIP_1) | instid1(VALU_DEP_2)
	v_add3_u32 v8, v78, v7, 0x7fff
	v_mov_b32_e32 v7, 0
	v_lshrrev_b32_e32 v8, 16, v8
	s_delay_alu instid0(VALU_DEP_2) | instskip(SKIP_1) | instid1(VALU_DEP_2)
	v_lshlrev_b64_e32 v[6:7], 1, v[6:7]
	s_wait_alu 0xf1ff
	v_cndmask_b32_e64 v8, 0x7fc0, v8, s3
	s_wait_kmcnt 0x0
	s_delay_alu instid0(VALU_DEP_2)
	v_add_co_u32 v6, s3, s8, v6
	s_wait_alu 0xf1ff
	v_add_co_ci_u32_e64 v7, null, s9, v7, s3
	global_store_b16 v[6:7], v8, off
	s_wait_alu 0xfffe
	s_or_b32 exec_lo, exec_lo, s5
	s_and_saveexec_b32 s5, s1
	s_cbranch_execz .LBB173_54
.LBB173_80:
	v_bfe_u32 v7, v77, 16, 1
	v_add_nc_u32_e32 v6, v5, v3
	v_cmp_o_f32_e64 s3, v77, v77
	s_delay_alu instid0(VALU_DEP_3) | instskip(SKIP_1) | instid1(VALU_DEP_2)
	v_add3_u32 v8, v77, v7, 0x7fff
	v_mov_b32_e32 v7, 0
	v_lshrrev_b32_e32 v8, 16, v8
	s_delay_alu instid0(VALU_DEP_2) | instskip(SKIP_1) | instid1(VALU_DEP_2)
	v_lshlrev_b64_e32 v[6:7], 1, v[6:7]
	s_wait_alu 0xf1ff
	v_cndmask_b32_e64 v8, 0x7fc0, v8, s3
	s_wait_kmcnt 0x0
	s_delay_alu instid0(VALU_DEP_2)
	v_add_co_u32 v6, s3, s8, v6
	s_wait_alu 0xf1ff
	v_add_co_ci_u32_e64 v7, null, s9, v7, s3
	global_store_b16 v[6:7], v8, off
	s_wait_alu 0xfffe
	s_or_b32 exec_lo, exec_lo, s5
	s_and_saveexec_b32 s5, s2
	s_cbranch_execnz .LBB173_55
	s_branch .LBB173_56
.LBB173_81:
	v_bfe_u32 v6, v75, 16, 1
	s_delay_alu instid0(VALU_DEP_2) | instskip(SKIP_1) | instid1(VALU_DEP_3)
	v_add_nc_u32_e32 v5, v1, v0
	v_cmp_o_f32_e32 vcc_lo, v75, v75
	v_add3_u32 v0, v75, v6, 0x7fff
	v_mov_b32_e32 v6, 0
	s_delay_alu instid0(VALU_DEP_2) | instskip(NEXT) | instid1(VALU_DEP_2)
	v_lshrrev_b32_e32 v0, 16, v0
	v_lshlrev_b64_e32 v[5:6], 1, v[5:6]
	s_wait_alu 0xfffd
	s_delay_alu instid0(VALU_DEP_2) | instskip(SKIP_1) | instid1(VALU_DEP_2)
	v_cndmask_b32_e32 v0, 0x7fc0, v0, vcc_lo
	s_wait_kmcnt 0x0
	v_add_co_u32 v5, vcc_lo, s8, v5
	s_wait_alu 0xfffd
	v_add_co_ci_u32_e64 v6, null, s9, v6, vcc_lo
	global_store_b16 v[5:6], v0, off
	s_wait_alu 0xfffe
	s_or_b32 exec_lo, exec_lo, s3
	s_and_saveexec_b32 s3, s0
	s_cbranch_execz .LBB173_59
.LBB173_82:
	v_bfe_u32 v0, v74, 16, 1
	v_dual_mov_b32 v6, 0 :: v_dual_add_nc_u32 v5, v1, v2
	v_cmp_o_f32_e32 vcc_lo, v74, v74
	s_delay_alu instid0(VALU_DEP_3) | instskip(NEXT) | instid1(VALU_DEP_3)
	v_add3_u32 v0, v74, v0, 0x7fff
	v_lshlrev_b64_e32 v[5:6], 1, v[5:6]
	s_delay_alu instid0(VALU_DEP_2) | instskip(SKIP_1) | instid1(VALU_DEP_1)
	v_lshrrev_b32_e32 v0, 16, v0
	s_wait_alu 0xfffd
	v_cndmask_b32_e32 v0, 0x7fc0, v0, vcc_lo
	s_wait_kmcnt 0x0
	s_delay_alu instid0(VALU_DEP_3)
	v_add_co_u32 v5, vcc_lo, s8, v5
	s_wait_alu 0xfffd
	v_add_co_ci_u32_e64 v6, null, s9, v6, vcc_lo
	global_store_b16 v[5:6], v0, off
	s_wait_alu 0xfffe
	s_or_b32 exec_lo, exec_lo, s3
	s_and_saveexec_b32 s0, s1
	s_cbranch_execz .LBB173_60
.LBB173_83:
	v_bfe_u32 v0, v73, 16, 1
	v_dual_mov_b32 v3, 0 :: v_dual_add_nc_u32 v2, v1, v3
	v_cmp_o_f32_e32 vcc_lo, v73, v73
	s_delay_alu instid0(VALU_DEP_3) | instskip(NEXT) | instid1(VALU_DEP_3)
	v_add3_u32 v0, v73, v0, 0x7fff
	v_lshlrev_b64_e32 v[2:3], 1, v[2:3]
	s_delay_alu instid0(VALU_DEP_2) | instskip(SKIP_1) | instid1(VALU_DEP_1)
	v_lshrrev_b32_e32 v0, 16, v0
	s_wait_alu 0xfffd
	v_cndmask_b32_e32 v0, 0x7fc0, v0, vcc_lo
	s_wait_kmcnt 0x0
	s_delay_alu instid0(VALU_DEP_3)
	v_add_co_u32 v2, vcc_lo, s8, v2
	s_wait_alu 0xfffd
	v_add_co_ci_u32_e64 v3, null, s9, v3, vcc_lo
	global_store_b16 v[2:3], v0, off
	s_wait_alu 0xfffe
	s_or_b32 exec_lo, exec_lo, s0
	s_delay_alu instid0(SALU_CYCLE_1)
	s_and_b32 exec_lo, exec_lo, s2
	s_cbranch_execnz .LBB173_61
	s_branch .LBB173_62
	.section	.rodata,"a",@progbits
	.p2align	6, 0x0
	.amdhsa_kernel _ZL12mul_mat_q5_KIN3c108BFloat16ELb0EEvPKvS3_PT_iiiii
		.amdhsa_group_segment_fixed_size 45136
		.amdhsa_private_segment_fixed_size 216
		.amdhsa_kernarg_size 44
		.amdhsa_user_sgpr_count 2
		.amdhsa_user_sgpr_dispatch_ptr 0
		.amdhsa_user_sgpr_queue_ptr 0
		.amdhsa_user_sgpr_kernarg_segment_ptr 1
		.amdhsa_user_sgpr_dispatch_id 0
		.amdhsa_user_sgpr_private_segment_size 0
		.amdhsa_wavefront_size32 1
		.amdhsa_uses_dynamic_stack 0
		.amdhsa_enable_private_segment 1
		.amdhsa_system_sgpr_workgroup_id_x 1
		.amdhsa_system_sgpr_workgroup_id_y 1
		.amdhsa_system_sgpr_workgroup_id_z 0
		.amdhsa_system_sgpr_workgroup_info 0
		.amdhsa_system_vgpr_workitem_id 1
		.amdhsa_next_free_vgpr 256
		.amdhsa_next_free_sgpr 19
		.amdhsa_reserve_vcc 1
		.amdhsa_float_round_mode_32 0
		.amdhsa_float_round_mode_16_64 0
		.amdhsa_float_denorm_mode_32 3
		.amdhsa_float_denorm_mode_16_64 3
		.amdhsa_fp16_overflow 0
		.amdhsa_workgroup_processor_mode 1
		.amdhsa_memory_ordered 1
		.amdhsa_forward_progress 1
		.amdhsa_inst_pref_size 231
		.amdhsa_round_robin_scheduling 0
		.amdhsa_exception_fp_ieee_invalid_op 0
		.amdhsa_exception_fp_denorm_src 0
		.amdhsa_exception_fp_ieee_div_zero 0
		.amdhsa_exception_fp_ieee_overflow 0
		.amdhsa_exception_fp_ieee_underflow 0
		.amdhsa_exception_fp_ieee_inexact 0
		.amdhsa_exception_int_div_zero 0
	.end_amdhsa_kernel
	.section	.text._ZL12mul_mat_q5_KIN3c108BFloat16ELb0EEvPKvS3_PT_iiiii,"axG",@progbits,_ZL12mul_mat_q5_KIN3c108BFloat16ELb0EEvPKvS3_PT_iiiii,comdat
.Lfunc_end173:
	.size	_ZL12mul_mat_q5_KIN3c108BFloat16ELb0EEvPKvS3_PT_iiiii, .Lfunc_end173-_ZL12mul_mat_q5_KIN3c108BFloat16ELb0EEvPKvS3_PT_iiiii
                                        ; -- End function
	.set _ZL12mul_mat_q5_KIN3c108BFloat16ELb0EEvPKvS3_PT_iiiii.num_vgpr, 256
	.set _ZL12mul_mat_q5_KIN3c108BFloat16ELb0EEvPKvS3_PT_iiiii.num_agpr, 0
	.set _ZL12mul_mat_q5_KIN3c108BFloat16ELb0EEvPKvS3_PT_iiiii.numbered_sgpr, 19
	.set _ZL12mul_mat_q5_KIN3c108BFloat16ELb0EEvPKvS3_PT_iiiii.num_named_barrier, 0
	.set _ZL12mul_mat_q5_KIN3c108BFloat16ELb0EEvPKvS3_PT_iiiii.private_seg_size, 216
	.set _ZL12mul_mat_q5_KIN3c108BFloat16ELb0EEvPKvS3_PT_iiiii.uses_vcc, 1
	.set _ZL12mul_mat_q5_KIN3c108BFloat16ELb0EEvPKvS3_PT_iiiii.uses_flat_scratch, 1
	.set _ZL12mul_mat_q5_KIN3c108BFloat16ELb0EEvPKvS3_PT_iiiii.has_dyn_sized_stack, 0
	.set _ZL12mul_mat_q5_KIN3c108BFloat16ELb0EEvPKvS3_PT_iiiii.has_recursion, 0
	.set _ZL12mul_mat_q5_KIN3c108BFloat16ELb0EEvPKvS3_PT_iiiii.has_indirect_call, 0
	.section	.AMDGPU.csdata,"",@progbits
; Kernel info:
; codeLenInByte = 29516
; TotalNumSgprs: 21
; NumVgprs: 256
; ScratchSize: 216
; MemoryBound: 0
; FloatMode: 240
; IeeeMode: 1
; LDSByteSize: 45136 bytes/workgroup (compile time only)
; SGPRBlocks: 0
; VGPRBlocks: 31
; NumSGPRsForWavesPerEU: 21
; NumVGPRsForWavesPerEU: 256
; Occupancy: 4
; WaveLimiterHint : 0
; COMPUTE_PGM_RSRC2:SCRATCH_EN: 1
; COMPUTE_PGM_RSRC2:USER_SGPR: 2
; COMPUTE_PGM_RSRC2:TRAP_HANDLER: 0
; COMPUTE_PGM_RSRC2:TGID_X_EN: 1
; COMPUTE_PGM_RSRC2:TGID_Y_EN: 1
; COMPUTE_PGM_RSRC2:TGID_Z_EN: 0
; COMPUTE_PGM_RSRC2:TIDIG_COMP_CNT: 1
	.section	.text._ZL12mul_mat_q5_KIN3c108BFloat16ELb1EEvPKvS3_PT_iiiii,"axG",@progbits,_ZL12mul_mat_q5_KIN3c108BFloat16ELb1EEvPKvS3_PT_iiiii,comdat
	.globl	_ZL12mul_mat_q5_KIN3c108BFloat16ELb1EEvPKvS3_PT_iiiii ; -- Begin function _ZL12mul_mat_q5_KIN3c108BFloat16ELb1EEvPKvS3_PT_iiiii
	.p2align	8
	.type	_ZL12mul_mat_q5_KIN3c108BFloat16ELb1EEvPKvS3_PT_iiiii,@function
_ZL12mul_mat_q5_KIN3c108BFloat16ELb1EEvPKvS3_PT_iiiii: ; @_ZL12mul_mat_q5_KIN3c108BFloat16ELb1EEvPKvS3_PT_iiiii
; %bb.0:
	s_clause 0x1
	s_load_b128 s[4:7], s[0:1], 0x18
	s_load_b32 s12, s[0:1], 0x28
	v_bfe_u32 v34, v0, 10, 10
	v_and_b32_e32 v35, 0x3ff, v0
	s_lshl_b32 s13, ttmp7, 6
	s_wait_kmcnt 0x0
	s_cmp_gt_i32 s4, 0xff
	s_cbranch_scc1 .LBB174_2
; %bb.1:
	v_bfe_u32 v1, v0, 10, 10
	v_and_b32_e32 v2, 0x3ff, v0
	s_mov_b32 s2, 0
	s_delay_alu instid0(VALU_DEP_2)
	v_add_nc_u32_e32 v3, s13, v1
	s_branch .LBB174_3
.LBB174_2:
	s_mov_b32 s2, -1
                                        ; implicit-def: $vgpr1
                                        ; implicit-def: $vgpr2
                                        ; implicit-def: $vgpr3
.LBB174_3:
	s_load_b64 s[8:9], s[0:1], 0x10
	v_dual_mov_b32 v84, 0 :: v_dual_mov_b32 v107, 0
	v_dual_mov_b32 v88, 0 :: v_dual_mov_b32 v85, 0
	;; [unrolled: 1-line block ×15, first 2 shown]
	v_mov_b32_e32 v106, 0
	v_mov_b32_e32 v104, 0
	s_and_not1_b32 vcc_lo, exec_lo, s2
	s_lshl_b32 s14, ttmp9, 7
	s_cbranch_vccnz .LBB174_11
; %bb.4:
	s_not_b32 s16, s14
	s_ashr_i32 s10, s4, 31
	s_add_co_i32 s5, s5, s16
	s_lshr_b32 s10, s10, 24
	v_dual_mov_b32 v106, 0 :: v_dual_lshlrev_b32 v1, 1, v0
	v_and_b32_e32 v2, 7, v0
	v_min_i32_e32 v3, s5, v34
	s_add_co_i32 s4, s4, s10
	v_dual_mov_b32 v91, 0 :: v_dual_add_nc_u32 v12, 0x50, v34
	s_wait_alu 0xfffe
	s_ashr_i32 s15, s4, 8
	v_and_or_b32 v1, v1, 48, v2
	v_mul_lo_u32 v2, v3, s15
	v_bfe_u32 v36, v0, 5, 5
	v_add_nc_u32_e32 v14, 8, v34
	v_min_i32_e32 v12, s5, v12
	v_dual_mov_b32 v98, 0 :: v_dual_lshlrev_b32 v1, 2, v1
	s_delay_alu instid0(VALU_DEP_4) | instskip(SKIP_1) | instid1(VALU_DEP_4)
	v_mov_b32_e32 v127, v36
	v_dual_mov_b32 v94, 0 :: v_dual_add_nc_u32 v15, 16, v34
	v_mul_lo_u32 v24, v12, s15
	scratch_store_b32 off, v2, off          ; 4-byte Folded Spill
	v_min_i32_e32 v2, s5, v14
	v_dual_mov_b32 v131, 0 :: v_dual_add_nc_u32 v26, 24, v34
	v_dual_mov_b32 v110, 0 :: v_dual_add_nc_u32 v23, s13, v34
	s_delay_alu instid0(VALU_DEP_3)
	v_mad_co_u64_u32 v[3:4], null, 0x104, v3, v[1:2]
	v_dual_mov_b32 v90, 0 :: v_dual_add_nc_u32 v27, 32, v34
	v_dual_mov_b32 v121, 0 :: v_dual_add_nc_u32 v28, 40, v34
	;; [unrolled: 1-line block ×3, first 2 shown]
	s_clause 0x1
	scratch_store_b64 off, v[3:4], off offset:4
	scratch_store_b32 off, v34, off offset:224
	v_mul_lo_u32 v4, v2, s15
	v_min_i32_e32 v3, s5, v15
	v_dual_mov_b32 v99, 0 :: v_dual_add_nc_u32 v30, 56, v34
	s_ashr_i32 s11, s7, 31
	v_dual_mov_b32 v93, 0 :: v_dual_add_nc_u32 v22, 0x58, v34
	s_lshr_b32 s4, s11, 27
	s_clause 0x1
	scratch_store_b32 off, v4, off offset:12
	scratch_store_b32 off, v35, off offset:228
	v_mad_co_u64_u32 v[4:5], null, 0x104, v2, v[1:2]
	v_min_i32_e32 v2, s5, v26
	s_wait_alu 0xfffe
	s_add_co_i32 s4, s7, s4
	s_add_co_i32 s7, s6, -1
	v_dual_mov_b32 v117, 0 :: v_dual_add_nc_u32 v8, 16, v23
	v_dual_mov_b32 v105, 0 :: v_dual_add_nc_u32 v10, 24, v23
	s_clause 0x1
	scratch_store_b64 off, v[4:5], off offset:16
	scratch_store_b32 off, v23, off offset:232
	v_mul_lo_u32 v4, v3, s15
	v_dual_mov_b32 v129, 0 :: v_dual_add_nc_u32 v16, 32, v23
	v_dual_mov_b32 v103, 0 :: v_dual_add_nc_u32 v18, 40, v23
	v_dual_mov_b32 v97, 0 :: v_dual_add_nc_u32 v20, 48, v23
	v_dual_mov_b32 v102, 0 :: v_dual_add_nc_u32 v25, 0x60, v34
	scratch_store_b32 off, v4, off offset:24 ; 4-byte Folded Spill
	v_mad_co_u64_u32 v[3:4], null, 0x104, v3, v[1:2]
	v_cvt_f64_u32_e32 v[8:9], v8
	v_cvt_f64_u32_e32 v[10:11], v10
	;; [unrolled: 1-line block ×5, first 2 shown]
	v_dual_mov_b32 v128, 0 :: v_dual_lshlrev_b32 v133, 5, v34
	scratch_store_b64 off, v[3:4], off offset:28 ; 8-byte Folded Spill
	v_mul_lo_u32 v3, v2, s15
	v_mad_co_u64_u32 v[4:5], null, 0x104, v2, v[1:2]
	v_min_i32_e32 v2, s5, v28
	v_dual_mov_b32 v96, 0 :: v_dual_add_nc_u32 v31, v133, v35
	v_mov_b32_e32 v88, 0
	v_bfe_u32 v13, v0, 2, 8
	s_clause 0x1
	scratch_store_b32 off, v3, off offset:36
	scratch_store_b64 off, v[4:5], off offset:40
	v_min_i32_e32 v3, s5, v27
	v_and_b32_e32 v31, 0x7f, v31
	v_dual_mov_b32 v140, 0 :: v_dual_and_b32 v111, 6, v13
	v_lshl_add_u32 v13, v34, 3, v13
	s_delay_alu instid0(VALU_DEP_4) | instskip(NEXT) | instid1(VALU_DEP_4)
	v_mul_lo_u32 v4, v3, s15
	v_min_i32_e32 v31, s5, v31
	v_dual_mov_b32 v104, 0 :: v_dual_lshlrev_b32 v109, 2, v35
	s_wait_alu 0xfffe
	s_ashr_i32 s4, s4, 5
	s_load_b128 s[0:3], s[0:1], 0x0
	s_mul_i32 s10, s15, s14
	v_dual_mov_b32 v130, 0 :: v_dual_and_b32 v113, 28, v109
	scratch_store_b32 off, v4, off offset:48 ; 4-byte Folded Spill
	v_mad_co_u64_u32 v[3:4], null, 0x104, v3, v[1:2]
	v_dual_mov_b32 v95, 0 :: v_dual_mov_b32 v134, 0
	s_ashr_i32 s11, s10, 31
	v_or_b32_e32 v114, 1, v111
	v_lshlrev_b32_e32 v164, 5, v14
	v_lshlrev_b32_e32 v165, 5, v15
	scratch_store_b64 off, v[3:4], off offset:52 ; 8-byte Folded Spill
	v_mul_lo_u32 v4, v2, s15
	v_min_i32_e32 v3, s5, v29
	v_lshlrev_b32_e32 v166, 5, v26
	v_lshlrev_b32_e32 v167, 5, v27
	;; [unrolled: 1-line block ×4, first 2 shown]
	v_dual_mov_b32 v87, 0 :: v_dual_lshlrev_b32 v170, 5, v30
	scratch_store_b32 off, v4, off offset:60 ; 4-byte Folded Spill
	v_mad_co_u64_u32 v[4:5], null, 0x104, v2, v[1:2]
	v_mul_lo_u32 v2, v3, s15
	v_mul_u32_u24_e32 v171, 0x104, v35
	s_mul_u64 s[10:11], s[10:11], 0xb0
	v_mov_b32_e32 v132, 0
	s_wait_kmcnt 0x0
	s_add_nc_u64 s[0:1], s[0:1], s[10:11]
	v_mov_b32_e32 v92, 0
	scratch_store_b64 off, v[4:5], off offset:64 ; 8-byte Folded Spill
	v_min_i32_e32 v4, s5, v30
	scratch_store_b32 off, v2, off offset:72 ; 4-byte Folded Spill
	v_add_nc_u32_e32 v2, 64, v34
	v_dual_mov_b32 v84, 0 :: v_dual_add_nc_u32 v5, 0x48, v34
	v_mov_b32_e32 v89, 0
	v_mov_b32_e32 v85, 0
	s_delay_alu instid0(VALU_DEP_4)
	v_mad_co_u64_u32 v[6:7], null, 0x104, v3, v[1:2]
	v_mul_lo_u32 v3, v4, s15
	v_min_i32_e32 v2, s5, v2
	v_mov_b32_e32 v107, 0
	scratch_store_b64 off, v[6:7], off offset:76 ; 8-byte Folded Spill
	v_add_nc_u32_e32 v6, 8, v23
	scratch_store_b32 off, v3, off offset:84 ; 4-byte Folded Spill
	v_min_i32_e32 v3, s5, v5
	v_mad_co_u64_u32 v[4:5], null, 0x104, v4, v[1:2]
	v_cvt_f64_u32_e32 v[6:7], v6
	scratch_store_b64 off, v[4:5], off offset:88 ; 8-byte Folded Spill
	v_mul_lo_u32 v4, v2, s15
	scratch_store_b32 off, v4, off offset:96 ; 4-byte Folded Spill
	v_mad_co_u64_u32 v[4:5], null, 0x104, v2, v[1:2]
	v_mul_lo_u32 v2, v3, s15
	scratch_store_b64 off, v[4:5], off offset:100 ; 8-byte Folded Spill
	v_cvt_f64_u32_e32 v[4:5], v23
	scratch_store_b32 off, v2, off offset:108 ; 4-byte Folded Spill
	v_mad_co_u64_u32 v[2:3], null, 0x104, v3, v[1:2]
	v_add_nc_u32_e32 v23, 56, v23
	scratch_store_b64 off, v[2:3], off offset:112 ; 8-byte Folded Spill
	v_cvt_f64_i32_e32 v[2:3], s7
	s_delay_alu instid0(VALU_DEP_1)
	v_mad_co_u64_u32 v[32:33], null, 0x104, v12, v[1:2]
	scratch_store_b32 off, v24, off offset:120 ; 4-byte Folded Spill
	v_min_i32_e32 v24, s5, v22
	v_cvt_f64_u32_e32 v[22:23], v23
	v_min_num_f64_e32 v[4:5], v[4:5], v[2:3]
	v_min_num_f64_e32 v[6:7], v[6:7], v[2:3]
	;; [unrolled: 1-line block ×3, first 2 shown]
	v_mul_lo_u32 v12, v24, s15
	scratch_store_b64 off, v[32:33], off offset:124 ; 8-byte Folded Spill
	v_mad_co_u64_u32 v[32:33], null, 0x104, v24, v[1:2]
	v_min_num_f64_e32 v[10:11], v[10:11], v[2:3]
	v_min_num_f64_e32 v[18:19], v[18:19], v[2:3]
	;; [unrolled: 1-line block ×3, first 2 shown]
	scratch_store_b32 off, v12, off offset:132 ; 4-byte Folded Spill
	v_min_i32_e32 v12, s5, v25
	v_add_nc_u32_e32 v25, 0x68, v34
	s_delay_alu instid0(VALU_DEP_2)
	v_mul_lo_u32 v24, v12, s15
	scratch_store_b64 off, v[32:33], off offset:136 ; 8-byte Folded Spill
	v_mad_co_u64_u32 v[32:33], null, 0x104, v12, v[1:2]
	scratch_store_b32 off, v24, off offset:144 ; 4-byte Folded Spill
	v_min_i32_e32 v24, s5, v25
	v_add_nc_u32_e32 v25, 0x70, v34
	s_delay_alu instid0(VALU_DEP_2)
	v_mul_lo_u32 v12, v24, s15
	scratch_store_b64 off, v[32:33], off offset:148 ; 8-byte Folded Spill
	v_min_i32_e32 v32, s5, v25
	v_mad_co_u64_u32 v[24:25], null, 0x104, v24, v[1:2]
	v_add_nc_u32_e32 v33, 0x78, v34
	v_cvt_i32_f64_e32 v4, v[4:5]
	scratch_store_b32 off, v12, off offset:156 ; 4-byte Folded Spill
	v_ashrrev_i32_e32 v12, 31, v31
	v_cvt_i32_f64_e32 v6, v[6:7]
	scratch_store_b64 off, v[24:25], off offset:160 ; 8-byte Folded Spill
	v_mul_lo_u32 v24, v32, s15
	v_cvt_i32_f64_e32 v8, v[8:9]
	v_lshrrev_b32_e32 v12, 27, v12
	v_cvt_i32_f64_e32 v18, v[18:19]
	v_cvt_i32_f64_e32 v10, v[10:11]
	;; [unrolled: 1-line block ×3, first 2 shown]
	v_and_b32_e32 v5, 4, v109
	v_add_nc_u32_e32 v12, v31, v12
	scratch_store_b32 off, v24, off offset:168 ; 4-byte Folded Spill
	v_min_num_f64_e32 v[24:25], v[16:17], v[2:3]
	v_mad_co_u64_u32 v[16:17], null, 0x104, v32, v[1:2]
	v_min_num_f64_e32 v[2:3], v[22:23], v[2:3]
	v_lshlrev_b32_e32 v23, 2, v31
	v_and_b32_e32 v32, 0x7f, v13
	scratch_store_b64 off, v[16:17], off offset:172 ; 8-byte Folded Spill
	v_min_i32_e32 v16, s5, v33
	v_ashrrev_i32_e32 v17, 5, v12
	v_and_b32_e32 v12, 3, v0
	s_delay_alu instid0(VALU_DEP_3) | instskip(NEXT) | instid1(VALU_DEP_3)
	v_mul_lo_u32 v22, v16, s15
	v_lshlrev_b32_e32 v17, 2, v17
	s_delay_alu instid0(VALU_DEP_3) | instskip(NEXT) | instid1(VALU_DEP_2)
	v_cmp_gt_u32_e32 vcc_lo, 2, v12
	v_add3_u32 v17, v17, v23, 0xae40
	v_mul_lo_u32 v108, s4, v4
	v_lshlrev_b32_e32 v4, 7, v14
	v_mul_lo_u32 v150, s4, v6
	v_lshlrev_b32_e32 v6, 7, v15
	;; [unrolled: 2-line block ×3, first 2 shown]
	v_mul_lo_u32 v154, s4, v18
	v_add_nc_u32_e32 v18, 0x60, v35
	v_mul_lo_u32 v152, s4, v10
	v_mul_lo_u32 v155, s4, v19
	v_lshlrev_b32_e32 v10, 7, v27
	v_lshlrev_b32_e32 v19, 2, v36
	v_cvt_i32_f64_e32 v11, v[24:25]
	v_lshrrev_b32_e32 v159, 3, v18
	v_lshlrev_b32_e32 v176, 4, v18
	v_mad_co_u64_u32 v[37:38], null, 0x104, v16, v[1:2]
	scratch_store_b32 off, v22, off offset:180 ; 4-byte Folded Spill
	v_add_nc_u32_e32 v22, 0xfe, v12
	v_mul_lo_u32 v16, v31, s15
	v_cvt_i32_f64_e32 v2, v[2:3]
	v_lshlrev_b32_e32 v3, 2, v12
	v_and_b32_e32 v25, 60, v159
	v_and_b32_e32 v1, 0xff, v22
	scratch_store_b64 off, v[37:38], off offset:184 ; 8-byte Folded Spill
	v_and_b32_e32 v112, 0x7c, v109
	v_add3_u32 v160, v19, v109, 0xae40
	scratch_store_b32 off, v16, off offset:192 ; 4-byte Folded Spill
	v_min_i32_e32 v16, s5, v32
	v_cndmask_b32_e32 v1, v1, v12, vcc_lo
	v_cmp_ne_u32_e32 vcc_lo, 0, v12
	v_add3_u32 v163, v109, v25, 0xae40
	s_delay_alu instid0(VALU_DEP_4) | instskip(NEXT) | instid1(VALU_DEP_4)
	v_ashrrev_i32_e32 v22, 31, v16
	v_lshlrev_b32_e32 v145, 1, v1
	s_wait_alu 0xfffd
	v_add_co_ci_u32_e64 v23, null, 0, v1, vcc_lo
	v_and_b32_e32 v1, 63, v13
	v_mul_lo_u32 v13, v16, s15
	scratch_store_b32 off, v17, off offset:196 ; 4-byte Folded Spill
	v_xor_b32_e32 v17, 64, v32
	v_lshrrev_b32_e32 v22, 29, v22
	v_cmp_lt_u32_e32 vcc_lo, 1, v12
	v_lshlrev_b32_e32 v178, 2, v23
	s_delay_alu instid0(VALU_DEP_4) | instskip(NEXT) | instid1(VALU_DEP_4)
	v_min_i32_e32 v17, s5, v17
	v_add_nc_u32_e32 v9, v16, v22
	s_wait_alu 0xfffd
	v_cndmask_b32_e32 v139, 0, v5, vcc_lo
	s_mov_b32 s5, 0
	v_ashrrev_i32_e32 v7, 31, v17
	v_mul_lo_u32 v20, v17, s15
	scratch_store_b32 off, v13, off offset:200 ; 4-byte Folded Spill
	v_lshlrev_b32_e32 v13, 4, v16
	v_or_b32_e32 v16, s13, v1
	v_ashrrev_i32_e32 v9, 3, v9
	v_lshrrev_b32_e32 v7, 29, v7
	v_lshlrev_b32_e32 v21, 4, v17
	v_lshl_or_b32 v1, v1, 4, v3
	v_min_i32_e32 v16, s7, v16
	v_lshlrev_b32_e32 v9, 2, v9
	v_add_nc_u32_e32 v5, v17, v7
	v_cndmask_b32_e64 v7, 0, 1, vcc_lo
	scratch_store_b32 off, v20, off offset:204 ; 4-byte Folded Spill
	v_mad_co_u64_u32 v[16:17], null, v16, s4, v[12:13]
	v_add3_u32 v9, v9, v3, 0xa200
	v_ashrrev_i32_e32 v5, 3, v5
	v_add_nc_u32_e32 v12, 32, v35
	v_lshlrev_b32_e32 v179, 2, v7
	v_and_b32_e32 v20, 31, v0
	v_add_nc_u32_e32 v7, v9, v13
	scratch_store_b64 off, v[16:17], off offset:208 ; 8-byte Folded Spill
	v_add_nc_u32_e32 v16, 64, v35
	v_lshlrev_b32_e32 v5, 2, v5
	v_lshrrev_b32_e32 v157, 3, v12
	v_mul_lo_u32 v153, s4, v11
	v_mul_lo_u32 v156, s4, v2
	v_lshrrev_b32_e32 v158, 3, v16
	s_movk_i32 s4, 0x2080
	v_add3_u32 v5, v5, v3, 0xa200
	s_wait_alu 0xfffe
	v_mad_u32_u24 v173, 0x104, v35, s4
	s_movk_i32 s4, 0x4100
	v_lshl_or_b32 v3, v20, 2, 0x8200
	v_add_nc_u32_e32 v17, 0xaa40, v1
	v_lshlrev_b32_e32 v1, 7, v34
	v_lshlrev_b32_e32 v11, 7, v28
	v_lshlrev_b32_e32 v20, 7, v29
	v_lshlrev_b32_e32 v2, 7, v30
	v_and_b32_e32 v22, 60, v157
	v_and_b32_e32 v24, 60, v158
	s_wait_alu 0xfffe
	v_mad_u32_u24 v175, 0x104, v35, s4
	s_movk_i32 s4, 0x6180
	v_bfe_u32 v0, v0, 3, 7
	s_wait_alu 0xfffe
	v_mad_u32_u24 v177, 0x104, v35, s4
	v_add_co_u32 v18, s4, s2, v113
	v_add3_u32 v161, v109, v22, 0xae40
	v_add3_u32 v162, v109, v24, 0xae40
	v_lshlrev_b32_e32 v172, 4, v12
	v_lshlrev_b32_e32 v174, 4, v16
	s_wait_alu 0xf1ff
	v_add_co_ci_u32_e64 v19, null, s3, 0, s4
	v_add_nc_u32_e32 v5, v5, v21
	v_add_nc_u32_e32 v182, v3, v1
	;; [unrolled: 1-line block ×9, first 2 shown]
	s_mov_b32 s4, s5
	s_clause 0x1
	scratch_store_b32 off, v7, off offset:216
	scratch_store_b32 off, v5, off offset:220
.LBB174_5:                              ; =>This Loop Header: Depth=1
                                        ;     Child Loop BB174_6 Depth 2
                                        ;     Child Loop BB174_8 Depth 2
	s_clause 0x3
	scratch_load_b32 v3, off, off
	scratch_load_b32 v5, off, off offset:12
	scratch_load_b32 v7, off, off offset:24
	;; [unrolled: 1-line block ×3, first 2 shown]
	s_wait_alu 0xfffe
	s_mul_u64 s[10:11], s[4:5], 0xb0
	s_lshl_b32 s7, s4, 3
	s_wait_alu 0xfffe
	s_add_nc_u64 s[10:11], s[0:1], s[10:11]
	s_wait_alu 0xfffe
	v_mad_co_u64_u32 v[1:2], null, 0xb0, v127, s[10:11]
	s_wait_loadcnt 0x3
	s_delay_alu instid0(VALU_DEP_1)
	v_mad_co_i64_i32 v[3:4], null, 0xb0, v3, v[1:2]
	s_wait_loadcnt 0x2
	v_mad_co_i64_i32 v[5:6], null, 0xb0, v5, v[1:2]
	s_wait_loadcnt 0x0
	v_mad_co_i64_i32 v[20:21], null, 0xb0, v13, v[1:2]
	scratch_load_b32 v13, off, off offset:48 ; 4-byte Folded Reload
	v_mad_co_i64_i32 v[7:8], null, 0xb0, v7, v[1:2]
	v_add_co_u32 v9, vcc_lo, v3, v112
	s_wait_alu 0xfffd
	v_add_co_ci_u32_e64 v10, null, 0, v4, vcc_lo
	v_add_co_u32 v3, vcc_lo, v3, v113
	s_wait_alu 0xfffd
	v_add_co_ci_u32_e64 v4, null, 0, v4, vcc_lo
	v_add_co_u32 v11, vcc_lo, v5, v112
	s_wait_alu 0xfffd
	v_add_co_ci_u32_e64 v12, null, 0, v6, vcc_lo
	v_add_co_u32 v5, vcc_lo, v5, v113
	s_wait_alu 0xfffd
	v_add_co_ci_u32_e64 v6, null, 0, v6, vcc_lo
	v_add_co_u32 v22, vcc_lo, v7, v112
	s_wait_alu 0xfffd
	v_add_co_ci_u32_e64 v23, null, 0, v8, vcc_lo
	v_add_co_u32 v7, vcc_lo, v7, v113
	s_wait_alu 0xfffd
	v_add_co_ci_u32_e64 v8, null, 0, v8, vcc_lo
	v_add_co_u32 v24, vcc_lo, v20, v112
	s_wait_alu 0xfffd
	v_add_co_ci_u32_e64 v25, null, 0, v21, vcc_lo
	v_add_co_u32 v20, vcc_lo, v20, v113
	s_wait_alu 0xfffd
	v_add_co_ci_u32_e64 v21, null, 0, v21, vcc_lo
	s_wait_loadcnt 0x0
	v_mad_co_i64_i32 v[26:27], null, 0xb0, v13, v[1:2]
	s_clause 0x7
	global_load_b32 v13, v[9:10], off offset:48
	global_load_b32 v14, v[3:4], off offset:16
	;; [unrolled: 1-line block ×8, first 2 shown]
	s_clause 0x2
	scratch_load_b32 v3, off, off offset:60
	scratch_load_b32 v11, off, off offset:72
	;; [unrolled: 1-line block ×3, first 2 shown]
	v_add_co_u32 v5, vcc_lo, v26, v112
	s_wait_alu 0xfffd
	v_add_co_ci_u32_e64 v6, null, 0, v27, vcc_lo
	v_add_co_u32 v7, vcc_lo, v26, v113
	scratch_load_b32 v26, off, off offset:96 ; 4-byte Folded Reload
	s_wait_alu 0xfffd
	v_add_co_ci_u32_e64 v8, null, 0, v27, vcc_lo
	s_wait_loadcnt 0x3
	v_mad_co_i64_i32 v[3:4], null, 0xb0, v3, v[1:2]
	s_wait_loadcnt 0x2
	v_mad_co_i64_i32 v[11:12], null, 0xb0, v11, v[1:2]
	;; [unrolled: 2-line block ×3, first 2 shown]
	s_delay_alu instid0(VALU_DEP_3) | instskip(SKIP_1) | instid1(VALU_DEP_4)
	v_add_co_u32 v9, vcc_lo, v3, v112
	s_wait_alu 0xfffd
	v_add_co_ci_u32_e64 v10, null, 0, v4, vcc_lo
	v_add_co_u32 v3, vcc_lo, v3, v113
	s_wait_alu 0xfffd
	v_add_co_ci_u32_e64 v4, null, 0, v4, vcc_lo
	;; [unrolled: 3-line block ×6, first 2 shown]
	s_clause 0x7
	global_load_b32 v32, v[5:6], off offset:48
	global_load_b32 v33, v[7:8], off offset:16
	;; [unrolled: 1-line block ×8, first 2 shown]
	s_clause 0x1
	scratch_load_b32 v3, off, off offset:108
	scratch_load_b32 v11, off, off offset:120
	s_wait_loadcnt 0xa
	v_mad_co_i64_i32 v[26:27], null, 0xb0, v26, v[1:2]
	s_delay_alu instid0(VALU_DEP_1) | instskip(SKIP_1) | instid1(VALU_DEP_2)
	v_add_co_u32 v5, vcc_lo, v26, v112
	s_wait_alu 0xfffd
	v_add_co_ci_u32_e64 v6, null, 0, v27, vcc_lo
	v_add_co_u32 v7, vcc_lo, v26, v113
	s_wait_alu 0xfffd
	v_add_co_ci_u32_e64 v8, null, 0, v27, vcc_lo
	s_wait_loadcnt 0x8
	v_ashrrev_i32_e32 v59, v111, v33
	v_ashrrev_i32_e32 v33, v114, v33
	s_wait_loadcnt 0x7
	v_and_b32_e32 v60, 0xf0f0f0f, v34
	v_lshrrev_b32_e32 v34, 4, v34
	s_wait_loadcnt 0x6
	v_ashrrev_i32_e32 v61, v111, v35
	v_lshlrev_b32_e32 v59, 4, v59
	v_lshlrev_b32_e32 v33, 4, v33
	s_wait_loadcnt 0x1
	v_mad_co_i64_i32 v[3:4], null, 0xb0, v3, v[1:2]
	s_wait_loadcnt 0x0
	v_mad_co_i64_i32 v[11:12], null, 0xb0, v11, v[1:2]
	v_ashrrev_i32_e32 v35, v114, v35
	v_and_b32_e32 v34, 0xf0f0f0f, v34
	v_lshlrev_b32_e32 v61, 4, v61
	v_and_b32_e32 v62, 0xf0f0f0f, v36
	v_add_co_u32 v9, vcc_lo, v3, v112
	s_wait_alu 0xfffd
	v_add_co_ci_u32_e64 v10, null, 0, v4, vcc_lo
	v_add_co_u32 v3, vcc_lo, v3, v113
	s_clause 0x2
	global_load_b32 v26, v[5:6], off offset:48
	global_load_b32 v27, v[7:8], off offset:16
	;; [unrolled: 1-line block ×3, first 2 shown]
	s_wait_alu 0xfffd
	v_add_co_ci_u32_e64 v4, null, 0, v4, vcc_lo
	v_add_co_u32 v5, vcc_lo, v11, v112
	s_wait_alu 0xfffd
	v_add_co_ci_u32_e64 v6, null, 0, v12, vcc_lo
	v_add_co_u32 v7, vcc_lo, v11, v113
	s_wait_alu 0xfffd
	v_add_co_ci_u32_e64 v8, null, 0, v12, vcc_lo
	s_clause 0x2
	global_load_b32 v41, v[3:4], off offset:16
	global_load_b32 v42, v[5:6], off offset:48
	;; [unrolled: 1-line block ×3, first 2 shown]
	s_clause 0x1
	scratch_load_b32 v3, off, off offset:132
	scratch_load_b32 v7, off, off offset:144
	v_lshlrev_b32_e32 v35, 4, v35
	v_lshrrev_b32_e32 v36, 4, v36
	v_ashrrev_i32_e32 v63, v111, v37
	v_ashrrev_i32_e32 v37, v114, v37
	v_and_b32_e32 v64, 0xf0f0f0f, v38
	v_lshrrev_b32_e32 v38, 4, v38
	v_and_b32_e32 v36, 0xf0f0f0f, v36
	v_lshlrev_b32_e32 v63, 4, v63
	v_lshlrev_b32_e32 v37, 4, v37
	v_ashrrev_i32_e32 v65, v111, v39
	v_ashrrev_i32_e32 v39, v114, v39
	v_and_b32_e32 v38, 0xf0f0f0f, v38
	s_delay_alu instid0(VALU_DEP_3) | instskip(NEXT) | instid1(VALU_DEP_3)
	v_lshlrev_b32_e32 v65, 4, v65
	v_lshlrev_b32_e32 v39, 4, v39
	s_wait_loadcnt 0x7
	v_and_b32_e32 v66, 0xf0f0f0f, v26
	v_lshrrev_b32_e32 v26, 4, v26
	s_wait_loadcnt 0x6
	v_ashrrev_i32_e32 v67, v111, v27
	v_ashrrev_i32_e32 v27, v114, v27
	s_wait_loadcnt 0x5
	v_and_b32_e32 v68, 0xf0f0f0f, v40
	v_lshrrev_b32_e32 v40, 4, v40
	v_and_b32_e32 v26, 0xf0f0f0f, v26
	v_lshlrev_b32_e32 v67, 4, v67
	v_lshlrev_b32_e32 v27, 4, v27
	s_delay_alu instid0(VALU_DEP_4)
	v_and_b32_e32 v40, 0xf0f0f0f, v40
	s_wait_loadcnt 0x4
	v_ashrrev_i32_e32 v69, v111, v41
	v_ashrrev_i32_e32 v41, v114, v41
	v_and_or_b32 v26, 0x10101010, v27, v26
	s_wait_loadcnt 0x1
	v_mad_co_i64_i32 v[3:4], null, 0xb0, v3, v[1:2]
	s_wait_loadcnt 0x0
	v_mad_co_i64_i32 v[7:8], null, 0xb0, v7, v[1:2]
	v_lshlrev_b32_e32 v69, 4, v69
	v_lshlrev_b32_e32 v41, 4, v41
	v_and_b32_e32 v70, 0xf0f0f0f, v42
	v_lshrrev_b32_e32 v42, 4, v42
	v_add_co_u32 v5, vcc_lo, v3, v112
	s_wait_alu 0xfffd
	v_add_co_ci_u32_e64 v6, null, 0, v4, vcc_lo
	v_add_co_u32 v3, vcc_lo, v3, v113
	s_wait_alu 0xfffd
	v_add_co_ci_u32_e64 v4, null, 0, v4, vcc_lo
	s_clause 0x1
	global_load_b32 v44, v[5:6], off offset:48
	global_load_b32 v45, v[3:4], off offset:16
	s_clause 0x3
	scratch_load_b32 v3, off, off offset:156
	scratch_load_b32 v11, off, off offset:168
	;; [unrolled: 1-line block ×4, first 2 shown]
	v_add_co_u32 v5, vcc_lo, v7, v112
	s_wait_alu 0xfffd
	v_add_co_ci_u32_e64 v6, null, 0, v8, vcc_lo
	v_add_co_u32 v7, vcc_lo, v7, v113
	s_wait_alu 0xfffd
	v_add_co_ci_u32_e64 v8, null, 0, v8, vcc_lo
	v_ashrrev_i32_e32 v71, v111, v43
	v_ashrrev_i32_e32 v43, v114, v43
	v_and_b32_e32 v42, 0xf0f0f0f, v42
	s_delay_alu instid0(VALU_DEP_3)
	v_lshlrev_b32_e32 v71, 4, v71
	s_wait_loadcnt 0x3
	v_mad_co_i64_i32 v[3:4], null, 0xb0, v3, v[1:2]
	s_wait_loadcnt 0x2
	v_mad_co_i64_i32 v[11:12], null, 0xb0, v11, v[1:2]
	;; [unrolled: 2-line block ×4, first 2 shown]
	s_delay_alu instid0(VALU_DEP_4)
	v_add_co_u32 v9, vcc_lo, v3, v112
	s_wait_alu 0xfffd
	v_add_co_ci_u32_e64 v10, null, 0, v4, vcc_lo
	v_add_co_u32 v3, vcc_lo, v3, v113
	s_wait_alu 0xfffd
	v_add_co_ci_u32_e64 v4, null, 0, v4, vcc_lo
	;; [unrolled: 3-line block ×6, first 2 shown]
	s_clause 0x7
	global_load_b32 v46, v[5:6], off offset:48
	global_load_b32 v47, v[7:8], off offset:16
	;; [unrolled: 1-line block ×8, first 2 shown]
	s_clause 0x1
	scratch_load_b32 v1, off, off offset:192
	scratch_load_b32 v3, off, off offset:204
	v_add_co_u32 v5, vcc_lo, v24, v178
	s_wait_alu 0xfffd
	v_add_co_ci_u32_e64 v6, null, 0, v25, vcc_lo
	v_add_co_u32 v7, vcc_lo, v24, v179
	s_wait_alu 0xfffd
	v_add_co_ci_u32_e64 v8, null, 0, v25, vcc_lo
	v_add_nc_u32_e32 v11, s7, v0
	s_delay_alu instid0(VALU_DEP_1) | instskip(SKIP_2) | instid1(VALU_DEP_2)
	v_add_nc_u32_e32 v12, v11, v108
	v_add_nc_u32_e32 v20, v11, v156
	;; [unrolled: 1-line block ×3, first 2 shown]
	v_mad_co_i64_i32 v[20:21], null, v20, 36, v[18:19]
	s_delay_alu instid0(VALU_DEP_2)
	v_mad_co_i64_i32 v[22:23], null, v22, 36, v[18:19]
	s_wait_loadcnt 0x1
	v_mad_co_i64_i32 v[1:2], null, 0xb0, v1, s[10:11]
	s_wait_loadcnt 0x0
	v_mad_co_i64_i32 v[3:4], null, 0xb0, v3, s[10:11]
	s_mov_b32 s10, -1
	s_mov_b32 s11, 0
	v_add_co_u32 v9, vcc_lo, v3, v178
	s_wait_alu 0xfffd
	v_add_co_ci_u32_e64 v10, null, 0, v4, vcc_lo
	v_add_co_u32 v3, vcc_lo, v3, v179
	s_wait_alu 0xfffd
	v_add_co_ci_u32_e64 v4, null, 0, v4, vcc_lo
	s_clause 0x4
	global_load_b32 v54, v[1:2], off
	global_load_b32 v55, v[5:6], off offset:4
	global_load_b32 v56, v[7:8], off offset:4
	;; [unrolled: 1-line block ×4, first 2 shown]
	scratch_load_b64 v[1:2], off, off offset:208 ; 8-byte Folded Reload
	v_add_nc_u32_e32 v3, v11, v150
	v_add_nc_u32_e32 v7, v11, v152
	;; [unrolled: 1-line block ×4, first 2 shown]
	s_delay_alu instid0(VALU_DEP_4) | instskip(NEXT) | instid1(VALU_DEP_4)
	v_mad_co_i64_i32 v[3:4], null, v3, 36, v[18:19]
	v_mad_co_i64_i32 v[7:8], null, v7, 36, v[18:19]
	s_delay_alu instid0(VALU_DEP_4) | instskip(NEXT) | instid1(VALU_DEP_4)
	v_mad_co_i64_i32 v[5:6], null, v5, 36, v[18:19]
	v_mad_co_i64_i32 v[9:10], null, v9, 36, v[18:19]
	s_wait_loadcnt 0x0
	v_add_nc_u32_e32 v190, s7, v1
	v_mad_co_i64_i32 v[1:2], null, v12, 36, v[18:19]
	v_add_nc_u32_e32 v12, v11, v154
	s_delay_alu instid0(VALU_DEP_3) | instskip(NEXT) | instid1(VALU_DEP_2)
	v_mad_co_u64_u32 v[24:25], null, v190, 36, s[2:3]
	v_mad_co_i64_i32 v[11:12], null, v12, 36, v[18:19]
	s_clause 0x8
	global_load_b32 v3, v[3:4], off offset:4
	global_load_b32 v4, v[7:8], off offset:4
	;; [unrolled: 1-line block ×8, first 2 shown]
	global_load_b32 v9, v[24:25], off
	v_and_b32_e32 v10, 0xf0f0f0f, v13
	v_lshrrev_b32_e32 v11, 4, v13
	v_ashrrev_i32_e32 v12, v111, v14
	v_ashrrev_i32_e32 v13, v114, v14
	v_and_b32_e32 v14, 0xf0f0f0f, v15
	v_lshrrev_b32_e32 v15, 4, v15
	v_ashrrev_i32_e32 v20, v111, v16
	v_ashrrev_i32_e32 v16, v114, v16
	;; [unrolled: 4-line block ×4, first 2 shown]
	v_and_b32_e32 v31, 0xf0f0f0f, v32
	v_lshrrev_b32_e32 v32, 4, v32
	v_and_b32_e32 v11, 0xf0f0f0f, v11
	v_lshlrev_b32_e32 v13, 4, v13
	v_and_b32_e32 v15, 0xf0f0f0f, v15
	v_lshlrev_b32_e32 v16, 4, v16
	;; [unrolled: 2-line block ×3, first 2 shown]
	v_and_b32_e32 v32, 0xf0f0f0f, v32
	v_and_or_b32 v11, 0x10101010, v13, v11
	v_and_or_b32 v13, 0x10101010, v16, v15
	v_lshlrev_b32_e32 v12, 4, v12
	v_and_or_b32 v15, 0x10101010, v24, v22
	v_and_or_b32 v22, 0x10101010, v33, v32
	scratch_load_b64 v[32:33], off, off offset:4 ; 8-byte Folded Reload
	v_lshlrev_b32_e32 v20, 4, v20
	v_and_or_b32 v10, 0x10101010, v12, v10
	v_lshlrev_b32_e32 v23, 4, v23
	v_and_b32_e32 v28, 0xf0f0f0f, v28
	v_lshlrev_b32_e32 v29, 4, v29
	v_and_or_b32 v12, 0x10101010, v20, v14
	v_lshlrev_b32_e32 v30, 4, v30
	v_and_or_b32 v14, 0x10101010, v23, v21
	v_and_or_b32 v21, 0x10101010, v59, v31
	;; [unrolled: 1-line block ×11, first 2 shown]
	s_wait_loadcnt 0x0
	ds_store_2addr_b32 v32, v10, v11 offset1:8
	scratch_load_b64 v[10:11], off, off offset:16 ; 8-byte Folded Reload
	s_wait_loadcnt 0x0
	ds_store_2addr_b32 v10, v12, v13 offset1:8
	scratch_load_b64 v[10:11], off, off offset:28 ; 8-byte Folded Reload
	v_and_or_b32 v12, 0x10101010, v41, v40
	v_and_or_b32 v13, 0x10101010, v71, v70
	s_wait_loadcnt 0x0
	ds_store_2addr_b32 v10, v14, v15 offset1:8
	scratch_load_b64 v[10:11], off, off offset:40 ; 8-byte Folded Reload
	v_ashrrev_i32_e32 v14, v111, v45
	v_and_b32_e32 v15, 0xf0f0f0f, v44
	s_delay_alu instid0(VALU_DEP_2)
	v_lshlrev_b32_e32 v14, 4, v14
	s_wait_loadcnt 0x0
	ds_store_2addr_b32 v10, v16, v20 offset1:8
	scratch_load_b64 v[10:11], off, off offset:52 ; 8-byte Folded Reload
	v_ashrrev_i32_e32 v20, v114, v45
	v_lshrrev_b32_e32 v16, 4, v44
	s_wait_loadcnt 0x0
	ds_store_2addr_b32 v10, v21, v22 offset1:8
	s_clause 0x1
	scratch_load_b64 v[10:11], off, off offset:64
	scratch_load_b64 v[21:22], off, off offset:112
	s_wait_loadcnt 0x0
	v_and_b32_e32 v22, 0xf0f0f0f, v50
	ds_store_2addr_b32 v10, v23, v24 offset1:8
	s_clause 0x1
	scratch_load_b64 v[10:11], off, off offset:76
	scratch_load_b64 v[23:24], off, off offset:148
	s_wait_loadcnt 0x0
	v_ashrrev_i32_e32 v24, v145, v58
	ds_store_2addr_b32 v10, v25, v28 offset1:8
	scratch_load_b64 v[10:11], off, off offset:88 ; 8-byte Folded Reload
	s_wait_loadcnt 0x0
	ds_store_2addr_b32 v10, v29, v30 offset1:8
	scratch_load_b64 v[10:11], off, off offset:100 ; 8-byte Folded Reload
	s_wait_loadcnt 0x0
	v_and_or_b32 v11, 0x10101010, v69, v68
	ds_store_2addr_b32 v10, v31, v26 offset1:8
	ds_store_2addr_b32 v21, v11, v12 offset1:8
	s_clause 0x1
	scratch_load_b64 v[11:12], off, off offset:124
	scratch_load_b64 v[25:26], off, off offset:160
	v_lshlrev_b32_e32 v10, 4, v43
	s_wait_loadcnt 0x1
	v_and_or_b32 v12, 0x10101010, v14, v15
	v_lshrrev_b32_e32 v14, 4, v46
	v_ashrrev_i32_e32 v15, v114, v47
	v_and_or_b32 v10, 0x10101010, v10, v42
	s_delay_alu instid0(VALU_DEP_3) | instskip(NEXT) | instid1(VALU_DEP_3)
	v_and_b32_e32 v14, 0xf0f0f0f, v14
	v_lshlrev_b32_e32 v15, 4, v15
	ds_store_2addr_b32 v11, v13, v10 offset1:8
	v_lshlrev_b32_e32 v11, 4, v20
	scratch_load_b64 v[20:21], off, off offset:136 ; 8-byte Folded Reload
	v_and_b32_e32 v10, 0xf0f0f0f, v16
	v_ashrrev_i32_e32 v13, v111, v47
	v_lshrrev_b32_e32 v16, 4, v50
	s_wait_loadcnt 0x0
	v_ashrrev_i32_e32 v21, v114, v51
	v_and_or_b32 v10, 0x10101010, v11, v10
	v_and_b32_e32 v11, 0xf0f0f0f, v46
	v_lshlrev_b32_e32 v13, 4, v13
	v_and_b32_e32 v16, 0xf0f0f0f, v16
	v_lshlrev_b32_e32 v21, 4, v21
	s_delay_alu instid0(VALU_DEP_3) | instskip(SKIP_3) | instid1(VALU_DEP_1)
	v_and_or_b32 v11, 0x10101010, v13, v11
	v_and_or_b32 v13, 0x10101010, v15, v14
	v_and_b32_e32 v14, 0xf0f0f0f, v48
	v_ashrrev_i32_e32 v15, v114, v49
	v_lshlrev_b32_e32 v15, 4, v15
	ds_store_2addr_b32 v20, v12, v10 offset1:8
	v_ashrrev_i32_e32 v12, v111, v49
	v_ashrrev_i32_e32 v20, v111, v51
	v_lshrrev_b32_e32 v10, 4, v48
	ds_store_2addr_b32 v23, v11, v13 offset1:8
	v_and_or_b32 v13, 0x10101010, v21, v16
	v_lshlrev_b32_e32 v12, 4, v12
	v_lshlrev_b32_e32 v20, 4, v20
	v_and_b32_e32 v10, 0xf0f0f0f, v10
	v_ashrrev_i32_e32 v21, v139, v55
	v_ashrrev_i32_e32 v23, v145, v56
	v_and_or_b32 v11, 0x10101010, v12, v14
	v_and_or_b32 v12, 0x10101010, v20, v22
	v_lshrrev_b32_e32 v14, 4, v52
	v_ashrrev_i32_e32 v20, v114, v53
	v_and_or_b32 v10, 0x10101010, v15, v10
	v_and_b32_e32 v21, 0xf0f0f0f, v21
	v_ashrrev_i32_e32 v16, v111, v53
	v_and_b32_e32 v14, 0xf0f0f0f, v14
	v_lshlrev_b32_e32 v20, 4, v20
	ds_store_2addr_b32 v25, v11, v10 offset1:8
	v_and_or_b32 v10, 0x30303030, v23, v21
	v_and_b32_e32 v15, 0xf0f0f0f, v52
	v_lshlrev_b32_e32 v16, 4, v16
	v_and_or_b32 v14, 0x10101010, v20, v14
	scratch_load_b64 v[20:21], off, off offset:172 ; 8-byte Folded Reload
	v_ashrrev_i32_e32 v22, v139, v57
	v_and_or_b32 v15, 0x10101010, v16, v15
	s_delay_alu instid0(VALU_DEP_2) | instskip(NEXT) | instid1(VALU_DEP_1)
	v_and_b32_e32 v22, 0xf0f0f0f, v22
	v_and_or_b32 v11, 0x30303030, v24, v22
	s_wait_loadcnt 0x0
	ds_store_2addr_b32 v20, v12, v13 offset1:8
	scratch_load_b64 v[12:13], off, off offset:184 ; 8-byte Folded Reload
	s_wait_loadcnt 0x0
	ds_store_2addr_b32 v12, v15, v14 offset1:8
	scratch_load_b32 v12, off, off offset:196 ; 4-byte Folded Reload
	s_wait_loadcnt 0x0
	ds_store_b32 v12, v54
	scratch_load_b32 v12, off, off offset:216 ; 4-byte Folded Reload
	s_wait_loadcnt 0x0
	ds_store_b32 v12, v10
	;; [unrolled: 3-line block ×3, first 2 shown]
	ds_store_b32 v183, v3
	ds_store_b32 v185, v4
	;; [unrolled: 1-line block ×9, first 2 shown]
	s_wait_storecnt_dscnt 0x0
	s_barrier_signal -1
	s_barrier_wait -1
	global_inv scope:SCOPE_SE
	ds_load_b32 v1, v160
	ds_load_b32 v2, v161 offset:128
	ds_load_b32 v3, v162 offset:256
	;; [unrolled: 1-line block ×3, first 2 shown]
	s_wait_dscnt 0x3
	v_lshrrev_b32_e32 v5, 16, v1
	v_cvt_f32_f16_e64 v192, v1
	s_wait_dscnt 0x1
	v_lshrrev_b32_e32 v1, 16, v3
	v_cvt_f32_f16_e64 v193, v2
	v_cvt_f32_f16_e64 v195, v3
	v_cvt_f32_f16_e64 v191, v5
	v_lshrrev_b32_e32 v5, 16, v2
	s_wait_dscnt 0x0
	v_lshrrev_b32_e32 v2, 16, v4
	v_cvt_f32_f16_e64 v196, v1
	v_cvt_f32_f16_e64 v197, v4
	;; [unrolled: 1-line block ×3, first 2 shown]
	s_delay_alu instid0(VALU_DEP_4)
	v_cvt_f32_f16_e64 v198, v2
.LBB174_6:                              ;   Parent Loop BB174_5 Depth=1
                                        ; =>  This Inner Loop Header: Depth=2
	s_wait_alu 0xfffe
	s_lshl_b32 s16, s11, 1
	s_lshl_b32 s17, s11, 3
	s_wait_alu 0xfffe
	v_or_b32_e32 v199, s16, v164
	v_add_nc_u32_e32 v3, s17, v171
	v_add_nc_u32_e32 v8, s17, v173
	;; [unrolled: 1-line block ×4, first 2 shown]
	v_lshlrev_b32_e32 v7, 2, v199
	v_or_b32_e32 v200, s16, v165
	v_or_b32_e32 v201, s16, v166
	;; [unrolled: 1-line block ×3, first 2 shown]
	ds_load_2addr_b32 v[20:21], v3 offset1:1
	ds_load_b128 v[22:25], v7 offset:33280
	ds_load_2addr_b32 v[40:41], v8 offset1:1
	ds_load_2addr_b32 v[42:43], v9 offset1:1
	ds_load_2addr_b32 v[46:47], v8 offset0:2 offset1:3
	ds_load_2addr_b32 v[26:27], v3 offset0:2 offset1:3
	ds_load_2addr_b32 v[44:45], v10 offset1:1
	ds_load_2addr_b32 v[50:51], v10 offset0:2 offset1:3
	ds_load_2addr_b32 v[48:49], v9 offset0:2 offset1:3
	v_lshlrev_b32_e32 v214, 2, v200
	v_lshlrev_b32_e32 v215, 2, v201
	;; [unrolled: 1-line block ×3, first 2 shown]
	v_or_b32_e32 v203, s16, v168
	v_or_b32_e32 v204, s16, v169
	;; [unrolled: 1-line block ×3, first 2 shown]
	s_lshr_b32 s11, s11, 2
	s_and_b32 vcc_lo, exec_lo, s10
	v_lshlrev_b32_e32 v217, 2, v203
	v_lshlrev_b32_e32 v218, 2, v204
	;; [unrolled: 1-line block ×3, first 2 shown]
	s_wait_alu 0xfffe
	s_add_co_i32 s11, s11, 0xa200
	s_wait_dscnt 0x7
	v_dot4_i32_iu8 v1, v20, v22, 0 neg_lo:[1,1,0]
	s_wait_dscnt 0x6
	v_dot4_i32_iu8 v2, v22, v40, 0 neg_lo:[1,1,0]
	;; [unrolled: 2-line block ×3, first 2 shown]
	s_mov_b32 s10, 0
	s_wait_dscnt 0x2
	v_dot4_i32_iu8 v5, v22, v44, 0 neg_lo:[1,1,0]
	v_dot4_i32_iu8 v1, v21, v23, v1 neg_lo:[1,1,0]
	;; [unrolled: 1-line block ×4, first 2 shown]
	s_delay_alu instid0(VALU_DEP_4)
	v_dot4_i32_iu8 v5, v23, v45, v5 neg_lo:[1,1,0]
	ds_load_2addr_b32 v[22:23], v3 offset0:8 offset1:9
	ds_load_b128 v[52:55], v7 offset:33312
	ds_load_2addr_b32 v[28:29], v8 offset0:8 offset1:9
	ds_load_2addr_b32 v[30:31], v9 offset0:8 offset1:9
	;; [unrolled: 1-line block ×6, first 2 shown]
	v_dot4_i32_iu8 v1, v26, v24, v1 neg_lo:[1,1,0]
	v_dot4_i32_iu8 v2, v24, v46, v2 neg_lo:[1,1,0]
	s_wait_dscnt 0x8
	v_dot4_i32_iu8 v4, v24, v48, v4 neg_lo:[1,1,0]
	v_dot4_i32_iu8 v5, v24, v50, v5 neg_lo:[1,1,0]
	;; [unrolled: 1-line block ×4, first 2 shown]
	s_delay_alu instid0(VALU_DEP_4) | instskip(NEXT) | instid1(VALU_DEP_4)
	v_dot4_i32_iu8 v13, v25, v49, v4 neg_lo:[1,1,0]
	v_dot4_i32_iu8 v14, v25, v51, v5 neg_lo:[1,1,0]
	ds_load_2addr_b32 v[24:25], v3 offset0:10 offset1:11
	s_wait_dscnt 0x7
	v_dot4_i32_iu8 v1, v22, v52, 0 neg_lo:[1,1,0]
	s_wait_dscnt 0x6
	v_dot4_i32_iu8 v2, v52, v28, 0 neg_lo:[1,1,0]
	;; [unrolled: 2-line block ×4, first 2 shown]
	v_dot4_i32_iu8 v1, v23, v53, v1 neg_lo:[1,1,0]
	v_dot4_i32_iu8 v2, v53, v29, v2 neg_lo:[1,1,0]
	;; [unrolled: 1-line block ×3, first 2 shown]
	s_delay_alu instid0(VALU_DEP_4) | instskip(NEXT) | instid1(VALU_DEP_3)
	v_dot4_i32_iu8 v5, v53, v33, v5 neg_lo:[1,1,0]
	v_dot4_i32_iu8 v2, v54, v34, v2 neg_lo:[1,1,0]
	s_wait_dscnt 0x1
	s_delay_alu instid0(VALU_DEP_3) | instskip(NEXT) | instid1(VALU_DEP_3)
	v_dot4_i32_iu8 v4, v54, v36, v4 neg_lo:[1,1,0]
	v_dot4_i32_iu8 v5, v54, v38, v5 neg_lo:[1,1,0]
	s_wait_dscnt 0x0
	v_dot4_i32_iu8 v1, v24, v54, v1 neg_lo:[1,1,0]
	v_dot4_i32_iu8 v16, v55, v35, v2 neg_lo:[1,1,0]
	;; [unrolled: 1-line block ×4, first 2 shown]
	s_delay_alu instid0(VALU_DEP_4)
	v_dot4_i32_iu8 v15, v25, v55, v1 neg_lo:[1,1,0]
	ds_load_b128 v[52:55], v214 offset:33280
	s_wait_dscnt 0x0
	v_dot4_i32_iu8 v1, v20, v52, 0 neg_lo:[1,1,0]
	v_dot4_i32_iu8 v2, v52, v40, 0 neg_lo:[1,1,0]
	v_dot4_i32_iu8 v4, v52, v42, 0 neg_lo:[1,1,0]
	v_dot4_i32_iu8 v5, v52, v44, 0 neg_lo:[1,1,0]
	s_delay_alu instid0(VALU_DEP_4) | instskip(NEXT) | instid1(VALU_DEP_4)
	v_dot4_i32_iu8 v1, v21, v53, v1 neg_lo:[1,1,0]
	v_dot4_i32_iu8 v2, v53, v41, v2 neg_lo:[1,1,0]
	s_delay_alu instid0(VALU_DEP_4) | instskip(NEXT) | instid1(VALU_DEP_4)
	v_dot4_i32_iu8 v4, v53, v43, v4 neg_lo:[1,1,0]
	v_dot4_i32_iu8 v5, v53, v45, v5 neg_lo:[1,1,0]
	s_delay_alu instid0(VALU_DEP_4) | instskip(NEXT) | instid1(VALU_DEP_4)
	v_dot4_i32_iu8 v1, v26, v54, v1 neg_lo:[1,1,0]
	v_dot4_i32_iu8 v2, v54, v46, v2 neg_lo:[1,1,0]
	s_delay_alu instid0(VALU_DEP_4) | instskip(NEXT) | instid1(VALU_DEP_4)
	v_dot4_i32_iu8 v4, v54, v48, v4 neg_lo:[1,1,0]
	v_dot4_i32_iu8 v52, v54, v50, v5 neg_lo:[1,1,0]
	s_delay_alu instid0(VALU_DEP_4) | instskip(NEXT) | instid1(VALU_DEP_4)
	v_dot4_i32_iu8 v120, v27, v55, v1 neg_lo:[1,1,0]
	v_dot4_i32_iu8 v6, v55, v47, v2 neg_lo:[1,1,0]
	s_delay_alu instid0(VALU_DEP_4) | instskip(NEXT) | instid1(VALU_DEP_4)
	v_dot4_i32_iu8 v5, v55, v49, v4 neg_lo:[1,1,0]
	v_dot4_i32_iu8 v4, v55, v51, v52 neg_lo:[1,1,0]
	ds_load_b128 v[52:55], v214 offset:33312
	s_wait_dscnt 0x0
	v_dot4_i32_iu8 v1, v22, v52, 0 neg_lo:[1,1,0]
	v_dot4_i32_iu8 v2, v52, v28, 0 neg_lo:[1,1,0]
	v_dot4_i32_iu8 v56, v52, v30, 0 neg_lo:[1,1,0]
	v_dot4_i32_iu8 v52, v52, v32, 0 neg_lo:[1,1,0]
	s_delay_alu instid0(VALU_DEP_4) | instskip(NEXT) | instid1(VALU_DEP_4)
	v_dot4_i32_iu8 v1, v23, v53, v1 neg_lo:[1,1,0]
	v_dot4_i32_iu8 v2, v53, v29, v2 neg_lo:[1,1,0]
	s_delay_alu instid0(VALU_DEP_4) | instskip(NEXT) | instid1(VALU_DEP_4)
	v_dot4_i32_iu8 v56, v53, v31, v56 neg_lo:[1,1,0]
	v_dot4_i32_iu8 v52, v53, v33, v52 neg_lo:[1,1,0]
	s_delay_alu instid0(VALU_DEP_4) | instskip(NEXT) | instid1(VALU_DEP_4)
	v_dot4_i32_iu8 v1, v24, v54, v1 neg_lo:[1,1,0]
	v_dot4_i32_iu8 v2, v54, v34, v2 neg_lo:[1,1,0]
	s_delay_alu instid0(VALU_DEP_4) | instskip(NEXT) | instid1(VALU_DEP_4)
	v_dot4_i32_iu8 v53, v54, v36, v56 neg_lo:[1,1,0]
	v_dot4_i32_iu8 v52, v54, v38, v52 neg_lo:[1,1,0]
	s_delay_alu instid0(VALU_DEP_4) | instskip(NEXT) | instid1(VALU_DEP_4)
	v_dot4_i32_iu8 v219, v25, v55, v1 neg_lo:[1,1,0]
	v_dot4_i32_iu8 v220, v55, v35, v2 neg_lo:[1,1,0]
	s_delay_alu instid0(VALU_DEP_4) | instskip(NEXT) | instid1(VALU_DEP_4)
	v_dot4_i32_iu8 v221, v55, v37, v53 neg_lo:[1,1,0]
	v_dot4_i32_iu8 v222, v55, v39, v52 neg_lo:[1,1,0]
	ds_load_b128 v[52:55], v215 offset:33280
	s_wait_dscnt 0x0
	v_dot4_i32_iu8 v1, v20, v52, 0 neg_lo:[1,1,0]
	v_dot4_i32_iu8 v2, v52, v40, 0 neg_lo:[1,1,0]
	v_dot4_i32_iu8 v56, v52, v42, 0 neg_lo:[1,1,0]
	v_dot4_i32_iu8 v52, v52, v44, 0 neg_lo:[1,1,0]
	s_delay_alu instid0(VALU_DEP_4) | instskip(NEXT) | instid1(VALU_DEP_4)
	v_dot4_i32_iu8 v1, v21, v53, v1 neg_lo:[1,1,0]
	v_dot4_i32_iu8 v2, v53, v41, v2 neg_lo:[1,1,0]
	s_delay_alu instid0(VALU_DEP_4) | instskip(NEXT) | instid1(VALU_DEP_4)
	v_dot4_i32_iu8 v56, v53, v43, v56 neg_lo:[1,1,0]
	v_dot4_i32_iu8 v52, v53, v45, v52 neg_lo:[1,1,0]
	s_delay_alu instid0(VALU_DEP_4) | instskip(NEXT) | instid1(VALU_DEP_4)
	v_dot4_i32_iu8 v1, v26, v54, v1 neg_lo:[1,1,0]
	v_dot4_i32_iu8 v2, v54, v46, v2 neg_lo:[1,1,0]
	s_delay_alu instid0(VALU_DEP_4) | instskip(NEXT) | instid1(VALU_DEP_4)
	v_dot4_i32_iu8 v53, v54, v48, v56 neg_lo:[1,1,0]
	v_dot4_i32_iu8 v52, v54, v50, v52 neg_lo:[1,1,0]
	s_delay_alu instid0(VALU_DEP_4) | instskip(NEXT) | instid1(VALU_DEP_4)
	v_dot4_i32_iu8 v223, v27, v55, v1 neg_lo:[1,1,0]
	v_dot4_i32_iu8 v224, v55, v47, v2 neg_lo:[1,1,0]
	s_delay_alu instid0(VALU_DEP_4) | instskip(NEXT) | instid1(VALU_DEP_4)
	v_dot4_i32_iu8 v225, v55, v49, v53 neg_lo:[1,1,0]
	v_dot4_i32_iu8 v226, v55, v51, v52 neg_lo:[1,1,0]
	ds_load_b128 v[52:55], v215 offset:33312
	s_wait_dscnt 0x0
	v_dot4_i32_iu8 v1, v22, v52, 0 neg_lo:[1,1,0]
	v_dot4_i32_iu8 v2, v52, v28, 0 neg_lo:[1,1,0]
	v_dot4_i32_iu8 v56, v52, v30, 0 neg_lo:[1,1,0]
	v_dot4_i32_iu8 v52, v52, v32, 0 neg_lo:[1,1,0]
	s_delay_alu instid0(VALU_DEP_4) | instskip(NEXT) | instid1(VALU_DEP_4)
	v_dot4_i32_iu8 v1, v23, v53, v1 neg_lo:[1,1,0]
	v_dot4_i32_iu8 v2, v53, v29, v2 neg_lo:[1,1,0]
	s_delay_alu instid0(VALU_DEP_4) | instskip(NEXT) | instid1(VALU_DEP_4)
	v_dot4_i32_iu8 v56, v53, v31, v56 neg_lo:[1,1,0]
	v_dot4_i32_iu8 v52, v53, v33, v52 neg_lo:[1,1,0]
	s_delay_alu instid0(VALU_DEP_4) | instskip(NEXT) | instid1(VALU_DEP_4)
	v_dot4_i32_iu8 v1, v24, v54, v1 neg_lo:[1,1,0]
	v_dot4_i32_iu8 v2, v54, v34, v2 neg_lo:[1,1,0]
	s_delay_alu instid0(VALU_DEP_4) | instskip(NEXT) | instid1(VALU_DEP_4)
	v_dot4_i32_iu8 v53, v54, v36, v56 neg_lo:[1,1,0]
	v_dot4_i32_iu8 v52, v54, v38, v52 neg_lo:[1,1,0]
	s_delay_alu instid0(VALU_DEP_4) | instskip(NEXT) | instid1(VALU_DEP_4)
	v_dot4_i32_iu8 v227, v25, v55, v1 neg_lo:[1,1,0]
	v_dot4_i32_iu8 v228, v55, v35, v2 neg_lo:[1,1,0]
	s_delay_alu instid0(VALU_DEP_4) | instskip(NEXT) | instid1(VALU_DEP_4)
	v_dot4_i32_iu8 v229, v55, v37, v53 neg_lo:[1,1,0]
	v_dot4_i32_iu8 v230, v55, v39, v52 neg_lo:[1,1,0]
	ds_load_b128 v[52:55], v216 offset:33280
	s_wait_dscnt 0x0
	v_dot4_i32_iu8 v1, v20, v52, 0 neg_lo:[1,1,0]
	v_dot4_i32_iu8 v2, v52, v40, 0 neg_lo:[1,1,0]
	v_dot4_i32_iu8 v56, v52, v42, 0 neg_lo:[1,1,0]
	v_dot4_i32_iu8 v52, v52, v44, 0 neg_lo:[1,1,0]
	s_delay_alu instid0(VALU_DEP_4) | instskip(NEXT) | instid1(VALU_DEP_4)
	v_dot4_i32_iu8 v1, v21, v53, v1 neg_lo:[1,1,0]
	v_dot4_i32_iu8 v2, v53, v41, v2 neg_lo:[1,1,0]
	s_delay_alu instid0(VALU_DEP_4) | instskip(NEXT) | instid1(VALU_DEP_4)
	v_dot4_i32_iu8 v56, v53, v43, v56 neg_lo:[1,1,0]
	v_dot4_i32_iu8 v52, v53, v45, v52 neg_lo:[1,1,0]
	s_delay_alu instid0(VALU_DEP_4) | instskip(NEXT) | instid1(VALU_DEP_4)
	v_dot4_i32_iu8 v1, v26, v54, v1 neg_lo:[1,1,0]
	v_dot4_i32_iu8 v2, v54, v46, v2 neg_lo:[1,1,0]
	s_delay_alu instid0(VALU_DEP_4) | instskip(NEXT) | instid1(VALU_DEP_4)
	v_dot4_i32_iu8 v53, v54, v48, v56 neg_lo:[1,1,0]
	v_dot4_i32_iu8 v52, v54, v50, v52 neg_lo:[1,1,0]
	s_delay_alu instid0(VALU_DEP_4) | instskip(NEXT) | instid1(VALU_DEP_4)
	v_dot4_i32_iu8 v231, v27, v55, v1 neg_lo:[1,1,0]
	v_dot4_i32_iu8 v232, v55, v47, v2 neg_lo:[1,1,0]
	s_delay_alu instid0(VALU_DEP_4) | instskip(NEXT) | instid1(VALU_DEP_4)
	v_dot4_i32_iu8 v233, v55, v49, v53 neg_lo:[1,1,0]
	v_dot4_i32_iu8 v234, v55, v51, v52 neg_lo:[1,1,0]
	ds_load_b128 v[52:55], v216 offset:33312
	s_wait_dscnt 0x0
	v_dot4_i32_iu8 v1, v22, v52, 0 neg_lo:[1,1,0]
	v_dot4_i32_iu8 v2, v52, v28, 0 neg_lo:[1,1,0]
	v_dot4_i32_iu8 v56, v52, v30, 0 neg_lo:[1,1,0]
	v_dot4_i32_iu8 v52, v52, v32, 0 neg_lo:[1,1,0]
	s_delay_alu instid0(VALU_DEP_4) | instskip(NEXT) | instid1(VALU_DEP_4)
	v_dot4_i32_iu8 v1, v23, v53, v1 neg_lo:[1,1,0]
	v_dot4_i32_iu8 v2, v53, v29, v2 neg_lo:[1,1,0]
	s_delay_alu instid0(VALU_DEP_4) | instskip(NEXT) | instid1(VALU_DEP_4)
	v_dot4_i32_iu8 v56, v53, v31, v56 neg_lo:[1,1,0]
	v_dot4_i32_iu8 v52, v53, v33, v52 neg_lo:[1,1,0]
	s_delay_alu instid0(VALU_DEP_4) | instskip(NEXT) | instid1(VALU_DEP_4)
	v_dot4_i32_iu8 v1, v24, v54, v1 neg_lo:[1,1,0]
	v_dot4_i32_iu8 v2, v54, v34, v2 neg_lo:[1,1,0]
	s_delay_alu instid0(VALU_DEP_4) | instskip(NEXT) | instid1(VALU_DEP_4)
	v_dot4_i32_iu8 v53, v54, v36, v56 neg_lo:[1,1,0]
	v_dot4_i32_iu8 v52, v54, v38, v52 neg_lo:[1,1,0]
	s_delay_alu instid0(VALU_DEP_4) | instskip(NEXT) | instid1(VALU_DEP_4)
	v_dot4_i32_iu8 v235, v25, v55, v1 neg_lo:[1,1,0]
	v_dot4_i32_iu8 v236, v55, v35, v2 neg_lo:[1,1,0]
	s_delay_alu instid0(VALU_DEP_4) | instskip(NEXT) | instid1(VALU_DEP_4)
	v_dot4_i32_iu8 v237, v55, v37, v53 neg_lo:[1,1,0]
	v_dot4_i32_iu8 v238, v55, v39, v52 neg_lo:[1,1,0]
	ds_load_b128 v[52:55], v217 offset:33280
	s_wait_dscnt 0x0
	v_dot4_i32_iu8 v1, v20, v52, 0 neg_lo:[1,1,0]
	v_dot4_i32_iu8 v2, v52, v40, 0 neg_lo:[1,1,0]
	v_dot4_i32_iu8 v56, v52, v42, 0 neg_lo:[1,1,0]
	v_dot4_i32_iu8 v52, v52, v44, 0 neg_lo:[1,1,0]
	s_delay_alu instid0(VALU_DEP_4) | instskip(NEXT) | instid1(VALU_DEP_4)
	v_dot4_i32_iu8 v1, v21, v53, v1 neg_lo:[1,1,0]
	v_dot4_i32_iu8 v2, v53, v41, v2 neg_lo:[1,1,0]
	s_delay_alu instid0(VALU_DEP_4) | instskip(NEXT) | instid1(VALU_DEP_4)
	v_dot4_i32_iu8 v56, v53, v43, v56 neg_lo:[1,1,0]
	v_dot4_i32_iu8 v52, v53, v45, v52 neg_lo:[1,1,0]
	s_delay_alu instid0(VALU_DEP_4) | instskip(NEXT) | instid1(VALU_DEP_4)
	v_dot4_i32_iu8 v1, v26, v54, v1 neg_lo:[1,1,0]
	v_dot4_i32_iu8 v2, v54, v46, v2 neg_lo:[1,1,0]
	s_delay_alu instid0(VALU_DEP_4) | instskip(NEXT) | instid1(VALU_DEP_4)
	v_dot4_i32_iu8 v53, v54, v48, v56 neg_lo:[1,1,0]
	v_dot4_i32_iu8 v52, v54, v50, v52 neg_lo:[1,1,0]
	s_delay_alu instid0(VALU_DEP_4) | instskip(NEXT) | instid1(VALU_DEP_4)
	v_dot4_i32_iu8 v240, v27, v55, v1 neg_lo:[1,1,0]
	v_dot4_i32_iu8 v241, v55, v47, v2 neg_lo:[1,1,0]
	s_delay_alu instid0(VALU_DEP_4) | instskip(NEXT) | instid1(VALU_DEP_4)
	v_dot4_i32_iu8 v242, v55, v49, v53 neg_lo:[1,1,0]
	v_dot4_i32_iu8 v243, v55, v51, v52 neg_lo:[1,1,0]
	ds_load_b128 v[52:55], v217 offset:33312
	s_wait_dscnt 0x0
	v_dot4_i32_iu8 v1, v22, v52, 0 neg_lo:[1,1,0]
	v_dot4_i32_iu8 v2, v52, v28, 0 neg_lo:[1,1,0]
	v_dot4_i32_iu8 v56, v52, v30, 0 neg_lo:[1,1,0]
	v_dot4_i32_iu8 v52, v52, v32, 0 neg_lo:[1,1,0]
	s_delay_alu instid0(VALU_DEP_4) | instskip(NEXT) | instid1(VALU_DEP_4)
	v_dot4_i32_iu8 v1, v23, v53, v1 neg_lo:[1,1,0]
	v_dot4_i32_iu8 v2, v53, v29, v2 neg_lo:[1,1,0]
	s_delay_alu instid0(VALU_DEP_4) | instskip(NEXT) | instid1(VALU_DEP_4)
	v_dot4_i32_iu8 v56, v53, v31, v56 neg_lo:[1,1,0]
	v_dot4_i32_iu8 v52, v53, v33, v52 neg_lo:[1,1,0]
	s_delay_alu instid0(VALU_DEP_4) | instskip(NEXT) | instid1(VALU_DEP_4)
	v_dot4_i32_iu8 v1, v24, v54, v1 neg_lo:[1,1,0]
	v_dot4_i32_iu8 v2, v54, v34, v2 neg_lo:[1,1,0]
	s_delay_alu instid0(VALU_DEP_4) | instskip(NEXT) | instid1(VALU_DEP_4)
	v_dot4_i32_iu8 v53, v54, v36, v56 neg_lo:[1,1,0]
	v_dot4_i32_iu8 v52, v54, v38, v52 neg_lo:[1,1,0]
	s_delay_alu instid0(VALU_DEP_4) | instskip(NEXT) | instid1(VALU_DEP_4)
	v_dot4_i32_iu8 v244, v25, v55, v1 neg_lo:[1,1,0]
	v_dot4_i32_iu8 v245, v55, v35, v2 neg_lo:[1,1,0]
	s_delay_alu instid0(VALU_DEP_4) | instskip(NEXT) | instid1(VALU_DEP_4)
	v_dot4_i32_iu8 v246, v55, v37, v53 neg_lo:[1,1,0]
	v_dot4_i32_iu8 v247, v55, v39, v52 neg_lo:[1,1,0]
	ds_load_b128 v[52:55], v218 offset:33280
	s_wait_dscnt 0x0
	v_dot4_i32_iu8 v1, v20, v52, 0 neg_lo:[1,1,0]
	v_dot4_i32_iu8 v2, v52, v40, 0 neg_lo:[1,1,0]
	v_dot4_i32_iu8 v56, v52, v42, 0 neg_lo:[1,1,0]
	v_dot4_i32_iu8 v52, v52, v44, 0 neg_lo:[1,1,0]
	s_delay_alu instid0(VALU_DEP_4) | instskip(NEXT) | instid1(VALU_DEP_4)
	v_dot4_i32_iu8 v1, v21, v53, v1 neg_lo:[1,1,0]
	v_dot4_i32_iu8 v2, v53, v41, v2 neg_lo:[1,1,0]
	s_delay_alu instid0(VALU_DEP_4) | instskip(NEXT) | instid1(VALU_DEP_4)
	v_dot4_i32_iu8 v56, v53, v43, v56 neg_lo:[1,1,0]
	v_dot4_i32_iu8 v52, v53, v45, v52 neg_lo:[1,1,0]
	s_delay_alu instid0(VALU_DEP_4) | instskip(NEXT) | instid1(VALU_DEP_4)
	v_dot4_i32_iu8 v1, v26, v54, v1 neg_lo:[1,1,0]
	v_dot4_i32_iu8 v2, v54, v46, v2 neg_lo:[1,1,0]
	s_delay_alu instid0(VALU_DEP_4) | instskip(NEXT) | instid1(VALU_DEP_4)
	v_dot4_i32_iu8 v53, v54, v48, v56 neg_lo:[1,1,0]
	v_dot4_i32_iu8 v52, v54, v50, v52 neg_lo:[1,1,0]
	s_delay_alu instid0(VALU_DEP_4) | instskip(NEXT) | instid1(VALU_DEP_4)
	v_dot4_i32_iu8 v248, v27, v55, v1 neg_lo:[1,1,0]
	v_dot4_i32_iu8 v249, v55, v47, v2 neg_lo:[1,1,0]
	s_delay_alu instid0(VALU_DEP_4) | instskip(NEXT) | instid1(VALU_DEP_4)
	v_dot4_i32_iu8 v250, v55, v49, v53 neg_lo:[1,1,0]
	v_dot4_i32_iu8 v251, v55, v51, v52 neg_lo:[1,1,0]
	ds_load_b128 v[52:55], v218 offset:33312
	s_wait_dscnt 0x0
	v_dot4_i32_iu8 v1, v22, v52, 0 neg_lo:[1,1,0]
	v_dot4_i32_iu8 v2, v52, v28, 0 neg_lo:[1,1,0]
	v_dot4_i32_iu8 v56, v52, v30, 0 neg_lo:[1,1,0]
	v_dot4_i32_iu8 v52, v52, v32, 0 neg_lo:[1,1,0]
	s_delay_alu instid0(VALU_DEP_4) | instskip(NEXT) | instid1(VALU_DEP_4)
	v_dot4_i32_iu8 v1, v23, v53, v1 neg_lo:[1,1,0]
	v_dot4_i32_iu8 v2, v53, v29, v2 neg_lo:[1,1,0]
	s_delay_alu instid0(VALU_DEP_4) | instskip(NEXT) | instid1(VALU_DEP_4)
	v_dot4_i32_iu8 v56, v53, v31, v56 neg_lo:[1,1,0]
	v_dot4_i32_iu8 v52, v53, v33, v52 neg_lo:[1,1,0]
	s_delay_alu instid0(VALU_DEP_4) | instskip(NEXT) | instid1(VALU_DEP_4)
	v_dot4_i32_iu8 v1, v24, v54, v1 neg_lo:[1,1,0]
	v_dot4_i32_iu8 v2, v54, v34, v2 neg_lo:[1,1,0]
	s_delay_alu instid0(VALU_DEP_4) | instskip(NEXT) | instid1(VALU_DEP_4)
	v_dot4_i32_iu8 v53, v54, v36, v56 neg_lo:[1,1,0]
	v_dot4_i32_iu8 v52, v54, v38, v52 neg_lo:[1,1,0]
	s_delay_alu instid0(VALU_DEP_4) | instskip(NEXT) | instid1(VALU_DEP_4)
	v_dot4_i32_iu8 v252, v25, v55, v1 neg_lo:[1,1,0]
	v_dot4_i32_iu8 v253, v55, v35, v2 neg_lo:[1,1,0]
	s_delay_alu instid0(VALU_DEP_4) | instskip(NEXT) | instid1(VALU_DEP_4)
	v_dot4_i32_iu8 v254, v55, v37, v53 neg_lo:[1,1,0]
	v_dot4_i32_iu8 v255, v55, v39, v52 neg_lo:[1,1,0]
	ds_load_b128 v[52:55], v239 offset:33280
	s_wait_dscnt 0x0
	v_dot4_i32_iu8 v1, v52, v40, 0 neg_lo:[1,1,0]
	v_dot4_i32_iu8 v2, v52, v42, 0 neg_lo:[1,1,0]
	v_dot4_i32_iu8 v56, v52, v44, 0 neg_lo:[1,1,0]
	v_dot4_i32_iu8 v52, v20, v52, 0 neg_lo:[1,1,0]
	s_delay_alu instid0(VALU_DEP_4) | instskip(NEXT) | instid1(VALU_DEP_4)
	v_dot4_i32_iu8 v1, v53, v41, v1 neg_lo:[1,1,0]
	v_dot4_i32_iu8 v2, v53, v43, v2 neg_lo:[1,1,0]
	s_delay_alu instid0(VALU_DEP_4) | instskip(NEXT) | instid1(VALU_DEP_4)
	v_dot4_i32_iu8 v56, v53, v45, v56 neg_lo:[1,1,0]
	v_dot4_i32_iu8 v52, v21, v53, v52 neg_lo:[1,1,0]
	s_delay_alu instid0(VALU_DEP_4) | instskip(NEXT) | instid1(VALU_DEP_4)
	v_dot4_i32_iu8 v1, v54, v46, v1 neg_lo:[1,1,0]
	v_dot4_i32_iu8 v2, v54, v48, v2 neg_lo:[1,1,0]
	s_delay_alu instid0(VALU_DEP_4) | instskip(NEXT) | instid1(VALU_DEP_4)
	v_dot4_i32_iu8 v53, v54, v50, v56 neg_lo:[1,1,0]
	v_dot4_i32_iu8 v52, v26, v54, v52 neg_lo:[1,1,0]
	s_delay_alu instid0(VALU_DEP_4) | instskip(NEXT) | instid1(VALU_DEP_4)
	v_dot4_i32_iu8 v101, v55, v47, v1 neg_lo:[1,1,0]
	v_dot4_i32_iu8 v116, v55, v49, v2 neg_lo:[1,1,0]
	s_delay_alu instid0(VALU_DEP_4) | instskip(NEXT) | instid1(VALU_DEP_4)
	v_dot4_i32_iu8 v100, v55, v51, v53 neg_lo:[1,1,0]
	v_dot4_i32_iu8 v119, v27, v55, v52 neg_lo:[1,1,0]
	ds_load_b128 v[52:55], v239 offset:33312
	s_wait_dscnt 0x0
	v_dot4_i32_iu8 v1, v22, v52, 0 neg_lo:[1,1,0]
	v_dot4_i32_iu8 v2, v52, v28, 0 neg_lo:[1,1,0]
	v_dot4_i32_iu8 v56, v52, v30, 0 neg_lo:[1,1,0]
	v_dot4_i32_iu8 v52, v52, v32, 0 neg_lo:[1,1,0]
	s_delay_alu instid0(VALU_DEP_4) | instskip(NEXT) | instid1(VALU_DEP_4)
	v_dot4_i32_iu8 v1, v23, v53, v1 neg_lo:[1,1,0]
	v_dot4_i32_iu8 v2, v53, v29, v2 neg_lo:[1,1,0]
	s_delay_alu instid0(VALU_DEP_4) | instskip(NEXT) | instid1(VALU_DEP_4)
	v_dot4_i32_iu8 v56, v53, v31, v56 neg_lo:[1,1,0]
	v_dot4_i32_iu8 v52, v53, v33, v52 neg_lo:[1,1,0]
	s_delay_alu instid0(VALU_DEP_4) | instskip(NEXT) | instid1(VALU_DEP_4)
	v_dot4_i32_iu8 v1, v24, v54, v1 neg_lo:[1,1,0]
	v_dot4_i32_iu8 v2, v54, v34, v2 neg_lo:[1,1,0]
	s_delay_alu instid0(VALU_DEP_4) | instskip(NEXT) | instid1(VALU_DEP_4)
	v_dot4_i32_iu8 v53, v54, v36, v56 neg_lo:[1,1,0]
	v_dot4_i32_iu8 v52, v54, v38, v52 neg_lo:[1,1,0]
	s_delay_alu instid0(VALU_DEP_4) | instskip(NEXT) | instid1(VALU_DEP_4)
	v_dot4_i32_iu8 v115, v25, v55, v1 neg_lo:[1,1,0]
	v_dot4_i32_iu8 v1, v55, v35, v2 neg_lo:[1,1,0]
	s_delay_alu instid0(VALU_DEP_4) | instskip(NEXT) | instid1(VALU_DEP_4)
	v_dot4_i32_iu8 v118, v55, v37, v53 neg_lo:[1,1,0]
	v_dot4_i32_iu8 v2, v55, v39, v52 neg_lo:[1,1,0]
	ds_load_2addr_b32 v[52:53], v3 offset0:4 offset1:5
	ds_load_b128 v[54:57], v7 offset:33296
	ds_load_2addr_b32 v[72:73], v8 offset0:4 offset1:5
	ds_load_2addr_b32 v[74:75], v9 offset0:4 offset1:5
	ds_load_2addr_b32 v[78:79], v8 offset0:6 offset1:7
	ds_load_2addr_b32 v[58:59], v3 offset0:6 offset1:7
	ds_load_2addr_b32 v[76:77], v10 offset0:4 offset1:5
	ds_load_2addr_b32 v[82:83], v10 offset0:6 offset1:7
	ds_load_2addr_b32 v[80:81], v9 offset0:6 offset1:7
	s_wait_dscnt 0x7
	v_dot4_i32_iu8 v11, v52, v54, v11 neg_lo:[1,1,0]
	s_wait_dscnt 0x6
	v_dot4_i32_iu8 v12, v54, v72, v12 neg_lo:[1,1,0]
	;; [unrolled: 2-line block ×4, first 2 shown]
	v_dot4_i32_iu8 v11, v53, v55, v11 neg_lo:[1,1,0]
	v_dot4_i32_iu8 v12, v55, v73, v12 neg_lo:[1,1,0]
	;; [unrolled: 1-line block ×3, first 2 shown]
	s_delay_alu instid0(VALU_DEP_4)
	v_dot4_i32_iu8 v14, v55, v77, v14 neg_lo:[1,1,0]
	ds_load_2addr_b32 v[54:55], v3 offset0:12 offset1:13
	ds_load_b128 v[122:125], v7 offset:33328
	ds_load_2addr_b32 v[62:63], v9 offset0:12 offset1:13
	ds_load_2addr_b32 v[70:71], v10 offset0:14 offset1:15
	v_dot4_i32_iu8 v12, v56, v78, v12 neg_lo:[1,1,0]
	ds_load_2addr_b32 v[60:61], v8 offset0:12 offset1:13
	ds_load_2addr_b32 v[68:69], v9 offset0:14 offset1:15
	v_dot4_i32_iu8 v11, v58, v56, v11 neg_lo:[1,1,0]
	s_wait_dscnt 0x6
	v_dot4_i32_iu8 v13, v56, v80, v13 neg_lo:[1,1,0]
	v_dot4_i32_iu8 v208, v57, v79, v12 neg_lo:[1,1,0]
	;; [unrolled: 1-line block ×4, first 2 shown]
	s_delay_alu instid0(VALU_DEP_4) | instskip(NEXT) | instid1(VALU_DEP_3)
	v_dot4_i32_iu8 v207, v57, v81, v13 neg_lo:[1,1,0]
	v_dot4_i32_iu8 v206, v57, v83, v14 neg_lo:[1,1,0]
	s_wait_dscnt 0x4
	v_dot4_i32_iu8 v7, v54, v122, v15 neg_lo:[1,1,0]
	s_wait_dscnt 0x3
	v_dot4_i32_iu8 v12, v122, v62, v64 neg_lo:[1,1,0]
	ds_load_2addr_b32 v[64:65], v10 offset0:12 offset1:13
	v_dot4_i32_iu8 v7, v55, v123, v7 neg_lo:[1,1,0]
	v_dot4_i32_iu8 v12, v123, v63, v12 neg_lo:[1,1,0]
	s_wait_dscnt 0x0
	v_dot4_i32_iu8 v13, v122, v64, v66 neg_lo:[1,1,0]
	ds_load_2addr_b32 v[66:67], v8 offset0:14 offset1:15
	ds_load_2addr_b32 v[56:57], v3 offset0:14 offset1:15
	v_dot4_i32_iu8 v11, v122, v60, v16 neg_lo:[1,1,0]
	v_dot4_i32_iu8 v8, v124, v68, v12 neg_lo:[1,1,0]
	;; [unrolled: 1-line block ×3, first 2 shown]
	s_delay_alu instid0(VALU_DEP_3) | instskip(NEXT) | instid1(VALU_DEP_3)
	v_dot4_i32_iu8 v11, v123, v61, v11 neg_lo:[1,1,0]
	v_dot4_i32_iu8 v211, v125, v69, v8 neg_lo:[1,1,0]
	s_delay_alu instid0(VALU_DEP_3) | instskip(NEXT) | instid1(VALU_DEP_1)
	v_dot4_i32_iu8 v9, v124, v70, v13 neg_lo:[1,1,0]
	v_dot4_i32_iu8 v210, v125, v71, v9 neg_lo:[1,1,0]
	s_wait_dscnt 0x0
	v_dot4_i32_iu8 v3, v56, v124, v7 neg_lo:[1,1,0]
	v_dot4_i32_iu8 v7, v124, v66, v11 neg_lo:[1,1,0]
	s_delay_alu instid0(VALU_DEP_2) | instskip(NEXT) | instid1(VALU_DEP_2)
	v_dot4_i32_iu8 v213, v57, v125, v3 neg_lo:[1,1,0]
	v_dot4_i32_iu8 v212, v125, v67, v7 neg_lo:[1,1,0]
	ds_load_b128 v[122:125], v214 offset:33296
	s_wait_dscnt 0x0
	v_dot4_i32_iu8 v3, v52, v122, v120 neg_lo:[1,1,0]
	v_dot4_i32_iu8 v6, v122, v72, v6 neg_lo:[1,1,0]
	;; [unrolled: 1-line block ×4, first 2 shown]
	s_delay_alu instid0(VALU_DEP_4) | instskip(NEXT) | instid1(VALU_DEP_4)
	v_dot4_i32_iu8 v3, v53, v123, v3 neg_lo:[1,1,0]
	v_dot4_i32_iu8 v6, v123, v73, v6 neg_lo:[1,1,0]
	s_delay_alu instid0(VALU_DEP_4) | instskip(NEXT) | instid1(VALU_DEP_4)
	v_dot4_i32_iu8 v5, v123, v75, v5 neg_lo:[1,1,0]
	v_dot4_i32_iu8 v4, v123, v77, v4 neg_lo:[1,1,0]
	;; [unrolled: 3-line block ×6, first 2 shown]
	ds_load_b128 v[5:8], v214 offset:33328
	s_wait_dscnt 0x0
	v_dot4_i32_iu8 v9, v54, v5, v219 neg_lo:[1,1,0]
	v_dot4_i32_iu8 v10, v5, v60, v220 neg_lo:[1,1,0]
	;; [unrolled: 1-line block ×4, first 2 shown]
	ds_load_b128 v[219:222], v215 offset:33296
	v_dot4_i32_iu8 v9, v55, v6, v9 neg_lo:[1,1,0]
	v_dot4_i32_iu8 v10, v6, v61, v10 neg_lo:[1,1,0]
	;; [unrolled: 1-line block ×4, first 2 shown]
	s_delay_alu instid0(VALU_DEP_4) | instskip(NEXT) | instid1(VALU_DEP_4)
	v_dot4_i32_iu8 v6, v56, v7, v9 neg_lo:[1,1,0]
	v_dot4_i32_iu8 v9, v7, v66, v10 neg_lo:[1,1,0]
	s_delay_alu instid0(VALU_DEP_4) | instskip(NEXT) | instid1(VALU_DEP_4)
	v_dot4_i32_iu8 v10, v7, v68, v11 neg_lo:[1,1,0]
	v_dot4_i32_iu8 v5, v7, v70, v5 neg_lo:[1,1,0]
	;; [unrolled: 3-line block ×4, first 2 shown]
	s_wait_dscnt 0x0
	v_dot4_i32_iu8 v9, v219, v76, v226 neg_lo:[1,1,0]
	v_dot4_i32_iu8 v6, v52, v219, v223 neg_lo:[1,1,0]
	;; [unrolled: 1-line block ×4, first 2 shown]
	s_delay_alu instid0(VALU_DEP_4) | instskip(NEXT) | instid1(VALU_DEP_4)
	v_dot4_i32_iu8 v9, v220, v77, v9 neg_lo:[1,1,0]
	v_dot4_i32_iu8 v6, v53, v220, v6 neg_lo:[1,1,0]
	s_delay_alu instid0(VALU_DEP_4) | instskip(NEXT) | instid1(VALU_DEP_4)
	v_dot4_i32_iu8 v7, v220, v73, v7 neg_lo:[1,1,0]
	v_dot4_i32_iu8 v8, v220, v75, v8 neg_lo:[1,1,0]
	;; [unrolled: 3-line block ×4, first 2 shown]
	s_delay_alu instid0(VALU_DEP_4)
	v_dot4_i32_iu8 v214, v222, v83, v9 neg_lo:[1,1,0]
	ds_load_b128 v[9:12], v215 offset:33328
	v_dot4_i32_iu8 v224, v59, v222, v6 neg_lo:[1,1,0]
	v_dot4_i32_iu8 v221, v222, v79, v7 neg_lo:[1,1,0]
	;; [unrolled: 1-line block ×3, first 2 shown]
	s_wait_dscnt 0x0
	v_dot4_i32_iu8 v6, v54, v9, v227 neg_lo:[1,1,0]
	v_dot4_i32_iu8 v7, v9, v60, v228 neg_lo:[1,1,0]
	v_dot4_i32_iu8 v8, v9, v62, v229 neg_lo:[1,1,0]
	v_dot4_i32_iu8 v9, v9, v64, v230 neg_lo:[1,1,0]
	s_delay_alu instid0(VALU_DEP_4) | instskip(NEXT) | instid1(VALU_DEP_4)
	v_dot4_i32_iu8 v6, v55, v10, v6 neg_lo:[1,1,0]
	v_dot4_i32_iu8 v7, v10, v61, v7 neg_lo:[1,1,0]
	s_delay_alu instid0(VALU_DEP_4) | instskip(NEXT) | instid1(VALU_DEP_4)
	v_dot4_i32_iu8 v8, v10, v63, v8 neg_lo:[1,1,0]
	v_dot4_i32_iu8 v9, v10, v65, v9 neg_lo:[1,1,0]
	s_delay_alu instid0(VALU_DEP_4) | instskip(NEXT) | instid1(VALU_DEP_4)
	v_dot4_i32_iu8 v6, v56, v11, v6 neg_lo:[1,1,0]
	v_dot4_i32_iu8 v7, v11, v66, v7 neg_lo:[1,1,0]
	s_delay_alu instid0(VALU_DEP_4) | instskip(NEXT) | instid1(VALU_DEP_4)
	v_dot4_i32_iu8 v10, v11, v68, v8 neg_lo:[1,1,0]
	v_dot4_i32_iu8 v9, v11, v70, v9 neg_lo:[1,1,0]
	s_delay_alu instid0(VALU_DEP_4) | instskip(NEXT) | instid1(VALU_DEP_4)
	v_dot4_i32_iu8 v8, v57, v12, v6 neg_lo:[1,1,0]
	v_dot4_i32_iu8 v7, v12, v67, v7 neg_lo:[1,1,0]
	s_delay_alu instid0(VALU_DEP_4) | instskip(NEXT) | instid1(VALU_DEP_4)
	v_dot4_i32_iu8 v6, v12, v69, v10 neg_lo:[1,1,0]
	v_dot4_i32_iu8 v227, v12, v71, v9 neg_lo:[1,1,0]
	ds_load_b128 v[9:12], v216 offset:33296
	s_wait_dscnt 0x0
	v_dot4_i32_iu8 v13, v52, v9, v231 neg_lo:[1,1,0]
	v_dot4_i32_iu8 v14, v9, v72, v232 neg_lo:[1,1,0]
	v_dot4_i32_iu8 v15, v9, v74, v233 neg_lo:[1,1,0]
	v_dot4_i32_iu8 v9, v9, v76, v234 neg_lo:[1,1,0]
	s_delay_alu instid0(VALU_DEP_4) | instskip(NEXT) | instid1(VALU_DEP_4)
	v_dot4_i32_iu8 v13, v53, v10, v13 neg_lo:[1,1,0]
	v_dot4_i32_iu8 v14, v10, v73, v14 neg_lo:[1,1,0]
	s_delay_alu instid0(VALU_DEP_4) | instskip(NEXT) | instid1(VALU_DEP_4)
	v_dot4_i32_iu8 v15, v10, v75, v15 neg_lo:[1,1,0]
	v_dot4_i32_iu8 v9, v10, v77, v9 neg_lo:[1,1,0]
	s_delay_alu instid0(VALU_DEP_4) | instskip(NEXT) | instid1(VALU_DEP_4)
	v_dot4_i32_iu8 v10, v58, v11, v13 neg_lo:[1,1,0]
	v_dot4_i32_iu8 v13, v11, v78, v14 neg_lo:[1,1,0]
	s_delay_alu instid0(VALU_DEP_4) | instskip(NEXT) | instid1(VALU_DEP_4)
	v_dot4_i32_iu8 v14, v11, v80, v15 neg_lo:[1,1,0]
	v_dot4_i32_iu8 v9, v11, v82, v9 neg_lo:[1,1,0]
	s_delay_alu instid0(VALU_DEP_4) | instskip(NEXT) | instid1(VALU_DEP_4)
	v_dot4_i32_iu8 v228, v59, v12, v10 neg_lo:[1,1,0]
	v_dot4_i32_iu8 v223, v12, v79, v13 neg_lo:[1,1,0]
	s_delay_alu instid0(VALU_DEP_4) | instskip(NEXT) | instid1(VALU_DEP_4)
	v_dot4_i32_iu8 v220, v12, v81, v14 neg_lo:[1,1,0]
	v_dot4_i32_iu8 v215, v12, v83, v9 neg_lo:[1,1,0]
	ds_load_b128 v[9:12], v216 offset:33328
	;; [unrolled: 24-line block ×8, first 2 shown]
	s_wait_dscnt 0x0
	v_dot4_i32_iu8 v13, v54, v9, v115 neg_lo:[1,1,0]
	v_dot4_i32_iu8 v14, v9, v62, v118 neg_lo:[1,1,0]
	;; [unrolled: 1-line block ×4, first 2 shown]
	s_delay_alu instid0(VALU_DEP_4) | instskip(NEXT) | instid1(VALU_DEP_4)
	v_dot4_i32_iu8 v9, v55, v10, v13 neg_lo:[1,1,0]
	v_dot4_i32_iu8 v13, v10, v63, v14 neg_lo:[1,1,0]
	s_delay_alu instid0(VALU_DEP_4) | instskip(NEXT) | instid1(VALU_DEP_4)
	v_dot4_i32_iu8 v1, v10, v61, v1 neg_lo:[1,1,0]
	v_dot4_i32_iu8 v2, v10, v65, v2 neg_lo:[1,1,0]
	;; [unrolled: 3-line block ×3, first 2 shown]
	v_or_b32_e32 v13, s16, v133
	v_dot4_i32_iu8 v1, v11, v66, v1 neg_lo:[1,1,0]
	v_dot4_i32_iu8 v11, v11, v70, v2 neg_lo:[1,1,0]
	;; [unrolled: 1-line block ×4, first 2 shown]
	v_lshlrev_b32_e32 v14, 2, v13
	v_dot4_i32_iu8 v115, v12, v67, v1 neg_lo:[1,1,0]
	v_dot4_i32_iu8 v1, v12, v71, v11 neg_lo:[1,1,0]
	ds_load_b128 v[9:12], v14 offset:33280
	s_wait_dscnt 0x0
	v_dot4_i32_iu8 v15, v9, v40, 0 neg_lo:[1,1,0]
	v_dot4_i32_iu8 v16, v9, v42, 0 neg_lo:[1,1,0]
	v_dot4_i32_iu8 v40, v9, v44, 0 neg_lo:[1,1,0]
	v_perm_b32 v42, v12, v11, 0x5010c0c
	v_perm_b32 v44, v12, v11, 0x7030c0c
	v_dot4_i32_iu8 v15, v10, v41, v15 neg_lo:[1,1,0]
	v_dot4_i32_iu8 v16, v10, v43, v16 neg_lo:[1,1,0]
	v_dot4_i32_iu8 v40, v10, v45, v40 neg_lo:[1,1,0]
	v_perm_b32 v41, v9, v10, 0xc0c0501
	v_perm_b32 v43, v9, v10, 0xc0c0703
	;; [unrolled: 5-line block ×4, first 2 shown]
	ds_load_b128 v[9:12], v14 offset:33296
	v_or_b32_e32 v45, v46, v45
	v_or_b32_e32 v43, v44, v43
	;; [unrolled: 1-line block ×3, first 2 shown]
	s_wait_dscnt 0x0
	v_dot4_i32_iu8 v15, v9, v72, v15 neg_lo:[1,1,0]
	v_dot4_i32_iu8 v16, v9, v74, v16 neg_lo:[1,1,0]
	v_dot4_i32_iu8 v40, v9, v76, v40 neg_lo:[1,1,0]
	v_perm_b32 v49, v10, v9, 0xc0c0602
	v_perm_b32 v50, v12, v11, 0x6020c0c
	v_dot4_i32_iu8 v15, v10, v73, v15 neg_lo:[1,1,0]
	v_dot4_i32_iu8 v16, v10, v75, v16 neg_lo:[1,1,0]
	v_dot4_i32_iu8 v40, v10, v77, v40 neg_lo:[1,1,0]
	v_perm_b32 v51, v10, v9, 0xc0c0400
	v_perm_b32 v72, v12, v11, 0x4000c0c
	;; [unrolled: 5-line block ×4, first 2 shown]
	ds_load_b128 v[9:12], v14 offset:33312
	v_or_b32_e32 v48, v50, v49
	v_or_b32_e32 v46, v72, v51
	;; [unrolled: 1-line block ×3, first 2 shown]
	s_wait_dscnt 0x0
	v_dot4_i32_iu8 v28, v9, v28, 0 neg_lo:[1,1,0]
	s_delay_alu instid0(VALU_DEP_1) | instskip(SKIP_3) | instid1(VALU_DEP_4)
	v_dot4_i32_iu8 v28, v10, v29, v28 neg_lo:[1,1,0]
	v_dot4_i32_iu8 v29, v9, v30, 0 neg_lo:[1,1,0]
	;; [unrolled: 1-line block ×3, first 2 shown]
	v_perm_b32 v32, v12, v11, 0x5010c0c
	v_dot4_i32_iu8 v28, v11, v34, v28 neg_lo:[1,1,0]
	s_delay_alu instid0(VALU_DEP_4) | instskip(NEXT) | instid1(VALU_DEP_4)
	v_dot4_i32_iu8 v29, v10, v31, v29 neg_lo:[1,1,0]
	v_dot4_i32_iu8 v30, v10, v33, v30 neg_lo:[1,1,0]
	v_perm_b32 v31, v9, v10, 0xc0c0501
	v_perm_b32 v33, v9, v10, 0xc0c0703
	v_dot4_i32_iu8 v28, v12, v35, v28 neg_lo:[1,1,0]
	v_dot4_i32_iu8 v29, v11, v36, v29 neg_lo:[1,1,0]
	;; [unrolled: 1-line block ×3, first 2 shown]
	v_perm_b32 v34, v12, v11, 0x7030c0c
	v_perm_b32 v35, v9, v10, 0xc0c0400
	;; [unrolled: 1-line block ×3, first 2 shown]
	v_dot4_i32_iu8 v29, v12, v37, v29 neg_lo:[1,1,0]
	v_dot4_i32_iu8 v30, v12, v39, v30 neg_lo:[1,1,0]
	v_perm_b32 v37, v9, v10, 0xc0c0602
	v_perm_b32 v38, v12, v11, 0x6020c0c
	ds_load_b128 v[9:12], v14 offset:33328
	v_or_b32_e32 v33, v34, v33
	s_wait_dscnt 0x0
	v_dot4_i32_iu8 v14, v9, v60, v28 neg_lo:[1,1,0]
	v_dot4_i32_iu8 v28, v9, v62, v29 neg_lo:[1,1,0]
	v_dot4_i32_iu8 v29, v9, v64, v30 neg_lo:[1,1,0]
	v_perm_b32 v30, v10, v9, 0xc0c0602
	v_perm_b32 v39, v12, v11, 0x6020c0c
	v_dot4_i32_iu8 v14, v10, v61, v14 neg_lo:[1,1,0]
	v_dot4_i32_iu8 v28, v10, v63, v28 neg_lo:[1,1,0]
	v_dot4_i32_iu8 v29, v10, v65, v29 neg_lo:[1,1,0]
	v_perm_b32 v60, v10, v9, 0xc0c0400
	v_perm_b32 v61, v12, v11, 0x4000c0c
	;; [unrolled: 5-line block ×4, first 2 shown]
	v_perm_b32 v11, v20, v21, 0xc0c0602
	v_perm_b32 v12, v27, v26, 0x6020c0c
	;; [unrolled: 1-line block ×3, first 2 shown]
	v_or_b32_e32 v30, v39, v30
	v_or_b32_e32 v9, v10, v9
	;; [unrolled: 1-line block ×4, first 2 shown]
	v_perm_b32 v12, v53, v52, 0xc0c0602
	v_lshlrev_b32_e32 v62, 2, v0
	v_lshlrev_b32_e32 v63, 2, v109
	;; [unrolled: 1-line block ×3, first 2 shown]
	v_dot4_i32_iu8 v11, v11, v47, 0 neg_lo:[1,1,0]
	v_or_b32_e32 v12, v64, v12
	v_perm_b32 v47, v27, v26, 0x4000c0c
	v_lshlrev_b32_e32 v64, 2, v157
	v_lshlrev_b32_e32 v66, 2, v159
	s_delay_alu instid0(VALU_DEP_4) | instskip(SKIP_2) | instid1(VALU_DEP_2)
	v_dot4_i32_iu8 v11, v12, v48, v11 neg_lo:[1,1,0]
	v_perm_b32 v12, v20, v21, 0xc0c0400
	v_perm_b32 v48, v59, v58, 0x4000c0c
	v_or_b32_e32 v12, v47, v12
	v_perm_b32 v47, v53, v52, 0xc0c0400
	s_delay_alu instid0(VALU_DEP_2) | instskip(NEXT) | instid1(VALU_DEP_2)
	v_dot4_i32_iu8 v12, v12, v45, 0 neg_lo:[1,1,0]
	v_or_b32_e32 v47, v48, v47
	v_perm_b32 v45, v20, v21, 0xc0c0703
	v_perm_b32 v20, v20, v21, 0xc0c0501
	;; [unrolled: 1-line block ×3, first 2 shown]
	s_delay_alu instid0(VALU_DEP_4)
	v_dot4_i32_iu8 v12, v47, v46, v12 neg_lo:[1,1,0]
	v_perm_b32 v46, v27, v26, 0x7030c0c
	v_perm_b32 v26, v53, v52, 0xc0c0501
	;; [unrolled: 1-line block ×3, first 2 shown]
	v_or_b32_e32 v20, v21, v20
	v_perm_b32 v47, v59, v58, 0x7030c0c
	v_or_b32_e32 v45, v46, v45
	v_perm_b32 v46, v53, v52, 0xc0c0703
	v_or_b32_e32 v21, v27, v26
	v_or_b32_e32 v26, v42, v41
	;; [unrolled: 1-line block ×3, first 2 shown]
	v_dot4_i32_iu8 v43, v45, v43, 0 neg_lo:[1,1,0]
	v_or_b32_e32 v46, v47, v46
	s_delay_alu instid0(VALU_DEP_4) | instskip(SKIP_1) | instid1(VALU_DEP_3)
	v_dot4_i32_iu8 v20, v20, v26, 0 neg_lo:[1,1,0]
	v_perm_b32 v26, v25, v24, 0x6020c0c
	v_dot4_i32_iu8 v43, v46, v44, v43 neg_lo:[1,1,0]
	s_delay_alu instid0(VALU_DEP_3) | instskip(SKIP_2) | instid1(VALU_DEP_2)
	v_dot4_i32_iu8 v20, v21, v27, v20 neg_lo:[1,1,0]
	v_perm_b32 v21, v22, v23, 0xc0c0602
	v_perm_b32 v27, v57, v56, 0x6020c0c
	v_or_b32_e32 v21, v26, v21
	v_perm_b32 v26, v55, v54, 0xc0c0602
	s_delay_alu instid0(VALU_DEP_1) | instskip(SKIP_1) | instid1(VALU_DEP_1)
	v_or_b32_e32 v26, v27, v26
	v_or_b32_e32 v27, v38, v37
	v_dot4_i32_iu8 v21, v21, v27, 0 neg_lo:[1,1,0]
	v_perm_b32 v27, v25, v24, 0x4000c0c
	s_delay_alu instid0(VALU_DEP_2) | instskip(SKIP_2) | instid1(VALU_DEP_2)
	v_dot4_i32_iu8 v21, v26, v30, v21 neg_lo:[1,1,0]
	v_perm_b32 v26, v22, v23, 0xc0c0400
	v_perm_b32 v30, v57, v56, 0x4000c0c
	v_or_b32_e32 v26, v27, v26
	v_perm_b32 v27, v55, v54, 0xc0c0400
	s_delay_alu instid0(VALU_DEP_1) | instskip(SKIP_2) | instid1(VALU_DEP_2)
	v_or_b32_e32 v27, v30, v27
	v_or_b32_e32 v30, v36, v35
	;; [unrolled: 1-line block ×3, first 2 shown]
	v_dot4_i32_iu8 v26, v26, v30, 0 neg_lo:[1,1,0]
	v_perm_b32 v30, v25, v24, 0x7030c0c
	s_delay_alu instid0(VALU_DEP_2)
	v_dot4_i32_iu8 v26, v27, v35, v26 neg_lo:[1,1,0]
	v_perm_b32 v27, v22, v23, 0xc0c0703
	v_perm_b32 v22, v22, v23, 0xc0c0501
	;; [unrolled: 1-line block ×5, first 2 shown]
	v_or_b32_e32 v27, v30, v27
	v_perm_b32 v30, v55, v54, 0xc0c0703
	v_or_b32_e32 v22, v23, v22
	v_perm_b32 v35, v57, v56, 0x7030c0c
	v_or_b32_e32 v23, v25, v24
	v_or_b32_e32 v24, v32, v31
	v_dot4_i32_iu8 v27, v27, v33, 0 neg_lo:[1,1,0]
	s_delay_alu instid0(VALU_DEP_4) | instskip(NEXT) | instid1(VALU_DEP_3)
	v_or_b32_e32 v30, v35, v30
	v_dot4_i32_iu8 v10, v22, v24, 0 neg_lo:[1,1,0]
	s_delay_alu instid0(VALU_DEP_2) | instskip(NEXT) | instid1(VALU_DEP_2)
	v_dot4_i32_iu8 v27, v30, v34, v27 neg_lo:[1,1,0]
	v_dot4_i32_iu8 v9, v23, v9, v10 neg_lo:[1,1,0]
	v_add_nc_u32_e32 v10, v20, v43
	s_delay_alu instid0(VALU_DEP_2) | instskip(NEXT) | instid1(VALU_DEP_2)
	v_add_nc_u32_e32 v9, v9, v27
	v_add3_u32 v10, v12, v11, v10
	s_wait_alu 0xfffe
	v_add3_u32 v12, s11, v62, v63
	v_lshrrev_b32_e32 v11, 1, v13
	v_add3_u32 v9, v26, v21, v9
	ds_load_u16 v13, v12
	s_wait_dscnt 0x0
	v_lshrrev_b16 v20, 8, v13
	v_and_b32_e32 v13, 0xff, v13
	s_delay_alu instid0(VALU_DEP_2) | instskip(NEXT) | instid1(VALU_DEP_2)
	v_and_b32_e32 v20, 0xffff, v20
	v_mul_lo_u32 v10, v10, v13
	s_delay_alu instid0(VALU_DEP_2)
	v_mul_lo_u32 v9, v9, v20
	v_mul_lo_u32 v38, v213, v20
	;; [unrolled: 1-line block ×4, first 2 shown]
	v_cvt_f32_i32_e32 v21, v10
	v_cvt_f32_i32_e32 v22, v9
	ds_load_b64 v[9:10], v11 offset:43584
	v_cvt_f32_i32_e32 v38, v38
	v_cvt_f32_i32_e32 v46, v46
	;; [unrolled: 1-line block ×3, first 2 shown]
	s_wait_dscnt 0x0
	v_fma_mix_f32 v11, v21, v9, 0 op_sel_hi:[0,1,0]
	v_add3_u32 v21, s11, v64, v172
	s_delay_alu instid0(VALU_DEP_2) | instskip(SKIP_4) | instid1(VALU_DEP_2)
	v_fma_mix_f32 v11, v22, v10, v11 op_sel_hi:[0,1,0]
	ds_load_u16 v22, v21
	s_wait_dscnt 0x0
	v_lshrrev_b16 v23, 8, v22
	v_and_b32_e32 v22, 0xff, v22
	v_and_b32_e32 v23, 0xffff, v23
	s_delay_alu instid0(VALU_DEP_2) | instskip(SKIP_1) | instid1(VALU_DEP_3)
	v_mul_lo_u32 v15, v15, v22
	v_mul_lo_u32 v4, v4, v22
	;; [unrolled: 1-line block ×6, first 2 shown]
	v_cvt_f32_i32_e32 v15, v15
	v_cvt_f32_i32_e32 v4, v4
	v_mul_lo_u32 v79, v240, v23
	v_cvt_f32_i32_e32 v14, v14
	s_delay_alu instid0(VALU_DEP_4) | instskip(SKIP_3) | instid1(VALU_DEP_4)
	v_fma_mix_f32 v15, v9, v15, 0 op_sel_hi:[1,0,0]
	v_cvt_f32_i32_e32 v7, v7
	v_cvt_f32_i32_e32 v58, v58
	;; [unrolled: 1-line block ×3, first 2 shown]
	v_fma_mix_f32 v14, v10, v14, v15 op_sel_hi:[1,0,0]
	v_add3_u32 v15, s11, v65, v174
	v_cvt_f32_i32_e32 v79, v79
	ds_load_u16 v24, v15
	s_wait_dscnt 0x0
	v_lshrrev_b16 v25, 8, v24
	v_and_b32_e32 v24, 0xff, v24
	s_delay_alu instid0(VALU_DEP_2) | instskip(NEXT) | instid1(VALU_DEP_2)
	v_and_b32_e32 v25, 0xffff, v25
	v_mul_lo_u32 v16, v16, v24
	s_delay_alu instid0(VALU_DEP_2)
	v_mul_lo_u32 v26, v28, v25
	v_mul_lo_u32 v41, v211, v25
	;; [unrolled: 1-line block ×4, first 2 shown]
	v_cvt_f32_i32_e32 v16, v16
	v_mul_lo_u32 v59, v234, v25
	v_mul_lo_u32 v72, v235, v25
	;; [unrolled: 1-line block ×3, first 2 shown]
	v_cvt_f32_i32_e32 v26, v26
	v_fma_mix_f32 v16, v9, v16, 0 op_sel_hi:[1,0,0]
	v_cvt_f32_i32_e32 v41, v41
	v_cvt_f32_i32_e32 v48, v48
	;; [unrolled: 1-line block ×4, first 2 shown]
	v_fma_mix_f32 v16, v10, v26, v16 op_sel_hi:[1,0,0]
	v_add3_u32 v26, s11, v66, v176
	v_cvt_f32_i32_e32 v72, v72
	v_cvt_f32_i32_e32 v80, v80
	v_mul_lo_u32 v2, v2, v25
	s_mov_b32 s11, 8
	ds_load_u16 v27, v26
	ds_load_u16 v12, v12 offset:8
	ds_load_u16 v21, v21 offset:8
	;; [unrolled: 1-line block ×4, first 2 shown]
	v_cvt_f32_i32_e32 v2, v2
	s_wait_dscnt 0x2
	v_cvt_f32_ubyte0_e32 v31, v21
	v_lshrrev_b16 v28, 8, v27
	v_and_b32_e32 v27, 0xff, v27
	s_wait_dscnt 0x1
	v_cvt_f32_ubyte0_e32 v32, v15
	s_wait_dscnt 0x0
	v_cvt_f32_ubyte0_e32 v33, v26
	v_cvt_f32_ubyte1_e32 v21, v21
	v_and_b32_e32 v28, 0xffff, v28
	v_mul_lo_u32 v30, v40, v27
	v_cvt_f32_ubyte1_e32 v15, v15
	v_cvt_f32_ubyte1_e32 v26, v26
	v_fma_mix_f32 v35, v9, v31, 0 op_sel:[1,0,0] op_sel_hi:[1,0,0]
	v_mul_lo_u32 v29, v29, v28
	v_fma_mix_f32 v36, v9, v32, 0 op_sel:[1,0,0] op_sel_hi:[1,0,0]
	v_mul_lo_u32 v40, v212, v23
	v_mul_lo_u32 v42, v210, v28
	v_cvt_f32_i32_e32 v30, v30
	v_fma_mix_f32 v35, v10, v21, v35 op_sel:[1,0,0] op_sel_hi:[1,0,0]
	v_fma_mix_f32 v36, v10, v15, v36 op_sel:[1,0,0] op_sel_hi:[1,0,0]
	v_mul_lo_u32 v3, v3, v27
	v_cvt_f32_i32_e32 v29, v29
	v_fma_mix_f32 v30, v9, v30, 0 op_sel_hi:[1,0,0]
	v_cvt_f32_i32_e32 v40, v40
	v_cvt_f32_i32_e32 v42, v42
	v_mul_lo_u32 v52, v227, v28
	v_mul_lo_u32 v60, v230, v28
	v_fma_mix_f32 v29, v10, v29, v30 op_sel_hi:[1,0,0]
	v_cvt_f32_ubyte0_e32 v30, v12
	v_cvt_f32_ubyte1_e32 v12, v12
	v_cvt_f32_i32_e32 v3, v3
	v_mul_lo_u32 v73, v232, v28
	v_mul_lo_u32 v81, v218, v28
	v_fma_mix_f32 v34, v30, v9, 0 op_sel:[0,1,0] op_sel_hi:[0,1,0]
	v_fma_mix_f32 v9, v9, v33, 0 op_sel:[1,0,0] op_sel_hi:[1,0,0]
	v_cvt_f32_i32_e32 v52, v52
	v_cvt_f32_i32_e32 v60, v60
	v_mul_lo_u32 v25, v119, v27
	v_fma_mix_f32 v34, v12, v10, v34 op_sel:[0,1,0] op_sel_hi:[0,1,0]
	v_fma_mix_f32 v37, v10, v26, v9 op_sel:[1,0,0] op_sel_hi:[1,0,0]
	v_mul_lo_u32 v10, v209, v13
	v_lshrrev_b32_e32 v9, 1, v199
	v_cvt_f32_i32_e32 v73, v73
	v_cvt_f32_i32_e32 v81, v81
	s_delay_alu instid0(VALU_DEP_4)
	v_cvt_f32_i32_e32 v39, v10
	ds_load_b64 v[9:10], v9 offset:43584
	s_wait_dscnt 0x0
	v_fma_mix_f32 v39, v9, v39, 0 op_sel_hi:[1,0,0]
	v_fma_mix_f32 v43, v31, v9, 0 op_sel:[0,1,0] op_sel_hi:[0,1,0]
	v_fma_mix_f32 v44, v32, v9, 0 op_sel:[0,1,0] op_sel_hi:[0,1,0]
	s_delay_alu instid0(VALU_DEP_3) | instskip(SKIP_1) | instid1(VALU_DEP_4)
	v_fma_mix_f32 v38, v10, v38, v39 op_sel_hi:[1,0,0]
	v_mul_lo_u32 v39, v208, v22
	v_fma_mix_f32 v43, v21, v10, v43 op_sel:[0,1,0] op_sel_hi:[0,1,0]
	s_delay_alu instid0(VALU_DEP_4) | instskip(NEXT) | instid1(VALU_DEP_3)
	v_fma_mix_f32 v44, v15, v10, v44 op_sel:[0,1,0] op_sel_hi:[0,1,0]
	v_cvt_f32_i32_e32 v39, v39
	s_delay_alu instid0(VALU_DEP_1) | instskip(NEXT) | instid1(VALU_DEP_1)
	v_fma_mix_f32 v39, v9, v39, 0 op_sel_hi:[1,0,0]
	v_fma_mix_f32 v39, v10, v40, v39 op_sel_hi:[1,0,0]
	v_mul_lo_u32 v40, v207, v24
	s_delay_alu instid0(VALU_DEP_1) | instskip(NEXT) | instid1(VALU_DEP_1)
	v_cvt_f32_i32_e32 v40, v40
	v_fma_mix_f32 v40, v9, v40, 0 op_sel_hi:[1,0,0]
	s_delay_alu instid0(VALU_DEP_1) | instskip(SKIP_1) | instid1(VALU_DEP_1)
	v_fma_mix_f32 v40, v10, v41, v40 op_sel_hi:[1,0,0]
	v_mul_lo_u32 v41, v206, v27
	v_cvt_f32_i32_e32 v41, v41
	s_delay_alu instid0(VALU_DEP_1) | instskip(NEXT) | instid1(VALU_DEP_1)
	v_fma_mix_f32 v41, v9, v41, 0 op_sel_hi:[1,0,0]
	v_fma_mix_f32 v41, v10, v42, v41 op_sel_hi:[1,0,0]
	v_fma_mix_f32 v42, v30, v9, 0 op_sel:[0,1,0] op_sel_hi:[0,1,0]
	v_fma_mix_f32 v9, v33, v9, 0 op_sel:[0,1,0] op_sel_hi:[0,1,0]
	s_delay_alu instid0(VALU_DEP_2) | instskip(NEXT) | instid1(VALU_DEP_2)
	v_fma_mix_f32 v42, v12, v10, v42 op_sel:[0,1,0] op_sel_hi:[0,1,0]
	v_fma_mix_f32 v45, v26, v10, v9 op_sel:[0,1,0] op_sel_hi:[0,1,0]
	v_mul_lo_u32 v10, v122, v13
	v_lshrrev_b32_e32 v9, 1, v200
	s_delay_alu instid0(VALU_DEP_2)
	v_cvt_f32_i32_e32 v47, v10
	ds_load_b64 v[9:10], v9 offset:43584
	s_wait_dscnt 0x0
	v_fma_mix_f32 v47, v9, v47, 0 op_sel_hi:[1,0,0]
	v_fma_mix_f32 v4, v9, v4, 0 op_sel_hi:[1,0,0]
	;; [unrolled: 1-line block ×3, first 2 shown]
	s_delay_alu instid0(VALU_DEP_3) | instskip(SKIP_1) | instid1(VALU_DEP_1)
	v_fma_mix_f32 v46, v10, v46, v47 op_sel_hi:[1,0,0]
	v_mul_lo_u32 v47, v124, v23
	v_cvt_f32_i32_e32 v47, v47
	s_delay_alu instid0(VALU_DEP_1) | instskip(SKIP_1) | instid1(VALU_DEP_1)
	v_fma_mix_f32 v47, v10, v47, v4 op_sel_hi:[1,0,0]
	v_mul_lo_u32 v4, v120, v24
	v_cvt_f32_i32_e32 v4, v4
	s_delay_alu instid0(VALU_DEP_1) | instskip(NEXT) | instid1(VALU_DEP_1)
	v_fma_mix_f32 v4, v9, v4, 0 op_sel_hi:[1,0,0]
	v_fma_mix_f32 v48, v10, v48, v4 op_sel_hi:[1,0,0]
	v_mul_lo_u32 v4, v5, v28
	s_delay_alu instid0(VALU_DEP_1) | instskip(NEXT) | instid1(VALU_DEP_1)
	v_cvt_f32_i32_e32 v4, v4
	v_fma_mix_f32 v5, v10, v4, v3 op_sel_hi:[1,0,0]
	v_fma_mix_f32 v3, v30, v9, 0 op_sel:[0,1,0] op_sel_hi:[0,1,0]
	v_mul_lo_u32 v4, v224, v13
	s_delay_alu instid0(VALU_DEP_2) | instskip(SKIP_1) | instid1(VALU_DEP_1)
	v_fma_mix_f32 v49, v12, v10, v3 op_sel:[0,1,0] op_sel_hi:[0,1,0]
	v_fma_mix_f32 v3, v31, v9, 0 op_sel:[0,1,0] op_sel_hi:[0,1,0]
	;; [unrolled: 1-line block ×4, first 2 shown]
	s_delay_alu instid0(VALU_DEP_1) | instskip(SKIP_1) | instid1(VALU_DEP_1)
	v_fma_mix_f32 v51, v15, v10, v3 op_sel:[0,1,0] op_sel_hi:[0,1,0]
	v_fma_mix_f32 v3, v33, v9, 0 op_sel:[0,1,0] op_sel_hi:[0,1,0]
	;; [unrolled: 1-line block ×3, first 2 shown]
	v_lshrrev_b32_e32 v3, 1, v201
	v_cvt_f32_i32_e32 v10, v4
	s_delay_alu instid0(VALU_DEP_3)
	v_mul_f32_e32 v9, v9, v198
	ds_load_b64 v[3:4], v3 offset:43584
	v_fma_f32 v5, v5, v197, -v9
	s_wait_dscnt 0x0
	v_fma_mix_f32 v10, v3, v10, 0 op_sel_hi:[1,0,0]
	v_fma_mix_f32 v53, v31, v3, 0 op_sel:[0,1,0] op_sel_hi:[0,1,0]
	v_fma_mix_f32 v54, v32, v3, 0 op_sel:[0,1,0] op_sel_hi:[0,1,0]
	s_delay_alu instid0(VALU_DEP_3) | instskip(SKIP_1) | instid1(VALU_DEP_4)
	v_fma_mix_f32 v8, v4, v8, v10 op_sel_hi:[1,0,0]
	v_mul_lo_u32 v10, v221, v22
	v_fma_mix_f32 v53, v21, v4, v53 op_sel:[0,1,0] op_sel_hi:[0,1,0]
	s_delay_alu instid0(VALU_DEP_4) | instskip(NEXT) | instid1(VALU_DEP_3)
	v_fma_mix_f32 v54, v15, v4, v54 op_sel:[0,1,0] op_sel_hi:[0,1,0]
	v_cvt_f32_i32_e32 v10, v10
	s_delay_alu instid0(VALU_DEP_1) | instskip(NEXT) | instid1(VALU_DEP_1)
	v_fma_mix_f32 v10, v3, v10, 0 op_sel_hi:[1,0,0]
	v_fma_mix_f32 v7, v4, v7, v10 op_sel_hi:[1,0,0]
	v_mul_lo_u32 v10, v219, v24
	s_delay_alu instid0(VALU_DEP_1) | instskip(NEXT) | instid1(VALU_DEP_1)
	v_cvt_f32_i32_e32 v10, v10
	v_fma_mix_f32 v10, v3, v10, 0 op_sel_hi:[1,0,0]
	s_delay_alu instid0(VALU_DEP_1) | instskip(SKIP_1) | instid1(VALU_DEP_1)
	v_fma_mix_f32 v6, v4, v6, v10 op_sel_hi:[1,0,0]
	v_mul_lo_u32 v10, v214, v27
	v_cvt_f32_i32_e32 v10, v10
	s_delay_alu instid0(VALU_DEP_1) | instskip(NEXT) | instid1(VALU_DEP_1)
	v_fma_mix_f32 v10, v3, v10, 0 op_sel_hi:[1,0,0]
	v_fma_mix_f32 v10, v4, v52, v10 op_sel_hi:[1,0,0]
	v_fma_mix_f32 v52, v30, v3, 0 op_sel:[0,1,0] op_sel_hi:[0,1,0]
	v_fma_mix_f32 v3, v33, v3, 0 op_sel:[0,1,0] op_sel_hi:[0,1,0]
	s_delay_alu instid0(VALU_DEP_2) | instskip(NEXT) | instid1(VALU_DEP_2)
	v_fma_mix_f32 v52, v12, v4, v52 op_sel:[0,1,0] op_sel_hi:[0,1,0]
	v_fma_mix_f32 v55, v26, v4, v3 op_sel:[0,1,0] op_sel_hi:[0,1,0]
	v_mul_lo_u32 v4, v228, v13
	v_lshrrev_b32_e32 v3, 1, v202
	s_delay_alu instid0(VALU_DEP_4) | instskip(NEXT) | instid1(VALU_DEP_3)
	v_mul_f32_e32 v9, v52, v191
	v_cvt_f32_i32_e32 v57, v4
	ds_load_b64 v[3:4], v3 offset:43584
	v_fma_f32 v8, v8, v192, -v9
	v_mul_f32_e32 v9, v53, v194
	v_mul_lo_u32 v56, v126, v20
	v_mul_lo_u32 v69, v241, v20
	;; [unrolled: 1-line block ×4, first 2 shown]
	v_fma_f32 v7, v7, v193, -v9
	v_mul_f32_e32 v9, v54, v196
	v_add_f32_e32 v106, v106, v8
	v_cvt_f32_i32_e32 v56, v56
	v_cvt_f32_i32_e32 v69, v69
	s_delay_alu instid0(VALU_DEP_4) | instskip(SKIP_3) | instid1(VALU_DEP_3)
	v_fma_f32 v6, v6, v195, -v9
	v_mul_f32_e32 v9, v55, v198
	v_cvt_f32_i32_e32 v77, v77
	v_cvt_f32_i32_e32 v20, v20
	v_fma_f32 v9, v10, v197, -v9
	s_wait_dscnt 0x0
	v_fma_mix_f32 v57, v3, v57, 0 op_sel_hi:[1,0,0]
	v_fma_mix_f32 v61, v31, v3, 0 op_sel:[0,1,0] op_sel_hi:[0,1,0]
	v_fma_mix_f32 v67, v32, v3, 0 op_sel:[0,1,0] op_sel_hi:[0,1,0]
	v_add_f32_e32 v102, v102, v9
	s_delay_alu instid0(VALU_DEP_4) | instskip(SKIP_3) | instid1(VALU_DEP_3)
	v_fma_mix_f32 v56, v4, v56, v57 op_sel_hi:[1,0,0]
	v_mul_lo_u32 v57, v223, v22
	v_fma_mix_f32 v61, v21, v4, v61 op_sel:[0,1,0] op_sel_hi:[0,1,0]
	v_fma_mix_f32 v67, v15, v4, v67 op_sel:[0,1,0] op_sel_hi:[0,1,0]
	v_cvt_f32_i32_e32 v57, v57
	s_delay_alu instid0(VALU_DEP_1) | instskip(NEXT) | instid1(VALU_DEP_1)
	v_fma_mix_f32 v57, v3, v57, 0 op_sel_hi:[1,0,0]
	v_fma_mix_f32 v57, v4, v58, v57 op_sel_hi:[1,0,0]
	v_mul_lo_u32 v58, v220, v24
	s_delay_alu instid0(VALU_DEP_1) | instskip(NEXT) | instid1(VALU_DEP_1)
	v_cvt_f32_i32_e32 v58, v58
	v_fma_mix_f32 v58, v3, v58, 0 op_sel_hi:[1,0,0]
	s_delay_alu instid0(VALU_DEP_1) | instskip(SKIP_1) | instid1(VALU_DEP_1)
	v_fma_mix_f32 v58, v4, v59, v58 op_sel_hi:[1,0,0]
	v_mul_lo_u32 v59, v215, v27
	v_cvt_f32_i32_e32 v59, v59
	s_delay_alu instid0(VALU_DEP_1) | instskip(NEXT) | instid1(VALU_DEP_1)
	v_fma_mix_f32 v59, v3, v59, 0 op_sel_hi:[1,0,0]
	v_fma_mix_f32 v59, v4, v60, v59 op_sel_hi:[1,0,0]
	v_fma_mix_f32 v60, v30, v3, 0 op_sel:[0,1,0] op_sel_hi:[0,1,0]
	v_fma_mix_f32 v3, v33, v3, 0 op_sel:[0,1,0] op_sel_hi:[0,1,0]
	s_delay_alu instid0(VALU_DEP_2) | instskip(NEXT) | instid1(VALU_DEP_2)
	v_fma_mix_f32 v60, v12, v4, v60 op_sel:[0,1,0] op_sel_hi:[0,1,0]
	v_fma_mix_f32 v68, v26, v4, v3 op_sel:[0,1,0] op_sel_hi:[0,1,0]
	v_lshrrev_b32_e32 v3, 1, v203
	s_delay_alu instid0(VALU_DEP_3) | instskip(SKIP_1) | instid1(VALU_DEP_2)
	v_mul_f32_e32 v10, v60, v191
	v_mul_lo_u32 v4, v231, v13
	v_fma_f32 v10, v56, v192, -v10
	s_delay_alu instid0(VALU_DEP_2)
	v_cvt_f32_i32_e32 v70, v4
	ds_load_b64 v[3:4], v3 offset:43584
	s_wait_dscnt 0x0
	v_fma_mix_f32 v70, v3, v70, 0 op_sel_hi:[1,0,0]
	v_fma_mix_f32 v74, v31, v3, 0 op_sel:[0,1,0] op_sel_hi:[0,1,0]
	v_fma_mix_f32 v75, v32, v3, 0 op_sel:[0,1,0] op_sel_hi:[0,1,0]
	s_delay_alu instid0(VALU_DEP_3) | instskip(SKIP_1) | instid1(VALU_DEP_4)
	v_fma_mix_f32 v69, v4, v69, v70 op_sel_hi:[1,0,0]
	v_mul_lo_u32 v70, v226, v22
	v_fma_mix_f32 v74, v21, v4, v74 op_sel:[0,1,0] op_sel_hi:[0,1,0]
	s_delay_alu instid0(VALU_DEP_4) | instskip(NEXT) | instid1(VALU_DEP_3)
	v_fma_mix_f32 v75, v15, v4, v75 op_sel:[0,1,0] op_sel_hi:[0,1,0]
	v_cvt_f32_i32_e32 v70, v70
	s_delay_alu instid0(VALU_DEP_1) | instskip(NEXT) | instid1(VALU_DEP_1)
	v_fma_mix_f32 v70, v3, v70, 0 op_sel_hi:[1,0,0]
	v_fma_mix_f32 v70, v4, v71, v70 op_sel_hi:[1,0,0]
	v_mul_lo_u32 v71, v222, v24
	s_delay_alu instid0(VALU_DEP_1) | instskip(NEXT) | instid1(VALU_DEP_1)
	v_cvt_f32_i32_e32 v71, v71
	v_fma_mix_f32 v71, v3, v71, 0 op_sel_hi:[1,0,0]
	s_delay_alu instid0(VALU_DEP_1) | instskip(SKIP_1) | instid1(VALU_DEP_1)
	v_fma_mix_f32 v71, v4, v72, v71 op_sel_hi:[1,0,0]
	v_mul_lo_u32 v72, v216, v27
	v_cvt_f32_i32_e32 v72, v72
	s_delay_alu instid0(VALU_DEP_1) | instskip(NEXT) | instid1(VALU_DEP_1)
	v_fma_mix_f32 v72, v3, v72, 0 op_sel_hi:[1,0,0]
	v_fma_mix_f32 v72, v4, v73, v72 op_sel_hi:[1,0,0]
	v_fma_mix_f32 v73, v30, v3, 0 op_sel:[0,1,0] op_sel_hi:[0,1,0]
	v_fma_mix_f32 v3, v33, v3, 0 op_sel:[0,1,0] op_sel_hi:[0,1,0]
	s_delay_alu instid0(VALU_DEP_2) | instskip(NEXT) | instid1(VALU_DEP_2)
	v_fma_mix_f32 v73, v12, v4, v73 op_sel:[0,1,0] op_sel_hi:[0,1,0]
	v_fma_mix_f32 v76, v26, v4, v3 op_sel:[0,1,0] op_sel_hi:[0,1,0]
	v_mul_lo_u32 v4, v233, v13
	v_lshrrev_b32_e32 v3, 1, v204
	v_mul_lo_u32 v13, v100, v13
	s_delay_alu instid0(VALU_DEP_3)
	v_cvt_f32_i32_e32 v78, v4
	ds_load_b64 v[3:4], v3 offset:43584
	v_cvt_f32_i32_e32 v13, v13
	s_wait_dscnt 0x0
	v_fma_mix_f32 v78, v3, v78, 0 op_sel_hi:[1,0,0]
	v_fma_mix_f32 v82, v31, v3, 0 op_sel:[0,1,0] op_sel_hi:[0,1,0]
	v_fma_mix_f32 v83, v32, v3, 0 op_sel:[0,1,0] op_sel_hi:[0,1,0]
	s_delay_alu instid0(VALU_DEP_3) | instskip(SKIP_1) | instid1(VALU_DEP_4)
	v_fma_mix_f32 v77, v4, v77, v78 op_sel_hi:[1,0,0]
	v_mul_lo_u32 v78, v229, v22
	v_fma_mix_f32 v82, v21, v4, v82 op_sel:[0,1,0] op_sel_hi:[0,1,0]
	s_delay_alu instid0(VALU_DEP_4) | instskip(SKIP_1) | instid1(VALU_DEP_4)
	v_fma_mix_f32 v83, v15, v4, v83 op_sel:[0,1,0] op_sel_hi:[0,1,0]
	v_mul_lo_u32 v22, v101, v22
	v_cvt_f32_i32_e32 v78, v78
	s_delay_alu instid0(VALU_DEP_1) | instskip(NEXT) | instid1(VALU_DEP_1)
	v_fma_mix_f32 v78, v3, v78, 0 op_sel_hi:[1,0,0]
	v_fma_mix_f32 v78, v4, v79, v78 op_sel_hi:[1,0,0]
	v_mul_lo_u32 v79, v225, v24
	v_mul_lo_u32 v24, v116, v24
	s_delay_alu instid0(VALU_DEP_2) | instskip(NEXT) | instid1(VALU_DEP_1)
	v_cvt_f32_i32_e32 v79, v79
	v_fma_mix_f32 v79, v3, v79, 0 op_sel_hi:[1,0,0]
	s_delay_alu instid0(VALU_DEP_1) | instskip(SKIP_2) | instid1(VALU_DEP_1)
	v_fma_mix_f32 v79, v4, v80, v79 op_sel_hi:[1,0,0]
	v_mul_lo_u32 v80, v217, v27
	v_mul_f32_e32 v27, v51, v196
	v_fma_f32 v27, v48, v195, -v27
	s_delay_alu instid0(VALU_DEP_3) | instskip(NEXT) | instid1(VALU_DEP_2)
	v_cvt_f32_i32_e32 v80, v80
	v_add_f32_e32 v110, v110, v27
	s_delay_alu instid0(VALU_DEP_2) | instskip(NEXT) | instid1(VALU_DEP_1)
	v_fma_mix_f32 v80, v3, v80, 0 op_sel_hi:[1,0,0]
	v_fma_mix_f32 v80, v4, v81, v80 op_sel_hi:[1,0,0]
	v_fma_mix_f32 v81, v30, v3, 0 op_sel:[0,1,0] op_sel_hi:[0,1,0]
	v_fma_mix_f32 v3, v33, v3, 0 op_sel:[0,1,0] op_sel_hi:[0,1,0]
	s_delay_alu instid0(VALU_DEP_2) | instskip(NEXT) | instid1(VALU_DEP_2)
	v_fma_mix_f32 v81, v12, v4, v81 op_sel:[0,1,0] op_sel_hi:[0,1,0]
	v_fma_mix_f32 v120, v26, v4, v3 op_sel:[0,1,0] op_sel_hi:[0,1,0]
	v_lshrrev_b32_e32 v3, 1, v205
	ds_load_b64 v[3:4], v3 offset:43584
	s_wait_dscnt 0x0
	v_fma_mix_f32 v30, v30, v3, 0 op_sel:[0,1,0] op_sel_hi:[0,1,0]
	v_fma_mix_f32 v13, v3, v13, 0 op_sel_hi:[1,0,0]
	s_delay_alu instid0(VALU_DEP_2) | instskip(SKIP_1) | instid1(VALU_DEP_3)
	v_fma_mix_f32 v12, v12, v4, v30 op_sel:[0,1,0] op_sel_hi:[0,1,0]
	v_fma_mix_f32 v30, v31, v3, 0 op_sel:[0,1,0] op_sel_hi:[0,1,0]
	v_fma_mix_f32 v13, v4, v20, v13 op_sel_hi:[1,0,0]
	v_cvt_f32_i32_e32 v20, v22
	v_mul_f32_e32 v31, v73, v191
	v_mul_lo_u32 v1, v1, v28
	v_fma_mix_f32 v21, v21, v4, v30 op_sel:[0,1,0] op_sel_hi:[0,1,0]
	v_fma_mix_f32 v30, v32, v3, 0 op_sel:[0,1,0] op_sel_hi:[0,1,0]
	v_mul_f32_e32 v32, v74, v194
	v_mul_lo_u32 v23, v115, v23
	v_fma_mix_f32 v20, v3, v20, 0 op_sel_hi:[1,0,0]
	v_mul_f32_e32 v12, v12, v191
	v_fma_mix_f32 v15, v15, v4, v30 op_sel:[0,1,0] op_sel_hi:[0,1,0]
	v_fma_mix_f32 v30, v33, v3, 0 op_sel:[0,1,0] op_sel_hi:[0,1,0]
	v_cvt_f32_i32_e32 v1, v1
	v_dual_mul_f32 v28, v61, v194 :: v_dual_mul_f32 v33, v75, v196
	v_cvt_f32_i32_e32 v22, v23
	s_delay_alu instid0(VALU_DEP_4)
	v_fma_mix_f32 v26, v26, v4, v30 op_sel:[0,1,0] op_sel_hi:[0,1,0]
	v_mul_f32_e32 v23, v45, v198
	v_mul_f32_e32 v30, v68, v198
	v_fma_f32 v12, v13, v192, -v12
	v_fma_mix_f32 v20, v4, v22, v20 op_sel_hi:[1,0,0]
	v_cvt_f32_i32_e32 v22, v24
	v_fma_f32 v23, v41, v197, -v23
	v_mul_f32_e32 v24, v49, v191
	v_fma_f32 v28, v57, v193, -v28
	v_fma_f32 v30, v59, v197, -v30
	v_fma_mix_f32 v22, v3, v22, 0 op_sel_hi:[1,0,0]
	v_fma_f32 v31, v69, v192, -v31
	v_fma_f32 v24, v46, v192, -v24
	;; [unrolled: 1-line block ×4, first 2 shown]
	v_fma_mix_f32 v2, v4, v2, v22 op_sel_hi:[1,0,0]
	v_cvt_f32_i32_e32 v22, v25
	v_dual_mul_f32 v25, v50, v194 :: v_dual_add_f32 v128, v128, v23
	v_add_f32_e32 v121, v121, v24
	v_dual_add_f32 v107, v107, v5 :: v_dual_add_f32 v98, v98, v28
	s_delay_alu instid0(VALU_DEP_4) | instskip(SKIP_3) | instid1(VALU_DEP_4)
	v_fma_mix_f32 v3, v3, v22, 0 op_sel_hi:[1,0,0]
	v_mul_f32_e32 v22, v44, v196
	v_fma_f32 v25, v47, v193, -v25
	v_dual_add_f32 v105, v105, v7 :: v_dual_add_f32 v96, v96, v30
	v_fma_mix_f32 v1, v4, v1, v3 op_sel_hi:[1,0,0]
	v_dual_mul_f32 v3, v34, v191 :: v_dual_mul_f32 v4, v36, v196
	v_mul_f32_e32 v34, v76, v198
	v_mul_f32_e32 v36, v82, v194
	v_fma_f32 v22, v40, v195, -v22
	s_delay_alu instid0(VALU_DEP_4) | instskip(SKIP_3) | instid1(VALU_DEP_4)
	v_fma_f32 v3, v11, v192, -v3
	v_mul_f32_e32 v11, v37, v198
	v_fma_f32 v4, v16, v195, -v4
	v_mul_f32_e32 v16, v43, v194
	v_dual_mul_f32 v13, v21, v194 :: v_dual_add_f32 v104, v104, v3
	v_mul_f32_e32 v3, v35, v194
	v_fma_f32 v11, v29, v197, -v11
	v_mul_f32_e32 v15, v15, v196
	v_mul_f32_e32 v29, v67, v196
	;; [unrolled: 1-line block ×3, first 2 shown]
	v_fma_f32 v3, v14, v193, -v3
	v_dual_mul_f32 v14, v42, v191 :: v_dual_mul_f32 v37, v83, v196
	v_add_f32_e32 v132, v132, v11
	v_fma_f32 v2, v2, v195, -v15
	v_mul_f32_e32 v15, v26, v198
	s_delay_alu instid0(VALU_DEP_4)
	v_fma_f32 v14, v38, v192, -v14
	v_mul_f32_e32 v38, v120, v198
	v_fma_f32 v16, v39, v193, -v16
	v_fma_f32 v29, v58, v195, -v29
	;; [unrolled: 1-line block ×7, first 2 shown]
	v_add_f32_e32 v140, v140, v3
	v_fma_f32 v37, v79, v195, -v37
	v_add_f32_e32 v134, v134, v4
	v_fma_f32 v13, v20, v193, -v13
	v_dual_add_f32 v131, v131, v14 :: v_dual_add_f32 v130, v130, v16
	v_add_f32_e32 v129, v129, v22
	v_add_f32_e32 v117, v117, v25
	v_dual_add_f32 v103, v103, v6 :: v_dual_add_f32 v94, v94, v32
	v_dual_add_f32 v99, v99, v10 :: v_dual_add_f32 v90, v90, v36
	;; [unrolled: 1-line block ×4, first 2 shown]
	v_add_f32_e32 v93, v93, v33
	v_dual_add_f32 v91, v91, v35 :: v_dual_add_f32 v86, v86, v13
	v_add_f32_e32 v89, v89, v37
	v_dual_add_f32 v87, v87, v12 :: v_dual_add_f32 v84, v84, v1
	v_add_f32_e32 v85, v85, v2
	s_cbranch_vccnz .LBB174_6
; %bb.7:                                ;   in Loop: Header=BB174_5 Depth=1
	v_add_nc_u32_e32 v11, s7, v157
	v_add_nc_u32_e32 v15, 4, v190
	s_wait_loadcnt 0x0
	s_barrier_signal -1
	s_barrier_wait -1
	v_add_nc_u32_e32 v12, v11, v156
	v_add_nc_u32_e32 v1, v11, v108
	;; [unrolled: 1-line block ×8, first 2 shown]
	v_mad_co_i64_i32 v[11:12], null, v12, 36, v[18:19]
	v_mad_co_i64_i32 v[1:2], null, v1, 36, v[18:19]
	;; [unrolled: 1-line block ×8, first 2 shown]
	global_inv scope:SCOPE_SE
	v_mad_co_u64_u32 v[24:25], null, v15, 36, s[2:3]
	s_clause 0x8
	global_load_b32 v11, v[11:12], off offset:4
	global_load_b32 v1, v[1:2], off offset:4
	;; [unrolled: 1-line block ×8, first 2 shown]
	global_load_b32 v8, v[24:25], off
	s_mov_b32 s7, 16
	s_wait_loadcnt 0x8
	ds_store_b32 v189, v11
	s_wait_loadcnt 0x7
	ds_store_b32 v182, v1
	;; [unrolled: 2-line block ×9, first 2 shown]
	s_wait_dscnt 0x0
	s_barrier_signal -1
	s_barrier_wait -1
	global_inv scope:SCOPE_SE
	ds_load_b32 v1, v160
	ds_load_b32 v2, v161 offset:128
	ds_load_b32 v3, v162 offset:256
	;; [unrolled: 1-line block ×3, first 2 shown]
	s_wait_dscnt 0x3
	v_lshrrev_b32_e32 v5, 16, v1
	v_cvt_f32_f16_e32 v67, v1
	s_wait_dscnt 0x2
	v_cvt_f32_f16_e32 v68, v2
	v_lshrrev_b32_e32 v1, 16, v2
	s_wait_dscnt 0x1
	v_cvt_f32_f16_e32 v69, v3
	v_lshrrev_b32_e32 v2, 16, v3
	s_wait_dscnt 0x0
	v_lshrrev_b32_e32 v3, 16, v4
	v_cvt_f32_f16_e32 v70, v4
	v_cvt_f32_f16_e32 v71, v5
	v_cvt_f32_f16_e32 v72, v1
	v_cvt_f32_f16_e32 v73, v2
	v_cvt_f32_f16_e32 v74, v3
.LBB174_8:                              ;   Parent Loop BB174_5 Depth=1
                                        ; =>  This Inner Loop Header: Depth=2
	s_wait_alu 0xfffe
	s_lshl_b32 s10, s7, 1
	s_lshl_b32 s11, s7, 3
	s_wait_alu 0xfffe
	s_and_b32 s10, s10, 16
	v_add_nc_u32_e32 v76, s11, v171
	s_wait_alu 0xfffe
	v_or_b32_e32 v75, s10, v164
	v_add_nc_u32_e32 v190, s11, v173
	v_add_nc_u32_e32 v191, s11, v175
	;; [unrolled: 1-line block ×3, first 2 shown]
	v_or_b32_e32 v77, s10, v165
	v_lshlrev_b32_e32 v83, 2, v75
	v_or_b32_e32 v78, s10, v166
	v_or_b32_e32 v79, s10, v167
	;; [unrolled: 1-line block ×3, first 2 shown]
	ds_load_2addr_b32 v[20:21], v76 offset1:1
	ds_load_b128 v[1:4], v83 offset:33280
	ds_load_2addr_b32 v[28:29], v190 offset1:1
	ds_load_2addr_b32 v[30:31], v191 offset1:1
	ds_load_2addr_b32 v[34:35], v190 offset0:2 offset1:3
	ds_load_2addr_b32 v[26:27], v76 offset0:2 offset1:3
	ds_load_2addr_b32 v[32:33], v192 offset1:1
	ds_load_2addr_b32 v[38:39], v192 offset0:2 offset1:3
	ds_load_2addr_b32 v[36:37], v191 offset0:2 offset1:3
	v_lshlrev_b32_e32 v193, 2, v77
	v_lshlrev_b32_e32 v194, 2, v78
	;; [unrolled: 1-line block ×4, first 2 shown]
	v_or_b32_e32 v81, s10, v169
	v_or_b32_e32 v82, s10, v170
	s_delay_alu instid0(VALU_DEP_2) | instskip(NEXT) | instid1(VALU_DEP_2)
	v_lshlrev_b32_e32 v197, 2, v81
	v_lshlrev_b32_e32 v238, 2, v82
	s_wait_dscnt 0x7
	v_dot4_i32_iu8 v5, v20, v1, 0 neg_lo:[1,1,0]
	s_wait_dscnt 0x6
	v_dot4_i32_iu8 v6, v1, v28, 0 neg_lo:[1,1,0]
	;; [unrolled: 2-line block ×4, first 2 shown]
	v_dot4_i32_iu8 v5, v21, v2, v5 neg_lo:[1,1,0]
	v_dot4_i32_iu8 v6, v2, v29, v6 neg_lo:[1,1,0]
	;; [unrolled: 1-line block ×3, first 2 shown]
	s_delay_alu instid0(VALU_DEP_4) | instskip(NEXT) | instid1(VALU_DEP_4)
	v_dot4_i32_iu8 v1, v2, v33, v1 neg_lo:[1,1,0]
	v_dot4_i32_iu8 v2, v26, v3, v5 neg_lo:[1,1,0]
	s_delay_alu instid0(VALU_DEP_4)
	v_dot4_i32_iu8 v5, v3, v34, v6 neg_lo:[1,1,0]
	s_wait_dscnt 0x0
	v_dot4_i32_iu8 v6, v3, v36, v7 neg_lo:[1,1,0]
	v_dot4_i32_iu8 v7, v3, v38, v1 neg_lo:[1,1,0]
	;; [unrolled: 1-line block ×4, first 2 shown]
	s_delay_alu instid0(VALU_DEP_4) | instskip(NEXT) | instid1(VALU_DEP_4)
	v_dot4_i32_iu8 v1, v4, v37, v6 neg_lo:[1,1,0]
	v_dot4_i32_iu8 v58, v4, v39, v7 neg_lo:[1,1,0]
	ds_load_2addr_b32 v[22:23], v76 offset0:8 offset1:9
	ds_load_b128 v[4:7], v83 offset:33312
	ds_load_2addr_b32 v[40:41], v190 offset0:8 offset1:9
	ds_load_2addr_b32 v[42:43], v191 offset0:8 offset1:9
	ds_load_2addr_b32 v[46:47], v190 offset0:10 offset1:11
	ds_load_2addr_b32 v[24:25], v76 offset0:10 offset1:11
	ds_load_2addr_b32 v[44:45], v192 offset0:8 offset1:9
	ds_load_2addr_b32 v[50:51], v192 offset0:10 offset1:11
	ds_load_2addr_b32 v[48:49], v191 offset0:10 offset1:11
	s_wait_dscnt 0x7
	v_dot4_i32_iu8 v8, v22, v4, 0 neg_lo:[1,1,0]
	s_wait_dscnt 0x6
	v_dot4_i32_iu8 v9, v4, v40, 0 neg_lo:[1,1,0]
	;; [unrolled: 2-line block ×4, first 2 shown]
	v_dot4_i32_iu8 v8, v23, v5, v8 neg_lo:[1,1,0]
	v_dot4_i32_iu8 v9, v5, v41, v9 neg_lo:[1,1,0]
	;; [unrolled: 1-line block ×3, first 2 shown]
	s_delay_alu instid0(VALU_DEP_4) | instskip(NEXT) | instid1(VALU_DEP_4)
	v_dot4_i32_iu8 v4, v5, v45, v4 neg_lo:[1,1,0]
	v_dot4_i32_iu8 v5, v24, v6, v8 neg_lo:[1,1,0]
	s_delay_alu instid0(VALU_DEP_4)
	v_dot4_i32_iu8 v8, v6, v46, v9 neg_lo:[1,1,0]
	s_wait_dscnt 0x0
	v_dot4_i32_iu8 v9, v6, v48, v10 neg_lo:[1,1,0]
	v_dot4_i32_iu8 v4, v6, v50, v4 neg_lo:[1,1,0]
	;; [unrolled: 1-line block ×4, first 2 shown]
	s_delay_alu instid0(VALU_DEP_4) | instskip(NEXT) | instid1(VALU_DEP_4)
	v_dot4_i32_iu8 v199, v7, v49, v9 neg_lo:[1,1,0]
	v_dot4_i32_iu8 v198, v7, v51, v4 neg_lo:[1,1,0]
	ds_load_b128 v[4:7], v193 offset:33280
	s_wait_dscnt 0x0
	v_dot4_i32_iu8 v8, v20, v4, 0 neg_lo:[1,1,0]
	v_dot4_i32_iu8 v9, v4, v28, 0 neg_lo:[1,1,0]
	v_dot4_i32_iu8 v10, v4, v30, 0 neg_lo:[1,1,0]
	v_dot4_i32_iu8 v4, v4, v32, 0 neg_lo:[1,1,0]
	s_delay_alu instid0(VALU_DEP_4) | instskip(NEXT) | instid1(VALU_DEP_4)
	v_dot4_i32_iu8 v8, v21, v5, v8 neg_lo:[1,1,0]
	v_dot4_i32_iu8 v9, v5, v29, v9 neg_lo:[1,1,0]
	s_delay_alu instid0(VALU_DEP_4) | instskip(NEXT) | instid1(VALU_DEP_4)
	v_dot4_i32_iu8 v10, v5, v31, v10 neg_lo:[1,1,0]
	v_dot4_i32_iu8 v4, v5, v33, v4 neg_lo:[1,1,0]
	s_delay_alu instid0(VALU_DEP_4) | instskip(NEXT) | instid1(VALU_DEP_4)
	v_dot4_i32_iu8 v5, v26, v6, v8 neg_lo:[1,1,0]
	v_dot4_i32_iu8 v8, v6, v34, v9 neg_lo:[1,1,0]
	s_delay_alu instid0(VALU_DEP_4) | instskip(NEXT) | instid1(VALU_DEP_4)
	v_dot4_i32_iu8 v9, v6, v36, v10 neg_lo:[1,1,0]
	v_dot4_i32_iu8 v4, v6, v38, v4 neg_lo:[1,1,0]
	s_delay_alu instid0(VALU_DEP_4) | instskip(NEXT) | instid1(VALU_DEP_4)
	v_dot4_i32_iu8 v201, v27, v7, v5 neg_lo:[1,1,0]
	v_dot4_i32_iu8 v202, v7, v35, v8 neg_lo:[1,1,0]
	s_delay_alu instid0(VALU_DEP_4) | instskip(NEXT) | instid1(VALU_DEP_4)
	v_dot4_i32_iu8 v203, v7, v37, v9 neg_lo:[1,1,0]
	v_dot4_i32_iu8 v204, v7, v39, v4 neg_lo:[1,1,0]
	ds_load_b128 v[4:7], v193 offset:33312
	s_wait_dscnt 0x0
	v_dot4_i32_iu8 v8, v22, v4, 0 neg_lo:[1,1,0]
	v_dot4_i32_iu8 v9, v4, v40, 0 neg_lo:[1,1,0]
	v_dot4_i32_iu8 v10, v4, v42, 0 neg_lo:[1,1,0]
	v_dot4_i32_iu8 v4, v4, v44, 0 neg_lo:[1,1,0]
	s_delay_alu instid0(VALU_DEP_4) | instskip(NEXT) | instid1(VALU_DEP_4)
	v_dot4_i32_iu8 v8, v23, v5, v8 neg_lo:[1,1,0]
	v_dot4_i32_iu8 v9, v5, v41, v9 neg_lo:[1,1,0]
	s_delay_alu instid0(VALU_DEP_4) | instskip(NEXT) | instid1(VALU_DEP_4)
	v_dot4_i32_iu8 v10, v5, v43, v10 neg_lo:[1,1,0]
	v_dot4_i32_iu8 v4, v5, v45, v4 neg_lo:[1,1,0]
	s_delay_alu instid0(VALU_DEP_4) | instskip(NEXT) | instid1(VALU_DEP_4)
	v_dot4_i32_iu8 v5, v24, v6, v8 neg_lo:[1,1,0]
	v_dot4_i32_iu8 v8, v6, v46, v9 neg_lo:[1,1,0]
	s_delay_alu instid0(VALU_DEP_4) | instskip(NEXT) | instid1(VALU_DEP_4)
	v_dot4_i32_iu8 v9, v6, v48, v10 neg_lo:[1,1,0]
	v_dot4_i32_iu8 v4, v6, v50, v4 neg_lo:[1,1,0]
	s_delay_alu instid0(VALU_DEP_4) | instskip(NEXT) | instid1(VALU_DEP_4)
	v_dot4_i32_iu8 v206, v25, v7, v5 neg_lo:[1,1,0]
	v_dot4_i32_iu8 v207, v7, v47, v8 neg_lo:[1,1,0]
	;; [unrolled: 24-line block ×12, first 2 shown]
	s_delay_alu instid0(VALU_DEP_4) | instskip(NEXT) | instid1(VALU_DEP_4)
	v_dot4_i32_iu8 v249, v7, v49, v9 neg_lo:[1,1,0]
	v_dot4_i32_iu8 v250, v7, v51, v4 neg_lo:[1,1,0]
	ds_load_2addr_b32 v[52:53], v76 offset0:4 offset1:5
	ds_load_b128 v[4:7], v83 offset:33296
	ds_load_2addr_b32 v[54:55], v190 offset0:4 offset1:5
	ds_load_2addr_b32 v[56:57], v191 offset0:4 offset1:5
	;; [unrolled: 1-line block ×6, first 2 shown]
	s_wait_dscnt 0x6
	v_dot4_i32_iu8 v3, v52, v4, v3 neg_lo:[1,1,0]
	s_wait_dscnt 0x5
	v_dot4_i32_iu8 v2, v4, v54, v2 neg_lo:[1,1,0]
	;; [unrolled: 2-line block ×4, first 2 shown]
	ds_load_2addr_b32 v[58:59], v76 offset0:6 offset1:7
	v_dot4_i32_iu8 v3, v53, v5, v3 neg_lo:[1,1,0]
	v_dot4_i32_iu8 v2, v5, v55, v2 neg_lo:[1,1,0]
	;; [unrolled: 1-line block ×4, first 2 shown]
	s_wait_dscnt 0x3
	s_delay_alu instid0(VALU_DEP_3)
	v_dot4_i32_iu8 v2, v6, v252, v2 neg_lo:[1,1,0]
	s_wait_dscnt 0x2
	v_dot4_i32_iu8 v1, v6, v254, v1 neg_lo:[1,1,0]
	s_wait_dscnt 0x1
	;; [unrolled: 2-line block ×3, first 2 shown]
	v_dot4_i32_iu8 v3, v58, v6, v3 neg_lo:[1,1,0]
	s_delay_alu instid0(VALU_DEP_1)
	v_dot4_i32_iu8 v100, v59, v7, v3 neg_lo:[1,1,0]
	v_dot4_i32_iu8 v3, v7, v253, v2 neg_lo:[1,1,0]
	;; [unrolled: 1-line block ×4, first 2 shown]
	ds_load_2addr_b32 v[137:138], v76 offset0:12 offset1:13
	ds_load_b128 v[4:7], v83 offset:33328
	ds_load_2addr_b32 v[13:14], v190 offset0:12 offset1:13
	ds_load_2addr_b32 v[15:16], v191 offset0:12 offset1:13
	;; [unrolled: 1-line block ×7, first 2 shown]
	s_wait_dscnt 0x7
	v_dot4_i32_iu8 v8, v137, v4, v205 neg_lo:[1,1,0]
	s_wait_dscnt 0x6
	v_dot4_i32_iu8 v9, v4, v13, v200 neg_lo:[1,1,0]
	;; [unrolled: 2-line block ×4, first 2 shown]
	v_dot4_i32_iu8 v8, v138, v5, v8 neg_lo:[1,1,0]
	v_dot4_i32_iu8 v9, v5, v14, v9 neg_lo:[1,1,0]
	;; [unrolled: 1-line block ×3, first 2 shown]
	s_delay_alu instid0(VALU_DEP_4) | instskip(NEXT) | instid1(VALU_DEP_4)
	v_dot4_i32_iu8 v4, v5, v142, v4 neg_lo:[1,1,0]
	v_dot4_i32_iu8 v5, v146, v6, v8 neg_lo:[1,1,0]
	s_delay_alu instid0(VALU_DEP_4)
	v_dot4_i32_iu8 v8, v6, v180, v9 neg_lo:[1,1,0]
	s_wait_dscnt 0x0
	v_dot4_i32_iu8 v9, v6, v143, v10 neg_lo:[1,1,0]
	v_dot4_i32_iu8 v4, v6, v148, v4 neg_lo:[1,1,0]
	;; [unrolled: 1-line block ×4, first 2 shown]
	s_delay_alu instid0(VALU_DEP_4) | instskip(NEXT) | instid1(VALU_DEP_4)
	v_dot4_i32_iu8 v199, v7, v144, v9 neg_lo:[1,1,0]
	v_dot4_i32_iu8 v122, v7, v149, v4 neg_lo:[1,1,0]
	ds_load_b128 v[4:7], v193 offset:33296
	s_wait_dscnt 0x0
	v_dot4_i32_iu8 v8, v52, v4, v201 neg_lo:[1,1,0]
	v_dot4_i32_iu8 v9, v4, v54, v202 neg_lo:[1,1,0]
	v_dot4_i32_iu8 v10, v4, v56, v203 neg_lo:[1,1,0]
	v_dot4_i32_iu8 v4, v4, v60, v204 neg_lo:[1,1,0]
	s_delay_alu instid0(VALU_DEP_4) | instskip(NEXT) | instid1(VALU_DEP_4)
	v_dot4_i32_iu8 v8, v53, v5, v8 neg_lo:[1,1,0]
	v_dot4_i32_iu8 v9, v5, v55, v9 neg_lo:[1,1,0]
	s_delay_alu instid0(VALU_DEP_4) | instskip(NEXT) | instid1(VALU_DEP_4)
	v_dot4_i32_iu8 v10, v5, v57, v10 neg_lo:[1,1,0]
	v_dot4_i32_iu8 v4, v5, v61, v4 neg_lo:[1,1,0]
	s_delay_alu instid0(VALU_DEP_4) | instskip(NEXT) | instid1(VALU_DEP_4)
	v_dot4_i32_iu8 v5, v58, v6, v8 neg_lo:[1,1,0]
	v_dot4_i32_iu8 v8, v6, v252, v9 neg_lo:[1,1,0]
	s_delay_alu instid0(VALU_DEP_4) | instskip(NEXT) | instid1(VALU_DEP_4)
	v_dot4_i32_iu8 v9, v6, v254, v10 neg_lo:[1,1,0]
	v_dot4_i32_iu8 v6, v6, v135, v4 neg_lo:[1,1,0]
	s_delay_alu instid0(VALU_DEP_4) | instskip(NEXT) | instid1(VALU_DEP_4)
	v_dot4_i32_iu8 v190, v59, v7, v5 neg_lo:[1,1,0]
	v_dot4_i32_iu8 v116, v7, v253, v8 neg_lo:[1,1,0]
	s_delay_alu instid0(VALU_DEP_4) | instskip(NEXT) | instid1(VALU_DEP_4)
	v_dot4_i32_iu8 v4, v7, v255, v9 neg_lo:[1,1,0]
	v_dot4_i32_iu8 v76, v7, v136, v6 neg_lo:[1,1,0]
	ds_load_b128 v[6:9], v193 offset:33328
	s_wait_dscnt 0x0
	v_dot4_i32_iu8 v5, v137, v6, v206 neg_lo:[1,1,0]
	v_dot4_i32_iu8 v10, v6, v13, v207 neg_lo:[1,1,0]
	v_dot4_i32_iu8 v11, v6, v15, v208 neg_lo:[1,1,0]
	v_dot4_i32_iu8 v6, v6, v141, v209 neg_lo:[1,1,0]
	s_delay_alu instid0(VALU_DEP_4) | instskip(NEXT) | instid1(VALU_DEP_4)
	v_dot4_i32_iu8 v5, v138, v7, v5 neg_lo:[1,1,0]
	v_dot4_i32_iu8 v10, v7, v14, v10 neg_lo:[1,1,0]
	s_delay_alu instid0(VALU_DEP_4) | instskip(NEXT) | instid1(VALU_DEP_4)
	v_dot4_i32_iu8 v11, v7, v16, v11 neg_lo:[1,1,0]
	v_dot4_i32_iu8 v6, v7, v142, v6 neg_lo:[1,1,0]
	s_delay_alu instid0(VALU_DEP_4) | instskip(NEXT) | instid1(VALU_DEP_4)
	v_dot4_i32_iu8 v5, v146, v8, v5 neg_lo:[1,1,0]
	v_dot4_i32_iu8 v7, v8, v180, v10 neg_lo:[1,1,0]
	s_delay_alu instid0(VALU_DEP_4) | instskip(NEXT) | instid1(VALU_DEP_4)
	v_dot4_i32_iu8 v10, v8, v143, v11 neg_lo:[1,1,0]
	v_dot4_i32_iu8 v6, v8, v148, v6 neg_lo:[1,1,0]
	s_delay_alu instid0(VALU_DEP_4) | instskip(NEXT) | instid1(VALU_DEP_4)
	v_dot4_i32_iu8 v8, v147, v9, v5 neg_lo:[1,1,0]
	v_dot4_i32_iu8 v208, v9, v181, v7 neg_lo:[1,1,0]
	;; [unrolled: 24-line block ×5, first 2 shown]
	s_delay_alu instid0(VALU_DEP_4) | instskip(NEXT) | instid1(VALU_DEP_4)
	v_dot4_i32_iu8 v119, v12, v255, v7 neg_lo:[1,1,0]
	v_dot4_i32_iu8 v101, v12, v136, v9 neg_lo:[1,1,0]
	ds_load_b128 v[9:12], v195 offset:33328
	s_wait_dscnt 0x0
	v_dot4_i32_iu8 v5, v137, v9, v222 neg_lo:[1,1,0]
	v_dot4_i32_iu8 v6, v9, v13, v223 neg_lo:[1,1,0]
	;; [unrolled: 1-line block ×4, first 2 shown]
	v_or_b32_e32 v223, s10, v133
	v_dot4_i32_iu8 v5, v138, v10, v5 neg_lo:[1,1,0]
	v_dot4_i32_iu8 v6, v10, v14, v6 neg_lo:[1,1,0]
	;; [unrolled: 1-line block ×4, first 2 shown]
	v_lshlrev_b32_e32 v224, 2, v223
	v_dot4_i32_iu8 v5, v146, v11, v5 neg_lo:[1,1,0]
	v_dot4_i32_iu8 v6, v11, v180, v6 neg_lo:[1,1,0]
	;; [unrolled: 1-line block ×4, first 2 shown]
	s_lshr_b32 s10, s7, 2
	v_dot4_i32_iu8 v218, v147, v12, v5 neg_lo:[1,1,0]
	v_dot4_i32_iu8 v212, v12, v181, v6 neg_lo:[1,1,0]
	;; [unrolled: 1-line block ×4, first 2 shown]
	ds_load_b128 v[9:12], v196 offset:33296
	s_wait_alu 0xfffe
	s_and_b32 s10, s10, 0x3ffffffe
	s_wait_alu 0xfffe
	s_add_co_i32 s10, s10, 0xa200
	s_wait_dscnt 0x0
	v_dot4_i32_iu8 v5, v52, v9, v226 neg_lo:[1,1,0]
	v_dot4_i32_iu8 v6, v9, v54, v227 neg_lo:[1,1,0]
	v_dot4_i32_iu8 v7, v9, v56, v228 neg_lo:[1,1,0]
	v_dot4_i32_iu8 v9, v9, v60, v229 neg_lo:[1,1,0]
	s_delay_alu instid0(VALU_DEP_4) | instskip(NEXT) | instid1(VALU_DEP_4)
	v_dot4_i32_iu8 v5, v53, v10, v5 neg_lo:[1,1,0]
	v_dot4_i32_iu8 v6, v10, v55, v6 neg_lo:[1,1,0]
	s_delay_alu instid0(VALU_DEP_4) | instskip(NEXT) | instid1(VALU_DEP_4)
	v_dot4_i32_iu8 v7, v10, v57, v7 neg_lo:[1,1,0]
	v_dot4_i32_iu8 v9, v10, v61, v9 neg_lo:[1,1,0]
	s_delay_alu instid0(VALU_DEP_4) | instskip(NEXT) | instid1(VALU_DEP_4)
	v_dot4_i32_iu8 v5, v58, v11, v5 neg_lo:[1,1,0]
	v_dot4_i32_iu8 v6, v11, v252, v6 neg_lo:[1,1,0]
	s_delay_alu instid0(VALU_DEP_4) | instskip(NEXT) | instid1(VALU_DEP_4)
	v_dot4_i32_iu8 v7, v11, v254, v7 neg_lo:[1,1,0]
	v_dot4_i32_iu8 v9, v11, v135, v9 neg_lo:[1,1,0]
	s_delay_alu instid0(VALU_DEP_4) | instskip(NEXT) | instid1(VALU_DEP_4)
	v_dot4_i32_iu8 v204, v59, v12, v5 neg_lo:[1,1,0]
	v_dot4_i32_iu8 v123, v12, v253, v6 neg_lo:[1,1,0]
	s_delay_alu instid0(VALU_DEP_4) | instskip(NEXT) | instid1(VALU_DEP_4)
	v_dot4_i32_iu8 v191, v12, v255, v7 neg_lo:[1,1,0]
	v_dot4_i32_iu8 v118, v12, v136, v9 neg_lo:[1,1,0]
	ds_load_b128 v[9:12], v196 offset:33328
	s_wait_dscnt 0x0
	v_dot4_i32_iu8 v5, v137, v9, v230 neg_lo:[1,1,0]
	v_dot4_i32_iu8 v6, v9, v13, v231 neg_lo:[1,1,0]
	v_dot4_i32_iu8 v7, v9, v15, v232 neg_lo:[1,1,0]
	v_dot4_i32_iu8 v9, v9, v141, v233 neg_lo:[1,1,0]
	s_delay_alu instid0(VALU_DEP_4) | instskip(NEXT) | instid1(VALU_DEP_4)
	v_dot4_i32_iu8 v5, v138, v10, v5 neg_lo:[1,1,0]
	v_dot4_i32_iu8 v6, v10, v14, v6 neg_lo:[1,1,0]
	s_delay_alu instid0(VALU_DEP_4) | instskip(NEXT) | instid1(VALU_DEP_4)
	v_dot4_i32_iu8 v7, v10, v16, v7 neg_lo:[1,1,0]
	v_dot4_i32_iu8 v9, v10, v142, v9 neg_lo:[1,1,0]
	s_delay_alu instid0(VALU_DEP_4) | instskip(NEXT) | instid1(VALU_DEP_4)
	v_dot4_i32_iu8 v5, v146, v11, v5 neg_lo:[1,1,0]
	v_dot4_i32_iu8 v6, v11, v180, v6 neg_lo:[1,1,0]
	s_delay_alu instid0(VALU_DEP_4) | instskip(NEXT) | instid1(VALU_DEP_4)
	v_dot4_i32_iu8 v7, v11, v143, v7 neg_lo:[1,1,0]
	v_dot4_i32_iu8 v9, v11, v148, v9 neg_lo:[1,1,0]
	s_delay_alu instid0(VALU_DEP_4) | instskip(NEXT) | instid1(VALU_DEP_4)
	v_dot4_i32_iu8 v221, v147, v12, v5 neg_lo:[1,1,0]
	v_dot4_i32_iu8 v214, v12, v181, v6 neg_lo:[1,1,0]
	s_delay_alu instid0(VALU_DEP_4) | instskip(NEXT) | instid1(VALU_DEP_4)
	v_dot4_i32_iu8 v211, v12, v144, v7 neg_lo:[1,1,0]
	v_dot4_i32_iu8 v7, v12, v149, v9 neg_lo:[1,1,0]
	ds_load_b128 v[9:12], v197 offset:33296
	;; [unrolled: 24-line block ×6, first 2 shown]
	s_wait_dscnt 0x0
	v_dot4_i32_iu8 v28, v9, v28, 0 neg_lo:[1,1,0]
	s_delay_alu instid0(VALU_DEP_1) | instskip(SKIP_3) | instid1(VALU_DEP_4)
	v_dot4_i32_iu8 v28, v10, v29, v28 neg_lo:[1,1,0]
	v_dot4_i32_iu8 v29, v9, v30, 0 neg_lo:[1,1,0]
	;; [unrolled: 1-line block ×3, first 2 shown]
	v_perm_b32 v32, v12, v11, 0x5010c0c
	v_dot4_i32_iu8 v28, v11, v34, v28 neg_lo:[1,1,0]
	s_delay_alu instid0(VALU_DEP_4) | instskip(NEXT) | instid1(VALU_DEP_4)
	v_dot4_i32_iu8 v29, v10, v31, v29 neg_lo:[1,1,0]
	v_dot4_i32_iu8 v30, v10, v33, v30 neg_lo:[1,1,0]
	v_perm_b32 v31, v9, v10, 0xc0c0501
	v_perm_b32 v33, v9, v10, 0xc0c0703
	v_dot4_i32_iu8 v28, v12, v35, v28 neg_lo:[1,1,0]
	v_dot4_i32_iu8 v29, v11, v36, v29 neg_lo:[1,1,0]
	;; [unrolled: 1-line block ×3, first 2 shown]
	v_perm_b32 v34, v12, v11, 0x7030c0c
	v_perm_b32 v35, v9, v10, 0xc0c0400
	;; [unrolled: 1-line block ×3, first 2 shown]
	v_dot4_i32_iu8 v29, v12, v37, v29 neg_lo:[1,1,0]
	v_dot4_i32_iu8 v30, v12, v39, v30 neg_lo:[1,1,0]
	v_perm_b32 v37, v9, v10, 0xc0c0602
	v_perm_b32 v38, v12, v11, 0x6020c0c
	ds_load_b128 v[9:12], v224 offset:33312
	v_or_b32_e32 v35, v36, v35
	v_or_b32_e32 v33, v34, v33
	;; [unrolled: 1-line block ×3, first 2 shown]
	s_wait_dscnt 0x0
	v_dot4_i32_iu8 v39, v9, v40, 0 neg_lo:[1,1,0]
	v_dot4_i32_iu8 v40, v9, v42, 0 neg_lo:[1,1,0]
	v_perm_b32 v42, v9, v10, 0xc0c0501
	s_delay_alu instid0(VALU_DEP_3) | instskip(SKIP_1) | instid1(VALU_DEP_4)
	v_dot4_i32_iu8 v39, v10, v41, v39 neg_lo:[1,1,0]
	v_dot4_i32_iu8 v41, v9, v44, 0 neg_lo:[1,1,0]
	v_dot4_i32_iu8 v40, v10, v43, v40 neg_lo:[1,1,0]
	v_perm_b32 v43, v12, v11, 0x5010c0c
	v_perm_b32 v44, v9, v10, 0xc0c0703
	v_dot4_i32_iu8 v39, v11, v46, v39 neg_lo:[1,1,0]
	v_dot4_i32_iu8 v41, v10, v45, v41 neg_lo:[1,1,0]
	v_dot4_i32_iu8 v40, v11, v48, v40 neg_lo:[1,1,0]
	v_perm_b32 v45, v12, v11, 0x7030c0c
	v_perm_b32 v46, v9, v10, 0xc0c0400
	;; [unrolled: 5-line block ×3, first 2 shown]
	v_perm_b32 v49, v12, v11, 0x6020c0c
	v_dot4_i32_iu8 v41, v12, v51, v41 neg_lo:[1,1,0]
	ds_load_b128 v[9:12], v224 offset:33296
	s_wait_dscnt 0x0
	v_dot4_i32_iu8 v28, v9, v54, v28 neg_lo:[1,1,0]
	v_dot4_i32_iu8 v29, v9, v56, v29 neg_lo:[1,1,0]
	v_dot4_i32_iu8 v30, v9, v60, v30 neg_lo:[1,1,0]
	v_perm_b32 v50, v10, v9, 0xc0c0602
	v_perm_b32 v51, v12, v11, 0x6020c0c
	v_dot4_i32_iu8 v28, v10, v55, v28 neg_lo:[1,1,0]
	v_dot4_i32_iu8 v29, v10, v57, v29 neg_lo:[1,1,0]
	v_dot4_i32_iu8 v30, v10, v61, v30 neg_lo:[1,1,0]
	v_perm_b32 v54, v10, v9, 0xc0c0400
	v_perm_b32 v55, v12, v11, 0x4000c0c
	;; [unrolled: 5-line block ×4, first 2 shown]
	ds_load_b128 v[9:12], v224 offset:33328
	v_or_b32_e32 v38, v51, v50
	v_or_b32_e32 v36, v55, v54
	;; [unrolled: 1-line block ×3, first 2 shown]
	s_wait_dscnt 0x0
	v_dot4_i32_iu8 v13, v9, v13, v39 neg_lo:[1,1,0]
	v_perm_b32 v39, v12, v11, 0x6020c0c
	v_perm_b32 v135, v10, v9, 0xc0c0703
	;; [unrolled: 1-line block ×3, first 2 shown]
	s_delay_alu instid0(VALU_DEP_4)
	v_dot4_i32_iu8 v13, v10, v14, v13 neg_lo:[1,1,0]
	v_dot4_i32_iu8 v14, v9, v15, v40 neg_lo:[1,1,0]
	v_dot4_i32_iu8 v15, v9, v141, v41 neg_lo:[1,1,0]
	v_perm_b32 v40, v10, v9, 0xc0c0400
	v_perm_b32 v41, v12, v11, 0x4000c0c
	v_dot4_i32_iu8 v13, v11, v180, v13 neg_lo:[1,1,0]
	v_dot4_i32_iu8 v14, v10, v16, v14 neg_lo:[1,1,0]
	v_dot4_i32_iu8 v15, v10, v142, v15 neg_lo:[1,1,0]
	v_perm_b32 v16, v10, v9, 0xc0c0602
	v_perm_b32 v9, v10, v9, 0xc0c0501
	;; [unrolled: 5-line block ×3, first 2 shown]
	v_perm_b32 v141, v59, v58, 0x6020c0c
	v_dot4_i32_iu8 v14, v12, v144, v14 neg_lo:[1,1,0]
	v_dot4_i32_iu8 v15, v12, v149, v15 neg_lo:[1,1,0]
	v_perm_b32 v12, v27, v26, 0x6020c0c
	v_or_b32_e32 v16, v39, v16
	v_or_b32_e32 v9, v10, v9
	s_delay_alu instid0(VALU_DEP_3) | instskip(SKIP_1) | instid1(VALU_DEP_2)
	v_or_b32_e32 v11, v12, v11
	v_perm_b32 v12, v53, v52, 0xc0c0602
	v_dot4_i32_iu8 v11, v11, v37, 0 neg_lo:[1,1,0]
	s_delay_alu instid0(VALU_DEP_2) | instskip(SKIP_1) | instid1(VALU_DEP_2)
	v_or_b32_e32 v12, v141, v12
	v_perm_b32 v37, v27, v26, 0x4000c0c
	v_dot4_i32_iu8 v11, v12, v38, v11 neg_lo:[1,1,0]
	v_perm_b32 v12, v20, v21, 0xc0c0400
	v_perm_b32 v38, v59, v58, 0x4000c0c
	s_delay_alu instid0(VALU_DEP_2) | instskip(SKIP_1) | instid1(VALU_DEP_2)
	v_or_b32_e32 v12, v37, v12
	v_perm_b32 v37, v53, v52, 0xc0c0400
	v_dot4_i32_iu8 v12, v12, v35, 0 neg_lo:[1,1,0]
	s_delay_alu instid0(VALU_DEP_2) | instskip(SKIP_3) | instid1(VALU_DEP_4)
	v_or_b32_e32 v37, v38, v37
	v_perm_b32 v35, v20, v21, 0xc0c0703
	v_perm_b32 v20, v20, v21, 0xc0c0501
	;; [unrolled: 1-line block ×3, first 2 shown]
	v_dot4_i32_iu8 v12, v37, v36, v12 neg_lo:[1,1,0]
	v_perm_b32 v36, v27, v26, 0x7030c0c
	v_perm_b32 v26, v53, v52, 0xc0c0501
	v_perm_b32 v27, v59, v58, 0x5010c0c
	v_or_b32_e32 v20, v21, v20
	v_perm_b32 v37, v59, v58, 0x7030c0c
	v_or_b32_e32 v35, v36, v35
	v_perm_b32 v36, v53, v52, 0xc0c0703
	v_or_b32_e32 v21, v27, v26
	v_or_b32_e32 v26, v32, v31
	;; [unrolled: 1-line block ×5, first 2 shown]
	v_dot4_i32_iu8 v33, v35, v33, 0 neg_lo:[1,1,0]
	v_dot4_i32_iu8 v20, v20, v26, 0 neg_lo:[1,1,0]
	v_perm_b32 v26, v25, v24, 0x6020c0c
	v_or_b32_e32 v32, v136, v135
	s_delay_alu instid0(VALU_DEP_4) | instskip(NEXT) | instid1(VALU_DEP_4)
	v_dot4_i32_iu8 v33, v36, v34, v33 neg_lo:[1,1,0]
	v_dot4_i32_iu8 v20, v21, v27, v20 neg_lo:[1,1,0]
	v_perm_b32 v21, v22, v23, 0xc0c0602
	v_perm_b32 v27, v147, v146, 0x6020c0c
	s_delay_alu instid0(VALU_DEP_2) | instskip(SKIP_1) | instid1(VALU_DEP_1)
	v_or_b32_e32 v21, v26, v21
	v_perm_b32 v26, v138, v137, 0xc0c0602
	v_or_b32_e32 v26, v27, v26
	v_or_b32_e32 v27, v49, v48
	s_delay_alu instid0(VALU_DEP_1) | instskip(SKIP_1) | instid1(VALU_DEP_2)
	v_dot4_i32_iu8 v21, v21, v27, 0 neg_lo:[1,1,0]
	v_perm_b32 v27, v147, v146, 0x4000c0c
	v_dot4_i32_iu8 v16, v26, v16, v21 neg_lo:[1,1,0]
	v_perm_b32 v21, v22, v23, 0xc0c0400
	v_perm_b32 v26, v25, v24, 0x4000c0c
	s_delay_alu instid0(VALU_DEP_1) | instskip(SKIP_1) | instid1(VALU_DEP_1)
	v_or_b32_e32 v21, v26, v21
	v_perm_b32 v26, v138, v137, 0xc0c0400
	v_or_b32_e32 v26, v27, v26
	v_or_b32_e32 v27, v47, v46
	s_delay_alu instid0(VALU_DEP_1) | instskip(SKIP_1) | instid1(VALU_DEP_2)
	v_dot4_i32_iu8 v21, v21, v27, 0 neg_lo:[1,1,0]
	v_perm_b32 v27, v25, v24, 0x7030c0c
	v_dot4_i32_iu8 v21, v26, v31, v21 neg_lo:[1,1,0]
	v_perm_b32 v26, v22, v23, 0xc0c0703
	v_perm_b32 v31, v147, v146, 0x7030c0c
	;; [unrolled: 1-line block ×5, first 2 shown]
	v_or_b32_e32 v26, v27, v26
	v_perm_b32 v27, v138, v137, 0xc0c0703
	v_perm_b32 v25, v147, v146, 0x5010c0c
	v_or_b32_e32 v22, v23, v22
	s_delay_alu instid0(VALU_DEP_3) | instskip(SKIP_1) | instid1(VALU_DEP_4)
	v_or_b32_e32 v27, v31, v27
	v_or_b32_e32 v31, v45, v44
	v_or_b32_e32 v23, v25, v24
	v_or_b32_e32 v24, v43, v42
	s_delay_alu instid0(VALU_DEP_3) | instskip(NEXT) | instid1(VALU_DEP_2)
	v_dot4_i32_iu8 v26, v26, v31, 0 neg_lo:[1,1,0]
	v_dot4_i32_iu8 v10, v22, v24, 0 neg_lo:[1,1,0]
	s_delay_alu instid0(VALU_DEP_2) | instskip(NEXT) | instid1(VALU_DEP_2)
	v_dot4_i32_iu8 v26, v27, v32, v26 neg_lo:[1,1,0]
	v_dot4_i32_iu8 v9, v23, v9, v10 neg_lo:[1,1,0]
	v_add_nc_u32_e32 v10, v20, v33
	s_delay_alu instid0(VALU_DEP_2) | instskip(NEXT) | instid1(VALU_DEP_2)
	v_add_nc_u32_e32 v9, v9, v26
	v_add3_u32 v10, v12, v11, v10
	s_wait_alu 0xfffe
	v_add3_u32 v12, s10, v62, v63
	v_lshrrev_b32_e32 v11, 1, v223
	v_add3_u32 v9, v21, v16, v9
	ds_load_u16 v16, v12
	s_wait_dscnt 0x0
	v_lshrrev_b16 v20, 8, v16
	v_and_b32_e32 v16, 0xff, v16
	s_delay_alu instid0(VALU_DEP_2) | instskip(NEXT) | instid1(VALU_DEP_2)
	v_and_b32_e32 v20, 0xffff, v20
	v_mul_lo_u32 v10, v10, v16
	s_delay_alu instid0(VALU_DEP_2)
	v_mul_lo_u32 v9, v9, v20
	v_mul_lo_u32 v38, v251, v20
	;; [unrolled: 1-line block ×4, first 2 shown]
	v_cvt_f32_i32_e32 v21, v10
	v_mul_lo_u32 v57, v218, v20
	v_cvt_f32_i32_e32 v22, v9
	ds_load_b64 v[9:10], v11 offset:43584
	v_cvt_f32_i32_e32 v38, v38
	v_cvt_f32_i32_e32 v8, v8
	;; [unrolled: 1-line block ×4, first 2 shown]
	s_wait_dscnt 0x0
	v_fma_mix_f32 v11, v21, v9, 0 op_sel_hi:[0,1,0]
	v_add3_u32 v21, s10, v64, v172
	s_delay_alu instid0(VALU_DEP_2) | instskip(SKIP_4) | instid1(VALU_DEP_2)
	v_fma_mix_f32 v11, v22, v10, v11 op_sel_hi:[0,1,0]
	ds_load_u16 v22, v21
	s_wait_dscnt 0x0
	v_lshrrev_b16 v23, 8, v22
	v_and_b32_e32 v22, 0xff, v22
	v_and_b32_e32 v23, 0xffff, v23
	s_delay_alu instid0(VALU_DEP_2) | instskip(SKIP_2) | instid1(VALU_DEP_4)
	v_mul_lo_u32 v24, v28, v22
	v_mul_lo_u32 v3, v3, v22
	v_mul_lo_u32 v6, v6, v22
	v_mul_lo_u32 v13, v13, v23
	v_mul_lo_u32 v44, v208, v23
	v_mul_lo_u32 v51, v210, v23
	v_mul_lo_u32 v59, v212, v23
	v_cvt_f32_i32_e32 v24, v24
	v_cvt_f32_i32_e32 v3, v3
	;; [unrolled: 1-line block ×4, first 2 shown]
	s_delay_alu instid0(VALU_DEP_4) | instskip(SKIP_3) | instid1(VALU_DEP_4)
	v_fma_mix_f32 v24, v9, v24, 0 op_sel_hi:[1,0,0]
	v_cvt_f32_i32_e32 v44, v44
	v_cvt_f32_i32_e32 v51, v51
	;; [unrolled: 1-line block ×3, first 2 shown]
	v_fma_mix_f32 v13, v10, v13, v24 op_sel_hi:[1,0,0]
	v_add3_u32 v24, s10, v65, v174
	ds_load_u16 v25, v24
	s_wait_dscnt 0x0
	v_lshrrev_b16 v26, 8, v25
	v_and_b32_e32 v25, 0xff, v25
	s_delay_alu instid0(VALU_DEP_2) | instskip(NEXT) | instid1(VALU_DEP_2)
	v_and_b32_e32 v26, 0xffff, v26
	v_mul_lo_u32 v27, v29, v25
	v_mul_lo_u32 v2, v2, v25
	;; [unrolled: 1-line block ×3, first 2 shown]
	s_delay_alu instid0(VALU_DEP_4)
	v_mul_lo_u32 v14, v14, v26
	v_mul_lo_u32 v52, v206, v26
	;; [unrolled: 1-line block ×3, first 2 shown]
	v_cvt_f32_i32_e32 v27, v27
	v_cvt_f32_i32_e32 v2, v2
	;; [unrolled: 1-line block ×4, first 2 shown]
	s_delay_alu instid0(VALU_DEP_4) | instskip(SKIP_2) | instid1(VALU_DEP_3)
	v_fma_mix_f32 v27, v9, v27, 0 op_sel_hi:[1,0,0]
	v_cvt_f32_i32_e32 v52, v52
	v_cvt_f32_i32_e32 v60, v60
	v_fma_mix_f32 v14, v10, v14, v27 op_sel_hi:[1,0,0]
	v_add3_u32 v27, s10, v66, v176
	s_add_co_i32 s10, s7, 8
	s_cmp_lt_u32 s7, 24
	s_wait_alu 0xfffe
	s_mov_b32 s7, s10
	ds_load_u16 v28, v27
	ds_load_u16 v12, v12 offset:8
	ds_load_u16 v21, v21 offset:8
	;; [unrolled: 1-line block ×4, first 2 shown]
	s_wait_dscnt 0x2
	v_cvt_f32_ubyte0_e32 v31, v21
	v_lshrrev_b16 v29, 8, v28
	v_and_b32_e32 v28, 0xff, v28
	s_wait_dscnt 0x1
	v_cvt_f32_ubyte0_e32 v32, v24
	s_wait_dscnt 0x0
	v_cvt_f32_ubyte0_e32 v33, v27
	v_cvt_f32_ubyte1_e32 v21, v21
	v_and_b32_e32 v29, 0xffff, v29
	v_mul_lo_u32 v30, v30, v28
	v_cvt_f32_ubyte1_e32 v24, v24
	v_cvt_f32_ubyte1_e32 v27, v27
	v_fma_mix_f32 v35, v9, v31, 0 op_sel:[1,0,0] op_sel_hi:[1,0,0]
	v_mul_lo_u32 v15, v15, v29
	v_fma_mix_f32 v36, v9, v32, 0 op_sel:[1,0,0] op_sel_hi:[1,0,0]
	v_mul_lo_u32 v1, v1, v28
	v_mul_lo_u32 v45, v193, v29
	v_cvt_f32_i32_e32 v30, v30
	v_fma_mix_f32 v35, v10, v21, v35 op_sel:[1,0,0] op_sel_hi:[1,0,0]
	v_fma_mix_f32 v36, v10, v24, v36 op_sel:[1,0,0] op_sel_hi:[1,0,0]
	v_mul_lo_u32 v53, v200, v29
	v_cvt_f32_i32_e32 v15, v15
	v_fma_mix_f32 v30, v9, v30, 0 op_sel_hi:[1,0,0]
	v_cvt_f32_i32_e32 v1, v1
	v_cvt_f32_i32_e32 v45, v45
	v_mul_lo_u32 v61, v124, v29
	v_mul_lo_u32 v7, v7, v29
	v_fma_mix_f32 v15, v10, v15, v30 op_sel_hi:[1,0,0]
	v_cvt_f32_ubyte0_e32 v30, v12
	v_cvt_f32_ubyte1_e32 v12, v12
	v_cvt_f32_i32_e32 v53, v53
	v_mul_lo_u32 v5, v5, v28
	s_delay_alu instid0(VALU_DEP_4) | instskip(SKIP_3) | instid1(VALU_DEP_4)
	v_fma_mix_f32 v34, v30, v9, 0 op_sel:[0,1,0] op_sel_hi:[0,1,0]
	v_fma_mix_f32 v9, v9, v33, 0 op_sel:[1,0,0] op_sel_hi:[1,0,0]
	v_cvt_f32_i32_e32 v61, v61
	v_cvt_f32_i32_e32 v7, v7
	v_fma_mix_f32 v34, v12, v10, v34 op_sel:[0,1,0] op_sel_hi:[0,1,0]
	s_delay_alu instid0(VALU_DEP_4) | instskip(SKIP_3) | instid1(VALU_DEP_3)
	v_fma_mix_f32 v37, v10, v27, v9 op_sel:[1,0,0] op_sel_hi:[1,0,0]
	v_mul_lo_u32 v10, v100, v16
	v_lshrrev_b32_e32 v9, 1, v75
	v_cvt_f32_i32_e32 v5, v5
	v_cvt_f32_i32_e32 v39, v10
	ds_load_b64 v[9:10], v9 offset:43584
	s_wait_dscnt 0x0
	v_fma_mix_f32 v39, v9, v39, 0 op_sel_hi:[1,0,0]
	v_fma_mix_f32 v3, v9, v3, 0 op_sel_hi:[1,0,0]
	v_fma_mix_f32 v2, v9, v2, 0 op_sel_hi:[1,0,0]
	v_fma_mix_f32 v1, v9, v1, 0 op_sel_hi:[1,0,0]
	s_delay_alu instid0(VALU_DEP_4) | instskip(SKIP_1) | instid1(VALU_DEP_1)
	v_fma_mix_f32 v38, v10, v38, v39 op_sel_hi:[1,0,0]
	v_mul_lo_u32 v39, v205, v23
	v_cvt_f32_i32_e32 v39, v39
	s_delay_alu instid0(VALU_DEP_1) | instskip(SKIP_1) | instid1(VALU_DEP_1)
	v_fma_mix_f32 v3, v10, v39, v3 op_sel_hi:[1,0,0]
	v_mul_lo_u32 v39, v199, v26
	v_cvt_f32_i32_e32 v39, v39
	s_delay_alu instid0(VALU_DEP_1) | instskip(SKIP_1) | instid1(VALU_DEP_1)
	v_fma_mix_f32 v39, v10, v39, v2 op_sel_hi:[1,0,0]
	v_mul_lo_u32 v2, v122, v29
	v_cvt_f32_i32_e32 v2, v2
	s_delay_alu instid0(VALU_DEP_1) | instskip(SKIP_2) | instid1(VALU_DEP_2)
	v_fma_mix_f32 v40, v10, v2, v1 op_sel_hi:[1,0,0]
	v_fma_mix_f32 v1, v30, v9, 0 op_sel:[0,1,0] op_sel_hi:[0,1,0]
	v_mul_lo_u32 v2, v190, v16
	v_fma_mix_f32 v41, v12, v10, v1 op_sel:[0,1,0] op_sel_hi:[0,1,0]
	v_fma_mix_f32 v1, v31, v9, 0 op_sel:[0,1,0] op_sel_hi:[0,1,0]
	s_delay_alu instid0(VALU_DEP_1) | instskip(SKIP_1) | instid1(VALU_DEP_1)
	v_fma_mix_f32 v42, v21, v10, v1 op_sel:[0,1,0] op_sel_hi:[0,1,0]
	v_fma_mix_f32 v1, v32, v9, 0 op_sel:[0,1,0] op_sel_hi:[0,1,0]
	;; [unrolled: 1-line block ×4, first 2 shown]
	s_delay_alu instid0(VALU_DEP_1) | instskip(SKIP_2) | instid1(VALU_DEP_3)
	v_fma_mix_f32 v9, v27, v10, v1 op_sel:[0,1,0] op_sel_hi:[0,1,0]
	v_lshrrev_b32_e32 v1, 1, v77
	v_cvt_f32_i32_e32 v10, v2
	v_mul_f32_e32 v9, v9, v74
	ds_load_b64 v[1:2], v1 offset:43584
	v_fma_f32 v9, v40, v70, -v9
	s_wait_dscnt 0x0
	v_fma_mix_f32 v10, v1, v10, 0 op_sel_hi:[1,0,0]
	v_fma_mix_f32 v4, v1, v4, 0 op_sel_hi:[1,0,0]
	v_fma_mix_f32 v46, v31, v1, 0 op_sel:[0,1,0] op_sel_hi:[0,1,0]
	v_fma_mix_f32 v47, v32, v1, 0 op_sel:[0,1,0] op_sel_hi:[0,1,0]
	s_delay_alu instid0(VALU_DEP_4) | instskip(SKIP_1) | instid1(VALU_DEP_4)
	v_fma_mix_f32 v8, v2, v8, v10 op_sel_hi:[1,0,0]
	v_mul_lo_u32 v10, v116, v22
	v_fma_mix_f32 v46, v21, v2, v46 op_sel:[0,1,0] op_sel_hi:[0,1,0]
	s_delay_alu instid0(VALU_DEP_4) | instskip(NEXT) | instid1(VALU_DEP_3)
	v_fma_mix_f32 v47, v24, v2, v47 op_sel:[0,1,0] op_sel_hi:[0,1,0]
	v_cvt_f32_i32_e32 v10, v10
	s_delay_alu instid0(VALU_DEP_1) | instskip(NEXT) | instid1(VALU_DEP_1)
	v_fma_mix_f32 v10, v1, v10, 0 op_sel_hi:[1,0,0]
	v_fma_mix_f32 v10, v2, v44, v10 op_sel_hi:[1,0,0]
	v_mul_lo_u32 v44, v203, v26
	s_delay_alu instid0(VALU_DEP_1) | instskip(NEXT) | instid1(VALU_DEP_1)
	v_cvt_f32_i32_e32 v44, v44
	v_fma_mix_f32 v4, v2, v44, v4 op_sel_hi:[1,0,0]
	v_mul_lo_u32 v44, v76, v28
	s_delay_alu instid0(VALU_DEP_1) | instskip(NEXT) | instid1(VALU_DEP_1)
	v_cvt_f32_i32_e32 v44, v44
	v_fma_mix_f32 v44, v1, v44, 0 op_sel_hi:[1,0,0]
	s_delay_alu instid0(VALU_DEP_1) | instskip(SKIP_2) | instid1(VALU_DEP_2)
	v_fma_mix_f32 v44, v2, v45, v44 op_sel_hi:[1,0,0]
	v_fma_mix_f32 v45, v30, v1, 0 op_sel:[0,1,0] op_sel_hi:[0,1,0]
	v_fma_mix_f32 v1, v33, v1, 0 op_sel:[0,1,0] op_sel_hi:[0,1,0]
	;; [unrolled: 1-line block ×3, first 2 shown]
	s_delay_alu instid0(VALU_DEP_2) | instskip(SKIP_3) | instid1(VALU_DEP_3)
	v_fma_mix_f32 v48, v27, v2, v1 op_sel:[0,1,0] op_sel_hi:[0,1,0]
	v_mul_lo_u32 v2, v198, v16
	v_lshrrev_b32_e32 v1, 1, v78
	v_mul_lo_u32 v78, v221, v20
	v_cvt_f32_i32_e32 v50, v2
	ds_load_b64 v[1:2], v1 offset:43584
	v_cvt_f32_i32_e32 v78, v78
	s_wait_dscnt 0x0
	v_fma_mix_f32 v50, v1, v50, 0 op_sel_hi:[1,0,0]
	v_fma_mix_f32 v54, v31, v1, 0 op_sel:[0,1,0] op_sel_hi:[0,1,0]
	v_fma_mix_f32 v55, v32, v1, 0 op_sel:[0,1,0] op_sel_hi:[0,1,0]
	s_delay_alu instid0(VALU_DEP_3) | instskip(SKIP_1) | instid1(VALU_DEP_4)
	v_fma_mix_f32 v49, v2, v49, v50 op_sel_hi:[1,0,0]
	v_mul_lo_u32 v50, v120, v22
	v_fma_mix_f32 v54, v21, v2, v54 op_sel:[0,1,0] op_sel_hi:[0,1,0]
	s_delay_alu instid0(VALU_DEP_4) | instskip(NEXT) | instid1(VALU_DEP_3)
	v_fma_mix_f32 v55, v24, v2, v55 op_sel:[0,1,0] op_sel_hi:[0,1,0]
	v_cvt_f32_i32_e32 v50, v50
	s_delay_alu instid0(VALU_DEP_1) | instskip(NEXT) | instid1(VALU_DEP_1)
	v_fma_mix_f32 v50, v1, v50, 0 op_sel_hi:[1,0,0]
	v_fma_mix_f32 v50, v2, v51, v50 op_sel_hi:[1,0,0]
	v_mul_lo_u32 v51, v115, v25
	s_delay_alu instid0(VALU_DEP_1) | instskip(NEXT) | instid1(VALU_DEP_1)
	v_cvt_f32_i32_e32 v51, v51
	v_fma_mix_f32 v51, v1, v51, 0 op_sel_hi:[1,0,0]
	s_delay_alu instid0(VALU_DEP_1) | instskip(SKIP_2) | instid1(VALU_DEP_2)
	v_fma_mix_f32 v51, v2, v52, v51 op_sel_hi:[1,0,0]
	v_mul_lo_u32 v52, v83, v28
	v_mul_lo_u32 v83, v211, v26
	v_cvt_f32_i32_e32 v52, v52
	s_delay_alu instid0(VALU_DEP_2) | instskip(NEXT) | instid1(VALU_DEP_2)
	v_cvt_f32_i32_e32 v83, v83
	v_fma_mix_f32 v52, v1, v52, 0 op_sel_hi:[1,0,0]
	s_delay_alu instid0(VALU_DEP_1) | instskip(SKIP_2) | instid1(VALU_DEP_2)
	v_fma_mix_f32 v52, v2, v53, v52 op_sel_hi:[1,0,0]
	v_fma_mix_f32 v53, v30, v1, 0 op_sel:[0,1,0] op_sel_hi:[0,1,0]
	v_fma_mix_f32 v1, v33, v1, 0 op_sel:[0,1,0] op_sel_hi:[0,1,0]
	;; [unrolled: 1-line block ×3, first 2 shown]
	s_delay_alu instid0(VALU_DEP_2) | instskip(SKIP_2) | instid1(VALU_DEP_2)
	v_fma_mix_f32 v56, v27, v2, v1 op_sel:[0,1,0] op_sel_hi:[0,1,0]
	v_mul_lo_u32 v2, v201, v16
	v_lshrrev_b32_e32 v1, 1, v79
	v_cvt_f32_i32_e32 v58, v2
	ds_load_b64 v[1:2], v1 offset:43584
	s_wait_dscnt 0x0
	v_fma_mix_f32 v58, v1, v58, 0 op_sel_hi:[1,0,0]
	v_fma_mix_f32 v75, v31, v1, 0 op_sel:[0,1,0] op_sel_hi:[0,1,0]
	v_fma_mix_f32 v76, v32, v1, 0 op_sel:[0,1,0] op_sel_hi:[0,1,0]
	s_delay_alu instid0(VALU_DEP_3) | instskip(SKIP_1) | instid1(VALU_DEP_4)
	v_fma_mix_f32 v57, v2, v57, v58 op_sel_hi:[1,0,0]
	v_mul_lo_u32 v58, v192, v22
	v_fma_mix_f32 v75, v21, v2, v75 op_sel:[0,1,0] op_sel_hi:[0,1,0]
	s_delay_alu instid0(VALU_DEP_4) | instskip(NEXT) | instid1(VALU_DEP_3)
	v_fma_mix_f32 v76, v24, v2, v76 op_sel:[0,1,0] op_sel_hi:[0,1,0]
	v_cvt_f32_i32_e32 v58, v58
	s_delay_alu instid0(VALU_DEP_1) | instskip(NEXT) | instid1(VALU_DEP_1)
	v_fma_mix_f32 v58, v1, v58, 0 op_sel_hi:[1,0,0]
	v_fma_mix_f32 v58, v2, v59, v58 op_sel_hi:[1,0,0]
	v_mul_lo_u32 v59, v119, v25
	s_delay_alu instid0(VALU_DEP_1) | instskip(NEXT) | instid1(VALU_DEP_1)
	v_cvt_f32_i32_e32 v59, v59
	v_fma_mix_f32 v59, v1, v59, 0 op_sel_hi:[1,0,0]
	s_delay_alu instid0(VALU_DEP_1) | instskip(SKIP_1) | instid1(VALU_DEP_1)
	v_fma_mix_f32 v59, v2, v60, v59 op_sel_hi:[1,0,0]
	v_mul_lo_u32 v60, v101, v28
	v_cvt_f32_i32_e32 v60, v60
	s_delay_alu instid0(VALU_DEP_1) | instskip(NEXT) | instid1(VALU_DEP_1)
	v_fma_mix_f32 v60, v1, v60, 0 op_sel_hi:[1,0,0]
	v_fma_mix_f32 v60, v2, v61, v60 op_sel_hi:[1,0,0]
	v_fma_mix_f32 v61, v30, v1, 0 op_sel:[0,1,0] op_sel_hi:[0,1,0]
	v_fma_mix_f32 v1, v33, v1, 0 op_sel:[0,1,0] op_sel_hi:[0,1,0]
	s_delay_alu instid0(VALU_DEP_2) | instskip(NEXT) | instid1(VALU_DEP_2)
	v_fma_mix_f32 v61, v12, v2, v61 op_sel:[0,1,0] op_sel_hi:[0,1,0]
	v_fma_mix_f32 v77, v27, v2, v1 op_sel:[0,1,0] op_sel_hi:[0,1,0]
	v_mul_lo_u32 v2, v204, v16
	v_lshrrev_b32_e32 v1, 1, v80
	v_mul_lo_u32 v80, v214, v23
	s_delay_alu instid0(VALU_DEP_3)
	v_cvt_f32_i32_e32 v79, v2
	ds_load_b64 v[1:2], v1 offset:43584
	v_cvt_f32_i32_e32 v80, v80
	s_wait_dscnt 0x0
	v_fma_mix_f32 v79, v1, v79, 0 op_sel_hi:[1,0,0]
	v_fma_mix_f32 v100, v31, v1, 0 op_sel:[0,1,0] op_sel_hi:[0,1,0]
	v_fma_mix_f32 v101, v32, v1, 0 op_sel:[0,1,0] op_sel_hi:[0,1,0]
	s_delay_alu instid0(VALU_DEP_3) | instskip(SKIP_1) | instid1(VALU_DEP_4)
	v_fma_mix_f32 v78, v2, v78, v79 op_sel_hi:[1,0,0]
	v_mul_lo_u32 v79, v123, v22
	v_fma_mix_f32 v100, v21, v2, v100 op_sel:[0,1,0] op_sel_hi:[0,1,0]
	s_delay_alu instid0(VALU_DEP_4) | instskip(NEXT) | instid1(VALU_DEP_3)
	v_fma_mix_f32 v101, v24, v2, v101 op_sel:[0,1,0] op_sel_hi:[0,1,0]
	v_cvt_f32_i32_e32 v79, v79
	s_delay_alu instid0(VALU_DEP_1) | instskip(NEXT) | instid1(VALU_DEP_1)
	v_fma_mix_f32 v79, v1, v79, 0 op_sel_hi:[1,0,0]
	v_fma_mix_f32 v79, v2, v80, v79 op_sel_hi:[1,0,0]
	v_mul_lo_u32 v80, v191, v25
	s_delay_alu instid0(VALU_DEP_1) | instskip(NEXT) | instid1(VALU_DEP_1)
	v_cvt_f32_i32_e32 v80, v80
	v_fma_mix_f32 v80, v1, v80, 0 op_sel_hi:[1,0,0]
	s_delay_alu instid0(VALU_DEP_1) | instskip(SKIP_3) | instid1(VALU_DEP_3)
	v_fma_mix_f32 v80, v2, v83, v80 op_sel_hi:[1,0,0]
	v_mul_lo_u32 v83, v118, v28
	v_mul_lo_u32 v118, v213, v26
	;; [unrolled: 1-line block ×3, first 2 shown]
	v_cvt_f32_i32_e32 v83, v83
	s_delay_alu instid0(VALU_DEP_3) | instskip(NEXT) | instid1(VALU_DEP_2)
	v_cvt_f32_i32_e32 v118, v118
	v_fma_mix_f32 v83, v1, v83, 0 op_sel_hi:[1,0,0]
	s_delay_alu instid0(VALU_DEP_1) | instskip(SKIP_2) | instid1(VALU_DEP_2)
	v_fma_mix_f32 v7, v2, v7, v83 op_sel_hi:[1,0,0]
	v_fma_mix_f32 v83, v30, v1, 0 op_sel:[0,1,0] op_sel_hi:[0,1,0]
	v_fma_mix_f32 v1, v33, v1, 0 op_sel:[0,1,0] op_sel_hi:[0,1,0]
	;; [unrolled: 1-line block ×3, first 2 shown]
	s_delay_alu instid0(VALU_DEP_2)
	v_fma_mix_f32 v115, v27, v2, v1 op_sel:[0,1,0] op_sel_hi:[0,1,0]
	v_mul_lo_u32 v2, v207, v16
	v_lshrrev_b32_e32 v1, 1, v81
	v_mul_lo_u32 v81, v222, v20
	v_mul_lo_u32 v16, v195, v16
	;; [unrolled: 1-line block ×3, first 2 shown]
	v_cvt_f32_i32_e32 v116, v2
	ds_load_b64 v[1:2], v1 offset:43584
	v_cvt_f32_i32_e32 v81, v81
	v_cvt_f32_i32_e32 v16, v16
	;; [unrolled: 1-line block ×3, first 2 shown]
	s_wait_dscnt 0x0
	v_fma_mix_f32 v116, v1, v116, 0 op_sel_hi:[1,0,0]
	v_fma_mix_f32 v6, v1, v6, 0 op_sel_hi:[1,0,0]
	;; [unrolled: 1-line block ×3, first 2 shown]
	v_fma_mix_f32 v119, v31, v1, 0 op_sel:[0,1,0] op_sel_hi:[0,1,0]
	v_fma_mix_f32 v120, v32, v1, 0 op_sel:[0,1,0] op_sel_hi:[0,1,0]
	v_fma_mix_f32 v81, v2, v81, v116 op_sel_hi:[1,0,0]
	v_mul_lo_u32 v116, v219, v23
	s_delay_alu instid0(VALU_DEP_4) | instskip(NEXT) | instid1(VALU_DEP_4)
	v_fma_mix_f32 v119, v21, v2, v119 op_sel:[0,1,0] op_sel_hi:[0,1,0]
	v_fma_mix_f32 v120, v24, v2, v120 op_sel:[0,1,0] op_sel_hi:[0,1,0]
	s_delay_alu instid0(VALU_DEP_3) | instskip(NEXT) | instid1(VALU_DEP_1)
	v_cvt_f32_i32_e32 v116, v116
	v_fma_mix_f32 v6, v2, v116, v6 op_sel_hi:[1,0,0]
	v_mul_lo_u32 v116, v194, v25
	s_delay_alu instid0(VALU_DEP_1) | instskip(NEXT) | instid1(VALU_DEP_1)
	v_cvt_f32_i32_e32 v116, v116
	v_fma_mix_f32 v116, v1, v116, 0 op_sel_hi:[1,0,0]
	s_delay_alu instid0(VALU_DEP_1) | instskip(SKIP_2) | instid1(VALU_DEP_2)
	v_fma_mix_f32 v116, v2, v118, v116 op_sel_hi:[1,0,0]
	v_mul_lo_u32 v118, v125, v29
	v_mul_lo_u32 v29, v215, v29
	v_cvt_f32_i32_e32 v118, v118
	s_delay_alu instid0(VALU_DEP_1) | instskip(SKIP_2) | instid1(VALU_DEP_2)
	v_fma_mix_f32 v5, v2, v118, v5 op_sel_hi:[1,0,0]
	v_fma_mix_f32 v118, v30, v1, 0 op_sel:[0,1,0] op_sel_hi:[0,1,0]
	v_fma_mix_f32 v1, v33, v1, 0 op_sel:[0,1,0] op_sel_hi:[0,1,0]
	v_fma_mix_f32 v118, v12, v2, v118 op_sel:[0,1,0] op_sel_hi:[0,1,0]
	s_delay_alu instid0(VALU_DEP_2)
	v_fma_mix_f32 v122, v27, v2, v1 op_sel:[0,1,0] op_sel_hi:[0,1,0]
	v_lshrrev_b32_e32 v1, 1, v82
	ds_load_b64 v[1:2], v1 offset:43584
	s_wait_dscnt 0x0
	v_fma_mix_f32 v30, v30, v1, 0 op_sel:[0,1,0] op_sel_hi:[0,1,0]
	v_fma_mix_f32 v16, v1, v16, 0 op_sel_hi:[1,0,0]
	s_delay_alu instid0(VALU_DEP_2)
	v_fma_mix_f32 v12, v12, v2, v30 op_sel:[0,1,0] op_sel_hi:[0,1,0]
	v_fma_mix_f32 v30, v31, v1, 0 op_sel:[0,1,0] op_sel_hi:[0,1,0]
	v_mul_f32_e32 v31, v75, v72
	v_mul_lo_u32 v22, v196, v22
	v_fma_mix_f32 v16, v2, v20, v16 op_sel_hi:[1,0,0]
	v_mul_f32_e32 v12, v12, v71
	v_fma_mix_f32 v21, v21, v2, v30 op_sel:[0,1,0] op_sel_hi:[0,1,0]
	v_fma_mix_f32 v30, v32, v1, 0 op_sel:[0,1,0] op_sel_hi:[0,1,0]
	v_mul_f32_e32 v32, v76, v73
	v_mul_lo_u32 v23, v217, v23
	v_fma_f32 v12, v16, v67, -v12
	v_cvt_f32_i32_e32 v20, v22
	v_fma_mix_f32 v24, v24, v2, v30 op_sel:[0,1,0] op_sel_hi:[0,1,0]
	v_fma_mix_f32 v30, v33, v1, 0 op_sel:[0,1,0] op_sel_hi:[0,1,0]
	v_mul_f32_e32 v33, v77, v74
	v_fma_f32 v31, v58, v68, -v31
	v_fma_mix_f32 v20, v1, v20, 0 op_sel_hi:[1,0,0]
	v_cvt_f32_i32_e32 v22, v23
	v_fma_mix_f32 v27, v27, v2, v30 op_sel:[0,1,0] op_sel_hi:[0,1,0]
	v_mul_f32_e32 v30, v61, v71
	v_mul_lo_u32 v25, v197, v25
	v_cvt_f32_i32_e32 v23, v26
	v_fma_mix_f32 v20, v2, v22, v20 op_sel_hi:[1,0,0]
	v_dual_mul_f32 v16, v21, v72 :: v_dual_mul_f32 v21, v27, v74
	v_mul_f32_e32 v26, v54, v72
	v_fma_f32 v30, v57, v67, -v30
	v_fma_f32 v32, v59, v69, -v32
	v_cvt_f32_i32_e32 v22, v25
	v_cvt_f32_i32_e32 v25, v29
	v_mul_f32_e32 v29, v56, v74
	v_mul_lo_u32 v28, v202, v28
	v_fma_f32 v16, v20, v68, -v16
	v_fma_mix_f32 v22, v1, v22, 0 op_sel_hi:[1,0,0]
	v_fma_f32 v26, v50, v68, -v26
	v_fma_f32 v29, v52, v70, -v29
	v_add_f32_e32 v99, v99, v30
	v_add_f32_e32 v97, v97, v32
	v_fma_mix_f32 v22, v2, v23, v22 op_sel_hi:[1,0,0]
	v_cvt_f32_i32_e32 v23, v28
	v_dual_mul_f32 v28, v55, v73 :: v_dual_add_f32 v105, v105, v26
	v_dual_add_f32 v102, v102, v29 :: v_dual_add_f32 v87, v87, v12
	s_delay_alu instid0(VALU_DEP_3) | instskip(SKIP_1) | instid1(VALU_DEP_4)
	v_fma_mix_f32 v1, v1, v23, 0 op_sel_hi:[1,0,0]
	v_mul_f32_e32 v23, v45, v71
	v_fma_f32 v28, v51, v69, -v28
	v_add_f32_e32 v86, v86, v16
	s_delay_alu instid0(VALU_DEP_4)
	v_fma_mix_f32 v1, v2, v25, v1 op_sel_hi:[1,0,0]
	v_mul_f32_e32 v2, v34, v71
	v_fma_f32 v8, v8, v67, -v23
	v_mul_f32_e32 v23, v46, v72
	v_mul_f32_e32 v25, v53, v71
	;; [unrolled: 1-line block ×3, first 2 shown]
	v_fma_f32 v2, v11, v67, -v2
	v_mul_f32_e32 v11, v36, v73
	v_fma_f32 v10, v10, v68, -v23
	v_mul_f32_e32 v23, v47, v73
	v_mul_f32_e32 v36, v101, v73
	v_add_f32_e32 v104, v104, v2
	v_mul_f32_e32 v2, v35, v72
	v_fma_f32 v11, v14, v69, -v11
	v_mul_f32_e32 v14, v41, v71
	v_fma_f32 v4, v4, v69, -v23
	;; [unrolled: 2-line block ×4, first 2 shown]
	v_mul_f32_e32 v37, v115, v74
	v_mul_f32_e32 v38, v119, v72
	;; [unrolled: 1-line block ×3, first 2 shown]
	v_fma_f32 v13, v15, v70, -v13
	v_mul_f32_e32 v15, v42, v72
	v_fma_f32 v7, v7, v70, -v37
	v_mul_f32_e32 v37, v118, v71
	;; [unrolled: 2-line block ×4, first 2 shown]
	v_dual_mul_f32 v20, v24, v73 :: v_dual_add_f32 v131, v131, v14
	v_fma_f32 v23, v44, v70, -v23
	v_fma_f32 v25, v49, v67, -v25
	s_delay_alu instid0(VALU_DEP_4)
	v_fma_f32 v15, v39, v69, -v15
	v_mul_f32_e32 v39, v122, v74
	v_fma_f32 v33, v60, v70, -v33
	v_fma_f32 v34, v78, v67, -v34
	;; [unrolled: 1-line block ×9, first 2 shown]
	v_dual_add_f32 v140, v140, v2 :: v_dual_add_f32 v129, v129, v15
	v_dual_add_f32 v134, v134, v11 :: v_dual_add_f32 v121, v121, v8
	v_dual_add_f32 v132, v132, v13 :: v_dual_add_f32 v117, v117, v10
	v_add_f32_e32 v130, v130, v3
	v_dual_add_f32 v128, v128, v9 :: v_dual_add_f32 v107, v107, v23
	v_add_f32_e32 v110, v110, v4
	v_dual_add_f32 v106, v106, v25 :: v_dual_add_f32 v103, v103, v28
	v_dual_add_f32 v98, v98, v31 :: v_dual_add_f32 v95, v95, v34
	;; [unrolled: 1-line block ×5, first 2 shown]
	v_add_f32_e32 v90, v90, v6
	v_dual_add_f32 v88, v88, v5 :: v_dual_add_f32 v85, v85, v20
	v_add_f32_e32 v84, v84, v1
	s_cbranch_scc1 .LBB174_8
; %bb.9:                                ;   in Loop: Header=BB174_5 Depth=1
	s_add_co_i32 s4, s4, 1
	s_wait_loadcnt 0x0
	s_wait_alu 0xfffe
	s_cmp_eq_u32 s4, s15
	s_barrier_signal -1
	s_barrier_wait -1
	global_inv scope:SCOPE_SE
	s_cbranch_scc0 .LBB174_5
; %bb.10:
	s_clause 0x2
	scratch_load_b32 v1, off, off offset:224 th:TH_LOAD_LU
	scratch_load_b32 v2, off, off offset:228 th:TH_LOAD_LU
	scratch_load_b32 v3, off, off offset:232
.LBB174_11:
	s_mov_b32 s0, exec_lo
	s_wait_loadcnt 0x0
	v_cmpx_gt_u32_e64 s6, v3
	s_cbranch_execz .LBB174_62
; %bb.12:
	v_add_nc_u32_e32 v0, s14, v2
	v_mul_lo_u32 v5, v3, s12
	s_delay_alu instid0(VALU_DEP_2)
	v_cmp_gt_u32_e32 vcc_lo, s12, v0
	s_and_saveexec_b32 s1, vcc_lo
	s_cbranch_execz .LBB174_14
; %bb.13:
	v_bfe_u32 v3, v104, 16, 1
	s_delay_alu instid0(VALU_DEP_3) | instskip(SKIP_1) | instid1(VALU_DEP_3)
	v_add_nc_u32_e32 v2, v0, v5
	v_cmp_o_f32_e64 s0, v104, v104
	v_add3_u32 v4, v104, v3, 0x7fff
	v_mov_b32_e32 v3, 0
	s_delay_alu instid0(VALU_DEP_2) | instskip(NEXT) | instid1(VALU_DEP_2)
	v_lshrrev_b32_e32 v4, 16, v4
	v_lshlrev_b64_e32 v[2:3], 1, v[2:3]
	s_delay_alu instid0(VALU_DEP_2) | instskip(SKIP_1) | instid1(VALU_DEP_2)
	v_cndmask_b32_e64 v4, 0x7fc0, v4, s0
	s_wait_kmcnt 0x0
	v_add_co_u32 v2, s0, s8, v2
	s_wait_alu 0xf1ff
	s_delay_alu instid0(VALU_DEP_3)
	v_add_co_ci_u32_e64 v3, null, s9, v3, s0
	global_store_b16 v[2:3], v4, off
.LBB174_14:
	s_or_b32 exec_lo, exec_lo, s1
	v_add_nc_u32_e32 v2, 32, v0
	s_delay_alu instid0(VALU_DEP_1)
	v_cmp_gt_u32_e64 s0, s12, v2
	s_and_saveexec_b32 s2, s0
	s_cbranch_execz .LBB174_16
; %bb.15:
	v_bfe_u32 v4, v140, 16, 1
	v_add_nc_u32_e32 v3, v2, v5
	v_cmp_o_f32_e64 s1, v140, v140
	s_delay_alu instid0(VALU_DEP_3) | instskip(SKIP_1) | instid1(VALU_DEP_2)
	v_add3_u32 v6, v140, v4, 0x7fff
	v_mov_b32_e32 v4, 0
	v_lshrrev_b32_e32 v6, 16, v6
	s_delay_alu instid0(VALU_DEP_2) | instskip(SKIP_1) | instid1(VALU_DEP_2)
	v_lshlrev_b64_e32 v[3:4], 1, v[3:4]
	s_wait_alu 0xf1ff
	v_cndmask_b32_e64 v6, 0x7fc0, v6, s1
	s_wait_kmcnt 0x0
	s_delay_alu instid0(VALU_DEP_2)
	v_add_co_u32 v3, s1, s8, v3
	s_wait_alu 0xf1ff
	v_add_co_ci_u32_e64 v4, null, s9, v4, s1
	global_store_b16 v[3:4], v6, off
.LBB174_16:
	s_wait_alu 0xfffe
	s_or_b32 exec_lo, exec_lo, s2
	v_add_nc_u32_e32 v3, 64, v0
	s_delay_alu instid0(VALU_DEP_1)
	v_cmp_gt_u32_e64 s1, s12, v3
	s_and_saveexec_b32 s3, s1
	s_cbranch_execz .LBB174_18
; %bb.17:
	v_bfe_u32 v4, v134, 16, 1
	v_dual_mov_b32 v7, 0 :: v_dual_add_nc_u32 v6, v3, v5
	v_cmp_o_f32_e64 s2, v134, v134
	s_delay_alu instid0(VALU_DEP_3) | instskip(NEXT) | instid1(VALU_DEP_3)
	v_add3_u32 v4, v134, v4, 0x7fff
	v_lshlrev_b64_e32 v[6:7], 1, v[6:7]
	s_delay_alu instid0(VALU_DEP_2) | instskip(SKIP_1) | instid1(VALU_DEP_1)
	v_lshrrev_b32_e32 v4, 16, v4
	s_wait_alu 0xf1ff
	v_cndmask_b32_e64 v4, 0x7fc0, v4, s2
	s_wait_kmcnt 0x0
	s_delay_alu instid0(VALU_DEP_3)
	v_add_co_u32 v6, s2, s8, v6
	s_wait_alu 0xf1ff
	v_add_co_ci_u32_e64 v7, null, s9, v7, s2
	global_store_b16 v[6:7], v4, off
.LBB174_18:
	s_wait_alu 0xfffe
	s_or_b32 exec_lo, exec_lo, s3
	v_add_nc_u32_e32 v4, 0x60, v0
	s_delay_alu instid0(VALU_DEP_1)
	v_cmp_gt_u32_e64 s2, s12, v4
	s_and_saveexec_b32 s4, s2
	s_cbranch_execz .LBB174_20
; %bb.19:
	v_bfe_u32 v6, v132, 16, 1
	v_add_nc_u32_e32 v5, v4, v5
	v_cmp_o_f32_e64 s3, v132, v132
	s_delay_alu instid0(VALU_DEP_3) | instskip(SKIP_1) | instid1(VALU_DEP_2)
	v_add3_u32 v7, v132, v6, 0x7fff
	v_mov_b32_e32 v6, 0
	v_lshrrev_b32_e32 v7, 16, v7
	s_delay_alu instid0(VALU_DEP_2) | instskip(SKIP_1) | instid1(VALU_DEP_2)
	v_lshlrev_b64_e32 v[5:6], 1, v[5:6]
	s_wait_alu 0xf1ff
	v_cndmask_b32_e64 v7, 0x7fc0, v7, s3
	s_wait_kmcnt 0x0
	s_delay_alu instid0(VALU_DEP_2)
	v_add_co_u32 v5, s3, s8, v5
	s_wait_alu 0xf1ff
	v_add_co_ci_u32_e64 v6, null, s9, v6, s3
	global_store_b16 v[5:6], v7, off
.LBB174_20:
	s_wait_alu 0xfffe
	s_or_b32 exec_lo, exec_lo, s4
	v_add3_u32 v5, v1, s13, 8
	s_delay_alu instid0(VALU_DEP_1)
	v_cmp_gt_u32_e64 s3, s6, v5
	s_and_b32 exec_lo, exec_lo, s3
	s_cbranch_execz .LBB174_62
; %bb.21:
	v_mul_lo_u32 v5, v5, s12
	s_and_saveexec_b32 s4, vcc_lo
	s_cbranch_execnz .LBB174_63
; %bb.22:
	s_wait_alu 0xfffe
	s_or_b32 exec_lo, exec_lo, s4
	s_and_saveexec_b32 s4, s0
	s_cbranch_execnz .LBB174_64
.LBB174_23:
	s_wait_alu 0xfffe
	s_or_b32 exec_lo, exec_lo, s4
	s_and_saveexec_b32 s4, s1
	s_cbranch_execnz .LBB174_65
.LBB174_24:
	s_wait_alu 0xfffe
	s_or_b32 exec_lo, exec_lo, s4
	s_and_saveexec_b32 s4, s2
	s_cbranch_execz .LBB174_26
.LBB174_25:
	v_bfe_u32 v6, v128, 16, 1
	v_add_nc_u32_e32 v5, v5, v4
	v_cmp_o_f32_e64 s3, v128, v128
	s_delay_alu instid0(VALU_DEP_3) | instskip(SKIP_1) | instid1(VALU_DEP_2)
	v_add3_u32 v7, v128, v6, 0x7fff
	v_mov_b32_e32 v6, 0
	v_lshrrev_b32_e32 v7, 16, v7
	s_delay_alu instid0(VALU_DEP_2) | instskip(SKIP_1) | instid1(VALU_DEP_2)
	v_lshlrev_b64_e32 v[5:6], 1, v[5:6]
	s_wait_alu 0xf1ff
	v_cndmask_b32_e64 v7, 0x7fc0, v7, s3
	s_wait_kmcnt 0x0
	s_delay_alu instid0(VALU_DEP_2)
	v_add_co_u32 v5, s3, s8, v5
	s_wait_alu 0xf1ff
	v_add_co_ci_u32_e64 v6, null, s9, v6, s3
	global_store_b16 v[5:6], v7, off
.LBB174_26:
	s_wait_alu 0xfffe
	s_or_b32 exec_lo, exec_lo, s4
	v_add3_u32 v5, v1, s13, 16
	s_delay_alu instid0(VALU_DEP_1)
	v_cmp_gt_u32_e64 s3, s6, v5
	s_and_b32 exec_lo, exec_lo, s3
	s_cbranch_execz .LBB174_62
; %bb.27:
	v_mul_lo_u32 v5, v5, s12
	s_and_saveexec_b32 s4, vcc_lo
	s_cbranch_execnz .LBB174_66
; %bb.28:
	s_wait_alu 0xfffe
	s_or_b32 exec_lo, exec_lo, s4
	s_and_saveexec_b32 s4, s0
	s_cbranch_execnz .LBB174_67
.LBB174_29:
	s_wait_alu 0xfffe
	s_or_b32 exec_lo, exec_lo, s4
	s_and_saveexec_b32 s4, s1
	s_cbranch_execnz .LBB174_68
.LBB174_30:
	s_wait_alu 0xfffe
	s_or_b32 exec_lo, exec_lo, s4
	s_and_saveexec_b32 s4, s2
	s_cbranch_execz .LBB174_32
.LBB174_31:
	v_bfe_u32 v6, v107, 16, 1
	v_add_nc_u32_e32 v5, v5, v4
	v_cmp_o_f32_e64 s3, v107, v107
	s_delay_alu instid0(VALU_DEP_3) | instskip(SKIP_1) | instid1(VALU_DEP_2)
	v_add3_u32 v7, v107, v6, 0x7fff
	v_mov_b32_e32 v6, 0
	v_lshrrev_b32_e32 v7, 16, v7
	s_delay_alu instid0(VALU_DEP_2) | instskip(SKIP_1) | instid1(VALU_DEP_2)
	v_lshlrev_b64_e32 v[5:6], 1, v[5:6]
	s_wait_alu 0xf1ff
	v_cndmask_b32_e64 v7, 0x7fc0, v7, s3
	s_wait_kmcnt 0x0
	s_delay_alu instid0(VALU_DEP_2)
	v_add_co_u32 v5, s3, s8, v5
	s_wait_alu 0xf1ff
	v_add_co_ci_u32_e64 v6, null, s9, v6, s3
	global_store_b16 v[5:6], v7, off
.LBB174_32:
	s_wait_alu 0xfffe
	s_or_b32 exec_lo, exec_lo, s4
	v_add3_u32 v5, v1, s13, 24
	s_delay_alu instid0(VALU_DEP_1)
	v_cmp_gt_u32_e64 s3, s6, v5
	s_and_b32 exec_lo, exec_lo, s3
	s_cbranch_execz .LBB174_62
; %bb.33:
	v_mul_lo_u32 v5, v5, s12
	s_and_saveexec_b32 s4, vcc_lo
	s_cbranch_execnz .LBB174_69
; %bb.34:
	s_wait_alu 0xfffe
	s_or_b32 exec_lo, exec_lo, s4
	s_and_saveexec_b32 s4, s0
	s_cbranch_execnz .LBB174_70
.LBB174_35:
	s_wait_alu 0xfffe
	s_or_b32 exec_lo, exec_lo, s4
	s_and_saveexec_b32 s4, s1
	s_cbranch_execnz .LBB174_71
.LBB174_36:
	s_wait_alu 0xfffe
	s_or_b32 exec_lo, exec_lo, s4
	s_and_saveexec_b32 s4, s2
	s_cbranch_execz .LBB174_38
.LBB174_37:
	v_bfe_u32 v6, v102, 16, 1
	v_add_nc_u32_e32 v5, v5, v4
	v_cmp_o_f32_e64 s3, v102, v102
	s_delay_alu instid0(VALU_DEP_3) | instskip(SKIP_1) | instid1(VALU_DEP_2)
	v_add3_u32 v7, v102, v6, 0x7fff
	v_mov_b32_e32 v6, 0
	v_lshrrev_b32_e32 v7, 16, v7
	s_delay_alu instid0(VALU_DEP_2) | instskip(SKIP_1) | instid1(VALU_DEP_2)
	v_lshlrev_b64_e32 v[5:6], 1, v[5:6]
	s_wait_alu 0xf1ff
	v_cndmask_b32_e64 v7, 0x7fc0, v7, s3
	s_wait_kmcnt 0x0
	s_delay_alu instid0(VALU_DEP_2)
	v_add_co_u32 v5, s3, s8, v5
	s_wait_alu 0xf1ff
	v_add_co_ci_u32_e64 v6, null, s9, v6, s3
	global_store_b16 v[5:6], v7, off
.LBB174_38:
	s_wait_alu 0xfffe
	s_or_b32 exec_lo, exec_lo, s4
	v_add3_u32 v5, v1, s13, 32
	s_delay_alu instid0(VALU_DEP_1)
	v_cmp_gt_u32_e64 s3, s6, v5
	s_and_b32 exec_lo, exec_lo, s3
	s_cbranch_execz .LBB174_62
; %bb.39:
	v_mul_lo_u32 v5, v5, s12
	s_and_saveexec_b32 s4, vcc_lo
	s_cbranch_execnz .LBB174_72
; %bb.40:
	s_wait_alu 0xfffe
	s_or_b32 exec_lo, exec_lo, s4
	s_and_saveexec_b32 s4, s0
	s_cbranch_execnz .LBB174_73
.LBB174_41:
	s_wait_alu 0xfffe
	s_or_b32 exec_lo, exec_lo, s4
	s_and_saveexec_b32 s4, s1
	s_cbranch_execnz .LBB174_74
.LBB174_42:
	s_wait_alu 0xfffe
	s_or_b32 exec_lo, exec_lo, s4
	s_and_saveexec_b32 s4, s2
	s_cbranch_execz .LBB174_44
.LBB174_43:
	v_bfe_u32 v6, v96, 16, 1
	v_add_nc_u32_e32 v5, v5, v4
	v_cmp_o_f32_e64 s3, v96, v96
	s_delay_alu instid0(VALU_DEP_3) | instskip(SKIP_1) | instid1(VALU_DEP_2)
	v_add3_u32 v7, v96, v6, 0x7fff
	v_mov_b32_e32 v6, 0
	v_lshrrev_b32_e32 v7, 16, v7
	s_delay_alu instid0(VALU_DEP_2) | instskip(SKIP_1) | instid1(VALU_DEP_2)
	v_lshlrev_b64_e32 v[5:6], 1, v[5:6]
	s_wait_alu 0xf1ff
	v_cndmask_b32_e64 v7, 0x7fc0, v7, s3
	s_wait_kmcnt 0x0
	s_delay_alu instid0(VALU_DEP_2)
	v_add_co_u32 v5, s3, s8, v5
	s_wait_alu 0xf1ff
	v_add_co_ci_u32_e64 v6, null, s9, v6, s3
	global_store_b16 v[5:6], v7, off
.LBB174_44:
	s_wait_alu 0xfffe
	s_or_b32 exec_lo, exec_lo, s4
	v_add3_u32 v5, v1, s13, 40
	s_delay_alu instid0(VALU_DEP_1)
	v_cmp_gt_u32_e64 s3, s6, v5
	s_and_b32 exec_lo, exec_lo, s3
	s_cbranch_execz .LBB174_62
; %bb.45:
	v_mul_lo_u32 v5, v5, s12
	s_and_saveexec_b32 s4, vcc_lo
	s_cbranch_execnz .LBB174_75
; %bb.46:
	s_wait_alu 0xfffe
	s_or_b32 exec_lo, exec_lo, s4
	s_and_saveexec_b32 s4, s0
	s_cbranch_execnz .LBB174_76
.LBB174_47:
	s_wait_alu 0xfffe
	s_or_b32 exec_lo, exec_lo, s4
	s_and_saveexec_b32 s4, s1
	s_cbranch_execnz .LBB174_77
.LBB174_48:
	s_wait_alu 0xfffe
	s_or_b32 exec_lo, exec_lo, s4
	s_and_saveexec_b32 s4, s2
	s_cbranch_execz .LBB174_50
.LBB174_49:
	v_bfe_u32 v6, v92, 16, 1
	v_add_nc_u32_e32 v5, v5, v4
	v_cmp_o_f32_e64 s3, v92, v92
	s_delay_alu instid0(VALU_DEP_3) | instskip(SKIP_1) | instid1(VALU_DEP_2)
	v_add3_u32 v7, v92, v6, 0x7fff
	v_mov_b32_e32 v6, 0
	v_lshrrev_b32_e32 v7, 16, v7
	s_delay_alu instid0(VALU_DEP_2) | instskip(SKIP_1) | instid1(VALU_DEP_2)
	v_lshlrev_b64_e32 v[5:6], 1, v[5:6]
	s_wait_alu 0xf1ff
	v_cndmask_b32_e64 v7, 0x7fc0, v7, s3
	s_wait_kmcnt 0x0
	s_delay_alu instid0(VALU_DEP_2)
	v_add_co_u32 v5, s3, s8, v5
	s_wait_alu 0xf1ff
	v_add_co_ci_u32_e64 v6, null, s9, v6, s3
	global_store_b16 v[5:6], v7, off
.LBB174_50:
	s_wait_alu 0xfffe
	s_or_b32 exec_lo, exec_lo, s4
	v_add3_u32 v5, v1, s13, 48
	s_delay_alu instid0(VALU_DEP_1)
	v_cmp_gt_u32_e64 s3, s6, v5
	s_and_b32 exec_lo, exec_lo, s3
	s_cbranch_execz .LBB174_62
; %bb.51:
	v_mul_lo_u32 v5, v5, s12
	s_and_saveexec_b32 s4, vcc_lo
	s_cbranch_execnz .LBB174_78
; %bb.52:
	s_wait_alu 0xfffe
	s_or_b32 exec_lo, exec_lo, s4
	s_and_saveexec_b32 s4, s0
	s_cbranch_execnz .LBB174_79
.LBB174_53:
	s_wait_alu 0xfffe
	s_or_b32 exec_lo, exec_lo, s4
	s_and_saveexec_b32 s4, s1
	s_cbranch_execnz .LBB174_80
.LBB174_54:
	s_wait_alu 0xfffe
	s_or_b32 exec_lo, exec_lo, s4
	s_and_saveexec_b32 s4, s2
	s_cbranch_execz .LBB174_56
.LBB174_55:
	v_bfe_u32 v6, v88, 16, 1
	v_add_nc_u32_e32 v5, v5, v4
	v_cmp_o_f32_e64 s3, v88, v88
	s_delay_alu instid0(VALU_DEP_3) | instskip(SKIP_1) | instid1(VALU_DEP_2)
	v_add3_u32 v7, v88, v6, 0x7fff
	v_mov_b32_e32 v6, 0
	v_lshrrev_b32_e32 v7, 16, v7
	s_delay_alu instid0(VALU_DEP_2) | instskip(SKIP_1) | instid1(VALU_DEP_2)
	v_lshlrev_b64_e32 v[5:6], 1, v[5:6]
	s_wait_alu 0xf1ff
	v_cndmask_b32_e64 v7, 0x7fc0, v7, s3
	s_wait_kmcnt 0x0
	s_delay_alu instid0(VALU_DEP_2)
	v_add_co_u32 v5, s3, s8, v5
	s_wait_alu 0xf1ff
	v_add_co_ci_u32_e64 v6, null, s9, v6, s3
	global_store_b16 v[5:6], v7, off
.LBB174_56:
	s_wait_alu 0xfffe
	s_or_b32 exec_lo, exec_lo, s4
	v_add3_u32 v1, v1, s13, 56
	s_delay_alu instid0(VALU_DEP_1)
	v_cmp_gt_u32_e64 s3, s6, v1
	s_and_b32 exec_lo, exec_lo, s3
	s_cbranch_execz .LBB174_62
; %bb.57:
	v_mul_lo_u32 v1, v1, s12
	s_and_saveexec_b32 s3, vcc_lo
	s_cbranch_execnz .LBB174_81
; %bb.58:
	s_wait_alu 0xfffe
	s_or_b32 exec_lo, exec_lo, s3
	s_and_saveexec_b32 s3, s0
	s_cbranch_execnz .LBB174_82
.LBB174_59:
	s_wait_alu 0xfffe
	s_or_b32 exec_lo, exec_lo, s3
	s_and_saveexec_b32 s0, s1
	s_cbranch_execnz .LBB174_83
.LBB174_60:
	s_wait_alu 0xfffe
	s_or_b32 exec_lo, exec_lo, s0
	s_delay_alu instid0(SALU_CYCLE_1)
	s_and_b32 exec_lo, exec_lo, s2
	s_cbranch_execz .LBB174_62
.LBB174_61:
	v_bfe_u32 v2, v84, 16, 1
	v_dual_mov_b32 v1, 0 :: v_dual_add_nc_u32 v0, v1, v4
	v_cmp_o_f32_e32 vcc_lo, v84, v84
	s_delay_alu instid0(VALU_DEP_3) | instskip(NEXT) | instid1(VALU_DEP_3)
	v_add3_u32 v2, v84, v2, 0x7fff
	v_lshlrev_b64_e32 v[0:1], 1, v[0:1]
	s_delay_alu instid0(VALU_DEP_2) | instskip(SKIP_1) | instid1(VALU_DEP_1)
	v_lshrrev_b32_e32 v2, 16, v2
	s_wait_alu 0xfffd
	v_cndmask_b32_e32 v2, 0x7fc0, v2, vcc_lo
	s_wait_kmcnt 0x0
	s_delay_alu instid0(VALU_DEP_3)
	v_add_co_u32 v0, vcc_lo, s8, v0
	s_wait_alu 0xfffd
	v_add_co_ci_u32_e64 v1, null, s9, v1, vcc_lo
	global_store_b16 v[0:1], v2, off
.LBB174_62:
	s_nop 0
	s_sendmsg sendmsg(MSG_DEALLOC_VGPRS)
	s_endpgm
.LBB174_63:
	v_bfe_u32 v7, v131, 16, 1
	s_delay_alu instid0(VALU_DEP_2) | instskip(SKIP_1) | instid1(VALU_DEP_3)
	v_add_nc_u32_e32 v6, v5, v0
	v_cmp_o_f32_e64 s3, v131, v131
	v_add3_u32 v8, v131, v7, 0x7fff
	v_mov_b32_e32 v7, 0
	s_delay_alu instid0(VALU_DEP_2) | instskip(NEXT) | instid1(VALU_DEP_2)
	v_lshrrev_b32_e32 v8, 16, v8
	v_lshlrev_b64_e32 v[6:7], 1, v[6:7]
	s_wait_alu 0xf1ff
	s_delay_alu instid0(VALU_DEP_2) | instskip(SKIP_1) | instid1(VALU_DEP_2)
	v_cndmask_b32_e64 v8, 0x7fc0, v8, s3
	s_wait_kmcnt 0x0
	v_add_co_u32 v6, s3, s8, v6
	s_wait_alu 0xf1ff
	v_add_co_ci_u32_e64 v7, null, s9, v7, s3
	global_store_b16 v[6:7], v8, off
	s_wait_alu 0xfffe
	s_or_b32 exec_lo, exec_lo, s4
	s_and_saveexec_b32 s4, s0
	s_cbranch_execz .LBB174_23
.LBB174_64:
	v_bfe_u32 v7, v130, 16, 1
	v_add_nc_u32_e32 v6, v5, v2
	v_cmp_o_f32_e64 s3, v130, v130
	s_delay_alu instid0(VALU_DEP_3) | instskip(SKIP_1) | instid1(VALU_DEP_2)
	v_add3_u32 v8, v130, v7, 0x7fff
	v_mov_b32_e32 v7, 0
	v_lshrrev_b32_e32 v8, 16, v8
	s_delay_alu instid0(VALU_DEP_2) | instskip(SKIP_1) | instid1(VALU_DEP_2)
	v_lshlrev_b64_e32 v[6:7], 1, v[6:7]
	s_wait_alu 0xf1ff
	v_cndmask_b32_e64 v8, 0x7fc0, v8, s3
	s_wait_kmcnt 0x0
	s_delay_alu instid0(VALU_DEP_2)
	v_add_co_u32 v6, s3, s8, v6
	s_wait_alu 0xf1ff
	v_add_co_ci_u32_e64 v7, null, s9, v7, s3
	global_store_b16 v[6:7], v8, off
	s_wait_alu 0xfffe
	s_or_b32 exec_lo, exec_lo, s4
	s_and_saveexec_b32 s4, s1
	s_cbranch_execz .LBB174_24
.LBB174_65:
	v_bfe_u32 v7, v129, 16, 1
	v_add_nc_u32_e32 v6, v5, v3
	v_cmp_o_f32_e64 s3, v129, v129
	s_delay_alu instid0(VALU_DEP_3) | instskip(SKIP_1) | instid1(VALU_DEP_2)
	v_add3_u32 v8, v129, v7, 0x7fff
	v_mov_b32_e32 v7, 0
	v_lshrrev_b32_e32 v8, 16, v8
	s_delay_alu instid0(VALU_DEP_2) | instskip(SKIP_1) | instid1(VALU_DEP_2)
	v_lshlrev_b64_e32 v[6:7], 1, v[6:7]
	s_wait_alu 0xf1ff
	v_cndmask_b32_e64 v8, 0x7fc0, v8, s3
	s_wait_kmcnt 0x0
	s_delay_alu instid0(VALU_DEP_2)
	v_add_co_u32 v6, s3, s8, v6
	s_wait_alu 0xf1ff
	v_add_co_ci_u32_e64 v7, null, s9, v7, s3
	global_store_b16 v[6:7], v8, off
	s_wait_alu 0xfffe
	s_or_b32 exec_lo, exec_lo, s4
	s_and_saveexec_b32 s4, s2
	s_cbranch_execnz .LBB174_25
	s_branch .LBB174_26
.LBB174_66:
	v_bfe_u32 v7, v121, 16, 1
	s_delay_alu instid0(VALU_DEP_2) | instskip(SKIP_1) | instid1(VALU_DEP_3)
	v_add_nc_u32_e32 v6, v5, v0
	v_cmp_o_f32_e64 s3, v121, v121
	v_add3_u32 v8, v121, v7, 0x7fff
	v_mov_b32_e32 v7, 0
	s_delay_alu instid0(VALU_DEP_2) | instskip(NEXT) | instid1(VALU_DEP_2)
	v_lshrrev_b32_e32 v8, 16, v8
	v_lshlrev_b64_e32 v[6:7], 1, v[6:7]
	s_wait_alu 0xf1ff
	s_delay_alu instid0(VALU_DEP_2) | instskip(SKIP_1) | instid1(VALU_DEP_2)
	v_cndmask_b32_e64 v8, 0x7fc0, v8, s3
	s_wait_kmcnt 0x0
	v_add_co_u32 v6, s3, s8, v6
	s_wait_alu 0xf1ff
	v_add_co_ci_u32_e64 v7, null, s9, v7, s3
	global_store_b16 v[6:7], v8, off
	s_wait_alu 0xfffe
	s_or_b32 exec_lo, exec_lo, s4
	s_and_saveexec_b32 s4, s0
	s_cbranch_execz .LBB174_29
.LBB174_67:
	v_bfe_u32 v7, v117, 16, 1
	v_add_nc_u32_e32 v6, v5, v2
	v_cmp_o_f32_e64 s3, v117, v117
	s_delay_alu instid0(VALU_DEP_3) | instskip(SKIP_1) | instid1(VALU_DEP_2)
	v_add3_u32 v8, v117, v7, 0x7fff
	v_mov_b32_e32 v7, 0
	v_lshrrev_b32_e32 v8, 16, v8
	s_delay_alu instid0(VALU_DEP_2) | instskip(SKIP_1) | instid1(VALU_DEP_2)
	v_lshlrev_b64_e32 v[6:7], 1, v[6:7]
	s_wait_alu 0xf1ff
	v_cndmask_b32_e64 v8, 0x7fc0, v8, s3
	s_wait_kmcnt 0x0
	s_delay_alu instid0(VALU_DEP_2)
	v_add_co_u32 v6, s3, s8, v6
	s_wait_alu 0xf1ff
	v_add_co_ci_u32_e64 v7, null, s9, v7, s3
	global_store_b16 v[6:7], v8, off
	s_wait_alu 0xfffe
	s_or_b32 exec_lo, exec_lo, s4
	s_and_saveexec_b32 s4, s1
	s_cbranch_execz .LBB174_30
.LBB174_68:
	v_bfe_u32 v7, v110, 16, 1
	v_add_nc_u32_e32 v6, v5, v3
	v_cmp_o_f32_e64 s3, v110, v110
	s_delay_alu instid0(VALU_DEP_3) | instskip(SKIP_1) | instid1(VALU_DEP_2)
	v_add3_u32 v8, v110, v7, 0x7fff
	v_mov_b32_e32 v7, 0
	v_lshrrev_b32_e32 v8, 16, v8
	s_delay_alu instid0(VALU_DEP_2) | instskip(SKIP_1) | instid1(VALU_DEP_2)
	v_lshlrev_b64_e32 v[6:7], 1, v[6:7]
	s_wait_alu 0xf1ff
	v_cndmask_b32_e64 v8, 0x7fc0, v8, s3
	s_wait_kmcnt 0x0
	s_delay_alu instid0(VALU_DEP_2)
	v_add_co_u32 v6, s3, s8, v6
	s_wait_alu 0xf1ff
	v_add_co_ci_u32_e64 v7, null, s9, v7, s3
	global_store_b16 v[6:7], v8, off
	s_wait_alu 0xfffe
	s_or_b32 exec_lo, exec_lo, s4
	s_and_saveexec_b32 s4, s2
	s_cbranch_execnz .LBB174_31
	s_branch .LBB174_32
.LBB174_69:
	v_bfe_u32 v7, v106, 16, 1
	s_delay_alu instid0(VALU_DEP_2) | instskip(SKIP_1) | instid1(VALU_DEP_3)
	v_add_nc_u32_e32 v6, v5, v0
	v_cmp_o_f32_e64 s3, v106, v106
	v_add3_u32 v8, v106, v7, 0x7fff
	v_mov_b32_e32 v7, 0
	s_delay_alu instid0(VALU_DEP_2) | instskip(NEXT) | instid1(VALU_DEP_2)
	v_lshrrev_b32_e32 v8, 16, v8
	v_lshlrev_b64_e32 v[6:7], 1, v[6:7]
	s_wait_alu 0xf1ff
	s_delay_alu instid0(VALU_DEP_2) | instskip(SKIP_1) | instid1(VALU_DEP_2)
	v_cndmask_b32_e64 v8, 0x7fc0, v8, s3
	s_wait_kmcnt 0x0
	v_add_co_u32 v6, s3, s8, v6
	s_wait_alu 0xf1ff
	v_add_co_ci_u32_e64 v7, null, s9, v7, s3
	global_store_b16 v[6:7], v8, off
	s_wait_alu 0xfffe
	s_or_b32 exec_lo, exec_lo, s4
	s_and_saveexec_b32 s4, s0
	s_cbranch_execz .LBB174_35
.LBB174_70:
	v_bfe_u32 v7, v105, 16, 1
	v_add_nc_u32_e32 v6, v5, v2
	v_cmp_o_f32_e64 s3, v105, v105
	s_delay_alu instid0(VALU_DEP_3) | instskip(SKIP_1) | instid1(VALU_DEP_2)
	v_add3_u32 v8, v105, v7, 0x7fff
	v_mov_b32_e32 v7, 0
	v_lshrrev_b32_e32 v8, 16, v8
	s_delay_alu instid0(VALU_DEP_2) | instskip(SKIP_1) | instid1(VALU_DEP_2)
	v_lshlrev_b64_e32 v[6:7], 1, v[6:7]
	s_wait_alu 0xf1ff
	v_cndmask_b32_e64 v8, 0x7fc0, v8, s3
	s_wait_kmcnt 0x0
	s_delay_alu instid0(VALU_DEP_2)
	v_add_co_u32 v6, s3, s8, v6
	s_wait_alu 0xf1ff
	v_add_co_ci_u32_e64 v7, null, s9, v7, s3
	global_store_b16 v[6:7], v8, off
	s_wait_alu 0xfffe
	s_or_b32 exec_lo, exec_lo, s4
	s_and_saveexec_b32 s4, s1
	s_cbranch_execz .LBB174_36
.LBB174_71:
	v_bfe_u32 v7, v103, 16, 1
	v_add_nc_u32_e32 v6, v5, v3
	v_cmp_o_f32_e64 s3, v103, v103
	s_delay_alu instid0(VALU_DEP_3) | instskip(SKIP_1) | instid1(VALU_DEP_2)
	v_add3_u32 v8, v103, v7, 0x7fff
	v_mov_b32_e32 v7, 0
	v_lshrrev_b32_e32 v8, 16, v8
	s_delay_alu instid0(VALU_DEP_2) | instskip(SKIP_1) | instid1(VALU_DEP_2)
	v_lshlrev_b64_e32 v[6:7], 1, v[6:7]
	s_wait_alu 0xf1ff
	v_cndmask_b32_e64 v8, 0x7fc0, v8, s3
	s_wait_kmcnt 0x0
	s_delay_alu instid0(VALU_DEP_2)
	v_add_co_u32 v6, s3, s8, v6
	s_wait_alu 0xf1ff
	v_add_co_ci_u32_e64 v7, null, s9, v7, s3
	global_store_b16 v[6:7], v8, off
	s_wait_alu 0xfffe
	s_or_b32 exec_lo, exec_lo, s4
	s_and_saveexec_b32 s4, s2
	s_cbranch_execnz .LBB174_37
	s_branch .LBB174_38
.LBB174_72:
	v_bfe_u32 v7, v99, 16, 1
	s_delay_alu instid0(VALU_DEP_2) | instskip(SKIP_1) | instid1(VALU_DEP_3)
	v_add_nc_u32_e32 v6, v5, v0
	v_cmp_o_f32_e64 s3, v99, v99
	v_add3_u32 v8, v99, v7, 0x7fff
	v_mov_b32_e32 v7, 0
	s_delay_alu instid0(VALU_DEP_2) | instskip(NEXT) | instid1(VALU_DEP_2)
	v_lshrrev_b32_e32 v8, 16, v8
	v_lshlrev_b64_e32 v[6:7], 1, v[6:7]
	s_wait_alu 0xf1ff
	s_delay_alu instid0(VALU_DEP_2) | instskip(SKIP_1) | instid1(VALU_DEP_2)
	v_cndmask_b32_e64 v8, 0x7fc0, v8, s3
	s_wait_kmcnt 0x0
	v_add_co_u32 v6, s3, s8, v6
	s_wait_alu 0xf1ff
	v_add_co_ci_u32_e64 v7, null, s9, v7, s3
	global_store_b16 v[6:7], v8, off
	s_wait_alu 0xfffe
	s_or_b32 exec_lo, exec_lo, s4
	s_and_saveexec_b32 s4, s0
	s_cbranch_execz .LBB174_41
.LBB174_73:
	v_bfe_u32 v7, v98, 16, 1
	v_add_nc_u32_e32 v6, v5, v2
	v_cmp_o_f32_e64 s3, v98, v98
	s_delay_alu instid0(VALU_DEP_3) | instskip(SKIP_1) | instid1(VALU_DEP_2)
	v_add3_u32 v8, v98, v7, 0x7fff
	v_mov_b32_e32 v7, 0
	v_lshrrev_b32_e32 v8, 16, v8
	s_delay_alu instid0(VALU_DEP_2) | instskip(SKIP_1) | instid1(VALU_DEP_2)
	v_lshlrev_b64_e32 v[6:7], 1, v[6:7]
	s_wait_alu 0xf1ff
	v_cndmask_b32_e64 v8, 0x7fc0, v8, s3
	s_wait_kmcnt 0x0
	s_delay_alu instid0(VALU_DEP_2)
	v_add_co_u32 v6, s3, s8, v6
	s_wait_alu 0xf1ff
	v_add_co_ci_u32_e64 v7, null, s9, v7, s3
	global_store_b16 v[6:7], v8, off
	s_wait_alu 0xfffe
	s_or_b32 exec_lo, exec_lo, s4
	s_and_saveexec_b32 s4, s1
	s_cbranch_execz .LBB174_42
.LBB174_74:
	v_bfe_u32 v7, v97, 16, 1
	v_add_nc_u32_e32 v6, v5, v3
	v_cmp_o_f32_e64 s3, v97, v97
	s_delay_alu instid0(VALU_DEP_3) | instskip(SKIP_1) | instid1(VALU_DEP_2)
	v_add3_u32 v8, v97, v7, 0x7fff
	v_mov_b32_e32 v7, 0
	v_lshrrev_b32_e32 v8, 16, v8
	s_delay_alu instid0(VALU_DEP_2) | instskip(SKIP_1) | instid1(VALU_DEP_2)
	v_lshlrev_b64_e32 v[6:7], 1, v[6:7]
	s_wait_alu 0xf1ff
	v_cndmask_b32_e64 v8, 0x7fc0, v8, s3
	s_wait_kmcnt 0x0
	s_delay_alu instid0(VALU_DEP_2)
	v_add_co_u32 v6, s3, s8, v6
	s_wait_alu 0xf1ff
	v_add_co_ci_u32_e64 v7, null, s9, v7, s3
	global_store_b16 v[6:7], v8, off
	s_wait_alu 0xfffe
	s_or_b32 exec_lo, exec_lo, s4
	s_and_saveexec_b32 s4, s2
	s_cbranch_execnz .LBB174_43
	s_branch .LBB174_44
.LBB174_75:
	v_bfe_u32 v7, v95, 16, 1
	s_delay_alu instid0(VALU_DEP_2) | instskip(SKIP_1) | instid1(VALU_DEP_3)
	v_add_nc_u32_e32 v6, v5, v0
	v_cmp_o_f32_e64 s3, v95, v95
	v_add3_u32 v8, v95, v7, 0x7fff
	v_mov_b32_e32 v7, 0
	s_delay_alu instid0(VALU_DEP_2) | instskip(NEXT) | instid1(VALU_DEP_2)
	v_lshrrev_b32_e32 v8, 16, v8
	v_lshlrev_b64_e32 v[6:7], 1, v[6:7]
	s_wait_alu 0xf1ff
	s_delay_alu instid0(VALU_DEP_2) | instskip(SKIP_1) | instid1(VALU_DEP_2)
	v_cndmask_b32_e64 v8, 0x7fc0, v8, s3
	s_wait_kmcnt 0x0
	v_add_co_u32 v6, s3, s8, v6
	s_wait_alu 0xf1ff
	v_add_co_ci_u32_e64 v7, null, s9, v7, s3
	global_store_b16 v[6:7], v8, off
	s_wait_alu 0xfffe
	s_or_b32 exec_lo, exec_lo, s4
	s_and_saveexec_b32 s4, s0
	s_cbranch_execz .LBB174_47
.LBB174_76:
	v_bfe_u32 v7, v94, 16, 1
	v_add_nc_u32_e32 v6, v5, v2
	v_cmp_o_f32_e64 s3, v94, v94
	s_delay_alu instid0(VALU_DEP_3) | instskip(SKIP_1) | instid1(VALU_DEP_2)
	v_add3_u32 v8, v94, v7, 0x7fff
	v_mov_b32_e32 v7, 0
	v_lshrrev_b32_e32 v8, 16, v8
	s_delay_alu instid0(VALU_DEP_2) | instskip(SKIP_1) | instid1(VALU_DEP_2)
	v_lshlrev_b64_e32 v[6:7], 1, v[6:7]
	s_wait_alu 0xf1ff
	v_cndmask_b32_e64 v8, 0x7fc0, v8, s3
	s_wait_kmcnt 0x0
	s_delay_alu instid0(VALU_DEP_2)
	v_add_co_u32 v6, s3, s8, v6
	s_wait_alu 0xf1ff
	v_add_co_ci_u32_e64 v7, null, s9, v7, s3
	global_store_b16 v[6:7], v8, off
	s_wait_alu 0xfffe
	s_or_b32 exec_lo, exec_lo, s4
	s_and_saveexec_b32 s4, s1
	s_cbranch_execz .LBB174_48
.LBB174_77:
	v_bfe_u32 v7, v93, 16, 1
	v_add_nc_u32_e32 v6, v5, v3
	v_cmp_o_f32_e64 s3, v93, v93
	s_delay_alu instid0(VALU_DEP_3) | instskip(SKIP_1) | instid1(VALU_DEP_2)
	v_add3_u32 v8, v93, v7, 0x7fff
	v_mov_b32_e32 v7, 0
	v_lshrrev_b32_e32 v8, 16, v8
	s_delay_alu instid0(VALU_DEP_2) | instskip(SKIP_1) | instid1(VALU_DEP_2)
	v_lshlrev_b64_e32 v[6:7], 1, v[6:7]
	s_wait_alu 0xf1ff
	v_cndmask_b32_e64 v8, 0x7fc0, v8, s3
	s_wait_kmcnt 0x0
	s_delay_alu instid0(VALU_DEP_2)
	v_add_co_u32 v6, s3, s8, v6
	s_wait_alu 0xf1ff
	v_add_co_ci_u32_e64 v7, null, s9, v7, s3
	global_store_b16 v[6:7], v8, off
	s_wait_alu 0xfffe
	s_or_b32 exec_lo, exec_lo, s4
	s_and_saveexec_b32 s4, s2
	s_cbranch_execnz .LBB174_49
	s_branch .LBB174_50
.LBB174_78:
	v_bfe_u32 v7, v91, 16, 1
	s_delay_alu instid0(VALU_DEP_2) | instskip(SKIP_1) | instid1(VALU_DEP_3)
	v_add_nc_u32_e32 v6, v5, v0
	v_cmp_o_f32_e64 s3, v91, v91
	v_add3_u32 v8, v91, v7, 0x7fff
	v_mov_b32_e32 v7, 0
	s_delay_alu instid0(VALU_DEP_2) | instskip(NEXT) | instid1(VALU_DEP_2)
	v_lshrrev_b32_e32 v8, 16, v8
	v_lshlrev_b64_e32 v[6:7], 1, v[6:7]
	s_wait_alu 0xf1ff
	s_delay_alu instid0(VALU_DEP_2) | instskip(SKIP_1) | instid1(VALU_DEP_2)
	v_cndmask_b32_e64 v8, 0x7fc0, v8, s3
	s_wait_kmcnt 0x0
	v_add_co_u32 v6, s3, s8, v6
	s_wait_alu 0xf1ff
	v_add_co_ci_u32_e64 v7, null, s9, v7, s3
	global_store_b16 v[6:7], v8, off
	s_wait_alu 0xfffe
	s_or_b32 exec_lo, exec_lo, s4
	s_and_saveexec_b32 s4, s0
	s_cbranch_execz .LBB174_53
.LBB174_79:
	v_bfe_u32 v7, v90, 16, 1
	v_add_nc_u32_e32 v6, v5, v2
	v_cmp_o_f32_e64 s3, v90, v90
	s_delay_alu instid0(VALU_DEP_3) | instskip(SKIP_1) | instid1(VALU_DEP_2)
	v_add3_u32 v8, v90, v7, 0x7fff
	v_mov_b32_e32 v7, 0
	v_lshrrev_b32_e32 v8, 16, v8
	s_delay_alu instid0(VALU_DEP_2) | instskip(SKIP_1) | instid1(VALU_DEP_2)
	v_lshlrev_b64_e32 v[6:7], 1, v[6:7]
	s_wait_alu 0xf1ff
	v_cndmask_b32_e64 v8, 0x7fc0, v8, s3
	s_wait_kmcnt 0x0
	s_delay_alu instid0(VALU_DEP_2)
	v_add_co_u32 v6, s3, s8, v6
	s_wait_alu 0xf1ff
	v_add_co_ci_u32_e64 v7, null, s9, v7, s3
	global_store_b16 v[6:7], v8, off
	s_wait_alu 0xfffe
	s_or_b32 exec_lo, exec_lo, s4
	s_and_saveexec_b32 s4, s1
	s_cbranch_execz .LBB174_54
.LBB174_80:
	v_bfe_u32 v7, v89, 16, 1
	v_add_nc_u32_e32 v6, v5, v3
	v_cmp_o_f32_e64 s3, v89, v89
	s_delay_alu instid0(VALU_DEP_3) | instskip(SKIP_1) | instid1(VALU_DEP_2)
	v_add3_u32 v8, v89, v7, 0x7fff
	v_mov_b32_e32 v7, 0
	v_lshrrev_b32_e32 v8, 16, v8
	s_delay_alu instid0(VALU_DEP_2) | instskip(SKIP_1) | instid1(VALU_DEP_2)
	v_lshlrev_b64_e32 v[6:7], 1, v[6:7]
	s_wait_alu 0xf1ff
	v_cndmask_b32_e64 v8, 0x7fc0, v8, s3
	s_wait_kmcnt 0x0
	s_delay_alu instid0(VALU_DEP_2)
	v_add_co_u32 v6, s3, s8, v6
	s_wait_alu 0xf1ff
	v_add_co_ci_u32_e64 v7, null, s9, v7, s3
	global_store_b16 v[6:7], v8, off
	s_wait_alu 0xfffe
	s_or_b32 exec_lo, exec_lo, s4
	s_and_saveexec_b32 s4, s2
	s_cbranch_execnz .LBB174_55
	s_branch .LBB174_56
.LBB174_81:
	v_bfe_u32 v6, v87, 16, 1
	s_delay_alu instid0(VALU_DEP_2) | instskip(SKIP_1) | instid1(VALU_DEP_3)
	v_add_nc_u32_e32 v5, v1, v0
	v_cmp_o_f32_e32 vcc_lo, v87, v87
	v_add3_u32 v0, v87, v6, 0x7fff
	v_mov_b32_e32 v6, 0
	s_delay_alu instid0(VALU_DEP_2) | instskip(NEXT) | instid1(VALU_DEP_2)
	v_lshrrev_b32_e32 v0, 16, v0
	v_lshlrev_b64_e32 v[5:6], 1, v[5:6]
	s_wait_alu 0xfffd
	s_delay_alu instid0(VALU_DEP_2) | instskip(SKIP_1) | instid1(VALU_DEP_2)
	v_cndmask_b32_e32 v0, 0x7fc0, v0, vcc_lo
	s_wait_kmcnt 0x0
	v_add_co_u32 v5, vcc_lo, s8, v5
	s_wait_alu 0xfffd
	v_add_co_ci_u32_e64 v6, null, s9, v6, vcc_lo
	global_store_b16 v[5:6], v0, off
	s_wait_alu 0xfffe
	s_or_b32 exec_lo, exec_lo, s3
	s_and_saveexec_b32 s3, s0
	s_cbranch_execz .LBB174_59
.LBB174_82:
	v_bfe_u32 v0, v86, 16, 1
	v_dual_mov_b32 v6, 0 :: v_dual_add_nc_u32 v5, v1, v2
	v_cmp_o_f32_e32 vcc_lo, v86, v86
	s_delay_alu instid0(VALU_DEP_3) | instskip(NEXT) | instid1(VALU_DEP_3)
	v_add3_u32 v0, v86, v0, 0x7fff
	v_lshlrev_b64_e32 v[5:6], 1, v[5:6]
	s_delay_alu instid0(VALU_DEP_2) | instskip(SKIP_1) | instid1(VALU_DEP_1)
	v_lshrrev_b32_e32 v0, 16, v0
	s_wait_alu 0xfffd
	v_cndmask_b32_e32 v0, 0x7fc0, v0, vcc_lo
	s_wait_kmcnt 0x0
	s_delay_alu instid0(VALU_DEP_3)
	v_add_co_u32 v5, vcc_lo, s8, v5
	s_wait_alu 0xfffd
	v_add_co_ci_u32_e64 v6, null, s9, v6, vcc_lo
	global_store_b16 v[5:6], v0, off
	s_wait_alu 0xfffe
	s_or_b32 exec_lo, exec_lo, s3
	s_and_saveexec_b32 s0, s1
	s_cbranch_execz .LBB174_60
.LBB174_83:
	v_bfe_u32 v0, v85, 16, 1
	v_dual_mov_b32 v3, 0 :: v_dual_add_nc_u32 v2, v1, v3
	v_cmp_o_f32_e32 vcc_lo, v85, v85
	s_delay_alu instid0(VALU_DEP_3) | instskip(NEXT) | instid1(VALU_DEP_3)
	v_add3_u32 v0, v85, v0, 0x7fff
	v_lshlrev_b64_e32 v[2:3], 1, v[2:3]
	s_delay_alu instid0(VALU_DEP_2) | instskip(SKIP_1) | instid1(VALU_DEP_1)
	v_lshrrev_b32_e32 v0, 16, v0
	s_wait_alu 0xfffd
	v_cndmask_b32_e32 v0, 0x7fc0, v0, vcc_lo
	s_wait_kmcnt 0x0
	s_delay_alu instid0(VALU_DEP_3)
	v_add_co_u32 v2, vcc_lo, s8, v2
	s_wait_alu 0xfffd
	v_add_co_ci_u32_e64 v3, null, s9, v3, vcc_lo
	global_store_b16 v[2:3], v0, off
	s_wait_alu 0xfffe
	s_or_b32 exec_lo, exec_lo, s0
	s_delay_alu instid0(SALU_CYCLE_1)
	s_and_b32 exec_lo, exec_lo, s2
	s_cbranch_execnz .LBB174_61
	s_branch .LBB174_62
	.section	.rodata,"a",@progbits
	.p2align	6, 0x0
	.amdhsa_kernel _ZL12mul_mat_q5_KIN3c108BFloat16ELb1EEvPKvS3_PT_iiiii
		.amdhsa_group_segment_fixed_size 45136
		.amdhsa_private_segment_fixed_size 240
		.amdhsa_kernarg_size 44
		.amdhsa_user_sgpr_count 2
		.amdhsa_user_sgpr_dispatch_ptr 0
		.amdhsa_user_sgpr_queue_ptr 0
		.amdhsa_user_sgpr_kernarg_segment_ptr 1
		.amdhsa_user_sgpr_dispatch_id 0
		.amdhsa_user_sgpr_private_segment_size 0
		.amdhsa_wavefront_size32 1
		.amdhsa_uses_dynamic_stack 0
		.amdhsa_enable_private_segment 1
		.amdhsa_system_sgpr_workgroup_id_x 1
		.amdhsa_system_sgpr_workgroup_id_y 1
		.amdhsa_system_sgpr_workgroup_id_z 0
		.amdhsa_system_sgpr_workgroup_info 0
		.amdhsa_system_vgpr_workitem_id 1
		.amdhsa_next_free_vgpr 256
		.amdhsa_next_free_sgpr 18
		.amdhsa_reserve_vcc 1
		.amdhsa_float_round_mode_32 0
		.amdhsa_float_round_mode_16_64 0
		.amdhsa_float_denorm_mode_32 3
		.amdhsa_float_denorm_mode_16_64 3
		.amdhsa_fp16_overflow 0
		.amdhsa_workgroup_processor_mode 1
		.amdhsa_memory_ordered 1
		.amdhsa_forward_progress 1
		.amdhsa_inst_pref_size 237
		.amdhsa_round_robin_scheduling 0
		.amdhsa_exception_fp_ieee_invalid_op 0
		.amdhsa_exception_fp_denorm_src 0
		.amdhsa_exception_fp_ieee_div_zero 0
		.amdhsa_exception_fp_ieee_overflow 0
		.amdhsa_exception_fp_ieee_underflow 0
		.amdhsa_exception_fp_ieee_inexact 0
		.amdhsa_exception_int_div_zero 0
	.end_amdhsa_kernel
	.section	.text._ZL12mul_mat_q5_KIN3c108BFloat16ELb1EEvPKvS3_PT_iiiii,"axG",@progbits,_ZL12mul_mat_q5_KIN3c108BFloat16ELb1EEvPKvS3_PT_iiiii,comdat
.Lfunc_end174:
	.size	_ZL12mul_mat_q5_KIN3c108BFloat16ELb1EEvPKvS3_PT_iiiii, .Lfunc_end174-_ZL12mul_mat_q5_KIN3c108BFloat16ELb1EEvPKvS3_PT_iiiii
                                        ; -- End function
	.set _ZL12mul_mat_q5_KIN3c108BFloat16ELb1EEvPKvS3_PT_iiiii.num_vgpr, 256
	.set _ZL12mul_mat_q5_KIN3c108BFloat16ELb1EEvPKvS3_PT_iiiii.num_agpr, 0
	.set _ZL12mul_mat_q5_KIN3c108BFloat16ELb1EEvPKvS3_PT_iiiii.numbered_sgpr, 18
	.set _ZL12mul_mat_q5_KIN3c108BFloat16ELb1EEvPKvS3_PT_iiiii.num_named_barrier, 0
	.set _ZL12mul_mat_q5_KIN3c108BFloat16ELb1EEvPKvS3_PT_iiiii.private_seg_size, 240
	.set _ZL12mul_mat_q5_KIN3c108BFloat16ELb1EEvPKvS3_PT_iiiii.uses_vcc, 1
	.set _ZL12mul_mat_q5_KIN3c108BFloat16ELb1EEvPKvS3_PT_iiiii.uses_flat_scratch, 1
	.set _ZL12mul_mat_q5_KIN3c108BFloat16ELb1EEvPKvS3_PT_iiiii.has_dyn_sized_stack, 0
	.set _ZL12mul_mat_q5_KIN3c108BFloat16ELb1EEvPKvS3_PT_iiiii.has_recursion, 0
	.set _ZL12mul_mat_q5_KIN3c108BFloat16ELb1EEvPKvS3_PT_iiiii.has_indirect_call, 0
	.section	.AMDGPU.csdata,"",@progbits
; Kernel info:
; codeLenInByte = 30320
; TotalNumSgprs: 20
; NumVgprs: 256
; ScratchSize: 240
; MemoryBound: 0
; FloatMode: 240
; IeeeMode: 1
; LDSByteSize: 45136 bytes/workgroup (compile time only)
; SGPRBlocks: 0
; VGPRBlocks: 31
; NumSGPRsForWavesPerEU: 20
; NumVGPRsForWavesPerEU: 256
; Occupancy: 4
; WaveLimiterHint : 0
; COMPUTE_PGM_RSRC2:SCRATCH_EN: 1
; COMPUTE_PGM_RSRC2:USER_SGPR: 2
; COMPUTE_PGM_RSRC2:TRAP_HANDLER: 0
; COMPUTE_PGM_RSRC2:TGID_X_EN: 1
; COMPUTE_PGM_RSRC2:TGID_Y_EN: 1
; COMPUTE_PGM_RSRC2:TGID_Z_EN: 0
; COMPUTE_PGM_RSRC2:TIDIG_COMP_CNT: 1
	.section	.text._ZL12mul_mat_q6_KIN3c108BFloat16ELb0EEvPKvS3_PT_iiiii,"axG",@progbits,_ZL12mul_mat_q6_KIN3c108BFloat16ELb0EEvPKvS3_PT_iiiii,comdat
	.globl	_ZL12mul_mat_q6_KIN3c108BFloat16ELb0EEvPKvS3_PT_iiiii ; -- Begin function _ZL12mul_mat_q6_KIN3c108BFloat16ELb0EEvPKvS3_PT_iiiii
	.p2align	8
	.type	_ZL12mul_mat_q6_KIN3c108BFloat16ELb0EEvPKvS3_PT_iiiii,@function
_ZL12mul_mat_q6_KIN3c108BFloat16ELb0EEvPKvS3_PT_iiiii: ; @_ZL12mul_mat_q6_KIN3c108BFloat16ELb0EEvPKvS3_PT_iiiii
; %bb.0:
	s_clause 0x1
	s_load_b32 s10, s[0:1], 0x18
	s_load_b96 s[4:6], s[0:1], 0x20
	v_bfe_u32 v89, v0, 10, 10
	v_and_b32_e32 v28, 0x3ff, v0
	s_lshl_b32 s7, ttmp7, 6
	s_wait_kmcnt 0x0
	s_cmp_gt_i32 s10, 0xff
	s_cbranch_scc1 .LBB175_2
; %bb.1:
	v_bfe_u32 v1, v0, 10, 10
	v_and_b32_e32 v2, 0x3ff, v0
	s_mov_b32 s2, 0
	s_delay_alu instid0(VALU_DEP_2)
	v_add_nc_u32_e32 v3, s7, v1
	s_branch .LBB175_3
.LBB175_2:
	s_mov_b32 s2, -1
                                        ; implicit-def: $vgpr1
                                        ; implicit-def: $vgpr2
                                        ; implicit-def: $vgpr3
.LBB175_3:
	s_load_b64 s[8:9], s[0:1], 0x10
	v_dual_mov_b32 v70, 0 :: v_dual_mov_b32 v97, 0
	v_dual_mov_b32 v74, 0 :: v_dual_mov_b32 v105, 0
	;; [unrolled: 1-line block ×16, first 2 shown]
	s_and_not1_b32 vcc_lo, exec_lo, s2
	s_lshl_b32 s14, ttmp9, 7
	s_cbranch_vccnz .LBB175_11
; %bb.4:
	v_dual_mov_b32 v96, 0 :: v_dual_and_b32 v19, 31, v0
	s_add_co_i32 s17, s4, -1
	s_ashr_i32 s11, s10, 31
	v_cvt_f64_i32_e32 v[1:2], s17
	s_delay_alu instid0(VALU_DEP_2) | instskip(SKIP_3) | instid1(VALU_DEP_3)
	v_dual_mov_b32 v99, 0 :: v_dual_lshlrev_b32 v20, 1, v19
	v_cmp_gt_u32_e32 vcc_lo, 16, v19
	s_lshr_b32 s11, s11, 24
	v_add_nc_u16 v21, v19, -16
	v_dual_mov_b32 v85, 0 :: v_dual_add_nc_u32 v22, 0xe0, v20
	v_add_nc_u32_e32 v17, s7, v89
	s_add_co_i32 s10, s10, s11
	v_lshlrev_b32_e32 v124, 5, v89
	s_delay_alu instid0(VALU_DEP_3) | instskip(NEXT) | instid1(VALU_DEP_3)
	v_cndmask_b32_e32 v22, v22, v20, vcc_lo
	v_dual_mov_b32 v88, 0 :: v_dual_add_nc_u32 v9, 24, v17
	v_dual_mov_b32 v84, 0 :: v_dual_add_nc_u32 v11, 32, v17
	;; [unrolled: 1-line block ×3, first 2 shown]
	s_delay_alu instid0(VALU_DEP_3) | instskip(NEXT) | instid1(VALU_DEP_3)
	v_cvt_f64_u32_e32 v[9:10], v9
	v_cvt_f64_u32_e32 v[11:12], v11
	v_dual_mov_b32 v120, 0 :: v_dual_add_nc_u32 v5, 8, v17
	s_delay_alu instid0(VALU_DEP_4)
	v_cvt_f64_u32_e32 v[13:14], v13
	v_dual_mov_b32 v100, 0 :: v_dual_add_nc_u32 v7, 16, v17
	v_cvt_f64_u32_e32 v[3:4], v17
	v_dual_mov_b32 v76, 0 :: v_dual_add_nc_u32 v15, 48, v17
	s_clause 0x1
	scratch_store_b32 off, v17, off offset:4
	scratch_store_b32 off, v28, off
	v_dual_mov_b32 v72, 0 :: v_dual_add_nc_u32 v17, 56, v17
	v_cvt_f64_u32_e32 v[5:6], v5
	v_cvt_f64_u32_e32 v[7:8], v7
	;; [unrolled: 1-line block ×3, first 2 shown]
	s_delay_alu instid0(VALU_DEP_4)
	v_cvt_f64_u32_e32 v[17:18], v17
	s_ashr_i32 s15, s10, 8
	v_cndmask_b32_e32 v21, v21, v19, vcc_lo
	s_lshl_b32 s16, s15, 3
	v_mov_b32_e32 v103, 0
	s_wait_alu 0xfffe
	v_mad_i32_i24 v101, s15, v89, s16
	v_dual_mov_b32 v91, 0 :: v_dual_mov_b32 v98, 0
	v_dual_mov_b32 v81, 0 :: v_dual_lshlrev_b32 v26, 3, v89
	s_delay_alu instid0(VALU_DEP_3) | instskip(SKIP_3) | instid1(VALU_DEP_3)
	v_add_nc_u32_e32 v102, s16, v101
	v_bfe_u32 v27, v0, 2, 8
	v_dual_mov_b32 v95, 0 :: v_dual_mov_b32 v94, 0
	s_ashr_i32 s12, s5, 31
	v_add_nc_u32_e32 v104, s16, v102
	v_dual_mov_b32 v73, 0 :: v_dual_and_b32 v22, 0xfe, v22
	v_mov_b32_e32 v86, 0
	s_lshr_b32 s10, s12, 27
	s_delay_alu instid0(VALU_DEP_3)
	v_add_nc_u32_e32 v106, s16, v104
	v_min_num_f64_e32 v[9:10], v[9:10], v[1:2]
	v_min_num_f64_e32 v[11:12], v[11:12], v[1:2]
	s_load_b128 s[0:3], s[0:1], 0x0
	s_add_co_i32 s5, s5, s10
	v_min_num_f64_e32 v[13:14], v[13:14], v[1:2]
	v_add_nc_u32_e32 v107, s16, v106
	v_lshrrev_b32_e32 v23, 1, v0
	v_min_num_f64_e32 v[3:4], v[3:4], v[1:2]
	v_dual_mov_b32 v77, 0 :: v_dual_and_b32 v24, 7, v0
	s_delay_alu instid0(VALU_DEP_4)
	v_add_nc_u32_e32 v108, s16, v107
	v_dual_mov_b32 v111, 0 :: v_dual_lshlrev_b32 v112, 2, v19
	v_sub_nc_u32_e32 v19, v20, v22
	v_min_num_f64_e32 v[5:6], v[5:6], v[1:2]
	v_min_num_f64_e32 v[7:8], v[7:8], v[1:2]
	;; [unrolled: 1-line block ×4, first 2 shown]
	v_add_nc_u32_e32 v110, s16, v108
	v_add_nc_u32_e32 v17, v124, v28
	v_dual_mov_b32 v83, 0 :: v_dual_and_b32 v20, 15, v0
	v_mul_u32_u24_e32 v22, 0x41, v89
	s_delay_alu instid0(VALU_DEP_4) | instskip(NEXT) | instid1(VALU_DEP_4)
	v_add_nc_u32_e32 v113, s16, v110
	v_and_b32_e32 v25, 0x7f, v17
	v_lshrrev_b32_e32 v17, 3, v17
	v_mov_b32_e32 v71, 0
	s_ashr_i32 s5, s5, 5
	v_add_nc_u32_e32 v115, s16, v113
	v_and_or_b32 v23, v23, 8, v24
	v_dual_mov_b32 v92, 0 :: v_dual_lshlrev_b32 v19, 2, v19
	v_dual_mov_b32 v79, 0 :: v_dual_lshlrev_b32 v20, 2, v20
	s_delay_alu instid0(VALU_DEP_4)
	v_add_nc_u32_e32 v116, s16, v115
	v_dual_mov_b32 v75, 0 :: v_dual_lshlrev_b32 v22, 2, v22
	v_mov_b32_e32 v82, 0
	v_cvt_i32_f64_e32 v9, v[9:10]
	v_cvt_i32_f64_e32 v10, v[11:12]
	v_add_nc_u32_e32 v119, s16, v116
	v_lshlrev_b32_e32 v138, 2, v28
	v_cvt_i32_f64_e32 v12, v[13:14]
	v_add_nc_u16 v13, v27, v26
	v_bfe_u32 v109, v0, 5, 5
	v_cvt_i32_f64_e32 v4, v[3:4]
	v_and_b32_e32 v3, 3, v0
	v_dual_mov_b32 v70, 0 :: v_dual_add_nc_u32 v121, s16, v119
	v_lshrrev_b16 v13, 1, v13
	v_dual_mov_b32 v87, 0 :: v_dual_lshlrev_b32 v114, 2, v23
	v_cvt_i32_f64_e32 v5, v[5:6]
	v_cvt_i32_f64_e32 v7, v[7:8]
	;; [unrolled: 1-line block ×4, first 2 shown]
	v_add_nc_u32_e32 v6, v27, v26
	v_and_b32_e32 v8, 12, v17
	v_lshlrev_b32_e32 v15, 2, v25
	v_lshlrev_b32_e32 v134, 2, v3
	v_and_b32_e32 v13, 60, v13
	v_and_b32_e32 v11, 0x7f, v6
	;; [unrolled: 1-line block ×3, first 2 shown]
	v_add3_u32 v135, v15, v8, 0xae40
	v_cmp_lt_u16_e32 vcc_lo, 7, v21
	v_add3_u32 v118, v19, v20, v22
	v_xor_b32_e32 v16, 64, v11
	v_lshl_or_b32 v2, v11, 4, v134
	v_or_b32_e32 v15, s7, v6
	v_mul_i32_i24_e32 v136, s15, v11
	v_dual_mov_b32 v78, 0 :: v_dual_add_nc_u32 v19, 8, v89
	v_lshrrev_b32_e32 v8, 1, v16
	v_add3_u32 v137, v2, v13, 0xa200
	v_min_i32_e32 v2, s17, v15
	v_lshl_or_b32 v11, v16, 4, v134
	v_mul_lo_u32 v145, s5, v9
	v_mul_lo_u32 v146, s5, v10
	v_add_nc_u32_e32 v10, 64, v28
	v_add_nc_u32_e32 v9, 32, v28
	v_mul_lo_u32 v147, s5, v12
	v_add_nc_u32_e32 v12, 0x60, v28
	v_and_b32_e32 v8, 60, v8
	v_lshrrev_b32_e32 v151, 3, v10
	v_dual_mov_b32 v105, 0 :: v_dual_add_nc_u32 v20, 16, v89
	v_dual_mov_b32 v74, 0 :: v_dual_add_nc_u32 v21, 24, v89
	;; [unrolled: 1-line block ×3, first 2 shown]
	v_add_nc_u32_e32 v22, 40, v89
	v_add_nc_u32_e32 v23, 48, v89
	;; [unrolled: 1-line block ×4, first 2 shown]
	v_lshl_or_b32 v6, v6, 4, v134
	v_lshrrev_b32_e32 v150, 3, v9
	v_lshrrev_b32_e32 v152, 3, v12
	s_mul_i32 s10, s15, s14
	v_mul_i32_i24_e32 v139, s15, v16
	v_mad_co_u64_u32 v[16:17], null, v2, s5, v[3:4]
	v_add3_u32 v140, v11, v8, 0xa200
	v_and_b32_e32 v8, 28, v138
	v_and_b32_e32 v17, 60, v151
	s_ashr_i32 s11, s10, 31
	v_add_nc_u32_e32 v122, 0x30c0, v118
	v_add_nc_u32_e32 v127, s16, v123
	v_mul_i32_i24_e32 v133, s15, v25
	v_or_b32_e32 v11, 0x8200, v112
	v_add_nc_u32_e32 v141, 0xaa40, v6
	v_mul_lo_u32 v142, s5, v4
	v_lshlrev_b32_e32 v2, 7, v89
	v_mul_lo_u32 v143, s5, v5
	v_lshlrev_b32_e32 v3, 7, v19
	;; [unrolled: 2-line block ×3, first 2 shown]
	v_lshlrev_b32_e32 v5, 7, v21
	v_lshlrev_b32_e32 v6, 7, v18
	;; [unrolled: 1-line block ×3, first 2 shown]
	v_mul_lo_u32 v148, s5, v14
	v_lshlrev_b32_e32 v13, 7, v23
	v_mul_lo_u32 v149, s5, v1
	v_lshlrev_b32_e32 v1, 7, v24
	v_lshlrev_b32_e32 v14, 2, v109
	v_and_b32_e32 v15, 60, v150
	v_and_b32_e32 v25, 60, v152
	s_mul_u64 s[12:13], s[10:11], 0xd2
	s_movk_i32 s5, 0x104
	s_movk_i32 s10, 0x2080
	v_add3_u32 v156, v138, v17, 0xae40
	v_mad_u32_u24 v167, 0x104, v28, s10
	s_movk_i32 s10, 0x4100
	s_wait_alu 0xfffe
	v_mad_u32_u24 v171, v28, s5, 0x6180
	s_wait_kmcnt 0x0
	v_add_co_u32 v17, s5, s2, v8
	s_wait_alu 0xfffd
	v_cndmask_b32_e64 v117, 0, 2, vcc_lo
	v_add_nc_u32_e32 v128, 0x6180, v118
	v_add_nc_u32_e32 v129, 0x69a0, v118
	;; [unrolled: 1-line block ×5, first 2 shown]
	v_bfe_u32 v153, v0, 3, 7
	v_add3_u32 v154, v14, v138, 0xae40
	v_add3_u32 v155, v138, v15, 0xae40
	;; [unrolled: 1-line block ×3, first 2 shown]
	v_lshlrev_b32_e32 v158, 5, v19
	v_lshlrev_b32_e32 v159, 5, v20
	;; [unrolled: 1-line block ×7, first 2 shown]
	v_mul_u32_u24_e32 v165, 0x104, v28
	v_lshlrev_b32_e32 v166, 4, v9
	v_lshlrev_b32_e32 v168, 4, v10
	v_mad_u32_u24 v169, 0x104, v28, s10
	v_lshlrev_b32_e32 v170, 4, v12
	s_wait_alu 0xf1ff
	v_add_co_ci_u32_e64 v18, null, s3, 0, s5
	v_add_nc_u32_e32 v172, v11, v2
	v_add_nc_u32_e32 v173, v11, v3
	;; [unrolled: 1-line block ×16, first 2 shown]
	s_mov_b32 s11, 0
	s_add_nc_u64 s[0:1], s[0:1], s[12:13]
	s_wait_alu 0xfffe
	s_mov_b32 s10, s11
.LBB175_5:                              ; =>This Loop Header: Depth=1
                                        ;     Child Loop BB175_6 Depth 2
                                        ;     Child Loop BB175_8 Depth 2
	s_wait_alu 0xfffe
	s_mul_u64 s[12:13], s[10:11], 0xd2
	v_mul_i32_i24_e32 v2, s15, v89
	s_wait_alu 0xfffe
	s_add_nc_u64 s[12:13], s[0:1], s[12:13]
	s_lshl_b32 s5, s10, 3
	s_wait_alu 0xfffe
	v_mad_co_u64_u32 v[0:1], null, 0xd2, v109, s[12:13]
	v_add_nc_u32_e32 v193, s5, v16
	s_mov_b32 s16, 0
	s_delay_alu instid0(VALU_DEP_2) | instskip(SKIP_3) | instid1(VALU_DEP_4)
	v_mad_co_u64_u32 v[2:3], null, 0xd2, v2, v[0:1]
	v_mad_co_u64_u32 v[4:5], null, 0xd2, v101, v[0:1]
	;; [unrolled: 1-line block ×4, first 2 shown]
	v_add_co_u32 v8, vcc_lo, v2, v112
	s_wait_alu 0xfffd
	v_add_co_ci_u32_e64 v9, null, 0, v3, vcc_lo
	v_add_co_u32 v2, vcc_lo, v2, v114
	s_wait_alu 0xfffd
	v_add_co_ci_u32_e64 v3, null, 0, v3, vcc_lo
	;; [unrolled: 3-line block ×4, first 2 shown]
	v_add_co_u32 v12, vcc_lo, v6, v112
	v_mad_co_u64_u32 v[19:20], null, 0xd2, v106, v[0:1]
	s_wait_alu 0xfffd
	v_add_co_ci_u32_e64 v13, null, 0, v7, vcc_lo
	v_add_co_u32 v6, vcc_lo, v6, v114
	s_wait_alu 0xfffd
	v_add_co_ci_u32_e64 v7, null, 0, v7, vcc_lo
	v_add_co_u32 v21, vcc_lo, v14, v112
	;; [unrolled: 3-line block ×4, first 2 shown]
	s_wait_alu 0xfffd
	v_add_co_ci_u32_e64 v24, null, 0, v20, vcc_lo
	s_clause 0x8
	global_load_b32 v29, v[8:9], off
	global_load_b32 v30, v[2:3], off offset:128
	global_load_b32 v31, v[10:11], off
	global_load_b32 v32, v[4:5], off offset:128
	;; [unrolled: 2-line block ×4, first 2 shown]
	global_load_b32 v36, v[23:24], off
	v_mad_co_u64_u32 v[2:3], null, 0xd2, v107, v[0:1]
	v_mad_co_u64_u32 v[6:7], null, 0xd2, v108, v[0:1]
	v_add_co_u32 v4, vcc_lo, v19, v114
	s_wait_alu 0xfffd
	v_add_co_ci_u32_e64 v5, null, 0, v20, vcc_lo
	s_delay_alu instid0(VALU_DEP_4)
	v_add_co_u32 v8, vcc_lo, v2, v112
	s_wait_alu 0xfffd
	v_add_co_ci_u32_e64 v9, null, 0, v3, vcc_lo
	v_add_co_u32 v2, vcc_lo, v2, v114
	s_wait_alu 0xfffd
	v_add_co_ci_u32_e64 v3, null, 0, v3, vcc_lo
	;; [unrolled: 3-line block ×4, first 2 shown]
	s_clause 0x4
	global_load_b32 v37, v[4:5], off offset:128
	global_load_b32 v38, v[8:9], off
	global_load_b32 v39, v[2:3], off offset:128
	global_load_b32 v10, v[10:11], off
	global_load_b32 v40, v[6:7], off offset:128
	v_mad_co_u64_u32 v[2:3], null, 0xd2, v110, v[0:1]
	v_mad_co_u64_u32 v[4:5], null, 0xd2, v113, v[0:1]
	;; [unrolled: 1-line block ×4, first 2 shown]
	s_delay_alu instid0(VALU_DEP_4)
	v_add_co_u32 v19, vcc_lo, v2, v112
	s_wait_alu 0xfffd
	v_add_co_ci_u32_e64 v20, null, 0, v3, vcc_lo
	v_add_co_u32 v2, vcc_lo, v2, v114
	s_wait_alu 0xfffd
	v_add_co_ci_u32_e64 v3, null, 0, v3, vcc_lo
	s_clause 0x1
	global_load_b32 v41, v[19:20], off
	global_load_b32 v42, v[2:3], off offset:128
	v_add_co_u32 v21, vcc_lo, v4, v112
	s_wait_alu 0xfffd
	v_add_co_ci_u32_e64 v22, null, 0, v5, vcc_lo
	v_add_co_u32 v4, vcc_lo, v4, v114
	v_mad_co_u64_u32 v[11:12], null, 0xd2, v119, v[0:1]
	s_wait_alu 0xfffd
	v_add_co_ci_u32_e64 v5, null, 0, v5, vcc_lo
	v_add_co_u32 v2, vcc_lo, v6, v112
	s_wait_alu 0xfffd
	v_add_co_ci_u32_e64 v3, null, 0, v7, vcc_lo
	v_add_co_u32 v6, vcc_lo, v6, v114
	v_mad_co_u64_u32 v[13:14], null, 0xd2, v121, v[0:1]
	s_wait_alu 0xfffd
	v_add_co_ci_u32_e64 v7, null, 0, v7, vcc_lo
	v_add_co_u32 v19, vcc_lo, v8, v112
	s_wait_alu 0xfffd
	v_add_co_ci_u32_e64 v20, null, 0, v9, vcc_lo
	v_add_co_u32 v23, vcc_lo, v8, v114
	;; [unrolled: 3-line block ×6, first 2 shown]
	s_wait_alu 0xfffd
	v_add_co_ci_u32_e64 v14, null, 0, v14, vcc_lo
	s_clause 0x9
	global_load_b32 v21, v[21:22], off
	global_load_b32 v22, v[4:5], off offset:128
	global_load_b32 v8, v[2:3], off
	global_load_b32 v9, v[6:7], off offset:128
	;; [unrolled: 2-line block ×5, first 2 shown]
	s_wait_loadcnt 0x19
	v_lshrrev_b32_e32 v12, 4, v29
	s_wait_loadcnt 0x18
	v_ashrrev_i32_e32 v13, v117, v30
	s_wait_loadcnt 0x17
	v_lshrrev_b32_e32 v19, 4, v31
	s_wait_loadcnt 0x16
	v_ashrrev_i32_e32 v20, v117, v32
	;; [unrolled: 4-line block ×4, first 2 shown]
	v_and_b32_e32 v11, 0xf0f0f0f, v29
	s_wait_loadcnt 0x11
	v_lshrrev_b32_e32 v29, 4, v36
	v_and_b32_e32 v23, 0xf0f0f0f, v33
	v_and_b32_e32 v28, 0xf0f0f0f, v36
	;; [unrolled: 1-line block ×3, first 2 shown]
	v_lshlrev_b32_e32 v36, 4, v13
	v_and_b32_e32 v14, 0xf0f0f0f, v31
	v_and_b32_e32 v19, 0xf0f0f0f, v19
	;; [unrolled: 1-line block ×6, first 2 shown]
	v_and_or_b32 v11, 0x30303030, v36, v11
	v_and_or_b32 v12, 0x30303030, v13, v12
	s_wait_loadcnt 0x10
	v_ashrrev_i32_e32 v30, v117, v37
	s_wait_loadcnt 0xf
	v_lshrrev_b32_e32 v32, 4, v38
	s_wait_loadcnt 0xe
	v_ashrrev_i32_e32 v33, v117, v39
	v_lshlrev_b32_e32 v37, 4, v20
	v_and_b32_e32 v31, 0xf0f0f0f, v38
	s_wait_loadcnt 0xc
	v_ashrrev_i32_e32 v35, v117, v40
	v_lshlrev_b32_e32 v38, 4, v25
	v_lshlrev_b32_e32 v39, 4, v15
	;; [unrolled: 1-line block ×4, first 2 shown]
	v_and_b32_e32 v32, 0xf0f0f0f, v32
	v_and_or_b32 v13, 0x30303030, v37, v14
	v_and_or_b32 v14, 0x30303030, v20, v19
	v_and_b32_e32 v34, 0xf0f0f0f, v10
	v_lshlrev_b32_e32 v44, 4, v35
	v_and_or_b32 v19, 0x30303030, v38, v23
	v_and_or_b32 v20, 0x30303030, v25, v24
	;; [unrolled: 1-line block ×7, first 2 shown]
	v_lshrrev_b32_e32 v29, 16, v11
	v_and_b32_e32 v30, 0x3f00, v11
	v_lshlrev_b16 v11, 8, v11
	v_lshrrev_b32_e32 v31, 16, v12
	v_and_or_b32 v27, 0x30303030, v33, v32
	v_and_b32_e32 v32, 0x3f00, v12
	v_lshlrev_b16 v12, 8, v12
	v_lshrrev_b32_e32 v33, 16, v13
	v_lshrrev_b32_e32 v36, 16, v14
	v_and_or_b32 v28, 0x30303030, v44, v34
	v_and_b32_e32 v34, 0x3f00, v13
	v_lshlrev_b16 v13, 8, v13
	v_lshrrev_b32_e32 v38, 16, v19
	v_lshrrev_b32_e32 v40, 16, v20
	v_and_b32_e32 v37, 0x3f00, v14
	v_lshlrev_b16 v14, 8, v14
	v_lshrrev_b32_e32 v44, 16, v23
	v_lshrrev_b32_e32 v46, 16, v15
	;; [unrolled: 4-line block ×3, first 2 shown]
	v_add_nc_u16 v11, 0xe000, v11
	v_and_b32_e32 v58, 0x3f00, v29
	v_lshlrev_b16 v29, 8, v29
	v_and_b32_e32 v59, 0x3f00, v31
	v_lshlrev_b16 v31, 8, v31
	v_add_nc_u16 v12, 0xe000, v12
	v_and_b32_e32 v60, 0x3f00, v33
	v_lshlrev_b16 v33, 8, v33
	v_and_b32_e32 v61, 0x3f00, v36
	v_lshlrev_b16 v36, 8, v36
	v_and_b32_e32 v43, 0x3f00, v20
	v_lshlrev_b16 v20, 8, v20
	v_add_nc_u16 v13, 0xe000, v13
	v_and_b32_e32 v62, 0x3f00, v38
	v_lshlrev_b16 v38, 8, v38
	v_and_b32_e32 v63, 0x3f00, v40
	v_lshlrev_b16 v40, 8, v40
	v_and_b32_e32 v45, 0x3f00, v23
	v_lshlrev_b16 v23, 8, v23
	v_and_b32_e32 v47, 0x3f00, v15
	v_lshlrev_b16 v15, 8, v15
	v_add_nc_u16 v14, 0xe000, v14
	v_and_b32_e32 v64, 0x3f00, v44
	v_lshlrev_b16 v44, 8, v44
	;; [unrolled: 9-line block ×3, first 2 shown]
	v_and_b32_e32 v67, 0x3f00, v50
	v_lshlrev_b16 v50, 8, v50
	v_lshrrev_b16 v11, 8, v11
	v_add_nc_u16 v29, 0xe000, v29
	v_add_nc_u16 v31, 0xe000, v31
	v_lshrrev_b16 v12, 8, v12
	v_add_nc_u16 v33, 0xe000, v33
	v_add_nc_u16 v36, 0xe000, v36
	v_add_nc_u16 v20, 0xe000, v20
	v_lshrrev_b16 v13, 8, v13
	v_add_nc_u16 v38, 0xe000, v38
	v_add_nc_u16 v40, 0xe000, v40
	v_add_nc_u16 v23, 0xe000, v23
	v_add_nc_u16 v15, 0xe000, v15
	v_lshrrev_b16 v14, 8, v14
	v_add_nc_u16 v44, 0xe000, v44
	;; [unrolled: 5-line block ×3, first 2 shown]
	v_add_nc_u16 v50, 0xe000, v50
	v_or_b32_e32 v11, v30, v11
	v_lshrrev_b16 v29, 8, v29
	v_lshrrev_b16 v30, 8, v31
	v_or_b32_e32 v12, v32, v12
	v_lshrrev_b16 v31, 8, v33
	v_lshrrev_b16 v32, 8, v36
	v_lshrrev_b16 v20, 8, v20
	v_or_b32_e32 v13, v34, v13
	v_lshrrev_b16 v33, 8, v38
	v_lshrrev_b16 v34, 8, v40
	v_lshrrev_b16 v23, 8, v23
	v_lshrrev_b16 v15, 8, v15
	v_or_b32_e32 v14, v37, v14
	v_lshrrev_b16 v36, 8, v44
	;; [unrolled: 5-line block ×3, first 2 shown]
	v_lshrrev_b16 v39, 8, v50
	v_or_b32_e32 v29, v58, v29
	v_or_b32_e32 v30, v59, v30
	;; [unrolled: 1-line block ×15, first 2 shown]
	v_add_nc_u16 v11, 0xe000, v11
	v_add_nc_u16 v12, 0xe000, v12
	;; [unrolled: 1-line block ×20, first 2 shown]
	v_and_b32_e32 v11, 0xffff, v11
	v_and_b32_e32 v12, 0xffff, v12
	v_lshlrev_b32_e32 v29, 16, v29
	v_lshlrev_b32_e32 v30, 16, v30
	v_and_b32_e32 v13, 0xffff, v13
	v_and_b32_e32 v14, 0xffff, v14
	v_lshlrev_b32_e32 v31, 16, v31
	v_lshlrev_b32_e32 v32, 16, v32
	v_lshrrev_b32_e32 v52, 16, v26
	v_lshrrev_b32_e32 v54, 16, v27
	v_and_b32_e32 v19, 0xffff, v19
	v_and_b32_e32 v20, 0xffff, v20
	v_lshlrev_b32_e32 v33, 16, v33
	v_lshlrev_b32_e32 v34, 16, v34
	v_and_b32_e32 v23, 0xffff, v23
	v_and_b32_e32 v15, 0xffff, v15
	v_lshlrev_b32_e32 v36, 16, v36
	v_lshlrev_b32_e32 v37, 16, v37
	;; [unrolled: 4-line block ×3, first 2 shown]
	v_or_b32_e32 v11, v11, v29
	v_or_b32_e32 v12, v12, v30
	;; [unrolled: 1-line block ×4, first 2 shown]
	v_and_b32_e32 v53, 0x3f00, v26
	v_lshlrev_b16 v26, 8, v26
	v_and_b32_e32 v55, 0x3f00, v27
	v_lshlrev_b16 v27, 8, v27
	;; [unrolled: 2-line block ×4, first 2 shown]
	v_or_b32_e32 v19, v19, v33
	v_or_b32_e32 v20, v20, v34
	v_or_b32_e32 v23, v23, v36
	v_or_b32_e32 v15, v15, v37
	v_or_b32_e32 v24, v24, v38
	v_or_b32_e32 v25, v25, v39
	ds_store_2addr_b32 v118, v11, v12 offset1:16
	ds_store_2addr_b32 v254, v13, v14 offset0:8 offset1:24
	ds_store_2addr_b32 v255, v19, v20 offset0:16 offset1:32
	ds_store_2addr_b32 v90, v23, v15 offset0:24 offset1:40
	ds_store_2addr_b32 v93, v24, v25 offset0:32 offset1:48
	v_lshrrev_b32_e32 v12, 4, v10
	v_lshlrev_b16 v57, 8, v28
	v_add_nc_u16 v26, 0xe000, v26
	v_add_nc_u16 v27, 0xe000, v27
	;; [unrolled: 1-line block ×4, first 2 shown]
	v_mad_co_u64_u32 v[10:11], null, 0xd2, v123, v[0:1]
	v_and_b32_e32 v12, 0xf0f0f0f, v12
	v_lshrrev_b16 v26, 8, v26
	v_lshrrev_b16 v27, 8, v27
	;; [unrolled: 1-line block ×4, first 2 shown]
	v_add_nc_u16 v13, 0xe000, v57
	v_lshrrev_b32_e32 v56, 16, v28
	v_and_or_b32 v25, 0x30303030, v35, v12
	v_add_co_u32 v12, vcc_lo, v10, v112
	v_or_b32_e32 v26, v53, v26
	v_or_b32_e32 v27, v55, v27
	;; [unrolled: 1-line block ×4, first 2 shown]
	v_lshrrev_b16 v23, 8, v13
	s_wait_alu 0xfffd
	v_add_co_ci_u32_e64 v13, null, 0, v11, vcc_lo
	v_add_co_u32 v10, vcc_lo, v10, v114
	s_wait_alu 0xfffd
	v_add_co_ci_u32_e64 v11, null, 0, v11, vcc_lo
	v_lshlrev_b16 v180, 8, v56
	v_add_nc_u16 v26, 0xe000, v26
	v_add_nc_u16 v27, 0xe000, v27
	;; [unrolled: 1-line block ×4, first 2 shown]
	v_and_b32_e32 v20, 0x3f00, v28
	s_clause 0x1
	global_load_b32 v29, v[12:13], off
	global_load_b32 v30, v[10:11], off offset:128
	v_add_nc_u16 v19, 0xe000, v180
	v_and_b32_e32 v26, 0xffff, v26
	v_and_b32_e32 v27, 0xffff, v27
	v_lshlrev_b32_e32 v40, 16, v40
	v_lshlrev_b32_e32 v43, 16, v43
	v_or_b32_e32 v20, v20, v23
	v_lshlrev_b16 v23, 8, v25
	v_and_b32_e32 v24, 0x3f00, v56
	v_lshrrev_b16 v19, 8, v19
	v_or_b32_e32 v14, v26, v40
	v_or_b32_e32 v15, v27, v43
	v_add_nc_u16 v11, 0xe000, v23
	v_lshrrev_b32_e32 v10, 16, v25
	v_or_b32_e32 v19, v24, v19
	v_add_nc_u16 v12, 0xe000, v20
	ds_store_2addr_b32 v184, v14, v15 offset0:40 offset1:56
	v_and_b32_e32 v14, 0x3f00, v25
	v_lshrrev_b16 v11, 8, v11
	v_add_nc_u16 v13, 0xe000, v19
	s_wait_loadcnt 0xc
	v_ashrrev_i32_e32 v19, v117, v42
	v_lshlrev_b16 v15, 8, v10
	v_and_b32_e32 v24, 0x3f00, v10
	v_or_b32_e32 v14, v14, v11
	v_mad_co_u64_u32 v[10:11], null, 0xd2, v127, v[0:1]
	v_and_b32_e32 v12, 0xffff, v12
	v_lshlrev_b32_e32 v13, 16, v13
	v_and_b32_e32 v20, 0xf0f0f0f, v41
	v_lshlrev_b32_e32 v23, 4, v19
	v_add_nc_u16 v15, 0xe000, v15
	v_add_nc_u16 v14, 0xe000, v14
	v_mad_co_u64_u32 v[0:1], null, 0xd2, v131, v[0:1]
	s_delay_alu instid0(VALU_DEP_4)
	v_and_or_b32 v20, 0x30303030, v23, v20
	v_or_b32_e32 v23, v12, v13
	v_add_co_u32 v12, vcc_lo, v10, v112
	v_lshrrev_b16 v15, 8, v15
	s_wait_alu 0xfffd
	v_add_co_ci_u32_e64 v13, null, 0, v11, vcc_lo
	v_add_co_u32 v10, vcc_lo, v10, v114
	s_wait_alu 0xfffd
	v_add_co_ci_u32_e64 v11, null, 0, v11, vcc_lo
	v_or_b32_e32 v15, v24, v15
	v_lshrrev_b32_e32 v24, 4, v41
	s_clause 0x1
	global_load_b32 v31, v[12:13], off
	global_load_b32 v32, v[10:11], off offset:128
	v_lshlrev_b16 v25, 8, v20
	v_and_b32_e32 v11, 0x3f00, v20
	v_add_nc_u16 v10, 0xe000, v15
	v_and_b32_e32 v24, 0xf0f0f0f, v24
	v_and_b32_e32 v14, 0xffff, v14
	v_add_nc_u16 v25, 0xe000, v25
	v_lshrrev_b32_e32 v26, 16, v20
	v_lshlrev_b32_e32 v10, 16, v10
	v_and_or_b32 v12, 0x30303030, v19, v24
	s_wait_loadcnt 0xc
	v_ashrrev_i32_e32 v33, v117, v22
	v_lshrrev_b16 v15, 8, v25
	v_lshlrev_b16 v13, 8, v26
	v_or_b32_e32 v14, v14, v10
	v_lshrrev_b32_e32 v19, 16, v12
	v_and_b32_e32 v20, 0x3f00, v26
	v_or_b32_e32 v11, v11, v15
	v_lshlrev_b16 v15, 8, v12
	v_and_b32_e32 v12, 0x3f00, v12
	v_lshlrev_b16 v24, 8, v19
	v_and_b32_e32 v19, 0x3f00, v19
	v_add_nc_u16 v13, 0xe000, v13
	v_add_nc_u16 v10, 0xe000, v15
	v_add_nc_u16 v15, 0xe000, v11
	v_add_nc_u16 v11, 0xe000, v24
	v_lshlrev_b32_e32 v22, 4, v33
	v_lshrrev_b16 v13, 8, v13
	v_lshrrev_b16 v10, 8, v10
	s_wait_loadcnt 0xa
	v_ashrrev_i32_e32 v9, v117, v9
	v_lshrrev_b16 v11, 8, v11
	s_wait_loadcnt 0x8
	v_ashrrev_i32_e32 v7, v117, v7
	v_or_b32_e32 v13, v20, v13
	v_or_b32_e32 v12, v12, v10
	v_add_co_u32 v10, vcc_lo, v0, v112
	v_or_b32_e32 v19, v19, v11
	s_wait_alu 0xfffd
	v_add_co_ci_u32_e64 v11, null, 0, v1, vcc_lo
	v_add_co_u32 v0, vcc_lo, v0, v114
	s_wait_alu 0xfffd
	v_add_co_ci_u32_e64 v1, null, 0, v1, vcc_lo
	s_clause 0x1
	global_load_b32 v35, v[10:11], off
	global_load_b32 v36, v[0:1], off offset:128
	v_add_nc_u16 v13, 0xe000, v13
	v_and_b32_e32 v20, 0xf0f0f0f, v21
	v_add_nc_u16 v12, 0xe000, v12
	v_add_nc_u16 v19, 0xe000, v19
	v_and_b32_e32 v0, 0xffff, v15
	v_lshlrev_b32_e32 v1, 16, v13
	v_and_or_b32 v34, 0x30303030, v22, v20
	v_and_b32_e32 v10, 0xffff, v12
	v_lshlrev_b32_e32 v12, 16, v19
	v_lshrrev_b32_e32 v13, 4, v21
	v_or_b32_e32 v37, v0, v1
	v_mad_co_u64_u32 v[0:1], null, 0xd2, v136, s[12:13]
	v_lshlrev_b16 v11, 8, v34
	v_or_b32_e32 v39, v10, v12
	v_and_b32_e32 v40, 0xf0f0f0f, v13
	v_mad_co_u64_u32 v[12:13], null, 0xd2, v139, s[12:13]
	s_delay_alu instid0(VALU_DEP_4)
	v_add_nc_u16 v38, 0xe000, v11
	v_mad_co_u64_u32 v[10:11], null, 0xd2, v133, s[12:13]
	v_add_co_u32 v0, vcc_lo, v0, v134
	ds_store_2addr_b32 v122, v23, v14 offset1:16
	v_add_nc_u32_e32 v23, s5, v153
	s_wait_alu 0xfffd
	v_add_co_ci_u32_e64 v1, null, 0, v1, vcc_lo
	v_add_co_u32 v12, vcc_lo, v12, v134
	s_wait_alu 0xfffd
	v_add_co_ci_u32_e64 v13, null, 0, v13, vcc_lo
	v_add_nc_u32_e32 v14, v23, v142
	s_clause 0x2
	global_load_u16 v43, v[10:11], off offset:208
	global_load_b32 v44, v[0:1], off offset:192
	global_load_b32 v45, v[12:13], off offset:192
	v_add_nc_u32_e32 v12, v23, v144
	v_add_nc_u32_e32 v21, v23, v146
	;; [unrolled: 1-line block ×4, first 2 shown]
	v_mad_co_i64_i32 v[0:1], null, v14, 36, v[17:18]
	v_mad_co_u64_u32 v[19:20], null, v193, 36, s[2:3]
	v_add_nc_u32_e32 v27, v23, v147
	v_add_nc_u32_e32 v14, v23, v145
	v_mad_co_i64_i32 v[12:13], null, v12, 36, v[17:18]
	v_add_nc_u32_e32 v10, v23, v143
	v_mad_co_i64_i32 v[21:22], null, v21, 36, v[17:18]
	v_mad_co_i64_i32 v[23:24], null, v24, 36, v[17:18]
	;; [unrolled: 1-line block ×6, first 2 shown]
	s_clause 0x8
	global_load_b32 v19, v[19:20], off
	global_load_b32 v0, v[0:1], off offset:4
	global_load_b32 v1, v[12:13], off offset:4
	;; [unrolled: 1-line block ×8, first 2 shown]
	v_lshrrev_b32_e32 v41, 16, v34
	v_and_or_b32 v20, 0x30303030, v33, v40
	v_and_b32_e32 v11, 0x3f00, v34
	v_lshrrev_b16 v23, 8, v38
	v_lshlrev_b32_e32 v27, 4, v9
	v_lshlrev_b16 v42, 8, v41
	v_lshrrev_b32_e32 v25, 16, v20
	v_lshlrev_b16 v26, 8, v20
	v_and_b32_e32 v24, 0x3f00, v41
	v_or_b32_e32 v11, v11, v23
	v_add_nc_u16 v15, 0xe000, v42
	v_lshlrev_b16 v23, 8, v25
	v_add_nc_u16 v26, 0xe000, v26
	v_and_b32_e32 v20, 0x3f00, v20
	v_and_b32_e32 v25, 0x3f00, v25
	v_lshrrev_b16 v15, 8, v15
	v_add_nc_u16 v23, 0xe000, v23
	v_add_nc_u16 v11, 0xe000, v11
	s_wait_loadcnt 0x14
	v_ashrrev_i32_e32 v5, v117, v5
	s_wait_loadcnt 0x12
	v_ashrrev_i32_e32 v3, v117, v3
	v_or_b32_e32 v15, v24, v15
	v_lshrrev_b16 v24, 8, v26
	v_and_b32_e32 v26, 0xf0f0f0f, v8
	v_lshrrev_b16 v23, 8, v23
	v_lshrrev_b32_e32 v8, 4, v8
	v_add_nc_u16 v15, 0xe000, v15
	v_or_b32_e32 v20, v20, v24
	v_and_or_b32 v24, 0x30303030, v27, v26
	v_or_b32_e32 v23, v25, v23
	v_and_b32_e32 v8, 0xf0f0f0f, v8
	v_and_b32_e32 v11, 0xffff, v11
	v_add_nc_u16 v20, 0xe000, v20
	v_lshlrev_b16 v25, 8, v24
	v_add_nc_u16 v23, 0xe000, v23
	v_lshlrev_b32_e32 v15, 16, v15
	v_lshrrev_b32_e32 v26, 16, v24
	v_and_b32_e32 v20, 0xffff, v20
	v_add_nc_u16 v25, 0xe000, v25
	v_lshlrev_b32_e32 v23, 16, v23
	v_and_b32_e32 v24, 0x3f00, v24
	v_and_or_b32 v8, 0x30303030, v9, v8
	v_lshlrev_b16 v27, 8, v26
	v_lshrrev_b16 v25, 8, v25
	v_or_b32_e32 v11, v11, v15
	v_or_b32_e32 v9, v20, v23
	v_and_b32_e32 v23, 0x3f00, v26
	v_add_nc_u16 v15, 0xe000, v27
	v_or_b32_e32 v20, v24, v25
	v_lshrrev_b32_e32 v24, 16, v8
	v_lshlrev_b16 v25, 8, v8
	ds_store_2addr_b32 v186, v11, v9 offset0:16 offset1:32
	v_lshrrev_b16 v15, 8, v15
	v_add_nc_u16 v9, 0xe000, v20
	v_lshlrev_b16 v11, 8, v24
	v_add_nc_u16 v20, 0xe000, v25
	v_and_b32_e32 v8, 0x3f00, v8
	v_or_b32_e32 v15, v23, v15
	v_and_b32_e32 v23, 0x3f00, v24
	v_add_nc_u16 v11, 0xe000, v11
	v_lshrrev_b16 v20, 8, v20
	v_and_b32_e32 v24, 0xf0f0f0f, v6
	v_lshlrev_b32_e32 v25, 4, v7
	v_lshrrev_b32_e32 v6, 4, v6
	v_lshrrev_b16 v11, 8, v11
	v_or_b32_e32 v8, v8, v20
	v_add_nc_u16 v15, 0xe000, v15
	v_and_or_b32 v20, 0x30303030, v25, v24
	v_and_b32_e32 v6, 0xf0f0f0f, v6
	v_or_b32_e32 v11, v23, v11
	v_add_nc_u16 v8, 0xe000, v8
	v_and_b32_e32 v9, 0xffff, v9
	v_lshlrev_b16 v23, 8, v20
	v_and_or_b32 v6, 0x30303030, v7, v6
	v_add_nc_u16 v11, 0xe000, v11
	v_and_b32_e32 v8, 0xffff, v8
	v_lshlrev_b32_e32 v15, 16, v15
	v_add_nc_u16 v23, 0xe000, v23
	v_lshrrev_b32_e32 v24, 16, v20
	v_lshlrev_b32_e32 v11, 16, v11
	v_and_b32_e32 v20, 0x3f00, v20
	v_or_b32_e32 v9, v9, v15
	v_lshrrev_b16 v23, 8, v23
	v_lshlrev_b16 v7, 8, v24
	v_or_b32_e32 v8, v8, v11
	v_lshrrev_b32_e32 v11, 16, v6
	v_and_b32_e32 v25, 0xf0f0f0f, v4
	v_or_b32_e32 v15, v20, v23
	v_lshlrev_b16 v20, 8, v6
	v_and_b32_e32 v23, 0x3f00, v24
	v_lshlrev_b16 v24, 8, v11
	v_add_nc_u16 v7, 0xe000, v7
	v_and_b32_e32 v6, 0x3f00, v6
	v_add_nc_u16 v20, 0xe000, v20
	v_lshlrev_b32_e32 v26, 4, v5
	v_add_nc_u16 v24, 0xe000, v24
	v_lshrrev_b16 v7, 8, v7
	v_and_b32_e32 v11, 0x3f00, v11
	v_lshrrev_b16 v20, 8, v20
	v_add_nc_u16 v15, 0xe000, v15
	v_lshrrev_b16 v24, 8, v24
	v_or_b32_e32 v7, v23, v7
	v_and_or_b32 v23, 0x30303030, v26, v25
	v_or_b32_e32 v6, v6, v20
	v_lshrrev_b32_e32 v4, 4, v4
	v_or_b32_e32 v11, v11, v24
	v_add_nc_u16 v7, 0xe000, v7
	v_lshlrev_b16 v20, 8, v23
	v_add_nc_u16 v6, 0xe000, v6
	v_and_b32_e32 v15, 0xffff, v15
	v_add_nc_u16 v11, 0xe000, v11
	v_lshlrev_b32_e32 v7, 16, v7
	v_add_nc_u16 v20, 0xe000, v20
	v_and_b32_e32 v6, 0xffff, v6
	v_and_b32_e32 v24, 0x3f00, v23
	v_lshlrev_b32_e32 v11, 16, v11
	v_lshrrev_b32_e32 v23, 16, v23
	v_and_b32_e32 v4, 0xf0f0f0f, v4
	v_lshrrev_b16 v20, 8, v20
	v_or_b32_e32 v7, v15, v7
	v_or_b32_e32 v6, v6, v11
	v_lshlrev_b16 v15, 8, v23
	v_and_or_b32 v4, 0x30303030, v5, v4
	v_add_nc_u32_e32 v5, 0x5140, v118
	v_or_b32_e32 v11, v24, v20
	ds_store_2addr_b32 v187, v9, v8 offset0:24 offset1:40
	v_and_b32_e32 v8, 0x3f00, v23
	v_lshlrev_b16 v9, 8, v4
	ds_store_2addr_b32 v5, v7, v6 offset1:16
	v_add_nc_u16 v6, 0xe000, v15
	v_lshrrev_b32_e32 v7, 16, v4
	v_add_nc_u16 v5, 0xe000, v11
	v_and_b32_e32 v15, 0xf0f0f0f, v2
	v_lshlrev_b32_e32 v20, 4, v3
	v_lshrrev_b16 v6, 8, v6
	v_lshlrev_b16 v11, 8, v7
	v_add_nc_u16 v9, 0xe000, v9
	v_and_b32_e32 v4, 0x3f00, v4
	v_and_b32_e32 v7, 0x3f00, v7
	v_or_b32_e32 v6, v8, v6
	v_add_nc_u16 v8, 0xe000, v11
	v_and_or_b32 v11, 0x30303030, v20, v15
	v_lshrrev_b16 v9, 8, v9
	v_lshrrev_b32_e32 v2, 4, v2
	v_add_nc_u16 v6, 0xe000, v6
	v_lshrrev_b16 v8, 8, v8
	v_lshlrev_b16 v15, 8, v11
	v_or_b32_e32 v4, v4, v9
	v_and_b32_e32 v9, 0x3f00, v11
	v_lshrrev_b32_e32 v11, 16, v11
	v_or_b32_e32 v7, v7, v8
	v_add_nc_u16 v8, 0xe000, v15
	v_add_nc_u16 v4, 0xe000, v4
	v_and_b32_e32 v2, 0xf0f0f0f, v2
	v_and_b32_e32 v5, 0xffff, v5
	v_add_nc_u16 v7, 0xe000, v7
	v_lshrrev_b16 v8, 8, v8
	v_lshlrev_b32_e32 v6, 16, v6
	v_and_b32_e32 v4, 0xffff, v4
	v_and_or_b32 v2, 0x30303030, v3, v2
	v_lshlrev_b32_e32 v7, 16, v7
	v_or_b32_e32 v8, v9, v8
	v_lshlrev_b16 v9, 8, v11
	v_or_b32_e32 v3, v5, v6
	ds_store_2addr_b32 v185, v37, v39 offset0:8 offset1:24
	v_or_b32_e32 v4, v4, v7
	v_add_nc_u16 v5, 0xe000, v8
	v_add_nc_u16 v6, 0xe000, v9
	v_lshlrev_b16 v7, 8, v2
	v_lshrrev_b32_e32 v8, 16, v2
	v_and_b32_e32 v9, 0x3f00, v11
	s_wait_loadcnt 0x10
	v_ashrrev_i32_e32 v11, v117, v30
	v_and_b32_e32 v20, 0xf0f0f0f, v29
	v_add_nc_u16 v7, 0xe000, v7
	v_lshlrev_b16 v15, 8, v8
	v_lshrrev_b16 v6, 8, v6
	v_lshlrev_b32_e32 v23, 4, v11
	v_and_b32_e32 v2, 0x3f00, v2
	v_lshrrev_b16 v7, 8, v7
	v_add_nc_u16 v15, 0xe000, v15
	v_or_b32_e32 v6, v9, v6
	v_and_or_b32 v20, 0x30303030, v23, v20
	v_lshrrev_b32_e32 v23, 4, v29
	v_or_b32_e32 v2, v2, v7
	v_and_b32_e32 v7, 0x3f00, v8
	v_lshrrev_b16 v8, 8, v15
	v_lshrrev_b32_e32 v9, 16, v20
	v_lshlrev_b16 v15, 8, v20
	v_add_nc_u16 v6, 0xe000, v6
	v_add_nc_u16 v2, 0xe000, v2
	v_or_b32_e32 v7, v7, v8
	v_lshlrev_b16 v8, 8, v9
	v_add_nc_u16 v15, 0xe000, v15
	v_and_b32_e32 v5, 0xffff, v5
	v_lshlrev_b32_e32 v6, 16, v6
	v_add_nc_u16 v7, 0xe000, v7
	v_add_nc_u16 v8, 0xe000, v8
	v_and_b32_e32 v2, 0xffff, v2
	v_and_b32_e32 v20, 0x3f00, v20
	v_lshrrev_b16 v15, 8, v15
	v_and_b32_e32 v9, 0x3f00, v9
	v_lshrrev_b16 v8, 8, v8
	v_and_b32_e32 v23, 0xf0f0f0f, v23
	v_lshlrev_b32_e32 v7, 16, v7
	v_or_b32_e32 v5, v5, v6
	v_or_b32_e32 v6, v20, v15
	;; [unrolled: 1-line block ×3, first 2 shown]
	v_and_or_b32 v9, 0x30303030, v11, v23
	v_or_b32_e32 v2, v2, v7
	s_mov_b32 s12, -1
	v_add_nc_u16 v6, 0xe000, v6
	v_add_nc_u16 v8, 0xe000, v8
	v_lshlrev_b16 v11, 8, v9
	v_lshrrev_b32_e32 v23, 16, v9
	v_and_b32_e32 v9, 0x3f00, v9
	s_wait_loadcnt 0xf
	v_and_b32_e32 v15, 0xf0f0f0f, v31
	s_wait_loadcnt 0xe
	v_ashrrev_i32_e32 v7, v117, v32
	v_and_b32_e32 v6, 0xffff, v6
	v_add_nc_u16 v11, 0xe000, v11
	v_lshlrev_b32_e32 v8, 16, v8
	v_lshrrev_b32_e32 v24, 4, v31
	v_lshlrev_b32_e32 v20, 4, v7
	s_delay_alu instid0(VALU_DEP_4) | instskip(NEXT) | instid1(VALU_DEP_4)
	v_lshrrev_b16 v11, 8, v11
	v_or_b32_e32 v6, v6, v8
	s_delay_alu instid0(VALU_DEP_3) | instskip(SKIP_1) | instid1(VALU_DEP_4)
	v_and_or_b32 v15, 0x30303030, v20, v15
	v_lshlrev_b16 v20, 8, v23
	v_or_b32_e32 v9, v9, v11
	v_and_b32_e32 v11, 0x3f00, v23
	v_and_b32_e32 v23, 0xf0f0f0f, v24
	v_lshlrev_b16 v8, 8, v15
	v_add_nc_u16 v20, 0xe000, v20
	v_lshrrev_b32_e32 v24, 16, v15
	v_and_b32_e32 v15, 0x3f00, v15
	v_and_or_b32 v7, 0x30303030, v7, v23
	v_add_nc_u16 v8, 0xe000, v8
	v_lshrrev_b16 v20, 8, v20
	v_lshlrev_b16 v23, 8, v24
	v_add_nc_u16 v9, 0xe000, v9
	s_delay_alu instid0(VALU_DEP_4) | instskip(NEXT) | instid1(VALU_DEP_4)
	v_lshrrev_b16 v8, 8, v8
	v_or_b32_e32 v11, v11, v20
	s_delay_alu instid0(VALU_DEP_4)
	v_add_nc_u16 v20, 0xe000, v23
	v_and_b32_e32 v23, 0x3f00, v24
	v_and_b32_e32 v24, 0x3f00, v7
	v_or_b32_e32 v8, v15, v8
	v_lshlrev_b16 v15, 8, v7
	v_lshrrev_b16 v20, 8, v20
	v_lshrrev_b32_e32 v7, 16, v7
	v_add_nc_u16 v11, 0xe000, v11
	v_add_nc_u16 v8, 0xe000, v8
	;; [unrolled: 1-line block ×3, first 2 shown]
	v_or_b32_e32 v20, v23, v20
	v_lshlrev_b16 v27, 8, v7
	v_and_b32_e32 v7, 0x3f00, v7
	v_and_b32_e32 v8, 0xffff, v8
	v_lshrrev_b16 v15, 8, v15
	v_add_nc_u16 v20, 0xe000, v20
	s_wait_loadcnt 0xd
	v_lshrrev_b32_e32 v25, 4, v35
	s_wait_loadcnt 0xc
	v_ashrrev_i32_e32 v23, v117, v36
	v_and_b32_e32 v9, 0xffff, v9
	v_or_b32_e32 v15, v24, v15
	v_and_b32_e32 v24, 0xf0f0f0f, v35
	v_and_b32_e32 v25, 0xf0f0f0f, v25
	v_lshlrev_b32_e32 v26, 4, v23
	v_lshlrev_b32_e32 v20, 16, v20
	v_add_nc_u16 v15, 0xe000, v15
	v_lshlrev_b32_e32 v11, 16, v11
	v_and_or_b32 v23, 0x30303030, v23, v25
	v_and_or_b32 v24, 0x30303030, v26, v24
	v_add_nc_u16 v26, 0xe000, v27
	v_and_b32_e32 v15, 0xffff, v15
	v_or_b32_e32 v8, v8, v20
	v_lshrrev_b32_e32 v28, 16, v23
	v_lshrrev_b32_e32 v25, 16, v24
	v_lshlrev_b16 v27, 8, v24
	v_lshlrev_b16 v30, 8, v23
	v_lshrrev_b16 v26, 8, v26
	v_lshlrev_b16 v31, 8, v28
	v_lshlrev_b16 v29, 8, v25
	v_add_nc_u16 v27, 0xe000, v27
	v_add_nc_u16 v30, 0xe000, v30
	v_and_b32_e32 v24, 0x3f00, v24
	v_add_nc_u16 v31, 0xe000, v31
	v_add_nc_u16 v29, 0xe000, v29
	v_lshrrev_b16 v27, 8, v27
	v_and_b32_e32 v25, 0x3f00, v25
	v_and_b32_e32 v23, 0x3f00, v23
	v_lshrrev_b16 v30, 8, v30
	v_lshrrev_b16 v29, 8, v29
	v_and_b32_e32 v28, 0x3f00, v28
	v_lshrrev_b16 v31, 8, v31
	v_or_b32_e32 v7, v7, v26
	v_or_b32_e32 v24, v24, v27
	;; [unrolled: 1-line block ×5, first 2 shown]
	v_add_nc_u16 v7, 0xe000, v7
	v_add_nc_u16 v24, 0xe000, v24
	;; [unrolled: 1-line block ×5, first 2 shown]
	v_lshlrev_b32_e32 v7, 16, v7
	v_and_b32_e32 v24, 0xffff, v24
	v_lshlrev_b32_e32 v25, 16, v25
	v_and_b32_e32 v23, 0xffff, v23
	v_lshlrev_b32_e32 v26, 16, v26
	v_add_nc_u32_e32 v20, 0x5960, v118
	v_or_b32_e32 v9, v9, v11
	v_or_b32_e32 v7, v15, v7
	;; [unrolled: 1-line block ×4, first 2 shown]
	ds_store_2addr_b32 v20, v3, v4 offset1:16
	ds_store_2addr_b32 v128, v5, v2 offset1:16
	;; [unrolled: 1-line block ×5, first 2 shown]
	s_wait_loadcnt 0xb
	v_cvt_f32_f16_e32 v2, v43
	s_wait_loadcnt 0x8
	v_cvt_f32_f16_e32 v3, v19
	ds_store_b32 v137, v44
	ds_store_b32 v140, v45
	s_wait_loadcnt 0x7
	ds_store_b32 v172, v0
	s_wait_loadcnt 0x6
	;; [unrolled: 2-line block ×4, first 2 shown]
	ds_store_b32 v178, v13
	ds_store_b32 v135, v2
	s_wait_loadcnt 0x0
	ds_store_b32 v173, v10
	ds_store_b32 v175, v14
	ds_store_b32 v177, v22
	ds_store_b32 v179, v21
	ds_store_b32 v141, v3
	s_wait_storecnt_dscnt 0x0
	s_barrier_signal -1
	s_barrier_wait -1
	global_inv scope:SCOPE_SE
	ds_load_b32 v194, v154
	ds_load_b32 v195, v155 offset:128
	ds_load_b32 v196, v156 offset:256
	;; [unrolled: 1-line block ×3, first 2 shown]
.LBB175_6:                              ;   Parent Loop BB175_5 Depth=1
                                        ; =>  This Inner Loop Header: Depth=2
	s_wait_alu 0xfffe
	s_lshl_b32 s13, s16, 1
	v_lshlrev_b32_e32 v188, 2, v153
	s_wait_alu 0xfffe
	v_or_b32_e32 v0, s13, v124
	s_lshr_b32 s17, s16, 1
	s_lshl_b32 s16, s16, 3
	s_wait_alu 0xfffe
	s_add_co_i32 s17, s17, 0xa200
	v_lshlrev_b32_e32 v191, 2, v151
	v_lshlrev_b32_e32 v1, 2, v0
	v_lshrrev_b32_e32 v0, 1, v0
	s_and_b32 vcc_lo, exec_lo, s12
	s_mov_b32 s12, 0
	ds_load_b128 v[4:7], v1 offset:33280
	ds_load_b128 v[198:201], v1 offset:33296
	;; [unrolled: 1-line block ×4, first 2 shown]
	ds_load_b64 v[68:69], v0 offset:43584
	v_lshlrev_b32_e32 v189, 2, v138
	v_add_nc_u32_e32 v33, s16, v165
	v_lshlrev_b32_e32 v190, 2, v150
	ds_load_2addr_b32 v[25:26], v33 offset0:6 offset1:7
	ds_load_2addr_b32 v[29:30], v33 offset0:4 offset1:5
	s_wait_alu 0xfffe
	v_add3_u32 v0, s17, v188, v189
	ds_load_2addr_b32 v[23:24], v33 offset0:2 offset1:3
	ds_load_2addr_b32 v[27:28], v33 offset1:1
	ds_load_b32 v36, v0
	ds_load_u16 v236, v33 offset:32
	ds_load_b128 v[0:3], v33 offset:34
	ds_load_b64 v[51:52], v33 offset:50
	ds_load_u16 v237, v33 offset:58
	ds_load_b32 v231, v33 offset:60
	v_lshlrev_b32_e32 v192, 2, v152
	s_wait_dscnt 0xe
	v_lshrrev_b16 v9, 8, v5
	s_wait_dscnt 0xd
	v_lshrrev_b16 v8, 8, v199
	s_wait_dscnt 0xc
	v_bfe_i32 v13, v239, 16, 8
	s_wait_dscnt 0xb
	v_bfe_i32 v11, v243, 16, 8
	v_bfe_i32 v38, v244, 16, 8
	v_ashrrev_i32_e32 v40, 24, v243
	v_bfe_i32 v39, v244, 0, 8
	v_bfe_i32 v10, v244, 8, 8
	;; [unrolled: 1-line block ×4, first 2 shown]
	s_wait_dscnt 0x9
	v_bfe_i32 v47, v26, 8, 8
	s_wait_dscnt 0x8
	v_lshrrev_b16 v34, 8, v30
	v_ashrrev_i32_e32 v45, 24, v200
	v_bfe_i32 v46, v200, 16, 8
	s_wait_dscnt 0x3
	v_bfe_i32 v234, v2, 0, 8
	s_wait_dscnt 0x2
	;; [unrolled: 2-line block ×3, first 2 shown]
	v_lshrrev_b16 v41, 8, v237
	v_bfe_i32 v42, v237, 0, 8
	v_bfe_i32 v44, v52, 8, 8
	;; [unrolled: 1-line block ×3, first 2 shown]
	v_mul_i32_i24_e32 v11, v37, v11
	v_ashrrev_i32_e32 v37, 24, v244
	v_bfe_i32 v41, v41, 0, 8
	v_mul_i32_i24_e32 v38, v42, v38
	v_perm_b32 v42, v245, v243, 0xc0c0600
	v_mul_i32_i24_e32 v40, v44, v40
	v_mul_i32_i24_e32 v39, v43, v39
	;; [unrolled: 1-line block ×3, first 2 shown]
	s_wait_dscnt 0x0
	v_perm_b32 v41, v231, v51, 0xc0c0602
	v_ashrrev_i32_e32 v33, 24, v52
	v_bfe_i32 v233, v2, 8, 8
	v_ashrrev_i32_e32 v232, 24, v1
	v_bfe_i32 v43, v201, 8, 8
	v_dot4_i32_iu8 v38, v41, v42, v38 neg_lo:[1,1,0]
	v_perm_b32 v41, v231, v51, 0xc0c0400
	v_perm_b32 v42, v245, v242, 0xc0c0402
	v_bfe_i32 v34, v34, 0, 8
	v_bfe_i32 v44, v201, 0, 8
	;; [unrolled: 1-line block ×3, first 2 shown]
	v_ashrrev_i32_e32 v49, 24, v25
	v_dot4_i32_iu8 v40, v41, v42, v40 neg_lo:[1,1,0]
	v_perm_b32 v41, v231, v51, 0xc0c0703
	v_perm_b32 v42, v245, v243, 0xc0c0701
	v_bfe_i32 v50, v25, 16, 8
	v_mul_i32_i24_e32 v43, v47, v43
	v_add_nc_u32_e32 v38, v40, v38
	v_bfe_i32 v40, v242, 0, 8
	v_dot4_i32_iu8 v37, v41, v42, v37 neg_lo:[1,1,0]
	v_perm_b32 v41, v231, v51, 0xc0c0501
	v_perm_b32 v42, v245, v242, 0xc0c0503
	v_mul_i32_i24_e32 v8, v34, v8
	v_mul_i32_i24_e32 v46, v50, v46
	;; [unrolled: 1-line block ×4, first 2 shown]
	v_dot4_i32_iu8 v39, v41, v42, v39 neg_lo:[1,1,0]
	v_ashrrev_i32_e32 v41, 24, v3
	v_bfe_i32 v42, v3, 16, 8
	v_bfe_i32 v19, v201, 16, 8
	;; [unrolled: 1-line block ×3, first 2 shown]
	v_add_nc_u32_e32 v37, v39, v37
	v_bfe_i32 v39, v242, 8, 8
	v_mul_i32_i24_e32 v40, v42, v40
	v_bfe_i32 v42, v30, 16, 8
	v_bfe_i32 v14, v200, 8, 8
	;; [unrolled: 1-line block ×3, first 2 shown]
	v_mul_i32_i24_e32 v39, v41, v39
	v_mad_i32_i24 v10, v33, v10, v40
	v_bfe_i32 v33, v240, 16, 8
	v_bfe_i32 v40, v1, 8, 8
	;; [unrolled: 1-line block ×3, first 2 shown]
	v_add3_u32 v37, v38, v37, v39
	v_ashrrev_i32_e32 v38, 24, v239
	v_bfe_i32 v39, v1, 16, 8
	v_mul_i32_i24_e32 v33, v234, v33
	v_bfe_i32 v34, v25, 0, 8
	v_add3_u32 v10, v37, v10, v11
	v_bfe_i32 v37, v240, 0, 8
	v_bfe_i32 v11, v1, 0, 8
	v_mul_i32_i24_e32 v38, v40, v38
	v_perm_b32 v40, v241, v239, 0xc0c0600
	v_mul_i32_i24_e32 v19, v47, v19
	v_mul_i32_i24_e32 v37, v39, v37
	v_perm_b32 v39, v3, v0, 0xc0c0402
	v_mul_i32_i24_e32 v11, v11, v13
	v_ashrrev_i32_e32 v13, 24, v240
	v_ashrrev_i32_e32 v20, 24, v201
	v_lshrrev_b16 v35, 8, v28
	v_dot4_i32_iu8 v33, v39, v40, v33 neg_lo:[1,1,0]
	v_perm_b32 v39, v2, v0, 0xc0c0600
	v_perm_b32 v40, v241, v238, 0xc0c0402
	v_mul_i32_i24_e32 v13, v233, v13
	v_ashrrev_i32_e32 v47, 24, v26
	v_bfe_i32 v9, v9, 0, 8
	v_bfe_i32 v35, v35, 0, 8
	v_dot4_i32_iu8 v38, v39, v40, v38 neg_lo:[1,1,0]
	v_perm_b32 v39, v3, v0, 0xc0c0503
	v_perm_b32 v40, v241, v239, 0xc0c0701
	v_mul_i32_i24_e32 v20, v47, v20
	v_mul_i32_i24_e32 v9, v35, v9
	v_add_nc_u32_e32 v33, v38, v33
	v_bfe_i32 v38, v238, 0, 8
	v_dot4_i32_iu8 v13, v39, v40, v13 neg_lo:[1,1,0]
	v_perm_b32 v39, v2, v0, 0xc0c0701
	v_perm_b32 v40, v241, v238, 0xc0c0503
	v_bfe_i32 v31, v7, 16, 8
	v_bfe_i32 v21, v6, 8, 8
	;; [unrolled: 1-line block ×4, first 2 shown]
	v_dot4_i32_iu8 v37, v39, v40, v37 neg_lo:[1,1,0]
	v_lshrrev_b16 v39, 8, v236
	v_ashrrev_i32_e32 v40, 24, v30
	v_ashrrev_i32_e32 v32, 24, v7
	v_bfe_i32 v225, v36, 8, 8
	v_add_nc_u32_e32 v13, v37, v13
	v_bfe_i32 v37, v238, 8, 8
	v_bfe_i32 v235, v39, 0, 8
	;; [unrolled: 1-line block ×5, first 2 shown]
	v_ashrrev_i32_e32 v228, 24, v36
	v_mul_i32_i24_e32 v37, v235, v37
	v_mul_i32_i24_e32 v38, v39, v38
	v_bfe_i32 v39, v199, 16, 8
	v_perm_b32 v180, v240, v239, 0x7060403
	v_perm_b32 v181, v199, v198, 0x6040503
	v_add3_u32 v13, v33, v13, v37
	v_mad_i32_i24 v12, v232, v12, v38
	v_ashrrev_i32_e32 v37, 24, v29
	v_bfe_i32 v33, v198, 16, 8
	v_bfe_i32 v38, v29, 16, 8
	v_mad_i32_i24 v39, v42, v39, v44
	v_add3_u32 v11, v13, v12, v11
	v_ashrrev_i32_e32 v13, 24, v198
	v_bfe_i32 v12, v25, 8, 8
	v_mul_i32_i24_e32 v33, v38, v33
	v_bfe_i32 v38, v199, 0, 8
	v_bfe_i32 v42, v24, 8, 8
	v_mul_i32_i24_e32 v13, v37, v13
	v_ashrrev_i32_e32 v37, 24, v199
	v_ashrrev_i32_e32 v44, 24, v23
	v_mad_i32_i24 v38, v41, v38, v46
	v_bfe_i32 v41, v6, 16, 8
	v_perm_b32 v182, v200, v199, 0x7060403
	v_mad_i32_i24 v37, v40, v37, v43
	v_bfe_i32 v40, v29, 0, 8
	v_bfe_i32 v43, v24, 0, 8
	v_perm_b32 v183, v5, v4, 0x6040503
	v_perm_b32 v199, v6, v5, 0x7060403
	v_add3_u32 v8, v8, v45, v37
	v_bfe_i32 v37, v198, 8, 8
	v_bfe_i32 v45, v23, 16, 8
	s_delay_alu instid0(VALU_DEP_3) | instskip(SKIP_2) | instid1(VALU_DEP_4)
	v_add3_u32 v8, v38, v39, v8
	v_bfe_i32 v39, v29, 8, 8
	v_bfe_i32 v38, v198, 0, 8
	v_mul_i32_i24_e32 v41, v45, v41
	s_delay_alu instid0(VALU_DEP_3) | instskip(NEXT) | instid1(VALU_DEP_3)
	v_mul_i32_i24_e32 v37, v39, v37
	v_mul_i32_i24_e32 v38, v40, v38
	v_bfe_i32 v39, v7, 0, 8
	v_ashrrev_i32_e32 v40, 24, v6
	s_delay_alu instid0(VALU_DEP_4)
	v_mad_i32_i24 v12, v12, v14, v37
	v_mad_i32_i24 v14, v34, v15, v19
	v_ashrrev_i32_e32 v15, 24, v27
	v_bfe_i32 v19, v27, 16, 8
	v_bfe_i32 v34, v28, 0, 8
	v_add3_u32 v8, v8, v38, v12
	v_add3_u32 v12, v33, v13, v14
	v_ashrrev_i32_e32 v13, 24, v4
	v_bfe_i32 v38, v7, 8, 8
	v_bfe_i32 v14, v4, 16, 8
	v_ashrrev_i32_e32 v33, 24, v28
	v_add3_u32 v8, v8, v12, v20
	v_mul_i32_i24_e32 v13, v15, v13
	v_ashrrev_i32_e32 v15, 24, v5
	v_mul_i32_i24_e32 v38, v42, v38
	v_mul_i32_i24_e32 v14, v19, v14
	v_bfe_i32 v19, v5, 0, 8
	v_bfe_i32 v20, v5, 16, 8
	;; [unrolled: 1-line block ×3, first 2 shown]
	v_mul_i32_i24_e32 v40, v44, v40
	v_mul_i32_i24_e32 v39, v43, v39
	v_mad_i32_i24 v15, v33, v15, v38
	v_mad_i32_i24 v19, v34, v19, v41
	v_bfe_i32 v42, v24, 16, 8
	v_bfe_i32 v12, v23, 8, 8
	v_mad_i32_i24 v20, v37, v20, v39
	v_add3_u32 v9, v9, v40, v15
	v_bfe_i32 v15, v4, 8, 8
	v_mul_i32_i24_e32 v31, v42, v31
	v_bfe_i32 v33, v27, 0, 8
	v_ashrrev_i32_e32 v42, 24, v24
	v_add3_u32 v9, v19, v20, v9
	v_bfe_i32 v20, v27, 8, 8
	v_bfe_i32 v19, v4, 0, 8
	v_mul_lo_u32 v8, v8, v225
	v_mul_i32_i24_e32 v32, v42, v32
	v_perm_b32 v41, v244, v243, 0x7060403
	v_mul_i32_i24_e32 v15, v20, v15
	v_mul_i32_i24_e32 v19, v33, v19
	s_delay_alu instid0(VALU_DEP_2) | instskip(SKIP_1) | instid1(VALU_DEP_2)
	v_mad_i32_i24 v12, v12, v21, v15
	v_mad_i32_i24 v15, v35, v22, v31
	v_add3_u32 v9, v9, v19, v12
	s_delay_alu instid0(VALU_DEP_2) | instskip(NEXT) | instid1(VALU_DEP_1)
	v_add3_u32 v12, v14, v13, v15
	v_add3_u32 v9, v9, v12, v32
	s_delay_alu instid0(VALU_DEP_1) | instskip(NEXT) | instid1(VALU_DEP_1)
	v_mad_co_u64_u32 v[8:9], null, v9, v226, v[8:9]
	v_cvt_f32_i32_e32 v8, v8
	s_delay_alu instid0(VALU_DEP_1) | instskip(SKIP_1) | instid1(VALU_DEP_1)
	v_fma_f32 v12, v68, v8, 0
	v_mul_lo_u32 v8, v11, v227
	v_mad_co_u64_u32 v[8:9], null, v10, v228, v[8:9]
	v_add_nc_u32_e32 v9, s16, v167
	s_delay_alu instid0(VALU_DEP_2) | instskip(NEXT) | instid1(VALU_DEP_1)
	v_cvt_f32_i32_e32 v8, v8
	v_fmac_f32_e32 v12, v69, v8
	v_add3_u32 v8, s17, v190, v166
	ds_load_2addr_b32 v[37:38], v9 offset0:6 offset1:7
	ds_load_2addr_b32 v[55:56], v9 offset0:4 offset1:5
	;; [unrolled: 1-line block ×3, first 2 shown]
	ds_load_2addr_b32 v[53:54], v9 offset1:1
	ds_load_b32 v10, v8
	ds_load_2addr_b32 v[47:48], v9 offset0:14 offset1:15
	ds_load_2addr_b32 v[64:65], v9 offset0:12 offset1:13
	;; [unrolled: 1-line block ×4, first 2 shown]
	v_fmac_f32_e32 v99, v194, v12
	s_wait_dscnt 0x7
	v_perm_b32 v215, v56, v55, 0x6040503
	s_wait_dscnt 0x6
	v_perm_b32 v13, v4, v35, 0x6050401
	v_perm_b32 v216, v37, v56, 0x7060403
	s_wait_dscnt 0x5
	v_perm_b32 v218, v54, v53, 0x6040503
	s_wait_dscnt 0x3
	;; [unrolled: 2-line block ×3, first 2 shown]
	v_perm_b32 v8, v64, v244, 0x6040501
	v_perm_b32 v12, v65, v242, 0x6040503
	;; [unrolled: 1-line block ×3, first 2 shown]
	s_wait_dscnt 0x1
	v_perm_b32 v9, v238, v49, 0x6040501
	s_wait_dscnt 0x0
	v_perm_b32 v230, v49, v67, 0x7060403
	v_dot4_i32_iu8 v8, v11, v8, 0 neg_lo:[1,1,0]
	v_perm_b32 v11, v243, v64, 0x6040503
	v_perm_b32 v219, v35, v54, 0x7060403
	v_bfe_i32 v217, v10, 8, 8
	v_bfe_i32 v220, v10, 0, 8
	;; [unrolled: 1-line block ×3, first 2 shown]
	v_dot4_i32_iu8 v8, v12, v11, v8 neg_lo:[1,1,0]
	v_perm_b32 v12, v67, v238, 0x6040503
	v_ashrrev_i32_e32 v222, 24, v10
	s_delay_alu instid0(VALU_DEP_3) | instskip(NEXT) | instid1(VALU_DEP_1)
	v_dot4_i32_iu8 v8, v41, v229, v8 neg_lo:[1,1,0]
	v_dot4_i32_iu8 v11, v245, v48, v8 neg_lo:[1,1,0]
	v_perm_b32 v8, v66, v240, 0x6040501
	s_delay_alu instid0(VALU_DEP_1) | instskip(SKIP_1) | instid1(VALU_DEP_1)
	v_dot4_i32_iu8 v8, v9, v8, 0 neg_lo:[1,1,0]
	v_perm_b32 v9, v239, v66, 0x6040503
	v_dot4_i32_iu8 v8, v12, v9, v8 neg_lo:[1,1,0]
	v_perm_b32 v9, v198, v37, 0x6050401
	s_delay_alu instid0(VALU_DEP_2) | instskip(NEXT) | instid1(VALU_DEP_1)
	v_dot4_i32_iu8 v8, v180, v230, v8 neg_lo:[1,1,0]
	v_dot4_i32_iu8 v12, v241, v50, v8 neg_lo:[1,1,0]
	v_perm_b32 v8, v55, v200, 0x6050401
	s_delay_alu instid0(VALU_DEP_1) | instskip(SKIP_1) | instid1(VALU_DEP_2)
	v_dot4_i32_iu8 v8, v9, v8, 0 neg_lo:[1,1,0]
	v_perm_b32 v9, v53, v6, 0x6050401
	v_dot4_i32_iu8 v8, v181, v215, v8 neg_lo:[1,1,0]
	s_delay_alu instid0(VALU_DEP_2) | instskip(NEXT) | instid1(VALU_DEP_2)
	v_dot4_i32_iu8 v9, v13, v9, 0 neg_lo:[1,1,0]
	v_dot4_i32_iu8 v8, v182, v216, v8 neg_lo:[1,1,0]
	s_delay_alu instid0(VALU_DEP_2) | instskip(NEXT) | instid1(VALU_DEP_2)
	v_dot4_i32_iu8 v9, v183, v218, v9 neg_lo:[1,1,0]
	;; [unrolled: 3-line block ×3, first 2 shown]
	v_mul_lo_u32 v8, v8, v217
	s_delay_alu instid0(VALU_DEP_2) | instskip(NEXT) | instid1(VALU_DEP_1)
	v_dot4_i32_iu8 v5, v36, v7, v5 neg_lo:[1,1,0]
	v_mad_co_u64_u32 v[8:9], null, v5, v220, v[8:9]
	s_delay_alu instid0(VALU_DEP_1) | instskip(NEXT) | instid1(VALU_DEP_1)
	v_cvt_f32_i32_e32 v5, v8
	v_fma_f32 v13, v68, v5, 0
	v_mul_lo_u32 v5, v12, v221
	s_delay_alu instid0(VALU_DEP_1) | instskip(NEXT) | instid1(VALU_DEP_1)
	v_mad_co_u64_u32 v[8:9], null, v11, v222, v[5:6]
	v_cvt_f32_i32_e32 v5, v8
	v_add_nc_u32_e32 v8, s16, v169
	s_delay_alu instid0(VALU_DEP_2) | instskip(SKIP_1) | instid1(VALU_DEP_2)
	v_fmac_f32_e32 v13, v69, v5
	v_add3_u32 v5, s17, v191, v168
	v_fmac_f32_e32 v120, v195, v13
	ds_load_2addr_b32 v[33:34], v8 offset0:6 offset1:7
	ds_load_2addr_b32 v[14:15], v8 offset0:4 offset1:5
	ds_load_2addr_b32 v[31:32], v8 offset0:2 offset1:3
	ds_load_2addr_b32 v[12:13], v8 offset1:1
	ds_load_b32 v10, v5
	ds_load_2addr_b32 v[43:44], v8 offset0:14 offset1:15
	ds_load_2addr_b32 v[60:61], v8 offset0:12 offset1:13
	;; [unrolled: 1-line block ×4, first 2 shown]
	s_wait_dscnt 0x7
	v_perm_b32 v205, v15, v14, 0x6040503
	v_perm_b32 v206, v33, v15, 0x7060403
	s_wait_dscnt 0x5
	v_perm_b32 v208, v13, v12, 0x6040503
	v_perm_b32 v209, v31, v13, 0x7060403
	s_wait_dscnt 0x3
	v_perm_b32 v9, v242, v43, 0x6040501
	s_wait_dscnt 0x2
	v_perm_b32 v5, v60, v244, 0x6040501
	v_perm_b32 v11, v61, v242, 0x6040503
	v_perm_b32 v223, v43, v61, 0x7060403
	s_wait_dscnt 0x1
	v_perm_b32 v8, v238, v45, 0x6040501
	s_wait_dscnt 0x0
	v_perm_b32 v224, v45, v63, 0x7060403
	v_dot4_i32_iu8 v5, v9, v5, 0 neg_lo:[1,1,0]
	v_perm_b32 v9, v243, v60, 0x6040503
	v_bfe_i32 v207, v10, 8, 8
	v_bfe_i32 v210, v10, 0, 8
	;; [unrolled: 1-line block ×3, first 2 shown]
	v_ashrrev_i32_e32 v212, 24, v10
	v_dot4_i32_iu8 v5, v11, v9, v5 neg_lo:[1,1,0]
	v_perm_b32 v9, v63, v238, 0x6040503
	v_perm_b32 v43, v60, v43, 0x6040501
	;; [unrolled: 1-line block ×3, first 2 shown]
	s_delay_alu instid0(VALU_DEP_4) | instskip(NEXT) | instid1(VALU_DEP_1)
	v_dot4_i32_iu8 v5, v41, v223, v5 neg_lo:[1,1,0]
	v_dot4_i32_iu8 v11, v245, v44, v5 neg_lo:[1,1,0]
	v_perm_b32 v5, v62, v240, 0x6040501
	s_delay_alu instid0(VALU_DEP_1) | instskip(SKIP_1) | instid1(VALU_DEP_1)
	v_dot4_i32_iu8 v5, v8, v5, 0 neg_lo:[1,1,0]
	v_perm_b32 v8, v239, v62, 0x6040503
	v_dot4_i32_iu8 v5, v9, v8, v5 neg_lo:[1,1,0]
	v_perm_b32 v8, v198, v33, 0x6050401
	v_perm_b32 v9, v4, v31, 0x6050401
	s_delay_alu instid0(VALU_DEP_3) | instskip(NEXT) | instid1(VALU_DEP_1)
	v_dot4_i32_iu8 v5, v180, v224, v5 neg_lo:[1,1,0]
	v_dot4_i32_iu8 v19, v241, v46, v5 neg_lo:[1,1,0]
	v_perm_b32 v5, v14, v200, 0x6050401
	s_delay_alu instid0(VALU_DEP_1) | instskip(SKIP_1) | instid1(VALU_DEP_2)
	v_dot4_i32_iu8 v5, v8, v5, 0 neg_lo:[1,1,0]
	v_perm_b32 v8, v12, v6, 0x6050401
	v_dot4_i32_iu8 v5, v181, v205, v5 neg_lo:[1,1,0]
	s_delay_alu instid0(VALU_DEP_2) | instskip(NEXT) | instid1(VALU_DEP_2)
	v_dot4_i32_iu8 v8, v9, v8, 0 neg_lo:[1,1,0]
	v_dot4_i32_iu8 v5, v182, v206, v5 neg_lo:[1,1,0]
	s_delay_alu instid0(VALU_DEP_2) | instskip(NEXT) | instid1(VALU_DEP_2)
	v_dot4_i32_iu8 v8, v183, v208, v8 neg_lo:[1,1,0]
	;; [unrolled: 3-line block ×3, first 2 shown]
	v_mul_lo_u32 v5, v5, v207
	s_delay_alu instid0(VALU_DEP_2) | instskip(NEXT) | instid1(VALU_DEP_1)
	v_dot4_i32_iu8 v8, v32, v7, v8 neg_lo:[1,1,0]
	v_mad_co_u64_u32 v[8:9], null, v8, v210, v[5:6]
	s_delay_alu instid0(VALU_DEP_1) | instskip(NEXT) | instid1(VALU_DEP_1)
	v_cvt_f32_i32_e32 v5, v8
	v_fma_f32 v13, v68, v5, 0
	v_mul_lo_u32 v5, v19, v211
	s_delay_alu instid0(VALU_DEP_1) | instskip(NEXT) | instid1(VALU_DEP_1)
	v_mad_co_u64_u32 v[8:9], null, v11, v212, v[5:6]
	v_cvt_f32_i32_e32 v5, v8
	s_delay_alu instid0(VALU_DEP_1) | instskip(SKIP_1) | instid1(VALU_DEP_2)
	v_fmac_f32_e32 v13, v69, v5
	v_add3_u32 v5, s17, v192, v170
	v_fmac_f32_e32 v111, v196, v13
	v_add_nc_u32_e32 v13, s16, v171
	ds_load_2addr_b32 v[21:22], v13 offset0:6 offset1:7
	ds_load_2addr_b32 v[10:11], v13 offset0:4 offset1:5
	;; [unrolled: 1-line block ×3, first 2 shown]
	ds_load_2addr_b32 v[8:9], v13 offset1:1
	ds_load_b32 v15, v5
	ds_load_2addr_b32 v[39:40], v13 offset0:14 offset1:15
	ds_load_2addr_b32 v[56:57], v13 offset0:12 offset1:13
	s_mov_b32 s16, 8
	s_wait_dscnt 0x5
	v_perm_b32 v204, v11, v10, 0x6040503
	v_perm_b32 v203, v21, v11, 0x7060403
	s_wait_dscnt 0x3
	v_perm_b32 v6, v8, v6, 0x6050401
	v_perm_b32 v4, v4, v19, 0x6050401
	s_wait_dscnt 0x1
	v_perm_b32 v42, v242, v39, 0x6040501
	s_wait_dscnt 0x0
	v_perm_b32 v5, v56, v244, 0x6040501
	v_perm_b32 v54, v57, v242, 0x6040503
	v_perm_b32 v213, v39, v57, 0x7060403
	v_dot4_i32_iu8 v4, v4, v6, 0 neg_lo:[1,1,0]
	v_bfe_i32 v202, v15, 8, 8
	v_dot4_i32_iu8 v5, v42, v5, 0 neg_lo:[1,1,0]
	v_perm_b32 v42, v243, v56, 0x6040503
	v_perm_b32 v243, v0, v236, 0x7050400
	;; [unrolled: 1-line block ×4, first 2 shown]
	s_delay_alu instid0(VALU_DEP_4) | instskip(NEXT) | instid1(VALU_DEP_1)
	v_dot4_i32_iu8 v5, v54, v42, v5 neg_lo:[1,1,0]
	v_dot4_i32_iu8 v5, v41, v213, v5 neg_lo:[1,1,0]
	ds_load_2addr_b32 v[41:42], v13 offset0:10 offset1:11
	ds_load_2addr_b32 v[58:59], v13 offset0:8 offset1:9
	v_dot4_i32_iu8 v242, v245, v40, v5 neg_lo:[1,1,0]
	v_perm_b32 v245, v3, v2, 0x5040203
	s_wait_dscnt 0x1
	v_perm_b32 v13, v238, v41, 0x6040501
	s_wait_dscnt 0x0
	v_perm_b32 v5, v58, v240, 0x6040501
	v_perm_b32 v54, v59, v238, 0x6040503
	;; [unrolled: 1-line block ×4, first 2 shown]
	s_delay_alu instid0(VALU_DEP_4) | instskip(SKIP_1) | instid1(VALU_DEP_1)
	v_dot4_i32_iu8 v5, v13, v5, 0 neg_lo:[1,1,0]
	v_perm_b32 v13, v239, v58, 0x6040503
	v_dot4_i32_iu8 v5, v54, v13, v5 neg_lo:[1,1,0]
	v_perm_b32 v54, v198, v21, 0x6050401
	v_ashrrev_i32_e32 v198, 24, v15
	v_perm_b32 v21, v10, v21, 0x6050401
	s_delay_alu instid0(VALU_DEP_4) | instskip(NEXT) | instid1(VALU_DEP_1)
	v_dot4_i32_iu8 v5, v180, v214, v5 neg_lo:[1,1,0]
	v_dot4_i32_iu8 v13, v241, v42, v5 neg_lo:[1,1,0]
	v_perm_b32 v5, v10, v200, 0x6050401
	v_perm_b32 v200, v19, v9, 0x7060403
	;; [unrolled: 1-line block ×4, first 2 shown]
	s_delay_alu instid0(VALU_DEP_4) | instskip(SKIP_1) | instid1(VALU_DEP_2)
	v_dot4_i32_iu8 v5, v54, v5, 0 neg_lo:[1,1,0]
	v_bfe_i32 v54, v15, 16, 8
	v_dot4_i32_iu8 v5, v181, v204, v5 neg_lo:[1,1,0]
	s_delay_alu instid0(VALU_DEP_1) | instskip(NEXT) | instid1(VALU_DEP_1)
	v_dot4_i32_iu8 v5, v182, v203, v5 neg_lo:[1,1,0]
	v_dot4_i32_iu8 v5, v22, v201, v5 neg_lo:[1,1,0]
	v_perm_b32 v201, v9, v8, 0x6040503
	s_delay_alu instid0(VALU_DEP_2) | instskip(NEXT) | instid1(VALU_DEP_2)
	v_mul_lo_u32 v5, v5, v202
	v_dot4_i32_iu8 v4, v183, v201, v4 neg_lo:[1,1,0]
	s_delay_alu instid0(VALU_DEP_1) | instskip(SKIP_1) | instid1(VALU_DEP_2)
	v_dot4_i32_iu8 v4, v199, v200, v4 neg_lo:[1,1,0]
	v_bfe_i32 v199, v15, 0, 8
	v_dot4_i32_iu8 v4, v20, v7, v4 neg_lo:[1,1,0]
	s_delay_alu instid0(VALU_DEP_1) | instskip(NEXT) | instid1(VALU_DEP_1)
	v_mad_co_u64_u32 v[4:5], null, v4, v199, v[5:6]
	v_cvt_f32_i32_e32 v4, v4
	s_delay_alu instid0(VALU_DEP_1) | instskip(SKIP_1) | instid1(VALU_DEP_1)
	v_fma_f32 v6, v68, v4, 0
	v_mul_lo_u32 v4, v13, v54
	v_mad_co_u64_u32 v[4:5], null, v242, v198, v[4:5]
	v_perm_b32 v242, v237, v52, 0x5040201
	v_perm_b32 v237, v28, v27, 0x6040503
	s_delay_alu instid0(VALU_DEP_3) | instskip(NEXT) | instid1(VALU_DEP_1)
	v_cvt_f32_i32_e32 v4, v4
	v_fmac_f32_e32 v6, v69, v4
	v_or_b32_e32 v4, s13, v158
	s_delay_alu instid0(VALU_DEP_2) | instskip(NEXT) | instid1(VALU_DEP_2)
	v_fmac_f32_e32 v105, v197, v6
	v_lshlrev_b32_e32 v9, 2, v4
	v_lshrrev_b32_e32 v11, 1, v4
	ds_load_b128 v[4:7], v9 offset:33280
	ds_load_b128 v[246:249], v9 offset:33296
	;; [unrolled: 1-line block ×4, first 2 shown]
	ds_load_b64 v[68:69], v11 offset:43584
	s_wait_dscnt 0x3
	v_perm_b32 v3, v247, v246, 0x6040503
	s_wait_dscnt 0x2
	v_bfe_i32 v9, v252, 8, 8
	v_bfe_i32 v11, v250, 8, 8
	s_wait_dscnt 0x1
	v_perm_b32 v239, v182, v182, 0xc0c0c01
	v_bfe_i32 v13, v252, 16, 8
	v_ashrrev_i32_e32 v15, 24, v252
	v_mul_i32_i24_e32 v9, v9, v232
	v_perm_b32 v238, v180, v52, 0x6040503
	v_or_b32_e32 v239, v240, v239
	v_perm_b32 v125, v181, v180, 0x6040503
	v_mul_i32_i24_e32 v13, v234, v13
	v_mad_i32_i24 v9, v235, v11, v9
	v_perm_b32 v11, v251, v250, 0x5030200
	v_dot4_i32_iu8 v238, v239, v238, 0 neg_lo:[1,1,0]
	v_mul_i32_i24_e32 v15, v233, v15
	v_perm_b32 v181, v182, v181, 0x7060403
	v_perm_b32 v1, v253, v253, 0x3020001
	v_dot4_i32_iu8 v9, v243, v11, v9 neg_lo:[1,1,0]
	v_perm_b32 v11, v252, v251, 0x4030200
	v_dot4_i32_iu8 v51, v125, v241, v238 neg_lo:[1,1,0]
	v_perm_b32 v238, v23, v28, 0x7060403
	s_delay_alu instid0(VALU_DEP_3) | instskip(NEXT) | instid1(VALU_DEP_3)
	v_dot4_i32_iu8 v0, v244, v11, v9 neg_lo:[1,1,0]
	v_dot4_i32_iu8 v51, v242, v181, v51 neg_lo:[1,1,0]
	v_perm_b32 v11, v27, v6, 0x6050401
	v_perm_b32 v9, v248, v247, 0x7060403
	s_delay_alu instid0(VALU_DEP_4) | instskip(NEXT) | instid1(VALU_DEP_4)
	v_add3_u32 v0, v0, v13, v15
	v_dot4_i32_iu8 v239, v231, v183, v51 neg_lo:[1,1,0]
	v_perm_b32 v51, v30, v29, 0x6040503
	v_perm_b32 v15, v250, v252, 0x6040501
	;; [unrolled: 1-line block ×3, first 2 shown]
	v_dot4_i32_iu8 v2, v245, v1, v0 neg_lo:[1,1,0]
	v_perm_b32 v0, v246, v25, 0x6050401
	v_perm_b32 v1, v29, v248, 0x6050401
	s_delay_alu instid0(VALU_DEP_1) | instskip(SKIP_1) | instid1(VALU_DEP_2)
	v_dot4_i32_iu8 v0, v1, v0, 0 neg_lo:[1,1,0]
	v_perm_b32 v1, v4, v23, 0x6050401
	v_dot4_i32_iu8 v0, v51, v3, v0 neg_lo:[1,1,0]
	s_delay_alu instid0(VALU_DEP_2) | instskip(SKIP_4) | instid1(VALU_DEP_4)
	v_dot4_i32_iu8 v1, v11, v1, 0 neg_lo:[1,1,0]
	v_perm_b32 v11, v5, v4, 0x6040503
	v_perm_b32 v5, v6, v5, 0x7060403
	;; [unrolled: 1-line block ×3, first 2 shown]
	v_dot4_i32_iu8 v0, v236, v9, v0 neg_lo:[1,1,0]
	v_dot4_i32_iu8 v1, v237, v11, v1 neg_lo:[1,1,0]
	s_delay_alu instid0(VALU_DEP_2) | instskip(NEXT) | instid1(VALU_DEP_2)
	v_dot4_i32_iu8 v0, v249, v26, v0 neg_lo:[1,1,0]
	v_dot4_i32_iu8 v1, v238, v5, v1 neg_lo:[1,1,0]
	s_delay_alu instid0(VALU_DEP_2) | instskip(NEXT) | instid1(VALU_DEP_2)
	v_mul_lo_u32 v0, v0, v225
	v_dot4_i32_iu8 v1, v7, v24, v1 neg_lo:[1,1,0]
	s_delay_alu instid0(VALU_DEP_1) | instskip(NEXT) | instid1(VALU_DEP_1)
	v_mad_co_u64_u32 v[0:1], null, v1, v226, v[0:1]
	v_cvt_f32_i32_e32 v0, v0
	s_wait_dscnt 0x0
	s_delay_alu instid0(VALU_DEP_1)
	v_fma_f32 v13, v68, v0, 0
	v_mul_lo_u32 v0, v239, v228
	v_perm_b32 v239, v64, v47, 0x6040501
	v_perm_b32 v64, v65, v64, 0x6040503
	;; [unrolled: 1-line block ×7, first 2 shown]
	v_mad_co_u64_u32 v[0:1], null, v2, v227, v[0:1]
	v_perm_b32 v2, v180, v182, 0x6040501
	v_perm_b32 v180, v246, v248, 0x6050401
	s_delay_alu instid0(VALU_DEP_4)
	v_dot4_i32_iu8 v1, v4, v49, 0 neg_lo:[1,1,0]
	v_perm_b32 v53, v61, v60, 0x6040503
	v_perm_b32 v55, v63, v62, 0x6040503
	;; [unrolled: 1-line block ×3, first 2 shown]
	v_cvt_f32_i32_e32 v0, v0
	v_dot4_i32_iu8 v1, v11, v218, v1 neg_lo:[1,1,0]
	v_perm_b32 v37, v57, v56, 0x6040503
	v_perm_b32 v39, v58, v41, 0x6040501
	;; [unrolled: 1-line block ×3, first 2 shown]
	v_fmac_f32_e32 v13, v69, v0
	v_dot4_i32_iu8 v0, v2, v239, 0 neg_lo:[1,1,0]
	v_dot4_i32_iu8 v1, v5, v219, v1 neg_lo:[1,1,0]
	s_delay_alu instid0(VALU_DEP_3) | instskip(NEXT) | instid1(VALU_DEP_3)
	v_fmac_f32_e32 v103, v194, v13
	v_dot4_i32_iu8 v0, v125, v64, v0 neg_lo:[1,1,0]
	s_delay_alu instid0(VALU_DEP_3) | instskip(NEXT) | instid1(VALU_DEP_2)
	v_dot4_i32_iu8 v1, v7, v36, v1 neg_lo:[1,1,0]
	v_dot4_i32_iu8 v0, v181, v229, v0 neg_lo:[1,1,0]
	s_delay_alu instid0(VALU_DEP_1) | instskip(SKIP_1) | instid1(VALU_DEP_1)
	v_dot4_i32_iu8 v13, v183, v48, v0 neg_lo:[1,1,0]
	v_dot4_i32_iu8 v0, v15, v65, 0 neg_lo:[1,1,0]
	;; [unrolled: 1-line block ×3, first 2 shown]
	s_delay_alu instid0(VALU_DEP_1) | instskip(NEXT) | instid1(VALU_DEP_1)
	v_dot4_i32_iu8 v0, v67, v230, v0 neg_lo:[1,1,0]
	v_dot4_i32_iu8 v28, v253, v50, v0 neg_lo:[1,1,0]
	;; [unrolled: 1-line block ×3, first 2 shown]
	s_delay_alu instid0(VALU_DEP_1) | instskip(NEXT) | instid1(VALU_DEP_1)
	v_dot4_i32_iu8 v0, v3, v215, v0 neg_lo:[1,1,0]
	v_dot4_i32_iu8 v0, v9, v216, v0 neg_lo:[1,1,0]
	s_delay_alu instid0(VALU_DEP_1) | instskip(NEXT) | instid1(VALU_DEP_1)
	v_dot4_i32_iu8 v0, v249, v38, v0 neg_lo:[1,1,0]
	v_mul_lo_u32 v0, v0, v217
	s_delay_alu instid0(VALU_DEP_1) | instskip(NEXT) | instid1(VALU_DEP_1)
	v_mad_co_u64_u32 v[0:1], null, v1, v220, v[0:1]
	v_cvt_f32_i32_e32 v0, v0
	s_delay_alu instid0(VALU_DEP_1) | instskip(SKIP_1) | instid1(VALU_DEP_1)
	v_fma_f32 v6, v68, v0, 0
	v_mul_lo_u32 v0, v13, v222
	v_mad_co_u64_u32 v[0:1], null, v28, v221, v[0:1]
	v_perm_b32 v28, v14, v33, 0x6050401
	v_perm_b32 v33, v12, v31, 0x6050401
	s_delay_alu instid0(VALU_DEP_3) | instskip(NEXT) | instid1(VALU_DEP_2)
	v_cvt_f32_i32_e32 v0, v0
	v_dot4_i32_iu8 v1, v4, v33, 0 neg_lo:[1,1,0]
	s_delay_alu instid0(VALU_DEP_2) | instskip(SKIP_1) | instid1(VALU_DEP_3)
	v_fmac_f32_e32 v6, v69, v0
	v_dot4_i32_iu8 v0, v2, v43, 0 neg_lo:[1,1,0]
	v_dot4_i32_iu8 v1, v11, v208, v1 neg_lo:[1,1,0]
	s_delay_alu instid0(VALU_DEP_3) | instskip(NEXT) | instid1(VALU_DEP_3)
	v_fmac_f32_e32 v100, v195, v6
	v_dot4_i32_iu8 v0, v125, v53, v0 neg_lo:[1,1,0]
	s_delay_alu instid0(VALU_DEP_3) | instskip(NEXT) | instid1(VALU_DEP_2)
	v_dot4_i32_iu8 v1, v5, v209, v1 neg_lo:[1,1,0]
	v_dot4_i32_iu8 v0, v181, v223, v0 neg_lo:[1,1,0]
	s_delay_alu instid0(VALU_DEP_2) | instskip(NEXT) | instid1(VALU_DEP_2)
	v_dot4_i32_iu8 v1, v7, v32, v1 neg_lo:[1,1,0]
	v_dot4_i32_iu8 v6, v183, v44, v0 neg_lo:[1,1,0]
	;; [unrolled: 1-line block ×3, first 2 shown]
	s_delay_alu instid0(VALU_DEP_1) | instskip(NEXT) | instid1(VALU_DEP_1)
	v_dot4_i32_iu8 v0, v30, v55, v0 neg_lo:[1,1,0]
	v_dot4_i32_iu8 v0, v67, v224, v0 neg_lo:[1,1,0]
	s_delay_alu instid0(VALU_DEP_1) | instskip(SKIP_1) | instid1(VALU_DEP_1)
	v_dot4_i32_iu8 v13, v253, v46, v0 neg_lo:[1,1,0]
	v_dot4_i32_iu8 v0, v180, v28, 0 neg_lo:[1,1,0]
	;; [unrolled: 1-line block ×3, first 2 shown]
	s_delay_alu instid0(VALU_DEP_1) | instskip(NEXT) | instid1(VALU_DEP_1)
	v_dot4_i32_iu8 v0, v9, v206, v0 neg_lo:[1,1,0]
	v_dot4_i32_iu8 v0, v249, v34, v0 neg_lo:[1,1,0]
	s_delay_alu instid0(VALU_DEP_1) | instskip(NEXT) | instid1(VALU_DEP_1)
	v_mul_lo_u32 v0, v0, v207
	v_mad_co_u64_u32 v[0:1], null, v1, v210, v[0:1]
	s_delay_alu instid0(VALU_DEP_1) | instskip(NEXT) | instid1(VALU_DEP_1)
	v_cvt_f32_i32_e32 v0, v0
	v_fma_f32 v12, v68, v0, 0
	v_mul_lo_u32 v0, v6, v212
	s_delay_alu instid0(VALU_DEP_1) | instskip(SKIP_1) | instid1(VALU_DEP_1)
	v_mad_co_u64_u32 v[0:1], null, v13, v211, v[0:1]
	v_dot4_i32_iu8 v1, v4, v19, 0 neg_lo:[1,1,0]
	v_dot4_i32_iu8 v1, v11, v201, v1 neg_lo:[1,1,0]
	s_delay_alu instid0(VALU_DEP_3) | instskip(NEXT) | instid1(VALU_DEP_2)
	v_cvt_f32_i32_e32 v0, v0
	v_dot4_i32_iu8 v1, v5, v200, v1 neg_lo:[1,1,0]
	s_delay_alu instid0(VALU_DEP_2) | instskip(SKIP_1) | instid1(VALU_DEP_3)
	v_fmac_f32_e32 v12, v69, v0
	v_dot4_i32_iu8 v0, v2, v35, 0 neg_lo:[1,1,0]
	v_dot4_i32_iu8 v1, v7, v20, v1 neg_lo:[1,1,0]
	s_delay_alu instid0(VALU_DEP_3) | instskip(NEXT) | instid1(VALU_DEP_3)
	v_fmac_f32_e32 v98, v196, v12
	v_dot4_i32_iu8 v0, v125, v37, v0 neg_lo:[1,1,0]
	s_delay_alu instid0(VALU_DEP_1) | instskip(NEXT) | instid1(VALU_DEP_1)
	v_dot4_i32_iu8 v0, v181, v213, v0 neg_lo:[1,1,0]
	v_dot4_i32_iu8 v2, v183, v40, v0 neg_lo:[1,1,0]
	;; [unrolled: 1-line block ×3, first 2 shown]
	s_delay_alu instid0(VALU_DEP_1) | instskip(NEXT) | instid1(VALU_DEP_1)
	v_dot4_i32_iu8 v0, v30, v41, v0 neg_lo:[1,1,0]
	v_dot4_i32_iu8 v0, v67, v214, v0 neg_lo:[1,1,0]
	s_delay_alu instid0(VALU_DEP_1) | instskip(SKIP_1) | instid1(VALU_DEP_1)
	v_dot4_i32_iu8 v6, v253, v42, v0 neg_lo:[1,1,0]
	v_dot4_i32_iu8 v0, v180, v21, 0 neg_lo:[1,1,0]
	;; [unrolled: 1-line block ×3, first 2 shown]
	s_delay_alu instid0(VALU_DEP_1) | instskip(NEXT) | instid1(VALU_DEP_1)
	v_dot4_i32_iu8 v0, v9, v203, v0 neg_lo:[1,1,0]
	v_dot4_i32_iu8 v0, v249, v22, v0 neg_lo:[1,1,0]
	s_delay_alu instid0(VALU_DEP_1) | instskip(NEXT) | instid1(VALU_DEP_1)
	v_mul_lo_u32 v0, v0, v202
	v_mad_co_u64_u32 v[0:1], null, v1, v199, v[0:1]
	s_delay_alu instid0(VALU_DEP_1) | instskip(NEXT) | instid1(VALU_DEP_1)
	v_cvt_f32_i32_e32 v0, v0
	v_fma_f32 v3, v68, v0, 0
	v_mul_lo_u32 v0, v2, v198
	s_delay_alu instid0(VALU_DEP_1) | instskip(NEXT) | instid1(VALU_DEP_1)
	v_mad_co_u64_u32 v[0:1], null, v6, v54, v[0:1]
	v_cvt_f32_i32_e32 v0, v0
	s_delay_alu instid0(VALU_DEP_1) | instskip(SKIP_1) | instid1(VALU_DEP_1)
	v_fmac_f32_e32 v3, v69, v0
	v_or_b32_e32 v0, s13, v159
	v_dual_fmac_f32 v97, v197, v3 :: v_dual_lshlrev_b32 v12, 2, v0
	v_lshrrev_b32_e32 v30, 1, v0
	ds_load_b128 v[0:3], v12 offset:33280
	ds_load_b128 v[4:7], v12 offset:33296
	;; [unrolled: 1-line block ×4, first 2 shown]
	ds_load_b64 v[30:31], v30 offset:43584
	s_wait_dscnt 0x4
	v_perm_b32 v63, v1, v0, 0x6040503
	s_wait_dscnt 0x3
	v_perm_b32 v62, v6, v5, 0x7060403
	s_wait_dscnt 0x2
	v_bfe_i32 v56, v10, 8, 8
	v_bfe_i32 v57, v8, 8, 8
	;; [unrolled: 1-line block ×3, first 2 shown]
	v_ashrrev_i32_e32 v59, 24, v10
	s_wait_dscnt 0x1
	v_perm_b32 v61, v14, v14, 0xc0c0c01
	v_mul_i32_i24_e32 v56, v56, v232
	v_perm_b32 v67, v2, v1, 0x7060403
	v_mul_i32_i24_e32 v58, v234, v58
	v_mul_i32_i24_e32 v59, v233, v59
	v_perm_b32 v60, v12, v52, 0x6040503
	v_mad_i32_i24 v56, v235, v57, v56
	v_perm_b32 v57, v9, v8, 0x5030200
	v_or_b32_e32 v61, v240, v61
	s_delay_alu instid0(VALU_DEP_2) | instskip(SKIP_1) | instid1(VALU_DEP_3)
	v_dot4_i32_iu8 v56, v243, v57, v56 neg_lo:[1,1,0]
	v_perm_b32 v57, v10, v9, 0x4030200
	v_dot4_i32_iu8 v60, v61, v60, 0 neg_lo:[1,1,0]
	v_perm_b32 v61, v13, v12, 0x6040503
	v_perm_b32 v13, v14, v13, 0x7060403
	s_delay_alu instid0(VALU_DEP_4) | instskip(SKIP_1) | instid1(VALU_DEP_4)
	v_dot4_i32_iu8 v56, v244, v57, v56 neg_lo:[1,1,0]
	v_perm_b32 v57, v11, v11, 0x3020001
	v_dot4_i32_iu8 v60, v61, v241, v60 neg_lo:[1,1,0]
	s_delay_alu instid0(VALU_DEP_3) | instskip(SKIP_1) | instid1(VALU_DEP_3)
	v_add3_u32 v56, v56, v58, v59
	v_perm_b32 v59, v5, v4, 0x6040503
	v_dot4_i32_iu8 v60, v242, v13, v60 neg_lo:[1,1,0]
	s_delay_alu instid0(VALU_DEP_3) | instskip(SKIP_2) | instid1(VALU_DEP_4)
	v_dot4_i32_iu8 v58, v245, v57, v56 neg_lo:[1,1,0]
	v_perm_b32 v56, v4, v25, 0x6050401
	v_perm_b32 v57, v29, v6, 0x6050401
	v_dot4_i32_iu8 v60, v231, v15, v60 neg_lo:[1,1,0]
	v_perm_b32 v4, v4, v6, 0x6050401
	s_delay_alu instid0(VALU_DEP_3) | instskip(SKIP_1) | instid1(VALU_DEP_2)
	v_dot4_i32_iu8 v56, v57, v56, 0 neg_lo:[1,1,0]
	v_perm_b32 v57, v27, v2, 0x6050401
	v_dot4_i32_iu8 v56, v51, v59, v56 neg_lo:[1,1,0]
	s_delay_alu instid0(VALU_DEP_1) | instskip(SKIP_1) | instid1(VALU_DEP_2)
	v_dot4_i32_iu8 v5, v236, v62, v56 neg_lo:[1,1,0]
	v_perm_b32 v56, v0, v23, 0x6050401
	v_dot4_i32_iu8 v5, v7, v26, v5 neg_lo:[1,1,0]
	s_delay_alu instid0(VALU_DEP_2) | instskip(NEXT) | instid1(VALU_DEP_2)
	v_dot4_i32_iu8 v56, v57, v56, 0 neg_lo:[1,1,0]
	v_mul_lo_u32 v5, v5, v225
	s_delay_alu instid0(VALU_DEP_2) | instskip(NEXT) | instid1(VALU_DEP_1)
	v_dot4_i32_iu8 v56, v237, v63, v56 neg_lo:[1,1,0]
	v_dot4_i32_iu8 v1, v238, v67, v56 neg_lo:[1,1,0]
	s_delay_alu instid0(VALU_DEP_1) | instskip(NEXT) | instid1(VALU_DEP_1)
	v_dot4_i32_iu8 v1, v3, v24, v1 neg_lo:[1,1,0]
	v_mad_co_u64_u32 v[56:57], null, v1, v226, v[5:6]
	s_delay_alu instid0(VALU_DEP_1) | instskip(SKIP_1) | instid1(VALU_DEP_1)
	v_cvt_f32_i32_e32 v1, v56
	s_wait_dscnt 0x0
	v_fma_f32 v5, v30, v1, 0
	v_mul_lo_u32 v1, v60, v228
	s_delay_alu instid0(VALU_DEP_1) | instskip(SKIP_1) | instid1(VALU_DEP_1)
	v_mad_co_u64_u32 v[56:57], null, v58, v227, v[1:2]
	v_perm_b32 v2, v0, v2, 0x6050401
	v_dot4_i32_iu8 v0, v2, v49, 0 neg_lo:[1,1,0]
	s_delay_alu instid0(VALU_DEP_3) | instskip(NEXT) | instid1(VALU_DEP_2)
	v_cvt_f32_i32_e32 v1, v56
	v_dot4_i32_iu8 v0, v63, v218, v0 neg_lo:[1,1,0]
	s_delay_alu instid0(VALU_DEP_2) | instskip(NEXT) | instid1(VALU_DEP_2)
	v_fmac_f32_e32 v5, v31, v1
	v_dot4_i32_iu8 v0, v67, v219, v0 neg_lo:[1,1,0]
	s_delay_alu instid0(VALU_DEP_2)
	v_fmac_f32_e32 v96, v194, v5
	v_perm_b32 v5, v12, v14, 0x6040501
	v_perm_b32 v14, v8, v10, 0x6040501
	;; [unrolled: 1-line block ×4, first 2 shown]
	v_dot4_i32_iu8 v0, v3, v36, v0 neg_lo:[1,1,0]
	v_dot4_i32_iu8 v1, v5, v239, 0 neg_lo:[1,1,0]
	s_delay_alu instid0(VALU_DEP_1) | instskip(NEXT) | instid1(VALU_DEP_1)
	v_dot4_i32_iu8 v1, v61, v64, v1 neg_lo:[1,1,0]
	v_dot4_i32_iu8 v1, v13, v229, v1 neg_lo:[1,1,0]
	s_delay_alu instid0(VALU_DEP_1) | instskip(SKIP_1) | instid1(VALU_DEP_1)
	v_dot4_i32_iu8 v12, v15, v48, v1 neg_lo:[1,1,0]
	v_dot4_i32_iu8 v1, v14, v65, 0 neg_lo:[1,1,0]
	;; [unrolled: 1-line block ×3, first 2 shown]
	s_delay_alu instid0(VALU_DEP_1) | instskip(NEXT) | instid1(VALU_DEP_1)
	v_dot4_i32_iu8 v1, v9, v230, v1 neg_lo:[1,1,0]
	v_dot4_i32_iu8 v10, v11, v50, v1 neg_lo:[1,1,0]
	v_dot4_i32_iu8 v1, v4, v47, 0 neg_lo:[1,1,0]
	s_delay_alu instid0(VALU_DEP_1) | instskip(NEXT) | instid1(VALU_DEP_1)
	v_dot4_i32_iu8 v1, v59, v215, v1 neg_lo:[1,1,0]
	v_dot4_i32_iu8 v1, v62, v216, v1 neg_lo:[1,1,0]
	s_delay_alu instid0(VALU_DEP_1) | instskip(NEXT) | instid1(VALU_DEP_1)
	v_dot4_i32_iu8 v1, v7, v38, v1 neg_lo:[1,1,0]
	v_mul_lo_u32 v1, v1, v217
	s_delay_alu instid0(VALU_DEP_1) | instskip(NEXT) | instid1(VALU_DEP_1)
	v_mad_co_u64_u32 v[0:1], null, v0, v220, v[1:2]
	v_cvt_f32_i32_e32 v0, v0
	s_delay_alu instid0(VALU_DEP_1) | instskip(SKIP_1) | instid1(VALU_DEP_1)
	v_fma_f32 v6, v30, v0, 0
	v_mul_lo_u32 v0, v12, v222
	v_mad_co_u64_u32 v[0:1], null, v10, v221, v[0:1]
	v_dot4_i32_iu8 v1, v2, v33, 0 neg_lo:[1,1,0]
	s_delay_alu instid0(VALU_DEP_1) | instskip(NEXT) | instid1(VALU_DEP_3)
	v_dot4_i32_iu8 v1, v63, v208, v1 neg_lo:[1,1,0]
	v_cvt_f32_i32_e32 v0, v0
	s_delay_alu instid0(VALU_DEP_2) | instskip(NEXT) | instid1(VALU_DEP_2)
	v_dot4_i32_iu8 v1, v67, v209, v1 neg_lo:[1,1,0]
	v_fmac_f32_e32 v6, v31, v0
	v_dot4_i32_iu8 v0, v5, v43, 0 neg_lo:[1,1,0]
	s_delay_alu instid0(VALU_DEP_3) | instskip(NEXT) | instid1(VALU_DEP_3)
	v_dot4_i32_iu8 v1, v3, v32, v1 neg_lo:[1,1,0]
	v_fmac_f32_e32 v95, v195, v6
	s_delay_alu instid0(VALU_DEP_3) | instskip(NEXT) | instid1(VALU_DEP_1)
	v_dot4_i32_iu8 v0, v61, v53, v0 neg_lo:[1,1,0]
	v_dot4_i32_iu8 v0, v13, v223, v0 neg_lo:[1,1,0]
	s_delay_alu instid0(VALU_DEP_1) | instskip(SKIP_1) | instid1(VALU_DEP_1)
	v_dot4_i32_iu8 v6, v15, v44, v0 neg_lo:[1,1,0]
	v_dot4_i32_iu8 v0, v14, v45, 0 neg_lo:[1,1,0]
	;; [unrolled: 1-line block ×3, first 2 shown]
	s_delay_alu instid0(VALU_DEP_1) | instskip(NEXT) | instid1(VALU_DEP_1)
	v_dot4_i32_iu8 v0, v9, v224, v0 neg_lo:[1,1,0]
	v_dot4_i32_iu8 v10, v11, v46, v0 neg_lo:[1,1,0]
	;; [unrolled: 1-line block ×3, first 2 shown]
	s_delay_alu instid0(VALU_DEP_1) | instskip(NEXT) | instid1(VALU_DEP_1)
	v_dot4_i32_iu8 v0, v59, v205, v0 neg_lo:[1,1,0]
	v_dot4_i32_iu8 v0, v62, v206, v0 neg_lo:[1,1,0]
	s_delay_alu instid0(VALU_DEP_1) | instskip(NEXT) | instid1(VALU_DEP_1)
	v_dot4_i32_iu8 v0, v7, v34, v0 neg_lo:[1,1,0]
	v_mul_lo_u32 v0, v0, v207
	s_delay_alu instid0(VALU_DEP_1) | instskip(NEXT) | instid1(VALU_DEP_1)
	v_mad_co_u64_u32 v[0:1], null, v1, v210, v[0:1]
	v_cvt_f32_i32_e32 v0, v0
	s_delay_alu instid0(VALU_DEP_1) | instskip(SKIP_1) | instid1(VALU_DEP_1)
	v_fma_f32 v12, v30, v0, 0
	v_mul_lo_u32 v0, v6, v212
	v_mad_co_u64_u32 v[0:1], null, v10, v211, v[0:1]
	v_dot4_i32_iu8 v1, v2, v19, 0 neg_lo:[1,1,0]
	s_delay_alu instid0(VALU_DEP_1) | instskip(NEXT) | instid1(VALU_DEP_3)
	v_dot4_i32_iu8 v1, v63, v201, v1 neg_lo:[1,1,0]
	v_cvt_f32_i32_e32 v0, v0
	s_delay_alu instid0(VALU_DEP_2) | instskip(NEXT) | instid1(VALU_DEP_2)
	v_dot4_i32_iu8 v1, v67, v200, v1 neg_lo:[1,1,0]
	v_fmac_f32_e32 v12, v31, v0
	v_dot4_i32_iu8 v0, v5, v35, 0 neg_lo:[1,1,0]
	s_delay_alu instid0(VALU_DEP_3) | instskip(NEXT) | instid1(VALU_DEP_3)
	v_dot4_i32_iu8 v1, v3, v20, v1 neg_lo:[1,1,0]
	v_fmac_f32_e32 v94, v196, v12
	s_delay_alu instid0(VALU_DEP_3) | instskip(NEXT) | instid1(VALU_DEP_1)
	v_dot4_i32_iu8 v0, v61, v37, v0 neg_lo:[1,1,0]
	v_dot4_i32_iu8 v0, v13, v213, v0 neg_lo:[1,1,0]
	s_delay_alu instid0(VALU_DEP_1) | instskip(SKIP_1) | instid1(VALU_DEP_1)
	v_dot4_i32_iu8 v5, v15, v40, v0 neg_lo:[1,1,0]
	v_dot4_i32_iu8 v0, v14, v39, 0 neg_lo:[1,1,0]
	v_dot4_i32_iu8 v0, v8, v41, v0 neg_lo:[1,1,0]
	s_delay_alu instid0(VALU_DEP_1) | instskip(NEXT) | instid1(VALU_DEP_1)
	v_dot4_i32_iu8 v0, v9, v214, v0 neg_lo:[1,1,0]
	v_dot4_i32_iu8 v6, v11, v42, v0 neg_lo:[1,1,0]
	;; [unrolled: 1-line block ×3, first 2 shown]
	s_delay_alu instid0(VALU_DEP_1) | instskip(NEXT) | instid1(VALU_DEP_1)
	v_dot4_i32_iu8 v0, v59, v204, v0 neg_lo:[1,1,0]
	v_dot4_i32_iu8 v0, v62, v203, v0 neg_lo:[1,1,0]
	s_delay_alu instid0(VALU_DEP_1) | instskip(NEXT) | instid1(VALU_DEP_1)
	v_dot4_i32_iu8 v0, v7, v22, v0 neg_lo:[1,1,0]
	v_mul_lo_u32 v0, v0, v202
	s_delay_alu instid0(VALU_DEP_1) | instskip(NEXT) | instid1(VALU_DEP_1)
	v_mad_co_u64_u32 v[0:1], null, v1, v199, v[0:1]
	v_cvt_f32_i32_e32 v0, v0
	s_delay_alu instid0(VALU_DEP_1) | instskip(SKIP_1) | instid1(VALU_DEP_1)
	v_fma_f32 v2, v30, v0, 0
	v_mul_lo_u32 v0, v5, v198
	v_mad_co_u64_u32 v[0:1], null, v6, v54, v[0:1]
	s_delay_alu instid0(VALU_DEP_1) | instskip(NEXT) | instid1(VALU_DEP_1)
	v_cvt_f32_i32_e32 v0, v0
	v_fmac_f32_e32 v2, v31, v0
	v_or_b32_e32 v0, s13, v160
	s_delay_alu instid0(VALU_DEP_2) | instskip(NEXT) | instid1(VALU_DEP_2)
	v_fmac_f32_e32 v92, v197, v2
	v_lshlrev_b32_e32 v12, 2, v0
	v_lshrrev_b32_e32 v30, 1, v0
	ds_load_b128 v[0:3], v12 offset:33280
	ds_load_b128 v[4:7], v12 offset:33296
	;; [unrolled: 1-line block ×4, first 2 shown]
	ds_load_b64 v[30:31], v30 offset:43584
	s_wait_dscnt 0x4
	v_perm_b32 v63, v1, v0, 0x6040503
	s_wait_dscnt 0x3
	v_perm_b32 v62, v6, v5, 0x7060403
	s_wait_dscnt 0x2
	v_bfe_i32 v56, v10, 8, 8
	v_bfe_i32 v57, v8, 8, 8
	v_bfe_i32 v58, v10, 16, 8
	v_ashrrev_i32_e32 v59, 24, v10
	s_wait_dscnt 0x1
	v_perm_b32 v61, v14, v14, 0xc0c0c01
	v_mul_i32_i24_e32 v56, v56, v232
	v_perm_b32 v67, v2, v1, 0x7060403
	v_mul_i32_i24_e32 v58, v234, v58
	v_mul_i32_i24_e32 v59, v233, v59
	v_perm_b32 v60, v12, v52, 0x6040503
	v_mad_i32_i24 v56, v235, v57, v56
	v_perm_b32 v57, v9, v8, 0x5030200
	v_or_b32_e32 v61, v240, v61
	s_delay_alu instid0(VALU_DEP_2) | instskip(SKIP_1) | instid1(VALU_DEP_3)
	v_dot4_i32_iu8 v56, v243, v57, v56 neg_lo:[1,1,0]
	v_perm_b32 v57, v10, v9, 0x4030200
	v_dot4_i32_iu8 v60, v61, v60, 0 neg_lo:[1,1,0]
	v_perm_b32 v61, v13, v12, 0x6040503
	v_perm_b32 v13, v14, v13, 0x7060403
	s_delay_alu instid0(VALU_DEP_4) | instskip(SKIP_1) | instid1(VALU_DEP_4)
	v_dot4_i32_iu8 v56, v244, v57, v56 neg_lo:[1,1,0]
	v_perm_b32 v57, v11, v11, 0x3020001
	v_dot4_i32_iu8 v60, v61, v241, v60 neg_lo:[1,1,0]
	s_delay_alu instid0(VALU_DEP_3) | instskip(SKIP_1) | instid1(VALU_DEP_3)
	v_add3_u32 v56, v56, v58, v59
	v_perm_b32 v59, v5, v4, 0x6040503
	v_dot4_i32_iu8 v60, v242, v13, v60 neg_lo:[1,1,0]
	s_delay_alu instid0(VALU_DEP_3) | instskip(SKIP_2) | instid1(VALU_DEP_4)
	v_dot4_i32_iu8 v58, v245, v57, v56 neg_lo:[1,1,0]
	v_perm_b32 v56, v4, v25, 0x6050401
	v_perm_b32 v57, v29, v6, 0x6050401
	v_dot4_i32_iu8 v60, v231, v15, v60 neg_lo:[1,1,0]
	v_perm_b32 v4, v4, v6, 0x6050401
	s_delay_alu instid0(VALU_DEP_3) | instskip(SKIP_1) | instid1(VALU_DEP_2)
	v_dot4_i32_iu8 v56, v57, v56, 0 neg_lo:[1,1,0]
	v_perm_b32 v57, v27, v2, 0x6050401
	v_dot4_i32_iu8 v56, v51, v59, v56 neg_lo:[1,1,0]
	s_delay_alu instid0(VALU_DEP_1) | instskip(SKIP_1) | instid1(VALU_DEP_2)
	v_dot4_i32_iu8 v5, v236, v62, v56 neg_lo:[1,1,0]
	v_perm_b32 v56, v0, v23, 0x6050401
	v_dot4_i32_iu8 v5, v7, v26, v5 neg_lo:[1,1,0]
	s_delay_alu instid0(VALU_DEP_2) | instskip(NEXT) | instid1(VALU_DEP_2)
	v_dot4_i32_iu8 v56, v57, v56, 0 neg_lo:[1,1,0]
	v_mul_lo_u32 v5, v5, v225
	s_delay_alu instid0(VALU_DEP_2) | instskip(NEXT) | instid1(VALU_DEP_1)
	v_dot4_i32_iu8 v56, v237, v63, v56 neg_lo:[1,1,0]
	v_dot4_i32_iu8 v1, v238, v67, v56 neg_lo:[1,1,0]
	s_delay_alu instid0(VALU_DEP_1) | instskip(NEXT) | instid1(VALU_DEP_1)
	v_dot4_i32_iu8 v1, v3, v24, v1 neg_lo:[1,1,0]
	v_mad_co_u64_u32 v[56:57], null, v1, v226, v[5:6]
	s_delay_alu instid0(VALU_DEP_1) | instskip(SKIP_1) | instid1(VALU_DEP_1)
	v_cvt_f32_i32_e32 v1, v56
	s_wait_dscnt 0x0
	v_fma_f32 v5, v30, v1, 0
	v_mul_lo_u32 v1, v60, v228
	s_delay_alu instid0(VALU_DEP_1) | instskip(SKIP_1) | instid1(VALU_DEP_1)
	v_mad_co_u64_u32 v[56:57], null, v58, v227, v[1:2]
	v_perm_b32 v2, v0, v2, 0x6050401
	v_dot4_i32_iu8 v0, v2, v49, 0 neg_lo:[1,1,0]
	s_delay_alu instid0(VALU_DEP_3) | instskip(NEXT) | instid1(VALU_DEP_2)
	v_cvt_f32_i32_e32 v1, v56
	v_dot4_i32_iu8 v0, v63, v218, v0 neg_lo:[1,1,0]
	s_delay_alu instid0(VALU_DEP_2) | instskip(NEXT) | instid1(VALU_DEP_2)
	v_fmac_f32_e32 v5, v31, v1
	v_dot4_i32_iu8 v0, v67, v219, v0 neg_lo:[1,1,0]
	s_delay_alu instid0(VALU_DEP_2)
	v_fmac_f32_e32 v91, v194, v5
	v_perm_b32 v5, v12, v14, 0x6040501
	v_perm_b32 v14, v8, v10, 0x6040501
	;; [unrolled: 1-line block ×4, first 2 shown]
	v_dot4_i32_iu8 v0, v3, v36, v0 neg_lo:[1,1,0]
	v_dot4_i32_iu8 v1, v5, v239, 0 neg_lo:[1,1,0]
	s_delay_alu instid0(VALU_DEP_1) | instskip(NEXT) | instid1(VALU_DEP_1)
	v_dot4_i32_iu8 v1, v61, v64, v1 neg_lo:[1,1,0]
	v_dot4_i32_iu8 v1, v13, v229, v1 neg_lo:[1,1,0]
	s_delay_alu instid0(VALU_DEP_1) | instskip(SKIP_1) | instid1(VALU_DEP_1)
	v_dot4_i32_iu8 v12, v15, v48, v1 neg_lo:[1,1,0]
	v_dot4_i32_iu8 v1, v14, v65, 0 neg_lo:[1,1,0]
	;; [unrolled: 1-line block ×3, first 2 shown]
	s_delay_alu instid0(VALU_DEP_1) | instskip(NEXT) | instid1(VALU_DEP_1)
	v_dot4_i32_iu8 v1, v9, v230, v1 neg_lo:[1,1,0]
	v_dot4_i32_iu8 v10, v11, v50, v1 neg_lo:[1,1,0]
	;; [unrolled: 1-line block ×3, first 2 shown]
	s_delay_alu instid0(VALU_DEP_1) | instskip(NEXT) | instid1(VALU_DEP_1)
	v_dot4_i32_iu8 v1, v59, v215, v1 neg_lo:[1,1,0]
	v_dot4_i32_iu8 v1, v62, v216, v1 neg_lo:[1,1,0]
	s_delay_alu instid0(VALU_DEP_1) | instskip(NEXT) | instid1(VALU_DEP_1)
	v_dot4_i32_iu8 v1, v7, v38, v1 neg_lo:[1,1,0]
	v_mul_lo_u32 v1, v1, v217
	s_delay_alu instid0(VALU_DEP_1) | instskip(NEXT) | instid1(VALU_DEP_1)
	v_mad_co_u64_u32 v[0:1], null, v0, v220, v[1:2]
	v_cvt_f32_i32_e32 v0, v0
	s_delay_alu instid0(VALU_DEP_1) | instskip(SKIP_1) | instid1(VALU_DEP_1)
	v_fma_f32 v6, v30, v0, 0
	v_mul_lo_u32 v0, v12, v222
	v_mad_co_u64_u32 v[0:1], null, v10, v221, v[0:1]
	v_dot4_i32_iu8 v1, v2, v33, 0 neg_lo:[1,1,0]
	s_delay_alu instid0(VALU_DEP_1) | instskip(NEXT) | instid1(VALU_DEP_3)
	v_dot4_i32_iu8 v1, v63, v208, v1 neg_lo:[1,1,0]
	v_cvt_f32_i32_e32 v0, v0
	s_delay_alu instid0(VALU_DEP_2) | instskip(NEXT) | instid1(VALU_DEP_2)
	v_dot4_i32_iu8 v1, v67, v209, v1 neg_lo:[1,1,0]
	v_fmac_f32_e32 v6, v31, v0
	v_dot4_i32_iu8 v0, v5, v43, 0 neg_lo:[1,1,0]
	s_delay_alu instid0(VALU_DEP_3) | instskip(NEXT) | instid1(VALU_DEP_3)
	v_dot4_i32_iu8 v1, v3, v32, v1 neg_lo:[1,1,0]
	v_fmac_f32_e32 v88, v195, v6
	s_delay_alu instid0(VALU_DEP_3) | instskip(NEXT) | instid1(VALU_DEP_1)
	v_dot4_i32_iu8 v0, v61, v53, v0 neg_lo:[1,1,0]
	v_dot4_i32_iu8 v0, v13, v223, v0 neg_lo:[1,1,0]
	s_delay_alu instid0(VALU_DEP_1) | instskip(SKIP_1) | instid1(VALU_DEP_1)
	v_dot4_i32_iu8 v6, v15, v44, v0 neg_lo:[1,1,0]
	v_dot4_i32_iu8 v0, v14, v45, 0 neg_lo:[1,1,0]
	;; [unrolled: 1-line block ×3, first 2 shown]
	s_delay_alu instid0(VALU_DEP_1) | instskip(NEXT) | instid1(VALU_DEP_1)
	v_dot4_i32_iu8 v0, v9, v224, v0 neg_lo:[1,1,0]
	v_dot4_i32_iu8 v10, v11, v46, v0 neg_lo:[1,1,0]
	;; [unrolled: 1-line block ×3, first 2 shown]
	s_delay_alu instid0(VALU_DEP_1) | instskip(NEXT) | instid1(VALU_DEP_1)
	v_dot4_i32_iu8 v0, v59, v205, v0 neg_lo:[1,1,0]
	v_dot4_i32_iu8 v0, v62, v206, v0 neg_lo:[1,1,0]
	s_delay_alu instid0(VALU_DEP_1) | instskip(NEXT) | instid1(VALU_DEP_1)
	v_dot4_i32_iu8 v0, v7, v34, v0 neg_lo:[1,1,0]
	v_mul_lo_u32 v0, v0, v207
	s_delay_alu instid0(VALU_DEP_1) | instskip(NEXT) | instid1(VALU_DEP_1)
	v_mad_co_u64_u32 v[0:1], null, v1, v210, v[0:1]
	v_cvt_f32_i32_e32 v0, v0
	s_delay_alu instid0(VALU_DEP_1) | instskip(SKIP_1) | instid1(VALU_DEP_1)
	v_fma_f32 v12, v30, v0, 0
	v_mul_lo_u32 v0, v6, v212
	v_mad_co_u64_u32 v[0:1], null, v10, v211, v[0:1]
	v_dot4_i32_iu8 v1, v2, v19, 0 neg_lo:[1,1,0]
	s_delay_alu instid0(VALU_DEP_1) | instskip(NEXT) | instid1(VALU_DEP_3)
	v_dot4_i32_iu8 v1, v63, v201, v1 neg_lo:[1,1,0]
	v_cvt_f32_i32_e32 v0, v0
	s_delay_alu instid0(VALU_DEP_2) | instskip(NEXT) | instid1(VALU_DEP_2)
	v_dot4_i32_iu8 v1, v67, v200, v1 neg_lo:[1,1,0]
	v_fmac_f32_e32 v12, v31, v0
	v_dot4_i32_iu8 v0, v5, v35, 0 neg_lo:[1,1,0]
	s_delay_alu instid0(VALU_DEP_3) | instskip(NEXT) | instid1(VALU_DEP_3)
	v_dot4_i32_iu8 v1, v3, v20, v1 neg_lo:[1,1,0]
	v_fmac_f32_e32 v87, v196, v12
	s_delay_alu instid0(VALU_DEP_3) | instskip(NEXT) | instid1(VALU_DEP_1)
	v_dot4_i32_iu8 v0, v61, v37, v0 neg_lo:[1,1,0]
	v_dot4_i32_iu8 v0, v13, v213, v0 neg_lo:[1,1,0]
	s_delay_alu instid0(VALU_DEP_1) | instskip(SKIP_1) | instid1(VALU_DEP_1)
	v_dot4_i32_iu8 v5, v15, v40, v0 neg_lo:[1,1,0]
	v_dot4_i32_iu8 v0, v14, v39, 0 neg_lo:[1,1,0]
	;; [unrolled: 1-line block ×3, first 2 shown]
	s_delay_alu instid0(VALU_DEP_1) | instskip(NEXT) | instid1(VALU_DEP_1)
	v_dot4_i32_iu8 v0, v9, v214, v0 neg_lo:[1,1,0]
	v_dot4_i32_iu8 v6, v11, v42, v0 neg_lo:[1,1,0]
	;; [unrolled: 1-line block ×3, first 2 shown]
	s_delay_alu instid0(VALU_DEP_1) | instskip(NEXT) | instid1(VALU_DEP_1)
	v_dot4_i32_iu8 v0, v59, v204, v0 neg_lo:[1,1,0]
	v_dot4_i32_iu8 v0, v62, v203, v0 neg_lo:[1,1,0]
	s_delay_alu instid0(VALU_DEP_1) | instskip(NEXT) | instid1(VALU_DEP_1)
	v_dot4_i32_iu8 v0, v7, v22, v0 neg_lo:[1,1,0]
	v_mul_lo_u32 v0, v0, v202
	s_delay_alu instid0(VALU_DEP_1) | instskip(NEXT) | instid1(VALU_DEP_1)
	v_mad_co_u64_u32 v[0:1], null, v1, v199, v[0:1]
	v_cvt_f32_i32_e32 v0, v0
	s_delay_alu instid0(VALU_DEP_1) | instskip(SKIP_1) | instid1(VALU_DEP_1)
	v_fma_f32 v2, v30, v0, 0
	v_mul_lo_u32 v0, v5, v198
	v_mad_co_u64_u32 v[0:1], null, v6, v54, v[0:1]
	s_delay_alu instid0(VALU_DEP_1) | instskip(NEXT) | instid1(VALU_DEP_1)
	v_cvt_f32_i32_e32 v0, v0
	v_fmac_f32_e32 v2, v31, v0
	v_or_b32_e32 v0, s13, v161
	s_delay_alu instid0(VALU_DEP_2) | instskip(NEXT) | instid1(VALU_DEP_2)
	v_fmac_f32_e32 v86, v197, v2
	v_lshlrev_b32_e32 v12, 2, v0
	v_lshrrev_b32_e32 v30, 1, v0
	ds_load_b128 v[0:3], v12 offset:33280
	ds_load_b128 v[4:7], v12 offset:33296
	;; [unrolled: 1-line block ×4, first 2 shown]
	ds_load_b64 v[30:31], v30 offset:43584
	s_wait_dscnt 0x4
	v_perm_b32 v63, v1, v0, 0x6040503
	s_wait_dscnt 0x3
	v_perm_b32 v62, v6, v5, 0x7060403
	s_wait_dscnt 0x2
	v_bfe_i32 v56, v10, 8, 8
	v_bfe_i32 v57, v8, 8, 8
	;; [unrolled: 1-line block ×3, first 2 shown]
	v_ashrrev_i32_e32 v59, 24, v10
	s_wait_dscnt 0x1
	v_perm_b32 v61, v14, v14, 0xc0c0c01
	v_mul_i32_i24_e32 v56, v56, v232
	v_perm_b32 v67, v2, v1, 0x7060403
	v_mul_i32_i24_e32 v58, v234, v58
	v_mul_i32_i24_e32 v59, v233, v59
	v_perm_b32 v60, v12, v52, 0x6040503
	v_mad_i32_i24 v56, v235, v57, v56
	v_perm_b32 v57, v9, v8, 0x5030200
	v_or_b32_e32 v61, v240, v61
	s_delay_alu instid0(VALU_DEP_2) | instskip(SKIP_1) | instid1(VALU_DEP_3)
	v_dot4_i32_iu8 v56, v243, v57, v56 neg_lo:[1,1,0]
	v_perm_b32 v57, v10, v9, 0x4030200
	v_dot4_i32_iu8 v60, v61, v60, 0 neg_lo:[1,1,0]
	v_perm_b32 v61, v13, v12, 0x6040503
	v_perm_b32 v13, v14, v13, 0x7060403
	s_delay_alu instid0(VALU_DEP_4) | instskip(SKIP_1) | instid1(VALU_DEP_4)
	v_dot4_i32_iu8 v56, v244, v57, v56 neg_lo:[1,1,0]
	v_perm_b32 v57, v11, v11, 0x3020001
	v_dot4_i32_iu8 v60, v61, v241, v60 neg_lo:[1,1,0]
	s_delay_alu instid0(VALU_DEP_3) | instskip(SKIP_1) | instid1(VALU_DEP_3)
	v_add3_u32 v56, v56, v58, v59
	v_perm_b32 v59, v5, v4, 0x6040503
	v_dot4_i32_iu8 v60, v242, v13, v60 neg_lo:[1,1,0]
	s_delay_alu instid0(VALU_DEP_3) | instskip(SKIP_2) | instid1(VALU_DEP_4)
	v_dot4_i32_iu8 v58, v245, v57, v56 neg_lo:[1,1,0]
	v_perm_b32 v56, v4, v25, 0x6050401
	v_perm_b32 v57, v29, v6, 0x6050401
	v_dot4_i32_iu8 v60, v231, v15, v60 neg_lo:[1,1,0]
	v_perm_b32 v4, v4, v6, 0x6050401
	s_delay_alu instid0(VALU_DEP_3) | instskip(SKIP_1) | instid1(VALU_DEP_2)
	v_dot4_i32_iu8 v56, v57, v56, 0 neg_lo:[1,1,0]
	v_perm_b32 v57, v27, v2, 0x6050401
	v_dot4_i32_iu8 v56, v51, v59, v56 neg_lo:[1,1,0]
	s_delay_alu instid0(VALU_DEP_1) | instskip(SKIP_1) | instid1(VALU_DEP_2)
	v_dot4_i32_iu8 v5, v236, v62, v56 neg_lo:[1,1,0]
	v_perm_b32 v56, v0, v23, 0x6050401
	v_dot4_i32_iu8 v5, v7, v26, v5 neg_lo:[1,1,0]
	s_delay_alu instid0(VALU_DEP_2) | instskip(NEXT) | instid1(VALU_DEP_2)
	v_dot4_i32_iu8 v56, v57, v56, 0 neg_lo:[1,1,0]
	v_mul_lo_u32 v5, v5, v225
	s_delay_alu instid0(VALU_DEP_2) | instskip(NEXT) | instid1(VALU_DEP_1)
	v_dot4_i32_iu8 v56, v237, v63, v56 neg_lo:[1,1,0]
	v_dot4_i32_iu8 v1, v238, v67, v56 neg_lo:[1,1,0]
	s_delay_alu instid0(VALU_DEP_1) | instskip(NEXT) | instid1(VALU_DEP_1)
	v_dot4_i32_iu8 v1, v3, v24, v1 neg_lo:[1,1,0]
	v_mad_co_u64_u32 v[56:57], null, v1, v226, v[5:6]
	s_delay_alu instid0(VALU_DEP_1) | instskip(SKIP_1) | instid1(VALU_DEP_1)
	v_cvt_f32_i32_e32 v1, v56
	s_wait_dscnt 0x0
	v_fma_f32 v5, v30, v1, 0
	v_mul_lo_u32 v1, v60, v228
	s_delay_alu instid0(VALU_DEP_1) | instskip(SKIP_1) | instid1(VALU_DEP_1)
	v_mad_co_u64_u32 v[56:57], null, v58, v227, v[1:2]
	v_perm_b32 v2, v0, v2, 0x6050401
	v_dot4_i32_iu8 v0, v2, v49, 0 neg_lo:[1,1,0]
	s_delay_alu instid0(VALU_DEP_3) | instskip(NEXT) | instid1(VALU_DEP_2)
	v_cvt_f32_i32_e32 v1, v56
	v_dot4_i32_iu8 v0, v63, v218, v0 neg_lo:[1,1,0]
	s_delay_alu instid0(VALU_DEP_2) | instskip(NEXT) | instid1(VALU_DEP_2)
	v_fmac_f32_e32 v5, v31, v1
	v_dot4_i32_iu8 v0, v67, v219, v0 neg_lo:[1,1,0]
	s_delay_alu instid0(VALU_DEP_2)
	v_fmac_f32_e32 v85, v194, v5
	v_perm_b32 v5, v12, v14, 0x6040501
	v_perm_b32 v14, v8, v10, 0x6040501
	;; [unrolled: 1-line block ×4, first 2 shown]
	v_dot4_i32_iu8 v0, v3, v36, v0 neg_lo:[1,1,0]
	v_dot4_i32_iu8 v1, v5, v239, 0 neg_lo:[1,1,0]
	s_delay_alu instid0(VALU_DEP_1) | instskip(NEXT) | instid1(VALU_DEP_1)
	v_dot4_i32_iu8 v1, v61, v64, v1 neg_lo:[1,1,0]
	v_dot4_i32_iu8 v1, v13, v229, v1 neg_lo:[1,1,0]
	s_delay_alu instid0(VALU_DEP_1) | instskip(SKIP_1) | instid1(VALU_DEP_1)
	v_dot4_i32_iu8 v12, v15, v48, v1 neg_lo:[1,1,0]
	v_dot4_i32_iu8 v1, v14, v65, 0 neg_lo:[1,1,0]
	v_dot4_i32_iu8 v1, v8, v66, v1 neg_lo:[1,1,0]
	s_delay_alu instid0(VALU_DEP_1) | instskip(NEXT) | instid1(VALU_DEP_1)
	v_dot4_i32_iu8 v1, v9, v230, v1 neg_lo:[1,1,0]
	v_dot4_i32_iu8 v10, v11, v50, v1 neg_lo:[1,1,0]
	v_dot4_i32_iu8 v1, v4, v47, 0 neg_lo:[1,1,0]
	s_delay_alu instid0(VALU_DEP_1) | instskip(NEXT) | instid1(VALU_DEP_1)
	v_dot4_i32_iu8 v1, v59, v215, v1 neg_lo:[1,1,0]
	v_dot4_i32_iu8 v1, v62, v216, v1 neg_lo:[1,1,0]
	s_delay_alu instid0(VALU_DEP_1) | instskip(NEXT) | instid1(VALU_DEP_1)
	v_dot4_i32_iu8 v1, v7, v38, v1 neg_lo:[1,1,0]
	v_mul_lo_u32 v1, v1, v217
	s_delay_alu instid0(VALU_DEP_1) | instskip(NEXT) | instid1(VALU_DEP_1)
	v_mad_co_u64_u32 v[0:1], null, v0, v220, v[1:2]
	v_cvt_f32_i32_e32 v0, v0
	s_delay_alu instid0(VALU_DEP_1) | instskip(SKIP_1) | instid1(VALU_DEP_1)
	v_fma_f32 v6, v30, v0, 0
	v_mul_lo_u32 v0, v12, v222
	v_mad_co_u64_u32 v[0:1], null, v10, v221, v[0:1]
	v_dot4_i32_iu8 v1, v2, v33, 0 neg_lo:[1,1,0]
	s_delay_alu instid0(VALU_DEP_1) | instskip(NEXT) | instid1(VALU_DEP_3)
	v_dot4_i32_iu8 v1, v63, v208, v1 neg_lo:[1,1,0]
	v_cvt_f32_i32_e32 v0, v0
	s_delay_alu instid0(VALU_DEP_2) | instskip(NEXT) | instid1(VALU_DEP_2)
	v_dot4_i32_iu8 v1, v67, v209, v1 neg_lo:[1,1,0]
	v_fmac_f32_e32 v6, v31, v0
	v_dot4_i32_iu8 v0, v5, v43, 0 neg_lo:[1,1,0]
	s_delay_alu instid0(VALU_DEP_3) | instskip(NEXT) | instid1(VALU_DEP_3)
	v_dot4_i32_iu8 v1, v3, v32, v1 neg_lo:[1,1,0]
	v_fmac_f32_e32 v84, v195, v6
	s_delay_alu instid0(VALU_DEP_3) | instskip(NEXT) | instid1(VALU_DEP_1)
	v_dot4_i32_iu8 v0, v61, v53, v0 neg_lo:[1,1,0]
	v_dot4_i32_iu8 v0, v13, v223, v0 neg_lo:[1,1,0]
	s_delay_alu instid0(VALU_DEP_1) | instskip(SKIP_1) | instid1(VALU_DEP_1)
	v_dot4_i32_iu8 v6, v15, v44, v0 neg_lo:[1,1,0]
	v_dot4_i32_iu8 v0, v14, v45, 0 neg_lo:[1,1,0]
	;; [unrolled: 1-line block ×3, first 2 shown]
	s_delay_alu instid0(VALU_DEP_1) | instskip(NEXT) | instid1(VALU_DEP_1)
	v_dot4_i32_iu8 v0, v9, v224, v0 neg_lo:[1,1,0]
	v_dot4_i32_iu8 v10, v11, v46, v0 neg_lo:[1,1,0]
	;; [unrolled: 1-line block ×3, first 2 shown]
	s_delay_alu instid0(VALU_DEP_1) | instskip(NEXT) | instid1(VALU_DEP_1)
	v_dot4_i32_iu8 v0, v59, v205, v0 neg_lo:[1,1,0]
	v_dot4_i32_iu8 v0, v62, v206, v0 neg_lo:[1,1,0]
	s_delay_alu instid0(VALU_DEP_1) | instskip(NEXT) | instid1(VALU_DEP_1)
	v_dot4_i32_iu8 v0, v7, v34, v0 neg_lo:[1,1,0]
	v_mul_lo_u32 v0, v0, v207
	s_delay_alu instid0(VALU_DEP_1) | instskip(NEXT) | instid1(VALU_DEP_1)
	v_mad_co_u64_u32 v[0:1], null, v1, v210, v[0:1]
	v_cvt_f32_i32_e32 v0, v0
	s_delay_alu instid0(VALU_DEP_1) | instskip(SKIP_1) | instid1(VALU_DEP_1)
	v_fma_f32 v12, v30, v0, 0
	v_mul_lo_u32 v0, v6, v212
	v_mad_co_u64_u32 v[0:1], null, v10, v211, v[0:1]
	v_dot4_i32_iu8 v1, v2, v19, 0 neg_lo:[1,1,0]
	s_delay_alu instid0(VALU_DEP_1) | instskip(NEXT) | instid1(VALU_DEP_3)
	v_dot4_i32_iu8 v1, v63, v201, v1 neg_lo:[1,1,0]
	v_cvt_f32_i32_e32 v0, v0
	s_delay_alu instid0(VALU_DEP_2) | instskip(NEXT) | instid1(VALU_DEP_2)
	v_dot4_i32_iu8 v1, v67, v200, v1 neg_lo:[1,1,0]
	v_fmac_f32_e32 v12, v31, v0
	v_dot4_i32_iu8 v0, v5, v35, 0 neg_lo:[1,1,0]
	s_delay_alu instid0(VALU_DEP_3) | instskip(NEXT) | instid1(VALU_DEP_3)
	v_dot4_i32_iu8 v1, v3, v20, v1 neg_lo:[1,1,0]
	v_fmac_f32_e32 v83, v196, v12
	s_delay_alu instid0(VALU_DEP_3) | instskip(NEXT) | instid1(VALU_DEP_1)
	v_dot4_i32_iu8 v0, v61, v37, v0 neg_lo:[1,1,0]
	v_dot4_i32_iu8 v0, v13, v213, v0 neg_lo:[1,1,0]
	s_delay_alu instid0(VALU_DEP_1) | instskip(SKIP_1) | instid1(VALU_DEP_1)
	v_dot4_i32_iu8 v5, v15, v40, v0 neg_lo:[1,1,0]
	v_dot4_i32_iu8 v0, v14, v39, 0 neg_lo:[1,1,0]
	;; [unrolled: 1-line block ×3, first 2 shown]
	s_delay_alu instid0(VALU_DEP_1) | instskip(NEXT) | instid1(VALU_DEP_1)
	v_dot4_i32_iu8 v0, v9, v214, v0 neg_lo:[1,1,0]
	v_dot4_i32_iu8 v6, v11, v42, v0 neg_lo:[1,1,0]
	;; [unrolled: 1-line block ×3, first 2 shown]
	s_delay_alu instid0(VALU_DEP_1) | instskip(NEXT) | instid1(VALU_DEP_1)
	v_dot4_i32_iu8 v0, v59, v204, v0 neg_lo:[1,1,0]
	v_dot4_i32_iu8 v0, v62, v203, v0 neg_lo:[1,1,0]
	s_delay_alu instid0(VALU_DEP_1) | instskip(NEXT) | instid1(VALU_DEP_1)
	v_dot4_i32_iu8 v0, v7, v22, v0 neg_lo:[1,1,0]
	v_mul_lo_u32 v0, v0, v202
	s_delay_alu instid0(VALU_DEP_1) | instskip(NEXT) | instid1(VALU_DEP_1)
	v_mad_co_u64_u32 v[0:1], null, v1, v199, v[0:1]
	v_cvt_f32_i32_e32 v0, v0
	s_delay_alu instid0(VALU_DEP_1) | instskip(SKIP_1) | instid1(VALU_DEP_1)
	v_fma_f32 v2, v30, v0, 0
	v_mul_lo_u32 v0, v5, v198
	v_mad_co_u64_u32 v[0:1], null, v6, v54, v[0:1]
	s_delay_alu instid0(VALU_DEP_1) | instskip(NEXT) | instid1(VALU_DEP_1)
	v_cvt_f32_i32_e32 v0, v0
	v_fmac_f32_e32 v2, v31, v0
	v_or_b32_e32 v0, s13, v162
	s_delay_alu instid0(VALU_DEP_2) | instskip(NEXT) | instid1(VALU_DEP_2)
	v_fmac_f32_e32 v82, v197, v2
	v_lshlrev_b32_e32 v12, 2, v0
	v_lshrrev_b32_e32 v30, 1, v0
	ds_load_b128 v[0:3], v12 offset:33280
	ds_load_b128 v[4:7], v12 offset:33296
	;; [unrolled: 1-line block ×4, first 2 shown]
	ds_load_b64 v[30:31], v30 offset:43584
	s_wait_dscnt 0x4
	v_perm_b32 v63, v1, v0, 0x6040503
	s_wait_dscnt 0x3
	v_perm_b32 v62, v6, v5, 0x7060403
	s_wait_dscnt 0x2
	v_bfe_i32 v56, v10, 8, 8
	v_bfe_i32 v57, v8, 8, 8
	;; [unrolled: 1-line block ×3, first 2 shown]
	v_ashrrev_i32_e32 v59, 24, v10
	s_wait_dscnt 0x1
	v_perm_b32 v61, v14, v14, 0xc0c0c01
	v_mul_i32_i24_e32 v56, v56, v232
	v_perm_b32 v67, v2, v1, 0x7060403
	v_mul_i32_i24_e32 v58, v234, v58
	v_mul_i32_i24_e32 v59, v233, v59
	v_perm_b32 v60, v12, v52, 0x6040503
	v_mad_i32_i24 v56, v235, v57, v56
	v_perm_b32 v57, v9, v8, 0x5030200
	v_or_b32_e32 v61, v240, v61
	s_delay_alu instid0(VALU_DEP_2) | instskip(SKIP_1) | instid1(VALU_DEP_3)
	v_dot4_i32_iu8 v56, v243, v57, v56 neg_lo:[1,1,0]
	v_perm_b32 v57, v10, v9, 0x4030200
	v_dot4_i32_iu8 v60, v61, v60, 0 neg_lo:[1,1,0]
	v_perm_b32 v61, v13, v12, 0x6040503
	v_perm_b32 v13, v14, v13, 0x7060403
	s_delay_alu instid0(VALU_DEP_4) | instskip(SKIP_1) | instid1(VALU_DEP_4)
	v_dot4_i32_iu8 v56, v244, v57, v56 neg_lo:[1,1,0]
	v_perm_b32 v57, v11, v11, 0x3020001
	v_dot4_i32_iu8 v60, v61, v241, v60 neg_lo:[1,1,0]
	s_delay_alu instid0(VALU_DEP_3) | instskip(SKIP_1) | instid1(VALU_DEP_3)
	v_add3_u32 v56, v56, v58, v59
	v_perm_b32 v59, v5, v4, 0x6040503
	v_dot4_i32_iu8 v60, v242, v13, v60 neg_lo:[1,1,0]
	s_delay_alu instid0(VALU_DEP_3) | instskip(SKIP_2) | instid1(VALU_DEP_4)
	v_dot4_i32_iu8 v58, v245, v57, v56 neg_lo:[1,1,0]
	v_perm_b32 v56, v4, v25, 0x6050401
	v_perm_b32 v57, v29, v6, 0x6050401
	v_dot4_i32_iu8 v60, v231, v15, v60 neg_lo:[1,1,0]
	v_perm_b32 v4, v4, v6, 0x6050401
	s_delay_alu instid0(VALU_DEP_3) | instskip(SKIP_1) | instid1(VALU_DEP_2)
	v_dot4_i32_iu8 v56, v57, v56, 0 neg_lo:[1,1,0]
	v_perm_b32 v57, v27, v2, 0x6050401
	v_dot4_i32_iu8 v56, v51, v59, v56 neg_lo:[1,1,0]
	s_delay_alu instid0(VALU_DEP_1) | instskip(SKIP_1) | instid1(VALU_DEP_2)
	v_dot4_i32_iu8 v5, v236, v62, v56 neg_lo:[1,1,0]
	v_perm_b32 v56, v0, v23, 0x6050401
	v_dot4_i32_iu8 v5, v7, v26, v5 neg_lo:[1,1,0]
	s_delay_alu instid0(VALU_DEP_2) | instskip(NEXT) | instid1(VALU_DEP_2)
	v_dot4_i32_iu8 v56, v57, v56, 0 neg_lo:[1,1,0]
	v_mul_lo_u32 v5, v5, v225
	s_delay_alu instid0(VALU_DEP_2) | instskip(NEXT) | instid1(VALU_DEP_1)
	v_dot4_i32_iu8 v56, v237, v63, v56 neg_lo:[1,1,0]
	v_dot4_i32_iu8 v1, v238, v67, v56 neg_lo:[1,1,0]
	s_delay_alu instid0(VALU_DEP_1) | instskip(NEXT) | instid1(VALU_DEP_1)
	v_dot4_i32_iu8 v1, v3, v24, v1 neg_lo:[1,1,0]
	v_mad_co_u64_u32 v[56:57], null, v1, v226, v[5:6]
	s_delay_alu instid0(VALU_DEP_1) | instskip(SKIP_1) | instid1(VALU_DEP_1)
	v_cvt_f32_i32_e32 v1, v56
	s_wait_dscnt 0x0
	v_fma_f32 v5, v30, v1, 0
	v_mul_lo_u32 v1, v60, v228
	s_delay_alu instid0(VALU_DEP_1) | instskip(SKIP_1) | instid1(VALU_DEP_1)
	v_mad_co_u64_u32 v[56:57], null, v58, v227, v[1:2]
	v_perm_b32 v2, v0, v2, 0x6050401
	v_dot4_i32_iu8 v0, v2, v49, 0 neg_lo:[1,1,0]
	s_delay_alu instid0(VALU_DEP_3) | instskip(NEXT) | instid1(VALU_DEP_2)
	v_cvt_f32_i32_e32 v1, v56
	v_dot4_i32_iu8 v0, v63, v218, v0 neg_lo:[1,1,0]
	s_delay_alu instid0(VALU_DEP_2) | instskip(NEXT) | instid1(VALU_DEP_2)
	v_fmac_f32_e32 v5, v31, v1
	v_dot4_i32_iu8 v0, v67, v219, v0 neg_lo:[1,1,0]
	s_delay_alu instid0(VALU_DEP_2)
	v_fmac_f32_e32 v81, v194, v5
	v_perm_b32 v5, v12, v14, 0x6040501
	v_perm_b32 v14, v8, v10, 0x6040501
	;; [unrolled: 1-line block ×4, first 2 shown]
	v_dot4_i32_iu8 v0, v3, v36, v0 neg_lo:[1,1,0]
	v_dot4_i32_iu8 v1, v5, v239, 0 neg_lo:[1,1,0]
	s_delay_alu instid0(VALU_DEP_1) | instskip(NEXT) | instid1(VALU_DEP_1)
	v_dot4_i32_iu8 v1, v61, v64, v1 neg_lo:[1,1,0]
	v_dot4_i32_iu8 v1, v13, v229, v1 neg_lo:[1,1,0]
	s_delay_alu instid0(VALU_DEP_1) | instskip(SKIP_1) | instid1(VALU_DEP_1)
	v_dot4_i32_iu8 v12, v15, v48, v1 neg_lo:[1,1,0]
	v_dot4_i32_iu8 v1, v14, v65, 0 neg_lo:[1,1,0]
	;; [unrolled: 1-line block ×3, first 2 shown]
	s_delay_alu instid0(VALU_DEP_1) | instskip(NEXT) | instid1(VALU_DEP_1)
	v_dot4_i32_iu8 v1, v9, v230, v1 neg_lo:[1,1,0]
	v_dot4_i32_iu8 v10, v11, v50, v1 neg_lo:[1,1,0]
	;; [unrolled: 1-line block ×3, first 2 shown]
	s_delay_alu instid0(VALU_DEP_1) | instskip(NEXT) | instid1(VALU_DEP_1)
	v_dot4_i32_iu8 v1, v59, v215, v1 neg_lo:[1,1,0]
	v_dot4_i32_iu8 v1, v62, v216, v1 neg_lo:[1,1,0]
	s_delay_alu instid0(VALU_DEP_1) | instskip(NEXT) | instid1(VALU_DEP_1)
	v_dot4_i32_iu8 v1, v7, v38, v1 neg_lo:[1,1,0]
	v_mul_lo_u32 v1, v1, v217
	s_delay_alu instid0(VALU_DEP_1) | instskip(NEXT) | instid1(VALU_DEP_1)
	v_mad_co_u64_u32 v[0:1], null, v0, v220, v[1:2]
	v_cvt_f32_i32_e32 v0, v0
	s_delay_alu instid0(VALU_DEP_1) | instskip(SKIP_1) | instid1(VALU_DEP_1)
	v_fma_f32 v6, v30, v0, 0
	v_mul_lo_u32 v0, v12, v222
	v_mad_co_u64_u32 v[0:1], null, v10, v221, v[0:1]
	v_dot4_i32_iu8 v1, v2, v33, 0 neg_lo:[1,1,0]
	s_delay_alu instid0(VALU_DEP_1) | instskip(NEXT) | instid1(VALU_DEP_3)
	v_dot4_i32_iu8 v1, v63, v208, v1 neg_lo:[1,1,0]
	v_cvt_f32_i32_e32 v0, v0
	s_delay_alu instid0(VALU_DEP_2) | instskip(NEXT) | instid1(VALU_DEP_2)
	v_dot4_i32_iu8 v1, v67, v209, v1 neg_lo:[1,1,0]
	v_fmac_f32_e32 v6, v31, v0
	v_dot4_i32_iu8 v0, v5, v43, 0 neg_lo:[1,1,0]
	s_delay_alu instid0(VALU_DEP_3) | instskip(NEXT) | instid1(VALU_DEP_3)
	v_dot4_i32_iu8 v1, v3, v32, v1 neg_lo:[1,1,0]
	v_fmac_f32_e32 v80, v195, v6
	s_delay_alu instid0(VALU_DEP_3) | instskip(NEXT) | instid1(VALU_DEP_1)
	v_dot4_i32_iu8 v0, v61, v53, v0 neg_lo:[1,1,0]
	v_dot4_i32_iu8 v0, v13, v223, v0 neg_lo:[1,1,0]
	s_delay_alu instid0(VALU_DEP_1) | instskip(SKIP_1) | instid1(VALU_DEP_1)
	v_dot4_i32_iu8 v6, v15, v44, v0 neg_lo:[1,1,0]
	v_dot4_i32_iu8 v0, v14, v45, 0 neg_lo:[1,1,0]
	v_dot4_i32_iu8 v0, v8, v55, v0 neg_lo:[1,1,0]
	s_delay_alu instid0(VALU_DEP_1) | instskip(NEXT) | instid1(VALU_DEP_1)
	v_dot4_i32_iu8 v0, v9, v224, v0 neg_lo:[1,1,0]
	v_dot4_i32_iu8 v10, v11, v46, v0 neg_lo:[1,1,0]
	;; [unrolled: 1-line block ×3, first 2 shown]
	s_delay_alu instid0(VALU_DEP_1) | instskip(NEXT) | instid1(VALU_DEP_1)
	v_dot4_i32_iu8 v0, v59, v205, v0 neg_lo:[1,1,0]
	v_dot4_i32_iu8 v0, v62, v206, v0 neg_lo:[1,1,0]
	s_delay_alu instid0(VALU_DEP_1) | instskip(NEXT) | instid1(VALU_DEP_1)
	v_dot4_i32_iu8 v0, v7, v34, v0 neg_lo:[1,1,0]
	v_mul_lo_u32 v0, v0, v207
	s_delay_alu instid0(VALU_DEP_1) | instskip(NEXT) | instid1(VALU_DEP_1)
	v_mad_co_u64_u32 v[0:1], null, v1, v210, v[0:1]
	v_cvt_f32_i32_e32 v0, v0
	s_delay_alu instid0(VALU_DEP_1) | instskip(SKIP_1) | instid1(VALU_DEP_1)
	v_fma_f32 v12, v30, v0, 0
	v_mul_lo_u32 v0, v6, v212
	v_mad_co_u64_u32 v[0:1], null, v10, v211, v[0:1]
	v_dot4_i32_iu8 v1, v2, v19, 0 neg_lo:[1,1,0]
	s_delay_alu instid0(VALU_DEP_1) | instskip(NEXT) | instid1(VALU_DEP_3)
	v_dot4_i32_iu8 v1, v63, v201, v1 neg_lo:[1,1,0]
	v_cvt_f32_i32_e32 v0, v0
	s_delay_alu instid0(VALU_DEP_2) | instskip(NEXT) | instid1(VALU_DEP_2)
	v_dot4_i32_iu8 v1, v67, v200, v1 neg_lo:[1,1,0]
	v_fmac_f32_e32 v12, v31, v0
	v_dot4_i32_iu8 v0, v5, v35, 0 neg_lo:[1,1,0]
	s_delay_alu instid0(VALU_DEP_3) | instskip(NEXT) | instid1(VALU_DEP_2)
	v_dot4_i32_iu8 v1, v3, v20, v1 neg_lo:[1,1,0]
	v_dot4_i32_iu8 v0, v61, v37, v0 neg_lo:[1,1,0]
	s_delay_alu instid0(VALU_DEP_1) | instskip(NEXT) | instid1(VALU_DEP_1)
	v_dot4_i32_iu8 v0, v13, v213, v0 neg_lo:[1,1,0]
	v_dot4_i32_iu8 v5, v15, v40, v0 neg_lo:[1,1,0]
	;; [unrolled: 1-line block ×3, first 2 shown]
	s_delay_alu instid0(VALU_DEP_1) | instskip(NEXT) | instid1(VALU_DEP_1)
	v_dot4_i32_iu8 v0, v8, v41, v0 neg_lo:[1,1,0]
	v_dot4_i32_iu8 v0, v9, v214, v0 neg_lo:[1,1,0]
	s_delay_alu instid0(VALU_DEP_1) | instskip(SKIP_1) | instid1(VALU_DEP_1)
	v_dot4_i32_iu8 v6, v11, v42, v0 neg_lo:[1,1,0]
	v_dot4_i32_iu8 v0, v4, v21, 0 neg_lo:[1,1,0]
	;; [unrolled: 1-line block ×3, first 2 shown]
	s_delay_alu instid0(VALU_DEP_1) | instskip(NEXT) | instid1(VALU_DEP_1)
	v_dot4_i32_iu8 v0, v62, v203, v0 neg_lo:[1,1,0]
	v_dot4_i32_iu8 v0, v7, v22, v0 neg_lo:[1,1,0]
	s_delay_alu instid0(VALU_DEP_1) | instskip(NEXT) | instid1(VALU_DEP_1)
	v_mul_lo_u32 v0, v0, v202
	v_mad_co_u64_u32 v[0:1], null, v1, v199, v[0:1]
	s_delay_alu instid0(VALU_DEP_1) | instskip(NEXT) | instid1(VALU_DEP_1)
	v_cvt_f32_i32_e32 v0, v0
	v_fma_f32 v2, v30, v0, 0
	v_mul_lo_u32 v0, v5, v198
	s_delay_alu instid0(VALU_DEP_1) | instskip(NEXT) | instid1(VALU_DEP_1)
	v_mad_co_u64_u32 v[0:1], null, v6, v54, v[0:1]
	v_cvt_f32_i32_e32 v0, v0
	s_delay_alu instid0(VALU_DEP_1) | instskip(SKIP_1) | instid1(VALU_DEP_2)
	v_fmac_f32_e32 v2, v31, v0
	v_or_b32_e32 v0, s13, v163
	v_dual_fmac_f32 v79, v196, v12 :: v_dual_fmac_f32 v78, v197, v2
	s_delay_alu instid0(VALU_DEP_2)
	v_lshlrev_b32_e32 v12, 2, v0
	v_lshrrev_b32_e32 v30, 1, v0
	ds_load_b128 v[0:3], v12 offset:33280
	ds_load_b128 v[4:7], v12 offset:33296
	;; [unrolled: 1-line block ×4, first 2 shown]
	ds_load_b64 v[30:31], v30 offset:43584
	s_wait_dscnt 0x4
	v_perm_b32 v63, v1, v0, 0x6040503
	s_wait_dscnt 0x3
	v_perm_b32 v62, v6, v5, 0x7060403
	s_wait_dscnt 0x2
	v_bfe_i32 v56, v10, 8, 8
	v_bfe_i32 v57, v8, 8, 8
	;; [unrolled: 1-line block ×3, first 2 shown]
	v_ashrrev_i32_e32 v59, 24, v10
	s_wait_dscnt 0x1
	v_perm_b32 v61, v14, v14, 0xc0c0c01
	v_mul_i32_i24_e32 v56, v56, v232
	v_perm_b32 v67, v2, v1, 0x7060403
	v_mul_i32_i24_e32 v58, v234, v58
	v_mul_i32_i24_e32 v59, v233, v59
	v_perm_b32 v60, v12, v52, 0x6040503
	v_mad_i32_i24 v56, v235, v57, v56
	v_perm_b32 v57, v9, v8, 0x5030200
	v_or_b32_e32 v61, v240, v61
	s_delay_alu instid0(VALU_DEP_2) | instskip(SKIP_1) | instid1(VALU_DEP_3)
	v_dot4_i32_iu8 v56, v243, v57, v56 neg_lo:[1,1,0]
	v_perm_b32 v57, v10, v9, 0x4030200
	v_dot4_i32_iu8 v60, v61, v60, 0 neg_lo:[1,1,0]
	v_perm_b32 v61, v13, v12, 0x6040503
	v_perm_b32 v13, v14, v13, 0x7060403
	s_delay_alu instid0(VALU_DEP_4) | instskip(SKIP_1) | instid1(VALU_DEP_4)
	v_dot4_i32_iu8 v56, v244, v57, v56 neg_lo:[1,1,0]
	v_perm_b32 v57, v11, v11, 0x3020001
	v_dot4_i32_iu8 v60, v61, v241, v60 neg_lo:[1,1,0]
	s_delay_alu instid0(VALU_DEP_3) | instskip(SKIP_1) | instid1(VALU_DEP_3)
	v_add3_u32 v56, v56, v58, v59
	v_perm_b32 v59, v5, v4, 0x6040503
	v_dot4_i32_iu8 v60, v242, v13, v60 neg_lo:[1,1,0]
	s_delay_alu instid0(VALU_DEP_3) | instskip(SKIP_2) | instid1(VALU_DEP_4)
	v_dot4_i32_iu8 v58, v245, v57, v56 neg_lo:[1,1,0]
	v_perm_b32 v56, v4, v25, 0x6050401
	v_perm_b32 v57, v29, v6, 0x6050401
	v_dot4_i32_iu8 v60, v231, v15, v60 neg_lo:[1,1,0]
	v_perm_b32 v4, v4, v6, 0x6050401
	s_delay_alu instid0(VALU_DEP_3) | instskip(SKIP_1) | instid1(VALU_DEP_2)
	v_dot4_i32_iu8 v56, v57, v56, 0 neg_lo:[1,1,0]
	v_perm_b32 v57, v27, v2, 0x6050401
	v_dot4_i32_iu8 v56, v51, v59, v56 neg_lo:[1,1,0]
	s_delay_alu instid0(VALU_DEP_1) | instskip(SKIP_1) | instid1(VALU_DEP_2)
	v_dot4_i32_iu8 v5, v236, v62, v56 neg_lo:[1,1,0]
	v_perm_b32 v56, v0, v23, 0x6050401
	v_dot4_i32_iu8 v5, v7, v26, v5 neg_lo:[1,1,0]
	s_delay_alu instid0(VALU_DEP_2) | instskip(NEXT) | instid1(VALU_DEP_2)
	v_dot4_i32_iu8 v56, v57, v56, 0 neg_lo:[1,1,0]
	v_mul_lo_u32 v5, v5, v225
	s_delay_alu instid0(VALU_DEP_2) | instskip(NEXT) | instid1(VALU_DEP_1)
	v_dot4_i32_iu8 v56, v237, v63, v56 neg_lo:[1,1,0]
	v_dot4_i32_iu8 v1, v238, v67, v56 neg_lo:[1,1,0]
	s_delay_alu instid0(VALU_DEP_1) | instskip(NEXT) | instid1(VALU_DEP_1)
	v_dot4_i32_iu8 v1, v3, v24, v1 neg_lo:[1,1,0]
	v_mad_co_u64_u32 v[56:57], null, v1, v226, v[5:6]
	s_delay_alu instid0(VALU_DEP_1) | instskip(SKIP_1) | instid1(VALU_DEP_1)
	v_cvt_f32_i32_e32 v1, v56
	s_wait_dscnt 0x0
	v_fma_f32 v5, v30, v1, 0
	v_mul_lo_u32 v1, v60, v228
	s_delay_alu instid0(VALU_DEP_1) | instskip(SKIP_1) | instid1(VALU_DEP_1)
	v_mad_co_u64_u32 v[56:57], null, v58, v227, v[1:2]
	v_perm_b32 v2, v0, v2, 0x6050401
	v_dot4_i32_iu8 v0, v2, v49, 0 neg_lo:[1,1,0]
	s_delay_alu instid0(VALU_DEP_3) | instskip(NEXT) | instid1(VALU_DEP_2)
	v_cvt_f32_i32_e32 v1, v56
	v_dot4_i32_iu8 v0, v63, v218, v0 neg_lo:[1,1,0]
	s_delay_alu instid0(VALU_DEP_2) | instskip(NEXT) | instid1(VALU_DEP_2)
	v_fmac_f32_e32 v5, v31, v1
	v_dot4_i32_iu8 v0, v67, v219, v0 neg_lo:[1,1,0]
	s_delay_alu instid0(VALU_DEP_2)
	v_fmac_f32_e32 v77, v194, v5
	v_perm_b32 v5, v12, v14, 0x6040501
	v_perm_b32 v14, v8, v10, 0x6040501
	;; [unrolled: 1-line block ×4, first 2 shown]
	v_dot4_i32_iu8 v0, v3, v36, v0 neg_lo:[1,1,0]
	v_dot4_i32_iu8 v1, v5, v239, 0 neg_lo:[1,1,0]
	s_delay_alu instid0(VALU_DEP_1) | instskip(NEXT) | instid1(VALU_DEP_1)
	v_dot4_i32_iu8 v1, v61, v64, v1 neg_lo:[1,1,0]
	v_dot4_i32_iu8 v1, v13, v229, v1 neg_lo:[1,1,0]
	s_delay_alu instid0(VALU_DEP_1) | instskip(SKIP_1) | instid1(VALU_DEP_1)
	v_dot4_i32_iu8 v12, v15, v48, v1 neg_lo:[1,1,0]
	v_dot4_i32_iu8 v1, v14, v65, 0 neg_lo:[1,1,0]
	;; [unrolled: 1-line block ×3, first 2 shown]
	s_delay_alu instid0(VALU_DEP_1) | instskip(NEXT) | instid1(VALU_DEP_1)
	v_dot4_i32_iu8 v1, v9, v230, v1 neg_lo:[1,1,0]
	v_dot4_i32_iu8 v10, v11, v50, v1 neg_lo:[1,1,0]
	;; [unrolled: 1-line block ×3, first 2 shown]
	s_delay_alu instid0(VALU_DEP_1) | instskip(NEXT) | instid1(VALU_DEP_1)
	v_dot4_i32_iu8 v1, v59, v215, v1 neg_lo:[1,1,0]
	v_dot4_i32_iu8 v1, v62, v216, v1 neg_lo:[1,1,0]
	s_delay_alu instid0(VALU_DEP_1) | instskip(NEXT) | instid1(VALU_DEP_1)
	v_dot4_i32_iu8 v1, v7, v38, v1 neg_lo:[1,1,0]
	v_mul_lo_u32 v1, v1, v217
	s_delay_alu instid0(VALU_DEP_1) | instskip(NEXT) | instid1(VALU_DEP_1)
	v_mad_co_u64_u32 v[0:1], null, v0, v220, v[1:2]
	v_cvt_f32_i32_e32 v0, v0
	s_delay_alu instid0(VALU_DEP_1) | instskip(SKIP_1) | instid1(VALU_DEP_1)
	v_fma_f32 v6, v30, v0, 0
	v_mul_lo_u32 v0, v12, v222
	v_mad_co_u64_u32 v[0:1], null, v10, v221, v[0:1]
	v_dot4_i32_iu8 v1, v2, v33, 0 neg_lo:[1,1,0]
	s_delay_alu instid0(VALU_DEP_1) | instskip(NEXT) | instid1(VALU_DEP_3)
	v_dot4_i32_iu8 v1, v63, v208, v1 neg_lo:[1,1,0]
	v_cvt_f32_i32_e32 v0, v0
	s_delay_alu instid0(VALU_DEP_2) | instskip(NEXT) | instid1(VALU_DEP_2)
	v_dot4_i32_iu8 v1, v67, v209, v1 neg_lo:[1,1,0]
	v_fmac_f32_e32 v6, v31, v0
	v_dot4_i32_iu8 v0, v5, v43, 0 neg_lo:[1,1,0]
	s_delay_alu instid0(VALU_DEP_3) | instskip(NEXT) | instid1(VALU_DEP_3)
	v_dot4_i32_iu8 v1, v3, v32, v1 neg_lo:[1,1,0]
	v_fmac_f32_e32 v76, v195, v6
	s_delay_alu instid0(VALU_DEP_3) | instskip(NEXT) | instid1(VALU_DEP_1)
	v_dot4_i32_iu8 v0, v61, v53, v0 neg_lo:[1,1,0]
	v_dot4_i32_iu8 v0, v13, v223, v0 neg_lo:[1,1,0]
	s_delay_alu instid0(VALU_DEP_1) | instskip(SKIP_1) | instid1(VALU_DEP_1)
	v_dot4_i32_iu8 v6, v15, v44, v0 neg_lo:[1,1,0]
	v_dot4_i32_iu8 v0, v14, v45, 0 neg_lo:[1,1,0]
	;; [unrolled: 1-line block ×3, first 2 shown]
	s_delay_alu instid0(VALU_DEP_1) | instskip(NEXT) | instid1(VALU_DEP_1)
	v_dot4_i32_iu8 v0, v9, v224, v0 neg_lo:[1,1,0]
	v_dot4_i32_iu8 v10, v11, v46, v0 neg_lo:[1,1,0]
	;; [unrolled: 1-line block ×3, first 2 shown]
	s_delay_alu instid0(VALU_DEP_1) | instskip(NEXT) | instid1(VALU_DEP_1)
	v_dot4_i32_iu8 v0, v59, v205, v0 neg_lo:[1,1,0]
	v_dot4_i32_iu8 v0, v62, v206, v0 neg_lo:[1,1,0]
	s_delay_alu instid0(VALU_DEP_1) | instskip(NEXT) | instid1(VALU_DEP_1)
	v_dot4_i32_iu8 v0, v7, v34, v0 neg_lo:[1,1,0]
	v_mul_lo_u32 v0, v0, v207
	s_delay_alu instid0(VALU_DEP_1) | instskip(NEXT) | instid1(VALU_DEP_1)
	v_mad_co_u64_u32 v[0:1], null, v1, v210, v[0:1]
	v_cvt_f32_i32_e32 v0, v0
	s_delay_alu instid0(VALU_DEP_1) | instskip(SKIP_1) | instid1(VALU_DEP_1)
	v_fma_f32 v12, v30, v0, 0
	v_mul_lo_u32 v0, v6, v212
	v_mad_co_u64_u32 v[0:1], null, v10, v211, v[0:1]
	v_dot4_i32_iu8 v1, v2, v19, 0 neg_lo:[1,1,0]
	s_delay_alu instid0(VALU_DEP_1) | instskip(NEXT) | instid1(VALU_DEP_3)
	v_dot4_i32_iu8 v1, v63, v201, v1 neg_lo:[1,1,0]
	v_cvt_f32_i32_e32 v0, v0
	s_delay_alu instid0(VALU_DEP_2) | instskip(NEXT) | instid1(VALU_DEP_2)
	v_dot4_i32_iu8 v1, v67, v200, v1 neg_lo:[1,1,0]
	v_fmac_f32_e32 v12, v31, v0
	v_dot4_i32_iu8 v0, v5, v35, 0 neg_lo:[1,1,0]
	s_delay_alu instid0(VALU_DEP_3) | instskip(NEXT) | instid1(VALU_DEP_3)
	v_dot4_i32_iu8 v1, v3, v20, v1 neg_lo:[1,1,0]
	v_fmac_f32_e32 v75, v196, v12
	s_delay_alu instid0(VALU_DEP_3) | instskip(NEXT) | instid1(VALU_DEP_1)
	v_dot4_i32_iu8 v0, v61, v37, v0 neg_lo:[1,1,0]
	v_dot4_i32_iu8 v0, v13, v213, v0 neg_lo:[1,1,0]
	s_delay_alu instid0(VALU_DEP_1) | instskip(SKIP_1) | instid1(VALU_DEP_1)
	v_dot4_i32_iu8 v5, v15, v40, v0 neg_lo:[1,1,0]
	v_dot4_i32_iu8 v0, v14, v39, 0 neg_lo:[1,1,0]
	;; [unrolled: 1-line block ×3, first 2 shown]
	s_delay_alu instid0(VALU_DEP_1) | instskip(NEXT) | instid1(VALU_DEP_1)
	v_dot4_i32_iu8 v0, v9, v214, v0 neg_lo:[1,1,0]
	v_dot4_i32_iu8 v6, v11, v42, v0 neg_lo:[1,1,0]
	;; [unrolled: 1-line block ×3, first 2 shown]
	s_delay_alu instid0(VALU_DEP_1) | instskip(NEXT) | instid1(VALU_DEP_1)
	v_dot4_i32_iu8 v0, v59, v204, v0 neg_lo:[1,1,0]
	v_dot4_i32_iu8 v0, v62, v203, v0 neg_lo:[1,1,0]
	s_delay_alu instid0(VALU_DEP_1) | instskip(NEXT) | instid1(VALU_DEP_1)
	v_dot4_i32_iu8 v0, v7, v22, v0 neg_lo:[1,1,0]
	v_mul_lo_u32 v0, v0, v202
	s_delay_alu instid0(VALU_DEP_1) | instskip(NEXT) | instid1(VALU_DEP_1)
	v_mad_co_u64_u32 v[0:1], null, v1, v199, v[0:1]
	v_cvt_f32_i32_e32 v0, v0
	s_delay_alu instid0(VALU_DEP_1) | instskip(SKIP_1) | instid1(VALU_DEP_1)
	v_fma_f32 v2, v30, v0, 0
	v_mul_lo_u32 v0, v5, v198
	v_mad_co_u64_u32 v[0:1], null, v6, v54, v[0:1]
	s_delay_alu instid0(VALU_DEP_1) | instskip(NEXT) | instid1(VALU_DEP_1)
	v_cvt_f32_i32_e32 v0, v0
	v_fmac_f32_e32 v2, v31, v0
	v_or_b32_e32 v0, s13, v164
	s_delay_alu instid0(VALU_DEP_2) | instskip(NEXT) | instid1(VALU_DEP_2)
	v_fmac_f32_e32 v74, v197, v2
	v_lshlrev_b32_e32 v12, 2, v0
	v_lshrrev_b32_e32 v30, 1, v0
	ds_load_b128 v[0:3], v12 offset:33280
	ds_load_b128 v[4:7], v12 offset:33296
	;; [unrolled: 1-line block ×4, first 2 shown]
	ds_load_b64 v[30:31], v30 offset:43584
	s_wait_dscnt 0x4
	v_perm_b32 v23, v0, v23, 0x6050401
	s_wait_dscnt 0x3
	v_perm_b32 v25, v4, v25, 0x6050401
	v_perm_b32 v29, v29, v6, 0x6050401
	s_wait_dscnt 0x1
	v_perm_b32 v60, v14, v14, 0xc0c0c01
	v_bfe_i32 v56, v10, 8, 8
	v_perm_b32 v52, v12, v52, 0x6040503
	v_bfe_i32 v57, v8, 8, 8
	v_dot4_i32_iu8 v25, v29, v25, 0 neg_lo:[1,1,0]
	v_perm_b32 v29, v5, v4, 0x6040503
	v_or_b32_e32 v60, v240, v60
	v_mul_i32_i24_e32 v56, v56, v232
	v_bfe_i32 v58, v10, 16, 8
	v_ashrrev_i32_e32 v59, 24, v10
	v_dot4_i32_iu8 v25, v51, v29, v25 neg_lo:[1,1,0]
	v_perm_b32 v51, v6, v5, 0x7060403
	v_dot4_i32_iu8 v60, v60, v52, 0 neg_lo:[1,1,0]
	v_perm_b32 v52, v13, v12, 0x6040503
	v_mad_i32_i24 v56, v235, v57, v56
	v_perm_b32 v57, v9, v8, 0x5030200
	v_dot4_i32_iu8 v5, v236, v51, v25 neg_lo:[1,1,0]
	v_perm_b32 v25, v27, v2, 0x6050401
	v_dot4_i32_iu8 v60, v52, v241, v60 neg_lo:[1,1,0]
	;; [unrolled: 2-line block ×3, first 2 shown]
	v_dot4_i32_iu8 v5, v7, v26, v5 neg_lo:[1,1,0]
	v_dot4_i32_iu8 v23, v25, v23, 0 neg_lo:[1,1,0]
	v_perm_b32 v25, v1, v0, 0x6040503
	v_perm_b32 v26, v2, v1, 0x7060403
	;; [unrolled: 1-line block ×3, first 2 shown]
	v_mul_lo_u32 v5, v5, v225
	v_dot4_i32_iu8 v60, v242, v13, v60 neg_lo:[1,1,0]
	v_dot4_i32_iu8 v23, v237, v25, v23 neg_lo:[1,1,0]
	v_mul_i32_i24_e32 v58, v234, v58
	v_mul_i32_i24_e32 v59, v233, v59
	v_dot4_i32_iu8 v56, v244, v57, v56 neg_lo:[1,1,0]
	v_dot4_i32_iu8 v60, v231, v15, v60 neg_lo:[1,1,0]
	;; [unrolled: 1-line block ×3, first 2 shown]
	v_perm_b32 v57, v11, v11, 0x3020001
	v_perm_b32 v4, v4, v6, 0x6050401
	v_add3_u32 v56, v56, v58, v59
	s_delay_alu instid0(VALU_DEP_4) | instskip(NEXT) | instid1(VALU_DEP_2)
	v_dot4_i32_iu8 v1, v3, v24, v1 neg_lo:[1,1,0]
	v_dot4_i32_iu8 v56, v245, v57, v56 neg_lo:[1,1,0]
	s_delay_alu instid0(VALU_DEP_2) | instskip(SKIP_1) | instid1(VALU_DEP_1)
	v_mad_co_u64_u32 v[23:24], null, v1, v226, v[5:6]
	v_perm_b32 v6, v0, v2, 0x6050401
	v_dot4_i32_iu8 v0, v6, v49, 0 neg_lo:[1,1,0]
	s_delay_alu instid0(VALU_DEP_3) | instskip(NEXT) | instid1(VALU_DEP_2)
	v_cvt_f32_i32_e32 v1, v23
	v_dot4_i32_iu8 v0, v25, v218, v0 neg_lo:[1,1,0]
	s_wait_dscnt 0x0
	s_delay_alu instid0(VALU_DEP_2) | instskip(SKIP_1) | instid1(VALU_DEP_3)
	v_fma_f32 v5, v30, v1, 0
	v_mul_lo_u32 v1, v60, v228
	v_dot4_i32_iu8 v0, v26, v219, v0 neg_lo:[1,1,0]
	s_delay_alu instid0(VALU_DEP_2) | instskip(NEXT) | instid1(VALU_DEP_2)
	v_mad_co_u64_u32 v[23:24], null, v56, v227, v[1:2]
	v_dot4_i32_iu8 v0, v3, v36, v0 neg_lo:[1,1,0]
	s_delay_alu instid0(VALU_DEP_2) | instskip(NEXT) | instid1(VALU_DEP_1)
	v_cvt_f32_i32_e32 v1, v23
	v_fmac_f32_e32 v5, v31, v1
	s_delay_alu instid0(VALU_DEP_1) | instskip(SKIP_4) | instid1(VALU_DEP_4)
	v_fmac_f32_e32 v73, v194, v5
	v_perm_b32 v5, v12, v14, 0x6040501
	v_perm_b32 v14, v8, v10, 0x6040501
	v_perm_b32 v8, v9, v8, 0x6040503
	v_perm_b32 v9, v10, v9, 0x7060403
	v_dot4_i32_iu8 v1, v5, v239, 0 neg_lo:[1,1,0]
	s_delay_alu instid0(VALU_DEP_1) | instskip(NEXT) | instid1(VALU_DEP_1)
	v_dot4_i32_iu8 v1, v52, v64, v1 neg_lo:[1,1,0]
	v_dot4_i32_iu8 v1, v13, v229, v1 neg_lo:[1,1,0]
	s_delay_alu instid0(VALU_DEP_1) | instskip(SKIP_1) | instid1(VALU_DEP_1)
	v_dot4_i32_iu8 v12, v15, v48, v1 neg_lo:[1,1,0]
	v_dot4_i32_iu8 v1, v14, v65, 0 neg_lo:[1,1,0]
	;; [unrolled: 1-line block ×3, first 2 shown]
	s_delay_alu instid0(VALU_DEP_1) | instskip(NEXT) | instid1(VALU_DEP_1)
	v_dot4_i32_iu8 v1, v9, v230, v1 neg_lo:[1,1,0]
	v_dot4_i32_iu8 v10, v11, v50, v1 neg_lo:[1,1,0]
	;; [unrolled: 1-line block ×3, first 2 shown]
	s_delay_alu instid0(VALU_DEP_1) | instskip(NEXT) | instid1(VALU_DEP_1)
	v_dot4_i32_iu8 v1, v29, v215, v1 neg_lo:[1,1,0]
	v_dot4_i32_iu8 v1, v51, v216, v1 neg_lo:[1,1,0]
	s_delay_alu instid0(VALU_DEP_1) | instskip(NEXT) | instid1(VALU_DEP_1)
	v_dot4_i32_iu8 v1, v7, v38, v1 neg_lo:[1,1,0]
	v_mul_lo_u32 v1, v1, v217
	s_delay_alu instid0(VALU_DEP_1) | instskip(NEXT) | instid1(VALU_DEP_1)
	v_mad_co_u64_u32 v[0:1], null, v0, v220, v[1:2]
	v_cvt_f32_i32_e32 v0, v0
	s_delay_alu instid0(VALU_DEP_1) | instskip(SKIP_1) | instid1(VALU_DEP_1)
	v_fma_f32 v2, v30, v0, 0
	v_mul_lo_u32 v0, v12, v222
	v_mad_co_u64_u32 v[0:1], null, v10, v221, v[0:1]
	v_dot4_i32_iu8 v1, v6, v33, 0 neg_lo:[1,1,0]
	s_delay_alu instid0(VALU_DEP_1) | instskip(NEXT) | instid1(VALU_DEP_3)
	v_dot4_i32_iu8 v1, v25, v208, v1 neg_lo:[1,1,0]
	v_cvt_f32_i32_e32 v0, v0
	s_delay_alu instid0(VALU_DEP_2) | instskip(NEXT) | instid1(VALU_DEP_2)
	v_dot4_i32_iu8 v1, v26, v209, v1 neg_lo:[1,1,0]
	v_fmac_f32_e32 v2, v31, v0
	v_dot4_i32_iu8 v0, v5, v43, 0 neg_lo:[1,1,0]
	s_delay_alu instid0(VALU_DEP_3) | instskip(NEXT) | instid1(VALU_DEP_3)
	v_dot4_i32_iu8 v1, v3, v32, v1 neg_lo:[1,1,0]
	v_fmac_f32_e32 v72, v195, v2
	s_delay_alu instid0(VALU_DEP_3) | instskip(NEXT) | instid1(VALU_DEP_1)
	v_dot4_i32_iu8 v0, v52, v53, v0 neg_lo:[1,1,0]
	v_dot4_i32_iu8 v0, v13, v223, v0 neg_lo:[1,1,0]
	s_delay_alu instid0(VALU_DEP_1) | instskip(SKIP_1) | instid1(VALU_DEP_1)
	v_dot4_i32_iu8 v2, v15, v44, v0 neg_lo:[1,1,0]
	v_dot4_i32_iu8 v0, v14, v45, 0 neg_lo:[1,1,0]
	;; [unrolled: 1-line block ×3, first 2 shown]
	s_delay_alu instid0(VALU_DEP_1) | instskip(NEXT) | instid1(VALU_DEP_1)
	v_dot4_i32_iu8 v0, v9, v224, v0 neg_lo:[1,1,0]
	v_dot4_i32_iu8 v10, v11, v46, v0 neg_lo:[1,1,0]
	;; [unrolled: 1-line block ×3, first 2 shown]
	s_delay_alu instid0(VALU_DEP_1) | instskip(NEXT) | instid1(VALU_DEP_1)
	v_dot4_i32_iu8 v0, v29, v205, v0 neg_lo:[1,1,0]
	v_dot4_i32_iu8 v0, v51, v206, v0 neg_lo:[1,1,0]
	s_delay_alu instid0(VALU_DEP_1) | instskip(NEXT) | instid1(VALU_DEP_1)
	v_dot4_i32_iu8 v0, v7, v34, v0 neg_lo:[1,1,0]
	v_mul_lo_u32 v0, v0, v207
	s_delay_alu instid0(VALU_DEP_1) | instskip(NEXT) | instid1(VALU_DEP_1)
	v_mad_co_u64_u32 v[0:1], null, v1, v210, v[0:1]
	v_cvt_f32_i32_e32 v0, v0
	s_delay_alu instid0(VALU_DEP_1) | instskip(SKIP_1) | instid1(VALU_DEP_1)
	v_fma_f32 v12, v30, v0, 0
	v_mul_lo_u32 v0, v2, v212
	v_mad_co_u64_u32 v[0:1], null, v10, v211, v[0:1]
	s_delay_alu instid0(VALU_DEP_1) | instskip(NEXT) | instid1(VALU_DEP_1)
	v_cvt_f32_i32_e32 v0, v0
	v_fmac_f32_e32 v12, v31, v0
	v_dot4_i32_iu8 v0, v5, v35, 0 neg_lo:[1,1,0]
	s_delay_alu instid0(VALU_DEP_2) | instskip(NEXT) | instid1(VALU_DEP_2)
	v_fmac_f32_e32 v71, v196, v12
	v_dot4_i32_iu8 v0, v52, v37, v0 neg_lo:[1,1,0]
	s_delay_alu instid0(VALU_DEP_1) | instskip(NEXT) | instid1(VALU_DEP_1)
	v_dot4_i32_iu8 v0, v13, v213, v0 neg_lo:[1,1,0]
	v_dot4_i32_iu8 v1, v15, v40, v0 neg_lo:[1,1,0]
	;; [unrolled: 1-line block ×3, first 2 shown]
	s_delay_alu instid0(VALU_DEP_1) | instskip(NEXT) | instid1(VALU_DEP_1)
	v_dot4_i32_iu8 v0, v8, v41, v0 neg_lo:[1,1,0]
	v_dot4_i32_iu8 v0, v9, v214, v0 neg_lo:[1,1,0]
	s_delay_alu instid0(VALU_DEP_1) | instskip(SKIP_2) | instid1(VALU_DEP_2)
	v_dot4_i32_iu8 v2, v11, v42, v0 neg_lo:[1,1,0]
	v_dot4_i32_iu8 v0, v4, v21, 0 neg_lo:[1,1,0]
	;; [unrolled: 1-line block ×4, first 2 shown]
	s_delay_alu instid0(VALU_DEP_2) | instskip(NEXT) | instid1(VALU_DEP_2)
	v_dot4_i32_iu8 v4, v25, v201, v4 neg_lo:[1,1,0]
	v_dot4_i32_iu8 v0, v51, v203, v0 neg_lo:[1,1,0]
	s_delay_alu instid0(VALU_DEP_2) | instskip(NEXT) | instid1(VALU_DEP_2)
	v_dot4_i32_iu8 v4, v26, v200, v4 neg_lo:[1,1,0]
	v_dot4_i32_iu8 v0, v7, v22, v0 neg_lo:[1,1,0]
	s_delay_alu instid0(VALU_DEP_2) | instskip(NEXT) | instid1(VALU_DEP_2)
	v_dot4_i32_iu8 v3, v3, v20, v4 neg_lo:[1,1,0]
	v_mul_lo_u32 v0, v0, v202
	s_delay_alu instid0(VALU_DEP_1) | instskip(NEXT) | instid1(VALU_DEP_1)
	v_mad_co_u64_u32 v[3:4], null, v3, v199, v[0:1]
	v_cvt_f32_i32_e32 v0, v3
	s_delay_alu instid0(VALU_DEP_1) | instskip(SKIP_1) | instid1(VALU_DEP_1)
	v_fma_f32 v3, v30, v0, 0
	v_mul_lo_u32 v0, v1, v198
	v_mad_co_u64_u32 v[0:1], null, v2, v54, v[0:1]
	s_delay_alu instid0(VALU_DEP_1) | instskip(NEXT) | instid1(VALU_DEP_1)
	v_cvt_f32_i32_e32 v0, v0
	v_fmac_f32_e32 v3, v31, v0
	s_delay_alu instid0(VALU_DEP_1)
	v_fmac_f32_e32 v70, v197, v3
	s_cbranch_vccnz .LBB175_6
; %bb.7:                                ;   in Loop: Header=BB175_5 Depth=1
	v_add_nc_u32_e32 v8, s5, v150
	v_add_nc_u32_e32 v9, 4, v193
	s_wait_loadcnt 0x0
	s_barrier_signal -1
	s_barrier_wait -1
	v_add_nc_u32_e32 v10, v8, v149
	v_add_nc_u32_e32 v0, v8, v142
	;; [unrolled: 1-line block ×8, first 2 shown]
	v_mad_co_u64_u32 v[8:9], null, v9, 36, s[2:3]
	v_mad_co_i64_i32 v[10:11], null, v10, 36, v[17:18]
	v_mad_co_i64_i32 v[0:1], null, v0, 36, v[17:18]
	;; [unrolled: 1-line block ×7, first 2 shown]
	global_inv scope:SCOPE_SE
	v_mad_co_i64_i32 v[19:20], null, v19, 36, v[17:18]
	s_clause 0x8
	global_load_b32 v8, v[8:9], off
	global_load_b32 v9, v[10:11], off offset:4
	global_load_b32 v0, v[0:1], off offset:4
	;; [unrolled: 1-line block ×8, first 2 shown]
	s_mov_b32 s5, 16
	s_wait_loadcnt 0x8
	v_cvt_f32_f16_e32 v7, v8
	s_wait_loadcnt 0x7
	ds_store_b32 v179, v9
	s_wait_loadcnt 0x6
	ds_store_b32 v172, v0
	;; [unrolled: 2-line block ×8, first 2 shown]
	ds_store_b32 v141, v7
	s_wait_dscnt 0x0
	s_barrier_signal -1
	s_barrier_wait -1
	global_inv scope:SCOPE_SE
	ds_load_b32 v63, v154
	ds_load_b32 v64, v155 offset:128
	ds_load_b32 v65, v156 offset:256
	;; [unrolled: 1-line block ×3, first 2 shown]
.LBB175_8:                              ;   Parent Loop BB175_5 Depth=1
                                        ; =>  This Inner Loop Header: Depth=2
	s_wait_alu 0xfffe
	s_lshl_b32 s12, s5, 1
	s_lshr_b32 s13, s5, 1
	s_wait_alu 0xfffe
	s_and_b32 s12, s12, 16
	s_add_co_i32 s13, s13, 0xa200
	s_wait_alu 0xfffe
	v_or_b32_e32 v0, s12, v124
	s_lshl_b32 s16, s5, 3
	s_delay_alu instid0(VALU_DEP_1)
	v_lshlrev_b32_e32 v1, 2, v0
	v_lshrrev_b32_e32 v0, 1, v0
	ds_load_b128 v[180:183], v1 offset:33280
	ds_load_b128 v[231:234], v1 offset:33296
	;; [unrolled: 1-line block ×4, first 2 shown]
	ds_load_b64 v[239:240], v0 offset:43584
	v_add3_u32 v0, s13, v188, v189
	s_wait_alu 0xfffe
	v_add_nc_u32_e32 v29, s16, v165
	ds_load_2addr_b32 v[23:24], v29 offset0:6 offset1:7
	ds_load_2addr_b32 v[27:28], v29 offset0:4 offset1:5
	;; [unrolled: 1-line block ×3, first 2 shown]
	ds_load_2addr_b32 v[25:26], v29 offset1:1
	ds_load_b32 v32, v0
	ds_load_u16 v229, v29 offset:32
	ds_load_b128 v[0:3], v29 offset:34
	ds_load_b64 v[51:52], v29 offset:50
	ds_load_u16 v230, v29 offset:58
	ds_load_b32 v224, v29 offset:60
	s_wait_dscnt 0xe
	v_lshrrev_b16 v5, 8, v181
	s_wait_dscnt 0xd
	v_lshrrev_b16 v4, 8, v232
	s_wait_dscnt 0xc
	v_bfe_i32 v9, v194, 16, 8
	s_wait_dscnt 0xb
	v_bfe_i32 v7, v236, 16, 8
	v_bfe_i32 v34, v237, 16, 8
	v_ashrrev_i32_e32 v36, 24, v236
	v_bfe_i32 v35, v237, 0, 8
	v_bfe_i32 v6, v237, 8, 8
	;; [unrolled: 1-line block ×4, first 2 shown]
	s_wait_dscnt 0x3
	v_bfe_i32 v227, v2, 0, 8
	s_wait_dscnt 0x2
	v_bfe_i32 v33, v52, 0, 8
	s_wait_dscnt 0x1
	v_lshrrev_b16 v37, 8, v230
	v_bfe_i32 v38, v230, 0, 8
	v_bfe_i32 v40, v52, 8, 8
	;; [unrolled: 1-line block ×3, first 2 shown]
	v_mul_i32_i24_e32 v7, v33, v7
	v_ashrrev_i32_e32 v33, 24, v237
	v_bfe_i32 v37, v37, 0, 8
	v_mul_i32_i24_e32 v34, v38, v34
	v_perm_b32 v38, v238, v236, 0xc0c0600
	v_mul_i32_i24_e32 v36, v40, v36
	v_mul_i32_i24_e32 v35, v39, v35
	v_mul_i32_i24_e32 v33, v37, v33
	s_wait_dscnt 0x0
	v_perm_b32 v37, v224, v51, 0xc0c0602
	v_ashrrev_i32_e32 v29, 24, v52
	v_bfe_i32 v226, v2, 8, 8
	v_ashrrev_i32_e32 v225, 24, v1
	v_lshrrev_b16 v30, 8, v28
	v_dot4_i32_iu8 v34, v37, v38, v34 neg_lo:[1,1,0]
	v_perm_b32 v37, v224, v51, 0xc0c0400
	v_perm_b32 v38, v238, v235, 0xc0c0402
	v_bfe_i32 v39, v234, 8, 8
	v_bfe_i32 v43, v24, 8, 8
	;; [unrolled: 1-line block ×4, first 2 shown]
	v_dot4_i32_iu8 v36, v37, v38, v36 neg_lo:[1,1,0]
	v_perm_b32 v37, v224, v51, 0xc0c0703
	v_perm_b32 v38, v238, v236, 0xc0c0701
	v_ashrrev_i32_e32 v41, 24, v233
	v_bfe_i32 v42, v233, 16, 8
	v_add_nc_u32_e32 v34, v36, v34
	v_bfe_i32 v36, v235, 0, 8
	v_dot4_i32_iu8 v33, v37, v38, v33 neg_lo:[1,1,0]
	v_perm_b32 v37, v224, v51, 0xc0c0501
	v_perm_b32 v38, v238, v235, 0xc0c0503
	v_bfe_i32 v44, v24, 0, 8
	v_ashrrev_i32_e32 v45, 24, v23
	v_bfe_i32 v46, v23, 16, 8
	v_mul_i32_i24_e32 v39, v43, v39
	v_dot4_i32_iu8 v35, v37, v38, v35 neg_lo:[1,1,0]
	v_ashrrev_i32_e32 v37, 24, v3
	v_bfe_i32 v38, v3, 16, 8
	v_mul_i32_i24_e32 v4, v30, v4
	v_mul_i32_i24_e32 v42, v46, v42
	v_add_nc_u32_e32 v33, v35, v33
	v_bfe_i32 v35, v235, 8, 8
	v_mul_i32_i24_e32 v36, v38, v36
	v_bfe_i32 v38, v28, 16, 8
	v_mul_i32_i24_e32 v41, v45, v41
	v_mul_i32_i24_e32 v40, v44, v40
	;; [unrolled: 1-line block ×3, first 2 shown]
	v_mad_i32_i24 v6, v29, v6, v36
	v_bfe_i32 v29, v195, 16, 8
	v_bfe_i32 v36, v1, 8, 8
	;; [unrolled: 1-line block ×3, first 2 shown]
	v_add3_u32 v33, v34, v33, v35
	v_ashrrev_i32_e32 v34, 24, v194
	v_bfe_i32 v35, v1, 16, 8
	v_mul_i32_i24_e32 v29, v227, v29
	v_bfe_i32 v12, v234, 16, 8
	v_add3_u32 v6, v33, v6, v7
	v_bfe_i32 v33, v195, 0, 8
	v_bfe_i32 v7, v1, 0, 8
	v_mul_i32_i24_e32 v34, v36, v34
	v_perm_b32 v36, v196, v194, 0xc0c0600
	v_bfe_i32 v43, v24, 16, 8
	v_mul_i32_i24_e32 v33, v35, v33
	v_perm_b32 v35, v3, v0, 0xc0c0402
	v_mul_i32_i24_e32 v7, v7, v9
	v_ashrrev_i32_e32 v9, 24, v195
	v_bfe_i32 v10, v233, 8, 8
	v_bfe_i32 v11, v233, 0, 8
	v_dot4_i32_iu8 v29, v35, v36, v29 neg_lo:[1,1,0]
	v_perm_b32 v35, v2, v0, 0xc0c0600
	v_perm_b32 v36, v196, v193, 0xc0c0402
	v_mul_i32_i24_e32 v9, v226, v9
	v_bfe_i32 v30, v23, 0, 8
	v_mul_i32_i24_e32 v12, v43, v12
	v_ashrrev_i32_e32 v13, 24, v234
	v_dot4_i32_iu8 v34, v35, v36, v34 neg_lo:[1,1,0]
	v_perm_b32 v35, v3, v0, 0xc0c0503
	v_perm_b32 v36, v196, v194, 0xc0c0701
	v_lshrrev_b16 v31, 8, v26
	v_ashrrev_i32_e32 v43, 24, v24
	v_add_nc_u32_e32 v29, v34, v29
	v_bfe_i32 v34, v193, 0, 8
	v_dot4_i32_iu8 v9, v35, v36, v9 neg_lo:[1,1,0]
	v_perm_b32 v35, v2, v0, 0xc0c0701
	v_perm_b32 v36, v196, v193, 0xc0c0503
	v_mul_i32_i24_e32 v13, v43, v13
	v_bfe_i32 v5, v5, 0, 8
	v_bfe_i32 v31, v31, 0, 8
	;; [unrolled: 1-line block ×3, first 2 shown]
	v_dot4_i32_iu8 v33, v35, v36, v33 neg_lo:[1,1,0]
	v_lshrrev_b16 v35, 8, v229
	v_ashrrev_i32_e32 v36, 24, v28
	v_mul_i32_i24_e32 v5, v31, v5
	v_bfe_i32 v14, v182, 8, 8
	v_add_nc_u32_e32 v9, v33, v9
	v_bfe_i32 v33, v193, 8, 8
	v_bfe_i32 v228, v35, 0, 8
	;; [unrolled: 1-line block ×5, first 2 shown]
	v_ashrrev_i32_e32 v20, 24, v183
	v_mul_i32_i24_e32 v33, v228, v33
	v_mul_i32_i24_e32 v34, v35, v34
	v_bfe_i32 v35, v232, 16, 8
	v_bfe_i32 v211, v32, 8, 8
	;; [unrolled: 1-line block ×3, first 2 shown]
	v_add3_u32 v9, v29, v9, v33
	v_mad_i32_i24 v8, v225, v8, v34
	v_ashrrev_i32_e32 v33, 24, v27
	v_bfe_i32 v29, v231, 16, 8
	v_bfe_i32 v34, v27, 16, 8
	v_mad_i32_i24 v35, v38, v35, v40
	v_add3_u32 v7, v9, v8, v7
	v_ashrrev_i32_e32 v9, 24, v231
	v_bfe_i32 v8, v23, 8, 8
	v_mul_i32_i24_e32 v29, v34, v29
	v_bfe_i32 v34, v232, 0, 8
	v_bfe_i32 v38, v22, 8, 8
	v_mul_i32_i24_e32 v9, v33, v9
	v_ashrrev_i32_e32 v33, 24, v232
	v_ashrrev_i32_e32 v40, 24, v21
	v_mad_i32_i24 v34, v37, v34, v42
	v_bfe_i32 v37, v182, 16, 8
	v_bfe_i32 v220, v32, 16, 8
	v_mad_i32_i24 v33, v36, v33, v39
	v_bfe_i32 v36, v27, 0, 8
	v_bfe_i32 v39, v22, 0, 8
	v_ashrrev_i32_e32 v221, 24, v32
	v_perm_b32 v67, v195, v194, 0x7060403
	v_add3_u32 v4, v4, v41, v33
	v_bfe_i32 v33, v231, 8, 8
	v_bfe_i32 v41, v21, 16, 8
	v_perm_b32 v68, v232, v231, 0x6040503
	v_perm_b32 v69, v233, v232, 0x7060403
	v_add3_u32 v4, v34, v35, v4
	v_bfe_i32 v35, v27, 8, 8
	v_bfe_i32 v34, v231, 0, 8
	v_mul_i32_i24_e32 v37, v41, v37
	v_perm_b32 v41, v237, v236, 0x7060403
	v_perm_b32 v125, v181, v180, 0x6040503
	v_mul_i32_i24_e32 v33, v35, v33
	v_mul_i32_i24_e32 v34, v36, v34
	v_bfe_i32 v35, v183, 0, 8
	v_ashrrev_i32_e32 v36, 24, v182
	s_delay_alu instid0(VALU_DEP_4)
	v_mad_i32_i24 v8, v8, v10, v33
	v_mad_i32_i24 v10, v30, v11, v12
	v_ashrrev_i32_e32 v11, 24, v25
	v_bfe_i32 v12, v25, 16, 8
	v_bfe_i32 v30, v26, 0, 8
	v_add3_u32 v4, v4, v34, v8
	v_add3_u32 v8, v29, v9, v10
	v_ashrrev_i32_e32 v9, 24, v180
	v_bfe_i32 v34, v183, 8, 8
	v_bfe_i32 v10, v180, 16, 8
	v_ashrrev_i32_e32 v29, 24, v26
	v_add3_u32 v4, v4, v8, v13
	v_mul_i32_i24_e32 v9, v11, v9
	v_ashrrev_i32_e32 v11, 24, v181
	v_mul_i32_i24_e32 v34, v38, v34
	v_mul_i32_i24_e32 v10, v12, v10
	v_bfe_i32 v12, v181, 0, 8
	v_bfe_i32 v13, v181, 16, 8
	;; [unrolled: 1-line block ×3, first 2 shown]
	v_mul_i32_i24_e32 v36, v40, v36
	v_mul_i32_i24_e32 v35, v39, v35
	v_mad_i32_i24 v11, v29, v11, v34
	v_mad_i32_i24 v12, v30, v12, v37
	v_bfe_i32 v38, v22, 16, 8
	v_bfe_i32 v8, v21, 8, 8
	v_mad_i32_i24 v13, v33, v13, v35
	v_add3_u32 v5, v5, v36, v11
	v_bfe_i32 v11, v180, 8, 8
	v_mul_i32_i24_e32 v19, v38, v19
	v_bfe_i32 v29, v25, 0, 8
	v_ashrrev_i32_e32 v38, 24, v22
	v_add3_u32 v5, v12, v13, v5
	v_bfe_i32 v13, v25, 8, 8
	v_bfe_i32 v12, v180, 0, 8
	v_mul_lo_u32 v4, v4, v211
	v_mul_i32_i24_e32 v20, v38, v20
	v_perm_b32 v181, v182, v181, 0x7060403
	v_mul_i32_i24_e32 v11, v13, v11
	v_mul_i32_i24_e32 v12, v29, v12
	s_delay_alu instid0(VALU_DEP_2) | instskip(SKIP_1) | instid1(VALU_DEP_2)
	v_mad_i32_i24 v8, v8, v14, v11
	v_mad_i32_i24 v11, v31, v15, v19
	v_add3_u32 v5, v5, v12, v8
	s_delay_alu instid0(VALU_DEP_2) | instskip(NEXT) | instid1(VALU_DEP_1)
	v_add3_u32 v8, v10, v9, v11
	v_add3_u32 v5, v5, v8, v20
	s_delay_alu instid0(VALU_DEP_1) | instskip(NEXT) | instid1(VALU_DEP_1)
	v_mad_co_u64_u32 v[4:5], null, v5, v219, v[4:5]
	v_cvt_f32_i32_e32 v4, v4
	s_delay_alu instid0(VALU_DEP_1) | instskip(SKIP_1) | instid1(VALU_DEP_1)
	v_fma_f32 v8, v239, v4, 0
	v_mul_lo_u32 v4, v7, v220
	v_mad_co_u64_u32 v[4:5], null, v6, v221, v[4:5]
	v_add_nc_u32_e32 v5, s16, v167
	s_delay_alu instid0(VALU_DEP_2) | instskip(NEXT) | instid1(VALU_DEP_1)
	v_cvt_f32_i32_e32 v4, v4
	v_fmac_f32_e32 v8, v240, v4
	v_add3_u32 v4, s13, v190, v166
	ds_load_2addr_b32 v[37:38], v5 offset0:6 offset1:7
	ds_load_2addr_b32 v[13:14], v5 offset0:4 offset1:5
	;; [unrolled: 1-line block ×3, first 2 shown]
	ds_load_2addr_b32 v[10:11], v5 offset1:1
	ds_load_b32 v6, v4
	ds_load_2addr_b32 v[47:48], v5 offset0:14 offset1:15
	ds_load_2addr_b32 v[59:60], v5 offset0:12 offset1:13
	;; [unrolled: 1-line block ×4, first 2 shown]
	v_fmac_f32_e32 v99, v63, v8
	s_wait_dscnt 0x7
	v_perm_b32 v206, v14, v13, 0x6040503
	s_wait_dscnt 0x6
	v_perm_b32 v9, v180, v35, 0x6050401
	v_perm_b32 v207, v37, v14, 0x7060403
	s_wait_dscnt 0x5
	v_perm_b32 v210, v11, v10, 0x6040503
	s_wait_dscnt 0x3
	;; [unrolled: 2-line block ×3, first 2 shown]
	v_perm_b32 v4, v59, v237, 0x6040501
	v_perm_b32 v8, v60, v235, 0x6040503
	;; [unrolled: 1-line block ×3, first 2 shown]
	s_wait_dscnt 0x1
	v_perm_b32 v5, v193, v49, 0x6040501
	s_wait_dscnt 0x0
	v_perm_b32 v223, v49, v62, 0x7060403
	v_dot4_i32_iu8 v4, v7, v4, 0 neg_lo:[1,1,0]
	v_perm_b32 v7, v236, v59, 0x6040503
	v_perm_b32 v212, v35, v11, 0x7060403
	v_bfe_i32 v208, v6, 8, 8
	v_bfe_i32 v213, v6, 0, 8
	;; [unrolled: 1-line block ×3, first 2 shown]
	v_dot4_i32_iu8 v4, v8, v7, v4 neg_lo:[1,1,0]
	v_perm_b32 v8, v62, v193, 0x6040503
	v_ashrrev_i32_e32 v216, 24, v6
	s_delay_alu instid0(VALU_DEP_3) | instskip(NEXT) | instid1(VALU_DEP_1)
	v_dot4_i32_iu8 v4, v41, v222, v4 neg_lo:[1,1,0]
	v_dot4_i32_iu8 v7, v238, v48, v4 neg_lo:[1,1,0]
	v_perm_b32 v4, v61, v195, 0x6040501
	s_delay_alu instid0(VALU_DEP_1) | instskip(SKIP_1) | instid1(VALU_DEP_1)
	v_dot4_i32_iu8 v4, v5, v4, 0 neg_lo:[1,1,0]
	v_perm_b32 v5, v194, v61, 0x6040503
	v_dot4_i32_iu8 v4, v8, v5, v4 neg_lo:[1,1,0]
	v_perm_b32 v5, v231, v37, 0x6050401
	s_delay_alu instid0(VALU_DEP_2) | instskip(NEXT) | instid1(VALU_DEP_1)
	v_dot4_i32_iu8 v4, v67, v223, v4 neg_lo:[1,1,0]
	v_dot4_i32_iu8 v8, v196, v50, v4 neg_lo:[1,1,0]
	v_perm_b32 v4, v13, v233, 0x6050401
	s_delay_alu instid0(VALU_DEP_1) | instskip(SKIP_1) | instid1(VALU_DEP_2)
	v_dot4_i32_iu8 v4, v5, v4, 0 neg_lo:[1,1,0]
	v_perm_b32 v5, v10, v182, 0x6050401
	v_dot4_i32_iu8 v4, v68, v206, v4 neg_lo:[1,1,0]
	s_delay_alu instid0(VALU_DEP_2) | instskip(NEXT) | instid1(VALU_DEP_2)
	v_dot4_i32_iu8 v5, v9, v5, 0 neg_lo:[1,1,0]
	v_dot4_i32_iu8 v4, v69, v207, v4 neg_lo:[1,1,0]
	s_delay_alu instid0(VALU_DEP_2) | instskip(NEXT) | instid1(VALU_DEP_2)
	v_dot4_i32_iu8 v5, v125, v210, v5 neg_lo:[1,1,0]
	;; [unrolled: 3-line block ×3, first 2 shown]
	v_mul_lo_u32 v4, v4, v208
	s_delay_alu instid0(VALU_DEP_2) | instskip(NEXT) | instid1(VALU_DEP_1)
	v_dot4_i32_iu8 v5, v36, v183, v5 neg_lo:[1,1,0]
	v_mad_co_u64_u32 v[4:5], null, v5, v213, v[4:5]
	s_delay_alu instid0(VALU_DEP_1) | instskip(NEXT) | instid1(VALU_DEP_1)
	v_cvt_f32_i32_e32 v4, v4
	v_fma_f32 v9, v239, v4, 0
	v_mul_lo_u32 v4, v8, v214
	s_delay_alu instid0(VALU_DEP_1) | instskip(SKIP_1) | instid1(VALU_DEP_2)
	v_mad_co_u64_u32 v[4:5], null, v7, v216, v[4:5]
	v_add_nc_u32_e32 v5, s16, v169
	v_cvt_f32_i32_e32 v4, v4
	s_delay_alu instid0(VALU_DEP_1) | instskip(SKIP_1) | instid1(VALU_DEP_2)
	v_fmac_f32_e32 v9, v240, v4
	v_add3_u32 v4, s13, v191, v168
	v_fmac_f32_e32 v120, v64, v9
	ds_load_2addr_b32 v[33:34], v5 offset0:6 offset1:7
	ds_load_2addr_b32 v[11:12], v5 offset0:4 offset1:5
	;; [unrolled: 1-line block ×3, first 2 shown]
	ds_load_2addr_b32 v[8:9], v5 offset1:1
	ds_load_b32 v6, v4
	ds_load_2addr_b32 v[43:44], v5 offset0:14 offset1:15
	ds_load_2addr_b32 v[55:56], v5 offset0:12 offset1:13
	;; [unrolled: 1-line block ×4, first 2 shown]
	s_wait_dscnt 0x7
	v_perm_b32 v198, v12, v11, 0x6040503
	v_perm_b32 v199, v33, v12, 0x7060403
	s_wait_dscnt 0x6
	v_perm_b32 v12, v180, v31, 0x6050401
	s_wait_dscnt 0x5
	;; [unrolled: 2-line block ×4, first 2 shown]
	v_perm_b32 v4, v55, v237, 0x6040501
	v_perm_b32 v14, v56, v235, 0x6040503
	;; [unrolled: 1-line block ×3, first 2 shown]
	s_wait_dscnt 0x1
	v_perm_b32 v5, v193, v45, 0x6040501
	s_wait_dscnt 0x0
	v_perm_b32 v218, v45, v58, 0x7060403
	v_dot4_i32_iu8 v4, v7, v4, 0 neg_lo:[1,1,0]
	v_perm_b32 v7, v236, v55, 0x6040503
	v_perm_b32 v202, v31, v9, 0x7060403
	v_bfe_i32 v200, v6, 8, 8
	v_bfe_i32 v203, v6, 0, 8
	;; [unrolled: 1-line block ×3, first 2 shown]
	v_dot4_i32_iu8 v4, v14, v7, v4 neg_lo:[1,1,0]
	v_perm_b32 v14, v58, v193, 0x6040503
	v_ashrrev_i32_e32 v205, 24, v6
	v_perm_b32 v43, v55, v43, 0x6040501
	v_perm_b32 v45, v57, v45, 0x6040501
	v_dot4_i32_iu8 v4, v41, v217, v4 neg_lo:[1,1,0]
	v_perm_b32 v31, v8, v31, 0x6050401
	s_delay_alu instid0(VALU_DEP_2) | instskip(SKIP_1) | instid1(VALU_DEP_1)
	v_dot4_i32_iu8 v7, v238, v44, v4 neg_lo:[1,1,0]
	v_perm_b32 v4, v57, v195, 0x6040501
	v_dot4_i32_iu8 v4, v5, v4, 0 neg_lo:[1,1,0]
	v_perm_b32 v5, v194, v57, 0x6040503
	s_delay_alu instid0(VALU_DEP_1) | instskip(SKIP_2) | instid1(VALU_DEP_3)
	v_dot4_i32_iu8 v4, v14, v5, v4 neg_lo:[1,1,0]
	v_perm_b32 v5, v231, v33, 0x6050401
	v_perm_b32 v33, v11, v33, 0x6050401
	v_dot4_i32_iu8 v4, v67, v218, v4 neg_lo:[1,1,0]
	s_delay_alu instid0(VALU_DEP_1) | instskip(SKIP_1) | instid1(VALU_DEP_1)
	v_dot4_i32_iu8 v14, v196, v46, v4 neg_lo:[1,1,0]
	v_perm_b32 v4, v11, v233, 0x6050401
	v_dot4_i32_iu8 v4, v5, v4, 0 neg_lo:[1,1,0]
	v_perm_b32 v5, v8, v182, 0x6050401
	s_delay_alu instid0(VALU_DEP_2) | instskip(NEXT) | instid1(VALU_DEP_2)
	v_dot4_i32_iu8 v4, v68, v198, v4 neg_lo:[1,1,0]
	v_dot4_i32_iu8 v5, v12, v5, 0 neg_lo:[1,1,0]
	v_add_nc_u32_e32 v12, s16, v171
	s_delay_alu instid0(VALU_DEP_3) | instskip(NEXT) | instid1(VALU_DEP_3)
	v_dot4_i32_iu8 v4, v69, v199, v4 neg_lo:[1,1,0]
	v_dot4_i32_iu8 v5, v125, v201, v5 neg_lo:[1,1,0]
	s_delay_alu instid0(VALU_DEP_2) | instskip(NEXT) | instid1(VALU_DEP_2)
	v_dot4_i32_iu8 v4, v34, v234, v4 neg_lo:[1,1,0]
	v_dot4_i32_iu8 v5, v181, v202, v5 neg_lo:[1,1,0]
	s_delay_alu instid0(VALU_DEP_2) | instskip(NEXT) | instid1(VALU_DEP_2)
	v_mul_lo_u32 v4, v4, v200
	v_dot4_i32_iu8 v5, v32, v183, v5 neg_lo:[1,1,0]
	s_delay_alu instid0(VALU_DEP_1) | instskip(NEXT) | instid1(VALU_DEP_1)
	v_mad_co_u64_u32 v[4:5], null, v5, v203, v[4:5]
	v_cvt_f32_i32_e32 v4, v4
	s_delay_alu instid0(VALU_DEP_1) | instskip(SKIP_1) | instid1(VALU_DEP_1)
	v_fma_f32 v9, v239, v4, 0
	v_mul_lo_u32 v4, v14, v204
	v_mad_co_u64_u32 v[4:5], null, v7, v205, v[4:5]
	s_delay_alu instid0(VALU_DEP_1) | instskip(NEXT) | instid1(VALU_DEP_1)
	v_cvt_f32_i32_e32 v4, v4
	v_fmac_f32_e32 v9, v240, v4
	s_delay_alu instid0(VALU_DEP_1)
	v_fmac_f32_e32 v111, v65, v9
	v_add3_u32 v9, s13, v192, v170
	ds_load_2addr_b32 v[29:30], v12 offset0:6 offset1:7
	ds_load_2addr_b32 v[6:7], v12 offset0:4 offset1:5
	;; [unrolled: 1-line block ×3, first 2 shown]
	ds_load_2addr_b32 v[4:5], v12 offset1:1
	ds_load_b32 v9, v9
	ds_load_2addr_b32 v[39:40], v12 offset0:14 offset1:15
	ds_load_2addr_b32 v[14:15], v12 offset0:12 offset1:13
	s_wait_dscnt 0x5
	v_perm_b32 v197, v7, v6, 0x6040503
	s_wait_dscnt 0x1
	v_perm_b32 v53, v235, v39, 0x6040501
	;; [unrolled: 2-line block ×3, first 2 shown]
	v_perm_b32 v54, v15, v235, 0x6040503
	v_perm_b32 v209, v39, v15, 0x7060403
	;; [unrolled: 1-line block ×4, first 2 shown]
	v_dot4_i32_iu8 v42, v53, v42, 0 neg_lo:[1,1,0]
	v_perm_b32 v53, v236, v14, 0x6040503
	v_perm_b32 v236, v230, v52, 0x5040201
	;; [unrolled: 1-line block ×4, first 2 shown]
	s_delay_alu instid0(VALU_DEP_4) | instskip(NEXT) | instid1(VALU_DEP_1)
	v_dot4_i32_iu8 v42, v54, v53, v42 neg_lo:[1,1,0]
	v_dot4_i32_iu8 v41, v41, v209, v42 neg_lo:[1,1,0]
	s_delay_alu instid0(VALU_DEP_1)
	v_dot4_i32_iu8 v232, v238, v40, v41 neg_lo:[1,1,0]
	ds_load_2addr_b32 v[41:42], v12 offset0:10 offset1:11
	ds_load_2addr_b32 v[53:54], v12 offset0:8 offset1:9
	v_perm_b32 v238, v1, v0, 0x6050402
	s_wait_dscnt 0x0
	v_perm_b32 v12, v53, v195, 0x6040501
	v_perm_b32 v195, v193, v41, 0x6040501
	;; [unrolled: 1-line block ×5, first 2 shown]
	s_delay_alu instid0(VALU_DEP_4) | instskip(SKIP_1) | instid1(VALU_DEP_2)
	v_dot4_i32_iu8 v12, v195, v12, 0 neg_lo:[1,1,0]
	v_bfe_i32 v195, v9, 8, 8
	v_dot4_i32_iu8 v12, v193, v194, v12 neg_lo:[1,1,0]
	v_perm_b32 v193, v231, v29, 0x6050401
	v_perm_b32 v194, v5, v4, 0x6040503
	s_delay_alu instid0(VALU_DEP_3)
	v_dot4_i32_iu8 v12, v67, v215, v12 neg_lo:[1,1,0]
	v_perm_b32 v67, v6, v233, 0x6050401
	v_perm_b32 v233, v59, v47, 0x6040501
	;; [unrolled: 1-line block ×4, first 2 shown]
	v_dot4_i32_iu8 v12, v196, v42, v12 neg_lo:[1,1,0]
	v_dot4_i32_iu8 v67, v193, v67, 0 neg_lo:[1,1,0]
	v_perm_b32 v196, v29, v7, 0x7060403
	v_perm_b32 v193, v19, v5, 0x7060403
	;; [unrolled: 1-line block ×4, first 2 shown]
	v_dot4_i32_iu8 v67, v68, v197, v67 neg_lo:[1,1,0]
	v_perm_b32 v68, v180, v19, 0x6050401
	v_perm_b32 v49, v10, v35, 0x6050401
	v_perm_b32 v37, v15, v14, 0x6040503
	v_perm_b32 v19, v4, v19, 0x6050401
	v_dot4_i32_iu8 v7, v69, v196, v67 neg_lo:[1,1,0]
	v_perm_b32 v67, v4, v182, 0x6050401
	v_bfe_i32 v69, v9, 0, 8
	s_delay_alu instid0(VALU_DEP_3) | instskip(NEXT) | instid1(VALU_DEP_3)
	v_dot4_i32_iu8 v7, v30, v234, v7 neg_lo:[1,1,0]
	v_dot4_i32_iu8 v67, v68, v67, 0 neg_lo:[1,1,0]
	v_perm_b32 v234, v51, v3, 0x402030c
	s_delay_alu instid0(VALU_DEP_3) | instskip(NEXT) | instid1(VALU_DEP_3)
	v_mul_lo_u32 v7, v7, v195
	v_dot4_i32_iu8 v67, v125, v194, v67 neg_lo:[1,1,0]
	s_delay_alu instid0(VALU_DEP_1) | instskip(NEXT) | instid1(VALU_DEP_1)
	v_dot4_i32_iu8 v5, v181, v193, v67 neg_lo:[1,1,0]
	v_dot4_i32_iu8 v5, v20, v183, v5 neg_lo:[1,1,0]
	s_delay_alu instid0(VALU_DEP_1) | instskip(SKIP_1) | instid1(VALU_DEP_2)
	v_mad_co_u64_u32 v[67:68], null, v5, v69, v[7:8]
	v_ashrrev_i32_e32 v68, 24, v9
	v_cvt_f32_i32_e32 v5, v67
	v_bfe_i32 v67, v9, 16, 8
	s_delay_alu instid0(VALU_DEP_2) | instskip(NEXT) | instid1(VALU_DEP_2)
	v_fma_f32 v7, v239, v5, 0
	v_mul_lo_u32 v5, v12, v67
	v_perm_b32 v239, v3, v2, 0x5040203
	s_delay_alu instid0(VALU_DEP_2) | instskip(SKIP_1) | instid1(VALU_DEP_2)
	v_mad_co_u64_u32 v[180:181], null, v232, v68, v[5:6]
	v_perm_b32 v232, v21, v26, 0x7060403
	v_cvt_f32_i32_e32 v5, v180
	s_delay_alu instid0(VALU_DEP_1) | instskip(SKIP_1) | instid1(VALU_DEP_2)
	v_fmac_f32_e32 v7, v240, v5
	v_or_b32_e32 v5, s12, v158
	v_fmac_f32_e32 v105, v66, v7
	s_delay_alu instid0(VALU_DEP_2)
	v_lshlrev_b32_e32 v7, 2, v5
	v_lshrrev_b32_e32 v5, 1, v5
	ds_load_b128 v[180:183], v7 offset:33280
	ds_load_b128 v[240:243], v7 offset:33296
	ds_load_b128 v[244:247], v7 offset:33312
	ds_load_b128 v[248:251], v7 offset:33328
	ds_load_b64 v[252:253], v5 offset:43584
	s_wait_dscnt 0x4
	v_perm_b32 v10, v180, v182, 0x6050401
	s_wait_dscnt 0x3
	v_perm_b32 v3, v241, v240, 0x6040503
	s_wait_dscnt 0x2
	v_bfe_i32 v5, v246, 8, 8
	v_bfe_i32 v7, v244, 8, 8
	;; [unrolled: 1-line block ×3, first 2 shown]
	v_ashrrev_i32_e32 v12, 24, v246
	v_perm_b32 v0, v246, v245, 0x4030200
	v_mul_i32_i24_e32 v5, v5, v225
	v_perm_b32 v1, v247, v247, 0x3020001
	v_mul_i32_i24_e32 v9, v227, v9
	v_mul_i32_i24_e32 v12, v226, v12
	s_wait_dscnt 0x1
	v_perm_b32 v231, v250, v250, 0xc0c0c01
	v_mad_i32_i24 v5, v228, v7, v5
	v_perm_b32 v7, v245, v244, 0x5030200
	v_perm_b32 v125, v248, v52, 0x6040503
	;; [unrolled: 1-line block ×3, first 2 shown]
	v_or_b32_e32 v231, v234, v231
	v_perm_b32 v28, v245, v244, 0x6040503
	v_dot4_i32_iu8 v5, v237, v7, v5 neg_lo:[1,1,0]
	v_perm_b32 v7, v25, v182, 0x6050401
	v_perm_b32 v62, v246, v245, 0x7060403
	v_dot4_i32_iu8 v125, v231, v125, 0 neg_lo:[1,1,0]
	v_perm_b32 v231, v26, v25, 0x6040503
	v_dot4_i32_iu8 v0, v238, v0, v5 neg_lo:[1,1,0]
	v_perm_b32 v5, v242, v241, 0x7060403
	v_perm_b32 v26, v244, v246, 0x6040501
	v_dot4_i32_iu8 v51, v126, v235, v125 neg_lo:[1,1,0]
	v_perm_b32 v125, v250, v249, 0x7060403
	v_add3_u32 v0, v0, v9, v12
	v_perm_b32 v9, v182, v181, 0x7060403
	v_perm_b32 v13, v240, v242, 0x6050401
	s_delay_alu instid0(VALU_DEP_4) | instskip(NEXT) | instid1(VALU_DEP_4)
	v_dot4_i32_iu8 v51, v236, v125, v51 neg_lo:[1,1,0]
	v_dot4_i32_iu8 v2, v239, v1, v0 neg_lo:[1,1,0]
	v_perm_b32 v0, v240, v23, 0x6050401
	v_perm_b32 v1, v27, v242, 0x6050401
	s_delay_alu instid0(VALU_DEP_4) | instskip(NEXT) | instid1(VALU_DEP_2)
	v_dot4_i32_iu8 v51, v224, v251, v51 neg_lo:[1,1,0]
	v_dot4_i32_iu8 v0, v1, v0, 0 neg_lo:[1,1,0]
	v_perm_b32 v1, v180, v21, 0x6050401
	s_delay_alu instid0(VALU_DEP_2) | instskip(NEXT) | instid1(VALU_DEP_2)
	v_dot4_i32_iu8 v0, v229, v3, v0 neg_lo:[1,1,0]
	v_dot4_i32_iu8 v1, v7, v1, 0 neg_lo:[1,1,0]
	v_perm_b32 v7, v181, v180, 0x6040503
	s_delay_alu instid0(VALU_DEP_3) | instskip(NEXT) | instid1(VALU_DEP_2)
	v_dot4_i32_iu8 v0, v230, v5, v0 neg_lo:[1,1,0]
	v_dot4_i32_iu8 v1, v231, v7, v1 neg_lo:[1,1,0]
	s_delay_alu instid0(VALU_DEP_2) | instskip(NEXT) | instid1(VALU_DEP_2)
	v_dot4_i32_iu8 v0, v243, v24, v0 neg_lo:[1,1,0]
	v_dot4_i32_iu8 v1, v232, v9, v1 neg_lo:[1,1,0]
	s_delay_alu instid0(VALU_DEP_2) | instskip(NEXT) | instid1(VALU_DEP_2)
	v_mul_lo_u32 v0, v0, v211
	v_dot4_i32_iu8 v1, v183, v22, v1 neg_lo:[1,1,0]
	s_delay_alu instid0(VALU_DEP_1) | instskip(NEXT) | instid1(VALU_DEP_1)
	v_mad_co_u64_u32 v[0:1], null, v1, v219, v[0:1]
	v_cvt_f32_i32_e32 v0, v0
	s_wait_dscnt 0x0
	s_delay_alu instid0(VALU_DEP_1) | instskip(SKIP_1) | instid1(VALU_DEP_1)
	v_fma_f32 v12, v252, v0, 0
	v_mul_lo_u32 v0, v51, v221
	v_mad_co_u64_u32 v[0:1], null, v2, v220, v[0:1]
	v_perm_b32 v2, v248, v250, 0x6040501
	v_dot4_i32_iu8 v1, v10, v49, 0 neg_lo:[1,1,0]
	s_delay_alu instid0(VALU_DEP_3) | instskip(NEXT) | instid1(VALU_DEP_2)
	v_cvt_f32_i32_e32 v0, v0
	v_dot4_i32_iu8 v1, v7, v210, v1 neg_lo:[1,1,0]
	s_delay_alu instid0(VALU_DEP_2) | instskip(SKIP_1) | instid1(VALU_DEP_3)
	v_fmac_f32_e32 v12, v253, v0
	v_dot4_i32_iu8 v0, v2, v233, 0 neg_lo:[1,1,0]
	v_dot4_i32_iu8 v1, v9, v212, v1 neg_lo:[1,1,0]
	s_delay_alu instid0(VALU_DEP_3) | instskip(NEXT) | instid1(VALU_DEP_3)
	v_fmac_f32_e32 v103, v63, v12
	v_dot4_i32_iu8 v0, v126, v59, v0 neg_lo:[1,1,0]
	s_delay_alu instid0(VALU_DEP_3) | instskip(NEXT) | instid1(VALU_DEP_2)
	v_dot4_i32_iu8 v1, v183, v36, v1 neg_lo:[1,1,0]
	v_dot4_i32_iu8 v0, v125, v222, v0 neg_lo:[1,1,0]
	s_delay_alu instid0(VALU_DEP_1) | instskip(SKIP_1) | instid1(VALU_DEP_1)
	v_dot4_i32_iu8 v12, v251, v48, v0 neg_lo:[1,1,0]
	v_dot4_i32_iu8 v0, v26, v60, 0 neg_lo:[1,1,0]
	;; [unrolled: 1-line block ×3, first 2 shown]
	s_delay_alu instid0(VALU_DEP_1) | instskip(NEXT) | instid1(VALU_DEP_1)
	v_dot4_i32_iu8 v0, v62, v223, v0 neg_lo:[1,1,0]
	v_dot4_i32_iu8 v51, v247, v50, v0 neg_lo:[1,1,0]
	;; [unrolled: 1-line block ×3, first 2 shown]
	s_delay_alu instid0(VALU_DEP_1) | instskip(NEXT) | instid1(VALU_DEP_1)
	v_dot4_i32_iu8 v0, v3, v206, v0 neg_lo:[1,1,0]
	v_dot4_i32_iu8 v0, v5, v207, v0 neg_lo:[1,1,0]
	s_delay_alu instid0(VALU_DEP_1) | instskip(NEXT) | instid1(VALU_DEP_1)
	v_dot4_i32_iu8 v0, v243, v38, v0 neg_lo:[1,1,0]
	v_mul_lo_u32 v0, v0, v208
	s_delay_alu instid0(VALU_DEP_1) | instskip(NEXT) | instid1(VALU_DEP_1)
	v_mad_co_u64_u32 v[0:1], null, v1, v213, v[0:1]
	v_cvt_f32_i32_e32 v0, v0
	s_delay_alu instid0(VALU_DEP_1) | instskip(SKIP_1) | instid1(VALU_DEP_1)
	v_fma_f32 v35, v252, v0, 0
	v_mul_lo_u32 v0, v12, v216
	v_mad_co_u64_u32 v[0:1], null, v51, v214, v[0:1]
	v_perm_b32 v51, v56, v55, 0x6040503
	v_perm_b32 v55, v58, v57, 0x6040503
	v_dot4_i32_iu8 v1, v10, v31, 0 neg_lo:[1,1,0]
	s_delay_alu instid0(VALU_DEP_4) | instskip(NEXT) | instid1(VALU_DEP_2)
	v_cvt_f32_i32_e32 v0, v0
	v_dot4_i32_iu8 v1, v7, v201, v1 neg_lo:[1,1,0]
	s_delay_alu instid0(VALU_DEP_2) | instskip(SKIP_1) | instid1(VALU_DEP_3)
	v_fmac_f32_e32 v35, v253, v0
	v_dot4_i32_iu8 v0, v2, v43, 0 neg_lo:[1,1,0]
	v_dot4_i32_iu8 v1, v9, v202, v1 neg_lo:[1,1,0]
	s_delay_alu instid0(VALU_DEP_3) | instskip(NEXT) | instid1(VALU_DEP_3)
	v_fmac_f32_e32 v100, v64, v35
	v_dot4_i32_iu8 v0, v126, v51, v0 neg_lo:[1,1,0]
	s_delay_alu instid0(VALU_DEP_3) | instskip(NEXT) | instid1(VALU_DEP_2)
	v_dot4_i32_iu8 v1, v183, v32, v1 neg_lo:[1,1,0]
	v_dot4_i32_iu8 v0, v125, v217, v0 neg_lo:[1,1,0]
	s_delay_alu instid0(VALU_DEP_1) | instskip(SKIP_1) | instid1(VALU_DEP_1)
	v_dot4_i32_iu8 v12, v251, v44, v0 neg_lo:[1,1,0]
	v_dot4_i32_iu8 v0, v26, v45, 0 neg_lo:[1,1,0]
	v_dot4_i32_iu8 v0, v28, v55, v0 neg_lo:[1,1,0]
	s_delay_alu instid0(VALU_DEP_1) | instskip(NEXT) | instid1(VALU_DEP_1)
	v_dot4_i32_iu8 v0, v62, v218, v0 neg_lo:[1,1,0]
	v_dot4_i32_iu8 v35, v247, v46, v0 neg_lo:[1,1,0]
	;; [unrolled: 1-line block ×3, first 2 shown]
	s_delay_alu instid0(VALU_DEP_1) | instskip(NEXT) | instid1(VALU_DEP_1)
	v_dot4_i32_iu8 v0, v3, v198, v0 neg_lo:[1,1,0]
	v_dot4_i32_iu8 v0, v5, v199, v0 neg_lo:[1,1,0]
	s_delay_alu instid0(VALU_DEP_1) | instskip(NEXT) | instid1(VALU_DEP_1)
	v_dot4_i32_iu8 v0, v243, v34, v0 neg_lo:[1,1,0]
	v_mul_lo_u32 v0, v0, v200
	s_delay_alu instid0(VALU_DEP_1) | instskip(NEXT) | instid1(VALU_DEP_1)
	v_mad_co_u64_u32 v[0:1], null, v1, v203, v[0:1]
	v_cvt_f32_i32_e32 v0, v0
	s_delay_alu instid0(VALU_DEP_1) | instskip(SKIP_1) | instid1(VALU_DEP_1)
	v_fma_f32 v8, v252, v0, 0
	v_mul_lo_u32 v0, v12, v205
	v_mad_co_u64_u32 v[0:1], null, v35, v204, v[0:1]
	v_perm_b32 v35, v14, v39, 0x6040501
	v_perm_b32 v39, v53, v41, 0x6040501
	;; [unrolled: 1-line block ×3, first 2 shown]
	v_dot4_i32_iu8 v1, v10, v19, 0 neg_lo:[1,1,0]
	v_cvt_f32_i32_e32 v0, v0
	s_delay_alu instid0(VALU_DEP_2) | instskip(NEXT) | instid1(VALU_DEP_2)
	v_dot4_i32_iu8 v1, v7, v194, v1 neg_lo:[1,1,0]
	v_fmac_f32_e32 v8, v253, v0
	v_dot4_i32_iu8 v0, v2, v35, 0 neg_lo:[1,1,0]
	s_delay_alu instid0(VALU_DEP_3) | instskip(NEXT) | instid1(VALU_DEP_3)
	v_dot4_i32_iu8 v1, v9, v193, v1 neg_lo:[1,1,0]
	v_fmac_f32_e32 v98, v65, v8
	s_delay_alu instid0(VALU_DEP_3) | instskip(NEXT) | instid1(VALU_DEP_3)
	v_dot4_i32_iu8 v0, v126, v37, v0 neg_lo:[1,1,0]
	v_dot4_i32_iu8 v1, v183, v20, v1 neg_lo:[1,1,0]
	s_delay_alu instid0(VALU_DEP_2) | instskip(NEXT) | instid1(VALU_DEP_1)
	v_dot4_i32_iu8 v0, v125, v209, v0 neg_lo:[1,1,0]
	v_dot4_i32_iu8 v2, v251, v40, v0 neg_lo:[1,1,0]
	;; [unrolled: 1-line block ×3, first 2 shown]
	v_perm_b32 v26, v6, v29, 0x6050401
	s_delay_alu instid0(VALU_DEP_2) | instskip(NEXT) | instid1(VALU_DEP_1)
	v_dot4_i32_iu8 v0, v28, v41, v0 neg_lo:[1,1,0]
	v_dot4_i32_iu8 v0, v62, v215, v0 neg_lo:[1,1,0]
	s_delay_alu instid0(VALU_DEP_1) | instskip(NEXT) | instid1(VALU_DEP_4)
	v_dot4_i32_iu8 v8, v247, v42, v0 neg_lo:[1,1,0]
	v_dot4_i32_iu8 v0, v13, v26, 0 neg_lo:[1,1,0]
	s_delay_alu instid0(VALU_DEP_1) | instskip(NEXT) | instid1(VALU_DEP_1)
	v_dot4_i32_iu8 v0, v3, v197, v0 neg_lo:[1,1,0]
	v_dot4_i32_iu8 v0, v5, v196, v0 neg_lo:[1,1,0]
	s_delay_alu instid0(VALU_DEP_1) | instskip(NEXT) | instid1(VALU_DEP_1)
	v_dot4_i32_iu8 v0, v243, v30, v0 neg_lo:[1,1,0]
	v_mul_lo_u32 v0, v0, v195
	s_delay_alu instid0(VALU_DEP_1) | instskip(NEXT) | instid1(VALU_DEP_1)
	v_mad_co_u64_u32 v[0:1], null, v1, v69, v[0:1]
	v_cvt_f32_i32_e32 v0, v0
	s_delay_alu instid0(VALU_DEP_1) | instskip(SKIP_1) | instid1(VALU_DEP_1)
	v_fma_f32 v3, v252, v0, 0
	v_mul_lo_u32 v0, v2, v68
	v_mad_co_u64_u32 v[0:1], null, v8, v67, v[0:1]
	s_delay_alu instid0(VALU_DEP_1) | instskip(NEXT) | instid1(VALU_DEP_1)
	v_cvt_f32_i32_e32 v0, v0
	v_fmac_f32_e32 v3, v253, v0
	v_or_b32_e32 v0, s12, v159
	s_delay_alu instid0(VALU_DEP_1)
	v_dual_fmac_f32 v97, v66, v3 :: v_dual_lshlrev_b32 v12, 2, v0
	v_lshrrev_b32_e32 v28, 1, v0
	ds_load_b128 v[0:3], v12 offset:33280
	ds_load_b128 v[4:7], v12 offset:33296
	;; [unrolled: 1-line block ×4, first 2 shown]
	ds_load_b64 v[28:29], v28 offset:43584
	s_wait_dscnt 0x4
	v_perm_b32 v126, v1, v0, 0x6040503
	s_wait_dscnt 0x3
	v_perm_b32 v125, v6, v5, 0x7060403
	s_wait_dscnt 0x2
	v_bfe_i32 v53, v10, 8, 8
	v_bfe_i32 v54, v8, 8, 8
	;; [unrolled: 1-line block ×3, first 2 shown]
	v_ashrrev_i32_e32 v57, 24, v10
	s_wait_dscnt 0x1
	v_perm_b32 v62, v14, v14, 0xc0c0c01
	v_mul_i32_i24_e32 v53, v53, v225
	v_perm_b32 v180, v2, v1, 0x7060403
	v_mul_i32_i24_e32 v56, v227, v56
	v_mul_i32_i24_e32 v57, v226, v57
	v_perm_b32 v58, v12, v52, 0x6040503
	v_mad_i32_i24 v53, v228, v54, v53
	v_perm_b32 v54, v9, v8, 0x5030200
	v_or_b32_e32 v62, v234, v62
	s_delay_alu instid0(VALU_DEP_2) | instskip(SKIP_1) | instid1(VALU_DEP_3)
	v_dot4_i32_iu8 v53, v237, v54, v53 neg_lo:[1,1,0]
	v_perm_b32 v54, v10, v9, 0x4030200
	v_dot4_i32_iu8 v58, v62, v58, 0 neg_lo:[1,1,0]
	v_perm_b32 v62, v13, v12, 0x6040503
	v_perm_b32 v13, v14, v13, 0x7060403
	s_delay_alu instid0(VALU_DEP_4) | instskip(SKIP_1) | instid1(VALU_DEP_4)
	v_dot4_i32_iu8 v53, v238, v54, v53 neg_lo:[1,1,0]
	v_perm_b32 v54, v11, v11, 0x3020001
	v_dot4_i32_iu8 v58, v62, v235, v58 neg_lo:[1,1,0]
	s_delay_alu instid0(VALU_DEP_3) | instskip(SKIP_1) | instid1(VALU_DEP_3)
	v_add3_u32 v53, v53, v56, v57
	v_perm_b32 v57, v5, v4, 0x6040503
	v_dot4_i32_iu8 v58, v236, v13, v58 neg_lo:[1,1,0]
	s_delay_alu instid0(VALU_DEP_3) | instskip(SKIP_2) | instid1(VALU_DEP_4)
	v_dot4_i32_iu8 v56, v239, v54, v53 neg_lo:[1,1,0]
	v_perm_b32 v53, v4, v23, 0x6050401
	v_perm_b32 v54, v27, v6, 0x6050401
	v_dot4_i32_iu8 v58, v224, v15, v58 neg_lo:[1,1,0]
	v_perm_b32 v4, v4, v6, 0x6050401
	s_delay_alu instid0(VALU_DEP_3) | instskip(SKIP_1) | instid1(VALU_DEP_2)
	v_dot4_i32_iu8 v53, v54, v53, 0 neg_lo:[1,1,0]
	v_perm_b32 v54, v25, v2, 0x6050401
	v_dot4_i32_iu8 v53, v229, v57, v53 neg_lo:[1,1,0]
	s_delay_alu instid0(VALU_DEP_1) | instskip(SKIP_1) | instid1(VALU_DEP_2)
	v_dot4_i32_iu8 v5, v230, v125, v53 neg_lo:[1,1,0]
	v_perm_b32 v53, v0, v21, 0x6050401
	v_dot4_i32_iu8 v5, v7, v24, v5 neg_lo:[1,1,0]
	s_delay_alu instid0(VALU_DEP_2) | instskip(NEXT) | instid1(VALU_DEP_2)
	v_dot4_i32_iu8 v53, v54, v53, 0 neg_lo:[1,1,0]
	v_mul_lo_u32 v5, v5, v211
	s_delay_alu instid0(VALU_DEP_2) | instskip(NEXT) | instid1(VALU_DEP_1)
	v_dot4_i32_iu8 v53, v231, v126, v53 neg_lo:[1,1,0]
	v_dot4_i32_iu8 v1, v232, v180, v53 neg_lo:[1,1,0]
	s_delay_alu instid0(VALU_DEP_1) | instskip(NEXT) | instid1(VALU_DEP_1)
	v_dot4_i32_iu8 v1, v3, v22, v1 neg_lo:[1,1,0]
	v_mad_co_u64_u32 v[53:54], null, v1, v219, v[5:6]
	s_delay_alu instid0(VALU_DEP_1) | instskip(SKIP_1) | instid1(VALU_DEP_1)
	v_cvt_f32_i32_e32 v1, v53
	s_wait_dscnt 0x0
	v_fma_f32 v5, v28, v1, 0
	v_mul_lo_u32 v1, v58, v221
	s_delay_alu instid0(VALU_DEP_1) | instskip(SKIP_1) | instid1(VALU_DEP_1)
	v_mad_co_u64_u32 v[53:54], null, v56, v220, v[1:2]
	v_perm_b32 v2, v0, v2, 0x6050401
	v_dot4_i32_iu8 v0, v2, v49, 0 neg_lo:[1,1,0]
	s_delay_alu instid0(VALU_DEP_3) | instskip(NEXT) | instid1(VALU_DEP_2)
	v_cvt_f32_i32_e32 v1, v53
	v_dot4_i32_iu8 v0, v126, v210, v0 neg_lo:[1,1,0]
	s_delay_alu instid0(VALU_DEP_2) | instskip(NEXT) | instid1(VALU_DEP_2)
	v_fmac_f32_e32 v5, v29, v1
	v_dot4_i32_iu8 v0, v180, v212, v0 neg_lo:[1,1,0]
	s_delay_alu instid0(VALU_DEP_2)
	v_fmac_f32_e32 v96, v63, v5
	v_perm_b32 v5, v12, v14, 0x6040501
	v_perm_b32 v14, v8, v10, 0x6040501
	;; [unrolled: 1-line block ×4, first 2 shown]
	v_dot4_i32_iu8 v0, v3, v36, v0 neg_lo:[1,1,0]
	v_dot4_i32_iu8 v1, v5, v233, 0 neg_lo:[1,1,0]
	s_delay_alu instid0(VALU_DEP_1) | instskip(NEXT) | instid1(VALU_DEP_1)
	v_dot4_i32_iu8 v1, v62, v59, v1 neg_lo:[1,1,0]
	v_dot4_i32_iu8 v1, v13, v222, v1 neg_lo:[1,1,0]
	s_delay_alu instid0(VALU_DEP_1) | instskip(SKIP_1) | instid1(VALU_DEP_1)
	v_dot4_i32_iu8 v12, v15, v48, v1 neg_lo:[1,1,0]
	v_dot4_i32_iu8 v1, v14, v60, 0 neg_lo:[1,1,0]
	;; [unrolled: 1-line block ×3, first 2 shown]
	s_delay_alu instid0(VALU_DEP_1) | instskip(NEXT) | instid1(VALU_DEP_1)
	v_dot4_i32_iu8 v1, v9, v223, v1 neg_lo:[1,1,0]
	v_dot4_i32_iu8 v10, v11, v50, v1 neg_lo:[1,1,0]
	;; [unrolled: 1-line block ×3, first 2 shown]
	s_delay_alu instid0(VALU_DEP_1) | instskip(NEXT) | instid1(VALU_DEP_1)
	v_dot4_i32_iu8 v1, v57, v206, v1 neg_lo:[1,1,0]
	v_dot4_i32_iu8 v1, v125, v207, v1 neg_lo:[1,1,0]
	s_delay_alu instid0(VALU_DEP_1) | instskip(NEXT) | instid1(VALU_DEP_1)
	v_dot4_i32_iu8 v1, v7, v38, v1 neg_lo:[1,1,0]
	v_mul_lo_u32 v1, v1, v208
	s_delay_alu instid0(VALU_DEP_1) | instskip(NEXT) | instid1(VALU_DEP_1)
	v_mad_co_u64_u32 v[0:1], null, v0, v213, v[1:2]
	v_cvt_f32_i32_e32 v0, v0
	s_delay_alu instid0(VALU_DEP_1) | instskip(SKIP_1) | instid1(VALU_DEP_1)
	v_fma_f32 v6, v28, v0, 0
	v_mul_lo_u32 v0, v12, v216
	v_mad_co_u64_u32 v[0:1], null, v10, v214, v[0:1]
	v_dot4_i32_iu8 v1, v2, v31, 0 neg_lo:[1,1,0]
	s_delay_alu instid0(VALU_DEP_1) | instskip(NEXT) | instid1(VALU_DEP_3)
	v_dot4_i32_iu8 v1, v126, v201, v1 neg_lo:[1,1,0]
	v_cvt_f32_i32_e32 v0, v0
	s_delay_alu instid0(VALU_DEP_2) | instskip(NEXT) | instid1(VALU_DEP_2)
	v_dot4_i32_iu8 v1, v180, v202, v1 neg_lo:[1,1,0]
	v_fmac_f32_e32 v6, v29, v0
	v_dot4_i32_iu8 v0, v5, v43, 0 neg_lo:[1,1,0]
	s_delay_alu instid0(VALU_DEP_3) | instskip(NEXT) | instid1(VALU_DEP_3)
	v_dot4_i32_iu8 v1, v3, v32, v1 neg_lo:[1,1,0]
	v_fmac_f32_e32 v95, v64, v6
	s_delay_alu instid0(VALU_DEP_3) | instskip(NEXT) | instid1(VALU_DEP_1)
	v_dot4_i32_iu8 v0, v62, v51, v0 neg_lo:[1,1,0]
	v_dot4_i32_iu8 v0, v13, v217, v0 neg_lo:[1,1,0]
	s_delay_alu instid0(VALU_DEP_1) | instskip(SKIP_1) | instid1(VALU_DEP_1)
	v_dot4_i32_iu8 v6, v15, v44, v0 neg_lo:[1,1,0]
	v_dot4_i32_iu8 v0, v14, v45, 0 neg_lo:[1,1,0]
	;; [unrolled: 1-line block ×3, first 2 shown]
	s_delay_alu instid0(VALU_DEP_1) | instskip(NEXT) | instid1(VALU_DEP_1)
	v_dot4_i32_iu8 v0, v9, v218, v0 neg_lo:[1,1,0]
	v_dot4_i32_iu8 v10, v11, v46, v0 neg_lo:[1,1,0]
	;; [unrolled: 1-line block ×3, first 2 shown]
	s_delay_alu instid0(VALU_DEP_1) | instskip(NEXT) | instid1(VALU_DEP_1)
	v_dot4_i32_iu8 v0, v57, v198, v0 neg_lo:[1,1,0]
	v_dot4_i32_iu8 v0, v125, v199, v0 neg_lo:[1,1,0]
	s_delay_alu instid0(VALU_DEP_1) | instskip(NEXT) | instid1(VALU_DEP_1)
	v_dot4_i32_iu8 v0, v7, v34, v0 neg_lo:[1,1,0]
	v_mul_lo_u32 v0, v0, v200
	s_delay_alu instid0(VALU_DEP_1) | instskip(NEXT) | instid1(VALU_DEP_1)
	v_mad_co_u64_u32 v[0:1], null, v1, v203, v[0:1]
	v_cvt_f32_i32_e32 v0, v0
	s_delay_alu instid0(VALU_DEP_1) | instskip(SKIP_1) | instid1(VALU_DEP_1)
	v_fma_f32 v12, v28, v0, 0
	v_mul_lo_u32 v0, v6, v205
	v_mad_co_u64_u32 v[0:1], null, v10, v204, v[0:1]
	v_dot4_i32_iu8 v1, v2, v19, 0 neg_lo:[1,1,0]
	s_delay_alu instid0(VALU_DEP_1) | instskip(NEXT) | instid1(VALU_DEP_3)
	v_dot4_i32_iu8 v1, v126, v194, v1 neg_lo:[1,1,0]
	v_cvt_f32_i32_e32 v0, v0
	s_delay_alu instid0(VALU_DEP_2) | instskip(NEXT) | instid1(VALU_DEP_2)
	v_dot4_i32_iu8 v1, v180, v193, v1 neg_lo:[1,1,0]
	v_fmac_f32_e32 v12, v29, v0
	v_dot4_i32_iu8 v0, v5, v35, 0 neg_lo:[1,1,0]
	s_delay_alu instid0(VALU_DEP_3) | instskip(NEXT) | instid1(VALU_DEP_3)
	v_dot4_i32_iu8 v1, v3, v20, v1 neg_lo:[1,1,0]
	v_fmac_f32_e32 v94, v65, v12
	s_delay_alu instid0(VALU_DEP_3) | instskip(NEXT) | instid1(VALU_DEP_1)
	v_dot4_i32_iu8 v0, v62, v37, v0 neg_lo:[1,1,0]
	v_dot4_i32_iu8 v0, v13, v209, v0 neg_lo:[1,1,0]
	s_delay_alu instid0(VALU_DEP_1) | instskip(SKIP_1) | instid1(VALU_DEP_1)
	v_dot4_i32_iu8 v5, v15, v40, v0 neg_lo:[1,1,0]
	v_dot4_i32_iu8 v0, v14, v39, 0 neg_lo:[1,1,0]
	;; [unrolled: 1-line block ×3, first 2 shown]
	s_delay_alu instid0(VALU_DEP_1) | instskip(NEXT) | instid1(VALU_DEP_1)
	v_dot4_i32_iu8 v0, v9, v215, v0 neg_lo:[1,1,0]
	v_dot4_i32_iu8 v6, v11, v42, v0 neg_lo:[1,1,0]
	;; [unrolled: 1-line block ×3, first 2 shown]
	s_delay_alu instid0(VALU_DEP_1) | instskip(NEXT) | instid1(VALU_DEP_1)
	v_dot4_i32_iu8 v0, v57, v197, v0 neg_lo:[1,1,0]
	v_dot4_i32_iu8 v0, v125, v196, v0 neg_lo:[1,1,0]
	s_delay_alu instid0(VALU_DEP_1) | instskip(NEXT) | instid1(VALU_DEP_1)
	v_dot4_i32_iu8 v0, v7, v30, v0 neg_lo:[1,1,0]
	v_mul_lo_u32 v0, v0, v195
	s_delay_alu instid0(VALU_DEP_1) | instskip(NEXT) | instid1(VALU_DEP_1)
	v_mad_co_u64_u32 v[0:1], null, v1, v69, v[0:1]
	v_cvt_f32_i32_e32 v0, v0
	s_delay_alu instid0(VALU_DEP_1) | instskip(SKIP_1) | instid1(VALU_DEP_1)
	v_fma_f32 v2, v28, v0, 0
	v_mul_lo_u32 v0, v5, v68
	v_mad_co_u64_u32 v[0:1], null, v6, v67, v[0:1]
	s_delay_alu instid0(VALU_DEP_1) | instskip(NEXT) | instid1(VALU_DEP_1)
	v_cvt_f32_i32_e32 v0, v0
	v_fmac_f32_e32 v2, v29, v0
	v_or_b32_e32 v0, s12, v160
	s_delay_alu instid0(VALU_DEP_2) | instskip(NEXT) | instid1(VALU_DEP_2)
	v_fmac_f32_e32 v92, v66, v2
	v_lshlrev_b32_e32 v12, 2, v0
	v_lshrrev_b32_e32 v28, 1, v0
	ds_load_b128 v[0:3], v12 offset:33280
	ds_load_b128 v[4:7], v12 offset:33296
	;; [unrolled: 1-line block ×4, first 2 shown]
	ds_load_b64 v[28:29], v28 offset:43584
	s_wait_dscnt 0x4
	v_perm_b32 v126, v1, v0, 0x6040503
	s_wait_dscnt 0x3
	v_perm_b32 v125, v6, v5, 0x7060403
	s_wait_dscnt 0x2
	v_bfe_i32 v53, v10, 8, 8
	v_bfe_i32 v54, v8, 8, 8
	;; [unrolled: 1-line block ×3, first 2 shown]
	v_ashrrev_i32_e32 v57, 24, v10
	s_wait_dscnt 0x1
	v_perm_b32 v62, v14, v14, 0xc0c0c01
	v_mul_i32_i24_e32 v53, v53, v225
	v_perm_b32 v180, v2, v1, 0x7060403
	v_mul_i32_i24_e32 v56, v227, v56
	v_mul_i32_i24_e32 v57, v226, v57
	v_perm_b32 v58, v12, v52, 0x6040503
	v_mad_i32_i24 v53, v228, v54, v53
	v_perm_b32 v54, v9, v8, 0x5030200
	v_or_b32_e32 v62, v234, v62
	s_delay_alu instid0(VALU_DEP_2) | instskip(SKIP_1) | instid1(VALU_DEP_3)
	v_dot4_i32_iu8 v53, v237, v54, v53 neg_lo:[1,1,0]
	v_perm_b32 v54, v10, v9, 0x4030200
	v_dot4_i32_iu8 v58, v62, v58, 0 neg_lo:[1,1,0]
	v_perm_b32 v62, v13, v12, 0x6040503
	v_perm_b32 v13, v14, v13, 0x7060403
	s_delay_alu instid0(VALU_DEP_4) | instskip(SKIP_1) | instid1(VALU_DEP_4)
	v_dot4_i32_iu8 v53, v238, v54, v53 neg_lo:[1,1,0]
	v_perm_b32 v54, v11, v11, 0x3020001
	v_dot4_i32_iu8 v58, v62, v235, v58 neg_lo:[1,1,0]
	s_delay_alu instid0(VALU_DEP_3) | instskip(SKIP_1) | instid1(VALU_DEP_3)
	v_add3_u32 v53, v53, v56, v57
	v_perm_b32 v57, v5, v4, 0x6040503
	v_dot4_i32_iu8 v58, v236, v13, v58 neg_lo:[1,1,0]
	s_delay_alu instid0(VALU_DEP_3) | instskip(SKIP_2) | instid1(VALU_DEP_4)
	v_dot4_i32_iu8 v56, v239, v54, v53 neg_lo:[1,1,0]
	v_perm_b32 v53, v4, v23, 0x6050401
	v_perm_b32 v54, v27, v6, 0x6050401
	v_dot4_i32_iu8 v58, v224, v15, v58 neg_lo:[1,1,0]
	v_perm_b32 v4, v4, v6, 0x6050401
	s_delay_alu instid0(VALU_DEP_3) | instskip(SKIP_1) | instid1(VALU_DEP_2)
	v_dot4_i32_iu8 v53, v54, v53, 0 neg_lo:[1,1,0]
	v_perm_b32 v54, v25, v2, 0x6050401
	v_dot4_i32_iu8 v53, v229, v57, v53 neg_lo:[1,1,0]
	s_delay_alu instid0(VALU_DEP_1) | instskip(SKIP_1) | instid1(VALU_DEP_2)
	v_dot4_i32_iu8 v5, v230, v125, v53 neg_lo:[1,1,0]
	v_perm_b32 v53, v0, v21, 0x6050401
	v_dot4_i32_iu8 v5, v7, v24, v5 neg_lo:[1,1,0]
	s_delay_alu instid0(VALU_DEP_2) | instskip(NEXT) | instid1(VALU_DEP_2)
	v_dot4_i32_iu8 v53, v54, v53, 0 neg_lo:[1,1,0]
	v_mul_lo_u32 v5, v5, v211
	s_delay_alu instid0(VALU_DEP_2) | instskip(NEXT) | instid1(VALU_DEP_1)
	v_dot4_i32_iu8 v53, v231, v126, v53 neg_lo:[1,1,0]
	v_dot4_i32_iu8 v1, v232, v180, v53 neg_lo:[1,1,0]
	s_delay_alu instid0(VALU_DEP_1) | instskip(NEXT) | instid1(VALU_DEP_1)
	v_dot4_i32_iu8 v1, v3, v22, v1 neg_lo:[1,1,0]
	v_mad_co_u64_u32 v[53:54], null, v1, v219, v[5:6]
	s_delay_alu instid0(VALU_DEP_1) | instskip(SKIP_1) | instid1(VALU_DEP_1)
	v_cvt_f32_i32_e32 v1, v53
	s_wait_dscnt 0x0
	v_fma_f32 v5, v28, v1, 0
	v_mul_lo_u32 v1, v58, v221
	s_delay_alu instid0(VALU_DEP_1) | instskip(SKIP_1) | instid1(VALU_DEP_1)
	v_mad_co_u64_u32 v[53:54], null, v56, v220, v[1:2]
	v_perm_b32 v2, v0, v2, 0x6050401
	v_dot4_i32_iu8 v0, v2, v49, 0 neg_lo:[1,1,0]
	s_delay_alu instid0(VALU_DEP_3) | instskip(NEXT) | instid1(VALU_DEP_2)
	v_cvt_f32_i32_e32 v1, v53
	v_dot4_i32_iu8 v0, v126, v210, v0 neg_lo:[1,1,0]
	s_delay_alu instid0(VALU_DEP_2) | instskip(NEXT) | instid1(VALU_DEP_2)
	v_fmac_f32_e32 v5, v29, v1
	v_dot4_i32_iu8 v0, v180, v212, v0 neg_lo:[1,1,0]
	s_delay_alu instid0(VALU_DEP_2)
	v_fmac_f32_e32 v91, v63, v5
	v_perm_b32 v5, v12, v14, 0x6040501
	v_perm_b32 v14, v8, v10, 0x6040501
	;; [unrolled: 1-line block ×4, first 2 shown]
	v_dot4_i32_iu8 v0, v3, v36, v0 neg_lo:[1,1,0]
	v_dot4_i32_iu8 v1, v5, v233, 0 neg_lo:[1,1,0]
	s_delay_alu instid0(VALU_DEP_1) | instskip(NEXT) | instid1(VALU_DEP_1)
	v_dot4_i32_iu8 v1, v62, v59, v1 neg_lo:[1,1,0]
	v_dot4_i32_iu8 v1, v13, v222, v1 neg_lo:[1,1,0]
	s_delay_alu instid0(VALU_DEP_1) | instskip(SKIP_1) | instid1(VALU_DEP_1)
	v_dot4_i32_iu8 v12, v15, v48, v1 neg_lo:[1,1,0]
	v_dot4_i32_iu8 v1, v14, v60, 0 neg_lo:[1,1,0]
	;; [unrolled: 1-line block ×3, first 2 shown]
	s_delay_alu instid0(VALU_DEP_1) | instskip(NEXT) | instid1(VALU_DEP_1)
	v_dot4_i32_iu8 v1, v9, v223, v1 neg_lo:[1,1,0]
	v_dot4_i32_iu8 v10, v11, v50, v1 neg_lo:[1,1,0]
	;; [unrolled: 1-line block ×3, first 2 shown]
	s_delay_alu instid0(VALU_DEP_1) | instskip(NEXT) | instid1(VALU_DEP_1)
	v_dot4_i32_iu8 v1, v57, v206, v1 neg_lo:[1,1,0]
	v_dot4_i32_iu8 v1, v125, v207, v1 neg_lo:[1,1,0]
	s_delay_alu instid0(VALU_DEP_1) | instskip(NEXT) | instid1(VALU_DEP_1)
	v_dot4_i32_iu8 v1, v7, v38, v1 neg_lo:[1,1,0]
	v_mul_lo_u32 v1, v1, v208
	s_delay_alu instid0(VALU_DEP_1) | instskip(NEXT) | instid1(VALU_DEP_1)
	v_mad_co_u64_u32 v[0:1], null, v0, v213, v[1:2]
	v_cvt_f32_i32_e32 v0, v0
	s_delay_alu instid0(VALU_DEP_1) | instskip(SKIP_1) | instid1(VALU_DEP_1)
	v_fma_f32 v6, v28, v0, 0
	v_mul_lo_u32 v0, v12, v216
	v_mad_co_u64_u32 v[0:1], null, v10, v214, v[0:1]
	v_dot4_i32_iu8 v1, v2, v31, 0 neg_lo:[1,1,0]
	s_delay_alu instid0(VALU_DEP_1) | instskip(NEXT) | instid1(VALU_DEP_3)
	v_dot4_i32_iu8 v1, v126, v201, v1 neg_lo:[1,1,0]
	v_cvt_f32_i32_e32 v0, v0
	s_delay_alu instid0(VALU_DEP_2) | instskip(NEXT) | instid1(VALU_DEP_2)
	v_dot4_i32_iu8 v1, v180, v202, v1 neg_lo:[1,1,0]
	v_fmac_f32_e32 v6, v29, v0
	v_dot4_i32_iu8 v0, v5, v43, 0 neg_lo:[1,1,0]
	s_delay_alu instid0(VALU_DEP_3) | instskip(NEXT) | instid1(VALU_DEP_3)
	v_dot4_i32_iu8 v1, v3, v32, v1 neg_lo:[1,1,0]
	v_fmac_f32_e32 v88, v64, v6
	s_delay_alu instid0(VALU_DEP_3) | instskip(NEXT) | instid1(VALU_DEP_1)
	v_dot4_i32_iu8 v0, v62, v51, v0 neg_lo:[1,1,0]
	v_dot4_i32_iu8 v0, v13, v217, v0 neg_lo:[1,1,0]
	s_delay_alu instid0(VALU_DEP_1) | instskip(SKIP_1) | instid1(VALU_DEP_1)
	v_dot4_i32_iu8 v6, v15, v44, v0 neg_lo:[1,1,0]
	v_dot4_i32_iu8 v0, v14, v45, 0 neg_lo:[1,1,0]
	v_dot4_i32_iu8 v0, v8, v55, v0 neg_lo:[1,1,0]
	s_delay_alu instid0(VALU_DEP_1) | instskip(NEXT) | instid1(VALU_DEP_1)
	v_dot4_i32_iu8 v0, v9, v218, v0 neg_lo:[1,1,0]
	v_dot4_i32_iu8 v10, v11, v46, v0 neg_lo:[1,1,0]
	;; [unrolled: 1-line block ×3, first 2 shown]
	s_delay_alu instid0(VALU_DEP_1) | instskip(NEXT) | instid1(VALU_DEP_1)
	v_dot4_i32_iu8 v0, v57, v198, v0 neg_lo:[1,1,0]
	v_dot4_i32_iu8 v0, v125, v199, v0 neg_lo:[1,1,0]
	s_delay_alu instid0(VALU_DEP_1) | instskip(NEXT) | instid1(VALU_DEP_1)
	v_dot4_i32_iu8 v0, v7, v34, v0 neg_lo:[1,1,0]
	v_mul_lo_u32 v0, v0, v200
	s_delay_alu instid0(VALU_DEP_1) | instskip(NEXT) | instid1(VALU_DEP_1)
	v_mad_co_u64_u32 v[0:1], null, v1, v203, v[0:1]
	v_cvt_f32_i32_e32 v0, v0
	s_delay_alu instid0(VALU_DEP_1) | instskip(SKIP_1) | instid1(VALU_DEP_1)
	v_fma_f32 v12, v28, v0, 0
	v_mul_lo_u32 v0, v6, v205
	v_mad_co_u64_u32 v[0:1], null, v10, v204, v[0:1]
	v_dot4_i32_iu8 v1, v2, v19, 0 neg_lo:[1,1,0]
	s_delay_alu instid0(VALU_DEP_1) | instskip(NEXT) | instid1(VALU_DEP_3)
	v_dot4_i32_iu8 v1, v126, v194, v1 neg_lo:[1,1,0]
	v_cvt_f32_i32_e32 v0, v0
	s_delay_alu instid0(VALU_DEP_2) | instskip(NEXT) | instid1(VALU_DEP_2)
	v_dot4_i32_iu8 v1, v180, v193, v1 neg_lo:[1,1,0]
	v_fmac_f32_e32 v12, v29, v0
	v_dot4_i32_iu8 v0, v5, v35, 0 neg_lo:[1,1,0]
	s_delay_alu instid0(VALU_DEP_3) | instskip(NEXT) | instid1(VALU_DEP_3)
	v_dot4_i32_iu8 v1, v3, v20, v1 neg_lo:[1,1,0]
	v_fmac_f32_e32 v87, v65, v12
	s_delay_alu instid0(VALU_DEP_3) | instskip(NEXT) | instid1(VALU_DEP_1)
	v_dot4_i32_iu8 v0, v62, v37, v0 neg_lo:[1,1,0]
	v_dot4_i32_iu8 v0, v13, v209, v0 neg_lo:[1,1,0]
	s_delay_alu instid0(VALU_DEP_1) | instskip(SKIP_1) | instid1(VALU_DEP_1)
	v_dot4_i32_iu8 v5, v15, v40, v0 neg_lo:[1,1,0]
	v_dot4_i32_iu8 v0, v14, v39, 0 neg_lo:[1,1,0]
	;; [unrolled: 1-line block ×3, first 2 shown]
	s_delay_alu instid0(VALU_DEP_1) | instskip(NEXT) | instid1(VALU_DEP_1)
	v_dot4_i32_iu8 v0, v9, v215, v0 neg_lo:[1,1,0]
	v_dot4_i32_iu8 v6, v11, v42, v0 neg_lo:[1,1,0]
	;; [unrolled: 1-line block ×3, first 2 shown]
	s_delay_alu instid0(VALU_DEP_1) | instskip(NEXT) | instid1(VALU_DEP_1)
	v_dot4_i32_iu8 v0, v57, v197, v0 neg_lo:[1,1,0]
	v_dot4_i32_iu8 v0, v125, v196, v0 neg_lo:[1,1,0]
	s_delay_alu instid0(VALU_DEP_1) | instskip(NEXT) | instid1(VALU_DEP_1)
	v_dot4_i32_iu8 v0, v7, v30, v0 neg_lo:[1,1,0]
	v_mul_lo_u32 v0, v0, v195
	s_delay_alu instid0(VALU_DEP_1) | instskip(NEXT) | instid1(VALU_DEP_1)
	v_mad_co_u64_u32 v[0:1], null, v1, v69, v[0:1]
	v_cvt_f32_i32_e32 v0, v0
	s_delay_alu instid0(VALU_DEP_1) | instskip(SKIP_1) | instid1(VALU_DEP_1)
	v_fma_f32 v2, v28, v0, 0
	v_mul_lo_u32 v0, v5, v68
	v_mad_co_u64_u32 v[0:1], null, v6, v67, v[0:1]
	s_delay_alu instid0(VALU_DEP_1) | instskip(NEXT) | instid1(VALU_DEP_1)
	v_cvt_f32_i32_e32 v0, v0
	v_fmac_f32_e32 v2, v29, v0
	v_or_b32_e32 v0, s12, v161
	s_delay_alu instid0(VALU_DEP_2) | instskip(NEXT) | instid1(VALU_DEP_2)
	v_fmac_f32_e32 v86, v66, v2
	v_lshlrev_b32_e32 v12, 2, v0
	v_lshrrev_b32_e32 v28, 1, v0
	ds_load_b128 v[0:3], v12 offset:33280
	ds_load_b128 v[4:7], v12 offset:33296
	;; [unrolled: 1-line block ×4, first 2 shown]
	ds_load_b64 v[28:29], v28 offset:43584
	s_wait_dscnt 0x4
	v_perm_b32 v126, v1, v0, 0x6040503
	s_wait_dscnt 0x3
	v_perm_b32 v125, v6, v5, 0x7060403
	s_wait_dscnt 0x2
	v_bfe_i32 v53, v10, 8, 8
	v_bfe_i32 v54, v8, 8, 8
	;; [unrolled: 1-line block ×3, first 2 shown]
	v_ashrrev_i32_e32 v57, 24, v10
	s_wait_dscnt 0x1
	v_perm_b32 v62, v14, v14, 0xc0c0c01
	v_mul_i32_i24_e32 v53, v53, v225
	v_perm_b32 v180, v2, v1, 0x7060403
	v_mul_i32_i24_e32 v56, v227, v56
	v_mul_i32_i24_e32 v57, v226, v57
	v_perm_b32 v58, v12, v52, 0x6040503
	v_mad_i32_i24 v53, v228, v54, v53
	v_perm_b32 v54, v9, v8, 0x5030200
	v_or_b32_e32 v62, v234, v62
	s_delay_alu instid0(VALU_DEP_2) | instskip(SKIP_1) | instid1(VALU_DEP_3)
	v_dot4_i32_iu8 v53, v237, v54, v53 neg_lo:[1,1,0]
	v_perm_b32 v54, v10, v9, 0x4030200
	v_dot4_i32_iu8 v58, v62, v58, 0 neg_lo:[1,1,0]
	v_perm_b32 v62, v13, v12, 0x6040503
	v_perm_b32 v13, v14, v13, 0x7060403
	s_delay_alu instid0(VALU_DEP_4) | instskip(SKIP_1) | instid1(VALU_DEP_4)
	v_dot4_i32_iu8 v53, v238, v54, v53 neg_lo:[1,1,0]
	v_perm_b32 v54, v11, v11, 0x3020001
	v_dot4_i32_iu8 v58, v62, v235, v58 neg_lo:[1,1,0]
	s_delay_alu instid0(VALU_DEP_3) | instskip(SKIP_1) | instid1(VALU_DEP_3)
	v_add3_u32 v53, v53, v56, v57
	v_perm_b32 v57, v5, v4, 0x6040503
	v_dot4_i32_iu8 v58, v236, v13, v58 neg_lo:[1,1,0]
	s_delay_alu instid0(VALU_DEP_3) | instskip(SKIP_2) | instid1(VALU_DEP_4)
	v_dot4_i32_iu8 v56, v239, v54, v53 neg_lo:[1,1,0]
	v_perm_b32 v53, v4, v23, 0x6050401
	v_perm_b32 v54, v27, v6, 0x6050401
	v_dot4_i32_iu8 v58, v224, v15, v58 neg_lo:[1,1,0]
	v_perm_b32 v4, v4, v6, 0x6050401
	s_delay_alu instid0(VALU_DEP_3) | instskip(SKIP_1) | instid1(VALU_DEP_2)
	v_dot4_i32_iu8 v53, v54, v53, 0 neg_lo:[1,1,0]
	v_perm_b32 v54, v25, v2, 0x6050401
	v_dot4_i32_iu8 v53, v229, v57, v53 neg_lo:[1,1,0]
	s_delay_alu instid0(VALU_DEP_1) | instskip(SKIP_1) | instid1(VALU_DEP_2)
	v_dot4_i32_iu8 v5, v230, v125, v53 neg_lo:[1,1,0]
	v_perm_b32 v53, v0, v21, 0x6050401
	v_dot4_i32_iu8 v5, v7, v24, v5 neg_lo:[1,1,0]
	s_delay_alu instid0(VALU_DEP_2) | instskip(NEXT) | instid1(VALU_DEP_2)
	v_dot4_i32_iu8 v53, v54, v53, 0 neg_lo:[1,1,0]
	v_mul_lo_u32 v5, v5, v211
	s_delay_alu instid0(VALU_DEP_2) | instskip(NEXT) | instid1(VALU_DEP_1)
	v_dot4_i32_iu8 v53, v231, v126, v53 neg_lo:[1,1,0]
	v_dot4_i32_iu8 v1, v232, v180, v53 neg_lo:[1,1,0]
	s_delay_alu instid0(VALU_DEP_1) | instskip(NEXT) | instid1(VALU_DEP_1)
	v_dot4_i32_iu8 v1, v3, v22, v1 neg_lo:[1,1,0]
	v_mad_co_u64_u32 v[53:54], null, v1, v219, v[5:6]
	s_delay_alu instid0(VALU_DEP_1) | instskip(SKIP_1) | instid1(VALU_DEP_1)
	v_cvt_f32_i32_e32 v1, v53
	s_wait_dscnt 0x0
	v_fma_f32 v5, v28, v1, 0
	v_mul_lo_u32 v1, v58, v221
	s_delay_alu instid0(VALU_DEP_1) | instskip(SKIP_1) | instid1(VALU_DEP_1)
	v_mad_co_u64_u32 v[53:54], null, v56, v220, v[1:2]
	v_perm_b32 v2, v0, v2, 0x6050401
	v_dot4_i32_iu8 v0, v2, v49, 0 neg_lo:[1,1,0]
	s_delay_alu instid0(VALU_DEP_3) | instskip(NEXT) | instid1(VALU_DEP_2)
	v_cvt_f32_i32_e32 v1, v53
	v_dot4_i32_iu8 v0, v126, v210, v0 neg_lo:[1,1,0]
	s_delay_alu instid0(VALU_DEP_2) | instskip(NEXT) | instid1(VALU_DEP_2)
	v_fmac_f32_e32 v5, v29, v1
	v_dot4_i32_iu8 v0, v180, v212, v0 neg_lo:[1,1,0]
	s_delay_alu instid0(VALU_DEP_2)
	v_fmac_f32_e32 v85, v63, v5
	v_perm_b32 v5, v12, v14, 0x6040501
	v_perm_b32 v14, v8, v10, 0x6040501
	;; [unrolled: 1-line block ×4, first 2 shown]
	v_dot4_i32_iu8 v0, v3, v36, v0 neg_lo:[1,1,0]
	v_dot4_i32_iu8 v1, v5, v233, 0 neg_lo:[1,1,0]
	s_delay_alu instid0(VALU_DEP_1) | instskip(NEXT) | instid1(VALU_DEP_1)
	v_dot4_i32_iu8 v1, v62, v59, v1 neg_lo:[1,1,0]
	v_dot4_i32_iu8 v1, v13, v222, v1 neg_lo:[1,1,0]
	s_delay_alu instid0(VALU_DEP_1) | instskip(SKIP_1) | instid1(VALU_DEP_1)
	v_dot4_i32_iu8 v12, v15, v48, v1 neg_lo:[1,1,0]
	v_dot4_i32_iu8 v1, v14, v60, 0 neg_lo:[1,1,0]
	;; [unrolled: 1-line block ×3, first 2 shown]
	s_delay_alu instid0(VALU_DEP_1) | instskip(NEXT) | instid1(VALU_DEP_1)
	v_dot4_i32_iu8 v1, v9, v223, v1 neg_lo:[1,1,0]
	v_dot4_i32_iu8 v10, v11, v50, v1 neg_lo:[1,1,0]
	;; [unrolled: 1-line block ×3, first 2 shown]
	s_delay_alu instid0(VALU_DEP_1) | instskip(NEXT) | instid1(VALU_DEP_1)
	v_dot4_i32_iu8 v1, v57, v206, v1 neg_lo:[1,1,0]
	v_dot4_i32_iu8 v1, v125, v207, v1 neg_lo:[1,1,0]
	s_delay_alu instid0(VALU_DEP_1) | instskip(NEXT) | instid1(VALU_DEP_1)
	v_dot4_i32_iu8 v1, v7, v38, v1 neg_lo:[1,1,0]
	v_mul_lo_u32 v1, v1, v208
	s_delay_alu instid0(VALU_DEP_1) | instskip(NEXT) | instid1(VALU_DEP_1)
	v_mad_co_u64_u32 v[0:1], null, v0, v213, v[1:2]
	v_cvt_f32_i32_e32 v0, v0
	s_delay_alu instid0(VALU_DEP_1) | instskip(SKIP_1) | instid1(VALU_DEP_1)
	v_fma_f32 v6, v28, v0, 0
	v_mul_lo_u32 v0, v12, v216
	v_mad_co_u64_u32 v[0:1], null, v10, v214, v[0:1]
	v_dot4_i32_iu8 v1, v2, v31, 0 neg_lo:[1,1,0]
	s_delay_alu instid0(VALU_DEP_1) | instskip(NEXT) | instid1(VALU_DEP_3)
	v_dot4_i32_iu8 v1, v126, v201, v1 neg_lo:[1,1,0]
	v_cvt_f32_i32_e32 v0, v0
	s_delay_alu instid0(VALU_DEP_2) | instskip(NEXT) | instid1(VALU_DEP_2)
	v_dot4_i32_iu8 v1, v180, v202, v1 neg_lo:[1,1,0]
	v_fmac_f32_e32 v6, v29, v0
	v_dot4_i32_iu8 v0, v5, v43, 0 neg_lo:[1,1,0]
	s_delay_alu instid0(VALU_DEP_3) | instskip(NEXT) | instid1(VALU_DEP_3)
	v_dot4_i32_iu8 v1, v3, v32, v1 neg_lo:[1,1,0]
	v_fmac_f32_e32 v84, v64, v6
	s_delay_alu instid0(VALU_DEP_3) | instskip(NEXT) | instid1(VALU_DEP_1)
	v_dot4_i32_iu8 v0, v62, v51, v0 neg_lo:[1,1,0]
	v_dot4_i32_iu8 v0, v13, v217, v0 neg_lo:[1,1,0]
	s_delay_alu instid0(VALU_DEP_1) | instskip(SKIP_1) | instid1(VALU_DEP_1)
	v_dot4_i32_iu8 v6, v15, v44, v0 neg_lo:[1,1,0]
	v_dot4_i32_iu8 v0, v14, v45, 0 neg_lo:[1,1,0]
	v_dot4_i32_iu8 v0, v8, v55, v0 neg_lo:[1,1,0]
	s_delay_alu instid0(VALU_DEP_1) | instskip(NEXT) | instid1(VALU_DEP_1)
	v_dot4_i32_iu8 v0, v9, v218, v0 neg_lo:[1,1,0]
	v_dot4_i32_iu8 v10, v11, v46, v0 neg_lo:[1,1,0]
	;; [unrolled: 1-line block ×3, first 2 shown]
	s_delay_alu instid0(VALU_DEP_1) | instskip(NEXT) | instid1(VALU_DEP_1)
	v_dot4_i32_iu8 v0, v57, v198, v0 neg_lo:[1,1,0]
	v_dot4_i32_iu8 v0, v125, v199, v0 neg_lo:[1,1,0]
	s_delay_alu instid0(VALU_DEP_1) | instskip(NEXT) | instid1(VALU_DEP_1)
	v_dot4_i32_iu8 v0, v7, v34, v0 neg_lo:[1,1,0]
	v_mul_lo_u32 v0, v0, v200
	s_delay_alu instid0(VALU_DEP_1) | instskip(NEXT) | instid1(VALU_DEP_1)
	v_mad_co_u64_u32 v[0:1], null, v1, v203, v[0:1]
	v_cvt_f32_i32_e32 v0, v0
	s_delay_alu instid0(VALU_DEP_1) | instskip(SKIP_1) | instid1(VALU_DEP_1)
	v_fma_f32 v12, v28, v0, 0
	v_mul_lo_u32 v0, v6, v205
	v_mad_co_u64_u32 v[0:1], null, v10, v204, v[0:1]
	v_dot4_i32_iu8 v1, v2, v19, 0 neg_lo:[1,1,0]
	s_delay_alu instid0(VALU_DEP_1) | instskip(NEXT) | instid1(VALU_DEP_3)
	v_dot4_i32_iu8 v1, v126, v194, v1 neg_lo:[1,1,0]
	v_cvt_f32_i32_e32 v0, v0
	s_delay_alu instid0(VALU_DEP_2) | instskip(NEXT) | instid1(VALU_DEP_2)
	v_dot4_i32_iu8 v1, v180, v193, v1 neg_lo:[1,1,0]
	v_fmac_f32_e32 v12, v29, v0
	v_dot4_i32_iu8 v0, v5, v35, 0 neg_lo:[1,1,0]
	s_delay_alu instid0(VALU_DEP_3) | instskip(NEXT) | instid1(VALU_DEP_3)
	v_dot4_i32_iu8 v1, v3, v20, v1 neg_lo:[1,1,0]
	v_fmac_f32_e32 v83, v65, v12
	s_delay_alu instid0(VALU_DEP_3) | instskip(NEXT) | instid1(VALU_DEP_1)
	v_dot4_i32_iu8 v0, v62, v37, v0 neg_lo:[1,1,0]
	v_dot4_i32_iu8 v0, v13, v209, v0 neg_lo:[1,1,0]
	s_delay_alu instid0(VALU_DEP_1) | instskip(SKIP_1) | instid1(VALU_DEP_1)
	v_dot4_i32_iu8 v5, v15, v40, v0 neg_lo:[1,1,0]
	v_dot4_i32_iu8 v0, v14, v39, 0 neg_lo:[1,1,0]
	;; [unrolled: 1-line block ×3, first 2 shown]
	s_delay_alu instid0(VALU_DEP_1) | instskip(NEXT) | instid1(VALU_DEP_1)
	v_dot4_i32_iu8 v0, v9, v215, v0 neg_lo:[1,1,0]
	v_dot4_i32_iu8 v6, v11, v42, v0 neg_lo:[1,1,0]
	;; [unrolled: 1-line block ×3, first 2 shown]
	s_delay_alu instid0(VALU_DEP_1) | instskip(NEXT) | instid1(VALU_DEP_1)
	v_dot4_i32_iu8 v0, v57, v197, v0 neg_lo:[1,1,0]
	v_dot4_i32_iu8 v0, v125, v196, v0 neg_lo:[1,1,0]
	s_delay_alu instid0(VALU_DEP_1) | instskip(NEXT) | instid1(VALU_DEP_1)
	v_dot4_i32_iu8 v0, v7, v30, v0 neg_lo:[1,1,0]
	v_mul_lo_u32 v0, v0, v195
	s_delay_alu instid0(VALU_DEP_1) | instskip(NEXT) | instid1(VALU_DEP_1)
	v_mad_co_u64_u32 v[0:1], null, v1, v69, v[0:1]
	v_cvt_f32_i32_e32 v0, v0
	s_delay_alu instid0(VALU_DEP_1) | instskip(SKIP_1) | instid1(VALU_DEP_1)
	v_fma_f32 v2, v28, v0, 0
	v_mul_lo_u32 v0, v5, v68
	v_mad_co_u64_u32 v[0:1], null, v6, v67, v[0:1]
	s_delay_alu instid0(VALU_DEP_1) | instskip(NEXT) | instid1(VALU_DEP_1)
	v_cvt_f32_i32_e32 v0, v0
	v_fmac_f32_e32 v2, v29, v0
	v_or_b32_e32 v0, s12, v162
	s_delay_alu instid0(VALU_DEP_2) | instskip(NEXT) | instid1(VALU_DEP_2)
	v_fmac_f32_e32 v82, v66, v2
	v_lshlrev_b32_e32 v12, 2, v0
	v_lshrrev_b32_e32 v28, 1, v0
	ds_load_b128 v[0:3], v12 offset:33280
	ds_load_b128 v[4:7], v12 offset:33296
	;; [unrolled: 1-line block ×4, first 2 shown]
	ds_load_b64 v[28:29], v28 offset:43584
	s_wait_dscnt 0x4
	v_perm_b32 v126, v1, v0, 0x6040503
	s_wait_dscnt 0x3
	v_perm_b32 v125, v6, v5, 0x7060403
	s_wait_dscnt 0x2
	v_bfe_i32 v53, v10, 8, 8
	v_bfe_i32 v54, v8, 8, 8
	;; [unrolled: 1-line block ×3, first 2 shown]
	v_ashrrev_i32_e32 v57, 24, v10
	s_wait_dscnt 0x1
	v_perm_b32 v62, v14, v14, 0xc0c0c01
	v_mul_i32_i24_e32 v53, v53, v225
	v_perm_b32 v180, v2, v1, 0x7060403
	v_mul_i32_i24_e32 v56, v227, v56
	v_mul_i32_i24_e32 v57, v226, v57
	v_perm_b32 v58, v12, v52, 0x6040503
	v_mad_i32_i24 v53, v228, v54, v53
	v_perm_b32 v54, v9, v8, 0x5030200
	v_or_b32_e32 v62, v234, v62
	s_delay_alu instid0(VALU_DEP_2) | instskip(SKIP_1) | instid1(VALU_DEP_3)
	v_dot4_i32_iu8 v53, v237, v54, v53 neg_lo:[1,1,0]
	v_perm_b32 v54, v10, v9, 0x4030200
	v_dot4_i32_iu8 v58, v62, v58, 0 neg_lo:[1,1,0]
	v_perm_b32 v62, v13, v12, 0x6040503
	v_perm_b32 v13, v14, v13, 0x7060403
	s_delay_alu instid0(VALU_DEP_4) | instskip(SKIP_1) | instid1(VALU_DEP_4)
	v_dot4_i32_iu8 v53, v238, v54, v53 neg_lo:[1,1,0]
	v_perm_b32 v54, v11, v11, 0x3020001
	v_dot4_i32_iu8 v58, v62, v235, v58 neg_lo:[1,1,0]
	s_delay_alu instid0(VALU_DEP_3) | instskip(SKIP_1) | instid1(VALU_DEP_3)
	v_add3_u32 v53, v53, v56, v57
	v_perm_b32 v57, v5, v4, 0x6040503
	v_dot4_i32_iu8 v58, v236, v13, v58 neg_lo:[1,1,0]
	s_delay_alu instid0(VALU_DEP_3) | instskip(SKIP_2) | instid1(VALU_DEP_4)
	v_dot4_i32_iu8 v56, v239, v54, v53 neg_lo:[1,1,0]
	v_perm_b32 v53, v4, v23, 0x6050401
	v_perm_b32 v54, v27, v6, 0x6050401
	v_dot4_i32_iu8 v58, v224, v15, v58 neg_lo:[1,1,0]
	v_perm_b32 v4, v4, v6, 0x6050401
	s_delay_alu instid0(VALU_DEP_3) | instskip(SKIP_1) | instid1(VALU_DEP_2)
	v_dot4_i32_iu8 v53, v54, v53, 0 neg_lo:[1,1,0]
	v_perm_b32 v54, v25, v2, 0x6050401
	v_dot4_i32_iu8 v53, v229, v57, v53 neg_lo:[1,1,0]
	s_delay_alu instid0(VALU_DEP_1) | instskip(SKIP_1) | instid1(VALU_DEP_2)
	v_dot4_i32_iu8 v5, v230, v125, v53 neg_lo:[1,1,0]
	v_perm_b32 v53, v0, v21, 0x6050401
	v_dot4_i32_iu8 v5, v7, v24, v5 neg_lo:[1,1,0]
	s_delay_alu instid0(VALU_DEP_2) | instskip(NEXT) | instid1(VALU_DEP_2)
	v_dot4_i32_iu8 v53, v54, v53, 0 neg_lo:[1,1,0]
	v_mul_lo_u32 v5, v5, v211
	s_delay_alu instid0(VALU_DEP_2) | instskip(NEXT) | instid1(VALU_DEP_1)
	v_dot4_i32_iu8 v53, v231, v126, v53 neg_lo:[1,1,0]
	v_dot4_i32_iu8 v1, v232, v180, v53 neg_lo:[1,1,0]
	s_delay_alu instid0(VALU_DEP_1) | instskip(NEXT) | instid1(VALU_DEP_1)
	v_dot4_i32_iu8 v1, v3, v22, v1 neg_lo:[1,1,0]
	v_mad_co_u64_u32 v[53:54], null, v1, v219, v[5:6]
	s_delay_alu instid0(VALU_DEP_1) | instskip(SKIP_1) | instid1(VALU_DEP_1)
	v_cvt_f32_i32_e32 v1, v53
	s_wait_dscnt 0x0
	v_fma_f32 v5, v28, v1, 0
	v_mul_lo_u32 v1, v58, v221
	s_delay_alu instid0(VALU_DEP_1) | instskip(SKIP_1) | instid1(VALU_DEP_1)
	v_mad_co_u64_u32 v[53:54], null, v56, v220, v[1:2]
	v_perm_b32 v2, v0, v2, 0x6050401
	v_dot4_i32_iu8 v0, v2, v49, 0 neg_lo:[1,1,0]
	s_delay_alu instid0(VALU_DEP_3) | instskip(NEXT) | instid1(VALU_DEP_2)
	v_cvt_f32_i32_e32 v1, v53
	v_dot4_i32_iu8 v0, v126, v210, v0 neg_lo:[1,1,0]
	s_delay_alu instid0(VALU_DEP_2) | instskip(NEXT) | instid1(VALU_DEP_2)
	v_fmac_f32_e32 v5, v29, v1
	v_dot4_i32_iu8 v0, v180, v212, v0 neg_lo:[1,1,0]
	s_delay_alu instid0(VALU_DEP_2)
	v_fmac_f32_e32 v81, v63, v5
	v_perm_b32 v5, v12, v14, 0x6040501
	v_perm_b32 v14, v8, v10, 0x6040501
	;; [unrolled: 1-line block ×4, first 2 shown]
	v_dot4_i32_iu8 v0, v3, v36, v0 neg_lo:[1,1,0]
	v_dot4_i32_iu8 v1, v5, v233, 0 neg_lo:[1,1,0]
	s_delay_alu instid0(VALU_DEP_1) | instskip(NEXT) | instid1(VALU_DEP_1)
	v_dot4_i32_iu8 v1, v62, v59, v1 neg_lo:[1,1,0]
	v_dot4_i32_iu8 v1, v13, v222, v1 neg_lo:[1,1,0]
	s_delay_alu instid0(VALU_DEP_1) | instskip(SKIP_1) | instid1(VALU_DEP_1)
	v_dot4_i32_iu8 v12, v15, v48, v1 neg_lo:[1,1,0]
	v_dot4_i32_iu8 v1, v14, v60, 0 neg_lo:[1,1,0]
	;; [unrolled: 1-line block ×3, first 2 shown]
	s_delay_alu instid0(VALU_DEP_1) | instskip(NEXT) | instid1(VALU_DEP_1)
	v_dot4_i32_iu8 v1, v9, v223, v1 neg_lo:[1,1,0]
	v_dot4_i32_iu8 v10, v11, v50, v1 neg_lo:[1,1,0]
	;; [unrolled: 1-line block ×3, first 2 shown]
	s_delay_alu instid0(VALU_DEP_1) | instskip(NEXT) | instid1(VALU_DEP_1)
	v_dot4_i32_iu8 v1, v57, v206, v1 neg_lo:[1,1,0]
	v_dot4_i32_iu8 v1, v125, v207, v1 neg_lo:[1,1,0]
	s_delay_alu instid0(VALU_DEP_1) | instskip(NEXT) | instid1(VALU_DEP_1)
	v_dot4_i32_iu8 v1, v7, v38, v1 neg_lo:[1,1,0]
	v_mul_lo_u32 v1, v1, v208
	s_delay_alu instid0(VALU_DEP_1) | instskip(NEXT) | instid1(VALU_DEP_1)
	v_mad_co_u64_u32 v[0:1], null, v0, v213, v[1:2]
	v_cvt_f32_i32_e32 v0, v0
	s_delay_alu instid0(VALU_DEP_1) | instskip(SKIP_1) | instid1(VALU_DEP_1)
	v_fma_f32 v6, v28, v0, 0
	v_mul_lo_u32 v0, v12, v216
	v_mad_co_u64_u32 v[0:1], null, v10, v214, v[0:1]
	v_dot4_i32_iu8 v1, v2, v31, 0 neg_lo:[1,1,0]
	s_delay_alu instid0(VALU_DEP_1) | instskip(NEXT) | instid1(VALU_DEP_3)
	v_dot4_i32_iu8 v1, v126, v201, v1 neg_lo:[1,1,0]
	v_cvt_f32_i32_e32 v0, v0
	s_delay_alu instid0(VALU_DEP_2) | instskip(NEXT) | instid1(VALU_DEP_2)
	v_dot4_i32_iu8 v1, v180, v202, v1 neg_lo:[1,1,0]
	v_fmac_f32_e32 v6, v29, v0
	v_dot4_i32_iu8 v0, v5, v43, 0 neg_lo:[1,1,0]
	s_delay_alu instid0(VALU_DEP_3) | instskip(NEXT) | instid1(VALU_DEP_3)
	v_dot4_i32_iu8 v1, v3, v32, v1 neg_lo:[1,1,0]
	v_fmac_f32_e32 v80, v64, v6
	s_delay_alu instid0(VALU_DEP_3) | instskip(NEXT) | instid1(VALU_DEP_1)
	v_dot4_i32_iu8 v0, v62, v51, v0 neg_lo:[1,1,0]
	v_dot4_i32_iu8 v0, v13, v217, v0 neg_lo:[1,1,0]
	s_delay_alu instid0(VALU_DEP_1) | instskip(SKIP_1) | instid1(VALU_DEP_1)
	v_dot4_i32_iu8 v6, v15, v44, v0 neg_lo:[1,1,0]
	v_dot4_i32_iu8 v0, v14, v45, 0 neg_lo:[1,1,0]
	;; [unrolled: 1-line block ×3, first 2 shown]
	s_delay_alu instid0(VALU_DEP_1) | instskip(NEXT) | instid1(VALU_DEP_1)
	v_dot4_i32_iu8 v0, v9, v218, v0 neg_lo:[1,1,0]
	v_dot4_i32_iu8 v10, v11, v46, v0 neg_lo:[1,1,0]
	;; [unrolled: 1-line block ×3, first 2 shown]
	s_delay_alu instid0(VALU_DEP_1) | instskip(NEXT) | instid1(VALU_DEP_1)
	v_dot4_i32_iu8 v0, v57, v198, v0 neg_lo:[1,1,0]
	v_dot4_i32_iu8 v0, v125, v199, v0 neg_lo:[1,1,0]
	s_delay_alu instid0(VALU_DEP_1) | instskip(NEXT) | instid1(VALU_DEP_1)
	v_dot4_i32_iu8 v0, v7, v34, v0 neg_lo:[1,1,0]
	v_mul_lo_u32 v0, v0, v200
	s_delay_alu instid0(VALU_DEP_1) | instskip(NEXT) | instid1(VALU_DEP_1)
	v_mad_co_u64_u32 v[0:1], null, v1, v203, v[0:1]
	v_cvt_f32_i32_e32 v0, v0
	s_delay_alu instid0(VALU_DEP_1) | instskip(SKIP_1) | instid1(VALU_DEP_1)
	v_fma_f32 v12, v28, v0, 0
	v_mul_lo_u32 v0, v6, v205
	v_mad_co_u64_u32 v[0:1], null, v10, v204, v[0:1]
	v_dot4_i32_iu8 v1, v2, v19, 0 neg_lo:[1,1,0]
	s_delay_alu instid0(VALU_DEP_1) | instskip(NEXT) | instid1(VALU_DEP_3)
	v_dot4_i32_iu8 v1, v126, v194, v1 neg_lo:[1,1,0]
	v_cvt_f32_i32_e32 v0, v0
	s_delay_alu instid0(VALU_DEP_2) | instskip(NEXT) | instid1(VALU_DEP_2)
	v_dot4_i32_iu8 v1, v180, v193, v1 neg_lo:[1,1,0]
	v_fmac_f32_e32 v12, v29, v0
	v_dot4_i32_iu8 v0, v5, v35, 0 neg_lo:[1,1,0]
	s_delay_alu instid0(VALU_DEP_3) | instskip(NEXT) | instid1(VALU_DEP_3)
	v_dot4_i32_iu8 v1, v3, v20, v1 neg_lo:[1,1,0]
	v_fmac_f32_e32 v79, v65, v12
	s_delay_alu instid0(VALU_DEP_3) | instskip(NEXT) | instid1(VALU_DEP_1)
	v_dot4_i32_iu8 v0, v62, v37, v0 neg_lo:[1,1,0]
	v_dot4_i32_iu8 v0, v13, v209, v0 neg_lo:[1,1,0]
	s_delay_alu instid0(VALU_DEP_1) | instskip(SKIP_1) | instid1(VALU_DEP_1)
	v_dot4_i32_iu8 v5, v15, v40, v0 neg_lo:[1,1,0]
	v_dot4_i32_iu8 v0, v14, v39, 0 neg_lo:[1,1,0]
	;; [unrolled: 1-line block ×3, first 2 shown]
	s_delay_alu instid0(VALU_DEP_1) | instskip(NEXT) | instid1(VALU_DEP_1)
	v_dot4_i32_iu8 v0, v9, v215, v0 neg_lo:[1,1,0]
	v_dot4_i32_iu8 v6, v11, v42, v0 neg_lo:[1,1,0]
	;; [unrolled: 1-line block ×3, first 2 shown]
	s_delay_alu instid0(VALU_DEP_1) | instskip(NEXT) | instid1(VALU_DEP_1)
	v_dot4_i32_iu8 v0, v57, v197, v0 neg_lo:[1,1,0]
	v_dot4_i32_iu8 v0, v125, v196, v0 neg_lo:[1,1,0]
	s_delay_alu instid0(VALU_DEP_1) | instskip(NEXT) | instid1(VALU_DEP_1)
	v_dot4_i32_iu8 v0, v7, v30, v0 neg_lo:[1,1,0]
	v_mul_lo_u32 v0, v0, v195
	s_delay_alu instid0(VALU_DEP_1) | instskip(NEXT) | instid1(VALU_DEP_1)
	v_mad_co_u64_u32 v[0:1], null, v1, v69, v[0:1]
	v_cvt_f32_i32_e32 v0, v0
	s_delay_alu instid0(VALU_DEP_1) | instskip(SKIP_1) | instid1(VALU_DEP_1)
	v_fma_f32 v2, v28, v0, 0
	v_mul_lo_u32 v0, v5, v68
	v_mad_co_u64_u32 v[0:1], null, v6, v67, v[0:1]
	s_delay_alu instid0(VALU_DEP_1) | instskip(NEXT) | instid1(VALU_DEP_1)
	v_cvt_f32_i32_e32 v0, v0
	v_fmac_f32_e32 v2, v29, v0
	v_or_b32_e32 v0, s12, v163
	s_delay_alu instid0(VALU_DEP_2) | instskip(NEXT) | instid1(VALU_DEP_2)
	v_fmac_f32_e32 v78, v66, v2
	v_lshlrev_b32_e32 v12, 2, v0
	v_lshrrev_b32_e32 v28, 1, v0
	ds_load_b128 v[0:3], v12 offset:33280
	ds_load_b128 v[4:7], v12 offset:33296
	;; [unrolled: 1-line block ×4, first 2 shown]
	ds_load_b64 v[28:29], v28 offset:43584
	s_wait_dscnt 0x4
	v_perm_b32 v126, v1, v0, 0x6040503
	s_wait_dscnt 0x3
	v_perm_b32 v125, v6, v5, 0x7060403
	s_wait_dscnt 0x2
	v_bfe_i32 v53, v10, 8, 8
	v_bfe_i32 v54, v8, 8, 8
	;; [unrolled: 1-line block ×3, first 2 shown]
	v_ashrrev_i32_e32 v57, 24, v10
	s_wait_dscnt 0x1
	v_perm_b32 v62, v14, v14, 0xc0c0c01
	v_mul_i32_i24_e32 v53, v53, v225
	v_perm_b32 v180, v2, v1, 0x7060403
	v_mul_i32_i24_e32 v56, v227, v56
	v_mul_i32_i24_e32 v57, v226, v57
	v_perm_b32 v58, v12, v52, 0x6040503
	v_mad_i32_i24 v53, v228, v54, v53
	v_perm_b32 v54, v9, v8, 0x5030200
	v_or_b32_e32 v62, v234, v62
	s_delay_alu instid0(VALU_DEP_2) | instskip(SKIP_1) | instid1(VALU_DEP_3)
	v_dot4_i32_iu8 v53, v237, v54, v53 neg_lo:[1,1,0]
	v_perm_b32 v54, v10, v9, 0x4030200
	v_dot4_i32_iu8 v58, v62, v58, 0 neg_lo:[1,1,0]
	v_perm_b32 v62, v13, v12, 0x6040503
	v_perm_b32 v13, v14, v13, 0x7060403
	s_delay_alu instid0(VALU_DEP_4) | instskip(SKIP_1) | instid1(VALU_DEP_4)
	v_dot4_i32_iu8 v53, v238, v54, v53 neg_lo:[1,1,0]
	v_perm_b32 v54, v11, v11, 0x3020001
	v_dot4_i32_iu8 v58, v62, v235, v58 neg_lo:[1,1,0]
	s_delay_alu instid0(VALU_DEP_3) | instskip(SKIP_1) | instid1(VALU_DEP_3)
	v_add3_u32 v53, v53, v56, v57
	v_perm_b32 v57, v5, v4, 0x6040503
	v_dot4_i32_iu8 v58, v236, v13, v58 neg_lo:[1,1,0]
	s_delay_alu instid0(VALU_DEP_3) | instskip(SKIP_2) | instid1(VALU_DEP_4)
	v_dot4_i32_iu8 v56, v239, v54, v53 neg_lo:[1,1,0]
	v_perm_b32 v53, v4, v23, 0x6050401
	v_perm_b32 v54, v27, v6, 0x6050401
	v_dot4_i32_iu8 v58, v224, v15, v58 neg_lo:[1,1,0]
	v_perm_b32 v4, v4, v6, 0x6050401
	s_delay_alu instid0(VALU_DEP_3) | instskip(SKIP_1) | instid1(VALU_DEP_2)
	v_dot4_i32_iu8 v53, v54, v53, 0 neg_lo:[1,1,0]
	v_perm_b32 v54, v25, v2, 0x6050401
	v_dot4_i32_iu8 v53, v229, v57, v53 neg_lo:[1,1,0]
	s_delay_alu instid0(VALU_DEP_1) | instskip(SKIP_1) | instid1(VALU_DEP_2)
	v_dot4_i32_iu8 v5, v230, v125, v53 neg_lo:[1,1,0]
	v_perm_b32 v53, v0, v21, 0x6050401
	v_dot4_i32_iu8 v5, v7, v24, v5 neg_lo:[1,1,0]
	s_delay_alu instid0(VALU_DEP_2) | instskip(NEXT) | instid1(VALU_DEP_2)
	v_dot4_i32_iu8 v53, v54, v53, 0 neg_lo:[1,1,0]
	v_mul_lo_u32 v5, v5, v211
	s_delay_alu instid0(VALU_DEP_2) | instskip(NEXT) | instid1(VALU_DEP_1)
	v_dot4_i32_iu8 v53, v231, v126, v53 neg_lo:[1,1,0]
	v_dot4_i32_iu8 v1, v232, v180, v53 neg_lo:[1,1,0]
	s_delay_alu instid0(VALU_DEP_1) | instskip(NEXT) | instid1(VALU_DEP_1)
	v_dot4_i32_iu8 v1, v3, v22, v1 neg_lo:[1,1,0]
	v_mad_co_u64_u32 v[53:54], null, v1, v219, v[5:6]
	s_delay_alu instid0(VALU_DEP_1) | instskip(SKIP_1) | instid1(VALU_DEP_1)
	v_cvt_f32_i32_e32 v1, v53
	s_wait_dscnt 0x0
	v_fma_f32 v5, v28, v1, 0
	v_mul_lo_u32 v1, v58, v221
	s_delay_alu instid0(VALU_DEP_1) | instskip(SKIP_1) | instid1(VALU_DEP_1)
	v_mad_co_u64_u32 v[53:54], null, v56, v220, v[1:2]
	v_perm_b32 v2, v0, v2, 0x6050401
	v_dot4_i32_iu8 v0, v2, v49, 0 neg_lo:[1,1,0]
	s_delay_alu instid0(VALU_DEP_3) | instskip(NEXT) | instid1(VALU_DEP_2)
	v_cvt_f32_i32_e32 v1, v53
	v_dot4_i32_iu8 v0, v126, v210, v0 neg_lo:[1,1,0]
	s_delay_alu instid0(VALU_DEP_2) | instskip(NEXT) | instid1(VALU_DEP_2)
	v_fmac_f32_e32 v5, v29, v1
	v_dot4_i32_iu8 v0, v180, v212, v0 neg_lo:[1,1,0]
	s_delay_alu instid0(VALU_DEP_2)
	v_fmac_f32_e32 v77, v63, v5
	v_perm_b32 v5, v12, v14, 0x6040501
	v_perm_b32 v14, v8, v10, 0x6040501
	;; [unrolled: 1-line block ×4, first 2 shown]
	v_dot4_i32_iu8 v0, v3, v36, v0 neg_lo:[1,1,0]
	v_dot4_i32_iu8 v1, v5, v233, 0 neg_lo:[1,1,0]
	s_delay_alu instid0(VALU_DEP_1) | instskip(NEXT) | instid1(VALU_DEP_1)
	v_dot4_i32_iu8 v1, v62, v59, v1 neg_lo:[1,1,0]
	v_dot4_i32_iu8 v1, v13, v222, v1 neg_lo:[1,1,0]
	s_delay_alu instid0(VALU_DEP_1) | instskip(SKIP_1) | instid1(VALU_DEP_1)
	v_dot4_i32_iu8 v12, v15, v48, v1 neg_lo:[1,1,0]
	v_dot4_i32_iu8 v1, v14, v60, 0 neg_lo:[1,1,0]
	;; [unrolled: 1-line block ×3, first 2 shown]
	s_delay_alu instid0(VALU_DEP_1) | instskip(NEXT) | instid1(VALU_DEP_1)
	v_dot4_i32_iu8 v1, v9, v223, v1 neg_lo:[1,1,0]
	v_dot4_i32_iu8 v10, v11, v50, v1 neg_lo:[1,1,0]
	;; [unrolled: 1-line block ×3, first 2 shown]
	s_delay_alu instid0(VALU_DEP_1) | instskip(NEXT) | instid1(VALU_DEP_1)
	v_dot4_i32_iu8 v1, v57, v206, v1 neg_lo:[1,1,0]
	v_dot4_i32_iu8 v1, v125, v207, v1 neg_lo:[1,1,0]
	s_delay_alu instid0(VALU_DEP_1) | instskip(NEXT) | instid1(VALU_DEP_1)
	v_dot4_i32_iu8 v1, v7, v38, v1 neg_lo:[1,1,0]
	v_mul_lo_u32 v1, v1, v208
	s_delay_alu instid0(VALU_DEP_1) | instskip(NEXT) | instid1(VALU_DEP_1)
	v_mad_co_u64_u32 v[0:1], null, v0, v213, v[1:2]
	v_cvt_f32_i32_e32 v0, v0
	s_delay_alu instid0(VALU_DEP_1) | instskip(SKIP_1) | instid1(VALU_DEP_1)
	v_fma_f32 v6, v28, v0, 0
	v_mul_lo_u32 v0, v12, v216
	v_mad_co_u64_u32 v[0:1], null, v10, v214, v[0:1]
	v_dot4_i32_iu8 v1, v2, v31, 0 neg_lo:[1,1,0]
	s_delay_alu instid0(VALU_DEP_1) | instskip(NEXT) | instid1(VALU_DEP_3)
	v_dot4_i32_iu8 v1, v126, v201, v1 neg_lo:[1,1,0]
	v_cvt_f32_i32_e32 v0, v0
	s_delay_alu instid0(VALU_DEP_2) | instskip(NEXT) | instid1(VALU_DEP_2)
	v_dot4_i32_iu8 v1, v180, v202, v1 neg_lo:[1,1,0]
	v_fmac_f32_e32 v6, v29, v0
	v_dot4_i32_iu8 v0, v5, v43, 0 neg_lo:[1,1,0]
	s_delay_alu instid0(VALU_DEP_3) | instskip(NEXT) | instid1(VALU_DEP_3)
	v_dot4_i32_iu8 v1, v3, v32, v1 neg_lo:[1,1,0]
	v_fmac_f32_e32 v76, v64, v6
	s_delay_alu instid0(VALU_DEP_3) | instskip(NEXT) | instid1(VALU_DEP_1)
	v_dot4_i32_iu8 v0, v62, v51, v0 neg_lo:[1,1,0]
	v_dot4_i32_iu8 v0, v13, v217, v0 neg_lo:[1,1,0]
	s_delay_alu instid0(VALU_DEP_1) | instskip(SKIP_1) | instid1(VALU_DEP_1)
	v_dot4_i32_iu8 v6, v15, v44, v0 neg_lo:[1,1,0]
	v_dot4_i32_iu8 v0, v14, v45, 0 neg_lo:[1,1,0]
	;; [unrolled: 1-line block ×3, first 2 shown]
	s_delay_alu instid0(VALU_DEP_1) | instskip(NEXT) | instid1(VALU_DEP_1)
	v_dot4_i32_iu8 v0, v9, v218, v0 neg_lo:[1,1,0]
	v_dot4_i32_iu8 v10, v11, v46, v0 neg_lo:[1,1,0]
	;; [unrolled: 1-line block ×3, first 2 shown]
	s_delay_alu instid0(VALU_DEP_1) | instskip(NEXT) | instid1(VALU_DEP_1)
	v_dot4_i32_iu8 v0, v57, v198, v0 neg_lo:[1,1,0]
	v_dot4_i32_iu8 v0, v125, v199, v0 neg_lo:[1,1,0]
	s_delay_alu instid0(VALU_DEP_1) | instskip(NEXT) | instid1(VALU_DEP_1)
	v_dot4_i32_iu8 v0, v7, v34, v0 neg_lo:[1,1,0]
	v_mul_lo_u32 v0, v0, v200
	s_delay_alu instid0(VALU_DEP_1) | instskip(NEXT) | instid1(VALU_DEP_1)
	v_mad_co_u64_u32 v[0:1], null, v1, v203, v[0:1]
	v_cvt_f32_i32_e32 v0, v0
	s_delay_alu instid0(VALU_DEP_1) | instskip(SKIP_1) | instid1(VALU_DEP_1)
	v_fma_f32 v12, v28, v0, 0
	v_mul_lo_u32 v0, v6, v205
	v_mad_co_u64_u32 v[0:1], null, v10, v204, v[0:1]
	v_dot4_i32_iu8 v1, v2, v19, 0 neg_lo:[1,1,0]
	s_delay_alu instid0(VALU_DEP_1) | instskip(NEXT) | instid1(VALU_DEP_3)
	v_dot4_i32_iu8 v1, v126, v194, v1 neg_lo:[1,1,0]
	v_cvt_f32_i32_e32 v0, v0
	s_delay_alu instid0(VALU_DEP_2) | instskip(NEXT) | instid1(VALU_DEP_2)
	v_dot4_i32_iu8 v1, v180, v193, v1 neg_lo:[1,1,0]
	v_fmac_f32_e32 v12, v29, v0
	v_dot4_i32_iu8 v0, v5, v35, 0 neg_lo:[1,1,0]
	s_delay_alu instid0(VALU_DEP_3) | instskip(NEXT) | instid1(VALU_DEP_2)
	v_dot4_i32_iu8 v1, v3, v20, v1 neg_lo:[1,1,0]
	v_dot4_i32_iu8 v0, v62, v37, v0 neg_lo:[1,1,0]
	s_delay_alu instid0(VALU_DEP_1) | instskip(NEXT) | instid1(VALU_DEP_1)
	v_dot4_i32_iu8 v0, v13, v209, v0 neg_lo:[1,1,0]
	v_dot4_i32_iu8 v5, v15, v40, v0 neg_lo:[1,1,0]
	;; [unrolled: 1-line block ×3, first 2 shown]
	s_delay_alu instid0(VALU_DEP_1) | instskip(NEXT) | instid1(VALU_DEP_1)
	v_dot4_i32_iu8 v0, v8, v41, v0 neg_lo:[1,1,0]
	v_dot4_i32_iu8 v0, v9, v215, v0 neg_lo:[1,1,0]
	s_delay_alu instid0(VALU_DEP_1) | instskip(SKIP_1) | instid1(VALU_DEP_1)
	v_dot4_i32_iu8 v6, v11, v42, v0 neg_lo:[1,1,0]
	v_dot4_i32_iu8 v0, v4, v26, 0 neg_lo:[1,1,0]
	;; [unrolled: 1-line block ×3, first 2 shown]
	s_delay_alu instid0(VALU_DEP_1) | instskip(NEXT) | instid1(VALU_DEP_1)
	v_dot4_i32_iu8 v0, v125, v196, v0 neg_lo:[1,1,0]
	v_dot4_i32_iu8 v0, v7, v30, v0 neg_lo:[1,1,0]
	s_delay_alu instid0(VALU_DEP_1) | instskip(NEXT) | instid1(VALU_DEP_1)
	v_mul_lo_u32 v0, v0, v195
	v_mad_co_u64_u32 v[0:1], null, v1, v69, v[0:1]
	s_delay_alu instid0(VALU_DEP_1) | instskip(NEXT) | instid1(VALU_DEP_1)
	v_cvt_f32_i32_e32 v0, v0
	v_fma_f32 v2, v28, v0, 0
	v_mul_lo_u32 v0, v5, v68
	s_delay_alu instid0(VALU_DEP_1) | instskip(NEXT) | instid1(VALU_DEP_1)
	v_mad_co_u64_u32 v[0:1], null, v6, v67, v[0:1]
	v_cvt_f32_i32_e32 v0, v0
	s_delay_alu instid0(VALU_DEP_1)
	v_fmac_f32_e32 v2, v29, v0
	v_or_b32_e32 v0, s12, v164
	v_fmac_f32_e32 v75, v65, v12
	s_add_co_i32 s12, s5, 8
	s_cmp_lt_u32 s5, 24
	v_fmac_f32_e32 v74, v66, v2
	v_lshlrev_b32_e32 v12, 2, v0
	v_lshrrev_b32_e32 v28, 1, v0
	ds_load_b128 v[0:3], v12 offset:33280
	ds_load_b128 v[4:7], v12 offset:33296
	;; [unrolled: 1-line block ×4, first 2 shown]
	ds_load_b64 v[28:29], v28 offset:43584
	s_wait_alu 0xfffe
	s_mov_b32 s5, s12
	s_wait_dscnt 0x4
	v_perm_b32 v21, v0, v21, 0x6050401
	s_wait_dscnt 0x3
	v_perm_b32 v23, v4, v23, 0x6050401
	s_wait_dscnt 0x2
	v_bfe_i32 v53, v10, 8, 8
	v_bfe_i32 v54, v8, 8, 8
	;; [unrolled: 1-line block ×3, first 2 shown]
	v_ashrrev_i32_e32 v57, 24, v10
	v_perm_b32 v27, v27, v6, 0x6050401
	v_mul_i32_i24_e32 v53, v53, v225
	s_wait_dscnt 0x1
	v_perm_b32 v58, v14, v14, 0xc0c0c01
	v_mul_i32_i24_e32 v56, v227, v56
	v_mul_i32_i24_e32 v57, v226, v57
	v_dot4_i32_iu8 v23, v27, v23, 0 neg_lo:[1,1,0]
	v_mad_i32_i24 v53, v228, v54, v53
	v_perm_b32 v54, v9, v8, 0x5030200
	v_perm_b32 v27, v5, v4, 0x6040503
	v_perm_b32 v52, v12, v52, 0x6040503
	v_or_b32_e32 v58, v234, v58
	v_perm_b32 v4, v4, v6, 0x6050401
	v_dot4_i32_iu8 v53, v237, v54, v53 neg_lo:[1,1,0]
	v_perm_b32 v54, v10, v9, 0x4030200
	v_dot4_i32_iu8 v23, v229, v27, v23 neg_lo:[1,1,0]
	v_dot4_i32_iu8 v58, v58, v52, 0 neg_lo:[1,1,0]
	v_perm_b32 v52, v13, v12, 0x6040503
	v_perm_b32 v13, v14, v13, 0x7060403
	v_dot4_i32_iu8 v53, v238, v54, v53 neg_lo:[1,1,0]
	v_perm_b32 v54, v11, v11, 0x3020001
	s_delay_alu instid0(VALU_DEP_4) | instskip(NEXT) | instid1(VALU_DEP_3)
	v_dot4_i32_iu8 v58, v52, v235, v58 neg_lo:[1,1,0]
	v_add3_u32 v53, v53, v56, v57
	s_delay_alu instid0(VALU_DEP_2) | instskip(NEXT) | instid1(VALU_DEP_2)
	v_dot4_i32_iu8 v58, v236, v13, v58 neg_lo:[1,1,0]
	v_dot4_i32_iu8 v53, v239, v54, v53 neg_lo:[1,1,0]
	v_perm_b32 v54, v6, v5, 0x7060403
	s_delay_alu instid0(VALU_DEP_3) | instskip(NEXT) | instid1(VALU_DEP_2)
	v_dot4_i32_iu8 v58, v224, v15, v58 neg_lo:[1,1,0]
	v_dot4_i32_iu8 v5, v230, v54, v23 neg_lo:[1,1,0]
	v_perm_b32 v23, v25, v2, 0x6050401
	s_delay_alu instid0(VALU_DEP_2) | instskip(NEXT) | instid1(VALU_DEP_2)
	v_dot4_i32_iu8 v5, v7, v24, v5 neg_lo:[1,1,0]
	v_dot4_i32_iu8 v21, v23, v21, 0 neg_lo:[1,1,0]
	v_perm_b32 v23, v1, v0, 0x6040503
	v_perm_b32 v24, v2, v1, 0x7060403
	s_delay_alu instid0(VALU_DEP_4) | instskip(NEXT) | instid1(VALU_DEP_3)
	v_mul_lo_u32 v5, v5, v211
	v_dot4_i32_iu8 v21, v231, v23, v21 neg_lo:[1,1,0]
	s_delay_alu instid0(VALU_DEP_1) | instskip(NEXT) | instid1(VALU_DEP_1)
	v_dot4_i32_iu8 v1, v232, v24, v21 neg_lo:[1,1,0]
	v_dot4_i32_iu8 v1, v3, v22, v1 neg_lo:[1,1,0]
	s_delay_alu instid0(VALU_DEP_1) | instskip(SKIP_1) | instid1(VALU_DEP_1)
	v_mad_co_u64_u32 v[21:22], null, v1, v219, v[5:6]
	v_perm_b32 v6, v0, v2, 0x6050401
	v_dot4_i32_iu8 v0, v6, v49, 0 neg_lo:[1,1,0]
	s_delay_alu instid0(VALU_DEP_3) | instskip(NEXT) | instid1(VALU_DEP_2)
	v_cvt_f32_i32_e32 v1, v21
	v_dot4_i32_iu8 v0, v23, v210, v0 neg_lo:[1,1,0]
	s_wait_dscnt 0x0
	s_delay_alu instid0(VALU_DEP_2) | instskip(SKIP_1) | instid1(VALU_DEP_3)
	v_fma_f32 v5, v28, v1, 0
	v_mul_lo_u32 v1, v58, v221
	v_dot4_i32_iu8 v0, v24, v212, v0 neg_lo:[1,1,0]
	s_delay_alu instid0(VALU_DEP_2) | instskip(NEXT) | instid1(VALU_DEP_2)
	v_mad_co_u64_u32 v[21:22], null, v53, v220, v[1:2]
	v_dot4_i32_iu8 v0, v3, v36, v0 neg_lo:[1,1,0]
	s_delay_alu instid0(VALU_DEP_2) | instskip(NEXT) | instid1(VALU_DEP_1)
	v_cvt_f32_i32_e32 v1, v21
	v_fmac_f32_e32 v5, v29, v1
	s_delay_alu instid0(VALU_DEP_1) | instskip(SKIP_4) | instid1(VALU_DEP_4)
	v_fmac_f32_e32 v73, v63, v5
	v_perm_b32 v5, v12, v14, 0x6040501
	v_perm_b32 v14, v8, v10, 0x6040501
	;; [unrolled: 1-line block ×4, first 2 shown]
	v_dot4_i32_iu8 v1, v5, v233, 0 neg_lo:[1,1,0]
	s_delay_alu instid0(VALU_DEP_1) | instskip(NEXT) | instid1(VALU_DEP_1)
	v_dot4_i32_iu8 v1, v52, v59, v1 neg_lo:[1,1,0]
	v_dot4_i32_iu8 v1, v13, v222, v1 neg_lo:[1,1,0]
	s_delay_alu instid0(VALU_DEP_1) | instskip(SKIP_1) | instid1(VALU_DEP_1)
	v_dot4_i32_iu8 v12, v15, v48, v1 neg_lo:[1,1,0]
	v_dot4_i32_iu8 v1, v14, v60, 0 neg_lo:[1,1,0]
	;; [unrolled: 1-line block ×3, first 2 shown]
	s_delay_alu instid0(VALU_DEP_1) | instskip(NEXT) | instid1(VALU_DEP_1)
	v_dot4_i32_iu8 v1, v9, v223, v1 neg_lo:[1,1,0]
	v_dot4_i32_iu8 v10, v11, v50, v1 neg_lo:[1,1,0]
	v_dot4_i32_iu8 v1, v4, v47, 0 neg_lo:[1,1,0]
	s_delay_alu instid0(VALU_DEP_1) | instskip(NEXT) | instid1(VALU_DEP_1)
	v_dot4_i32_iu8 v1, v27, v206, v1 neg_lo:[1,1,0]
	v_dot4_i32_iu8 v1, v54, v207, v1 neg_lo:[1,1,0]
	s_delay_alu instid0(VALU_DEP_1) | instskip(NEXT) | instid1(VALU_DEP_1)
	v_dot4_i32_iu8 v1, v7, v38, v1 neg_lo:[1,1,0]
	v_mul_lo_u32 v1, v1, v208
	s_delay_alu instid0(VALU_DEP_1) | instskip(NEXT) | instid1(VALU_DEP_1)
	v_mad_co_u64_u32 v[0:1], null, v0, v213, v[1:2]
	v_cvt_f32_i32_e32 v0, v0
	s_delay_alu instid0(VALU_DEP_1) | instskip(SKIP_1) | instid1(VALU_DEP_1)
	v_fma_f32 v2, v28, v0, 0
	v_mul_lo_u32 v0, v12, v216
	v_mad_co_u64_u32 v[0:1], null, v10, v214, v[0:1]
	v_dot4_i32_iu8 v1, v6, v31, 0 neg_lo:[1,1,0]
	s_delay_alu instid0(VALU_DEP_1) | instskip(NEXT) | instid1(VALU_DEP_3)
	v_dot4_i32_iu8 v1, v23, v201, v1 neg_lo:[1,1,0]
	v_cvt_f32_i32_e32 v0, v0
	s_delay_alu instid0(VALU_DEP_2) | instskip(NEXT) | instid1(VALU_DEP_2)
	v_dot4_i32_iu8 v1, v24, v202, v1 neg_lo:[1,1,0]
	v_fmac_f32_e32 v2, v29, v0
	v_dot4_i32_iu8 v0, v5, v43, 0 neg_lo:[1,1,0]
	s_delay_alu instid0(VALU_DEP_3) | instskip(NEXT) | instid1(VALU_DEP_3)
	v_dot4_i32_iu8 v1, v3, v32, v1 neg_lo:[1,1,0]
	v_fmac_f32_e32 v72, v64, v2
	s_delay_alu instid0(VALU_DEP_3) | instskip(NEXT) | instid1(VALU_DEP_1)
	v_dot4_i32_iu8 v0, v52, v51, v0 neg_lo:[1,1,0]
	v_dot4_i32_iu8 v0, v13, v217, v0 neg_lo:[1,1,0]
	s_delay_alu instid0(VALU_DEP_1) | instskip(SKIP_1) | instid1(VALU_DEP_1)
	v_dot4_i32_iu8 v2, v15, v44, v0 neg_lo:[1,1,0]
	v_dot4_i32_iu8 v0, v14, v45, 0 neg_lo:[1,1,0]
	v_dot4_i32_iu8 v0, v8, v55, v0 neg_lo:[1,1,0]
	s_delay_alu instid0(VALU_DEP_1) | instskip(NEXT) | instid1(VALU_DEP_1)
	v_dot4_i32_iu8 v0, v9, v218, v0 neg_lo:[1,1,0]
	v_dot4_i32_iu8 v10, v11, v46, v0 neg_lo:[1,1,0]
	;; [unrolled: 1-line block ×3, first 2 shown]
	s_delay_alu instid0(VALU_DEP_1) | instskip(NEXT) | instid1(VALU_DEP_1)
	v_dot4_i32_iu8 v0, v27, v198, v0 neg_lo:[1,1,0]
	v_dot4_i32_iu8 v0, v54, v199, v0 neg_lo:[1,1,0]
	s_delay_alu instid0(VALU_DEP_1) | instskip(NEXT) | instid1(VALU_DEP_1)
	v_dot4_i32_iu8 v0, v7, v34, v0 neg_lo:[1,1,0]
	v_mul_lo_u32 v0, v0, v200
	s_delay_alu instid0(VALU_DEP_1) | instskip(NEXT) | instid1(VALU_DEP_1)
	v_mad_co_u64_u32 v[0:1], null, v1, v203, v[0:1]
	v_cvt_f32_i32_e32 v0, v0
	s_delay_alu instid0(VALU_DEP_1) | instskip(SKIP_1) | instid1(VALU_DEP_1)
	v_fma_f32 v12, v28, v0, 0
	v_mul_lo_u32 v0, v2, v205
	v_mad_co_u64_u32 v[0:1], null, v10, v204, v[0:1]
	s_delay_alu instid0(VALU_DEP_1) | instskip(NEXT) | instid1(VALU_DEP_1)
	v_cvt_f32_i32_e32 v0, v0
	v_fmac_f32_e32 v12, v29, v0
	v_dot4_i32_iu8 v0, v5, v35, 0 neg_lo:[1,1,0]
	s_delay_alu instid0(VALU_DEP_2) | instskip(NEXT) | instid1(VALU_DEP_2)
	v_fmac_f32_e32 v71, v65, v12
	v_dot4_i32_iu8 v0, v52, v37, v0 neg_lo:[1,1,0]
	s_delay_alu instid0(VALU_DEP_1) | instskip(NEXT) | instid1(VALU_DEP_1)
	v_dot4_i32_iu8 v0, v13, v209, v0 neg_lo:[1,1,0]
	v_dot4_i32_iu8 v2, v15, v40, v0 neg_lo:[1,1,0]
	;; [unrolled: 1-line block ×3, first 2 shown]
	s_delay_alu instid0(VALU_DEP_2) | instskip(NEXT) | instid1(VALU_DEP_2)
	v_mul_lo_u32 v2, v2, v68
	v_dot4_i32_iu8 v0, v8, v41, v0 neg_lo:[1,1,0]
	s_delay_alu instid0(VALU_DEP_1) | instskip(NEXT) | instid1(VALU_DEP_1)
	v_dot4_i32_iu8 v0, v9, v215, v0 neg_lo:[1,1,0]
	v_dot4_i32_iu8 v1, v11, v42, v0 neg_lo:[1,1,0]
	;; [unrolled: 1-line block ×4, first 2 shown]
	s_delay_alu instid0(VALU_DEP_2) | instskip(NEXT) | instid1(VALU_DEP_2)
	v_dot4_i32_iu8 v0, v27, v197, v0 neg_lo:[1,1,0]
	v_dot4_i32_iu8 v4, v23, v194, v4 neg_lo:[1,1,0]
	s_delay_alu instid0(VALU_DEP_2) | instskip(NEXT) | instid1(VALU_DEP_2)
	v_dot4_i32_iu8 v0, v54, v196, v0 neg_lo:[1,1,0]
	v_dot4_i32_iu8 v4, v24, v193, v4 neg_lo:[1,1,0]
	;; [unrolled: 3-line block ×3, first 2 shown]
	s_delay_alu instid0(VALU_DEP_2) | instskip(NEXT) | instid1(VALU_DEP_1)
	v_mul_lo_u32 v0, v0, v195
	v_mad_co_u64_u32 v[3:4], null, v3, v69, v[0:1]
	s_delay_alu instid0(VALU_DEP_1) | instskip(SKIP_1) | instid1(VALU_DEP_1)
	v_mad_co_u64_u32 v[1:2], null, v1, v67, v[2:3]
	v_cvt_f32_i32_e32 v0, v3
	v_fma_f32 v0, v28, v0, 0
	s_delay_alu instid0(VALU_DEP_3) | instskip(NEXT) | instid1(VALU_DEP_1)
	v_cvt_f32_i32_e32 v1, v1
	v_fmac_f32_e32 v0, v29, v1
	s_delay_alu instid0(VALU_DEP_1)
	v_fmac_f32_e32 v70, v66, v0
	s_cbranch_scc1 .LBB175_8
; %bb.9:                                ;   in Loop: Header=BB175_5 Depth=1
	s_add_co_i32 s10, s10, 1
	s_wait_loadcnt 0x0
	s_wait_alu 0xfffe
	s_cmp_eq_u32 s10, s15
	s_barrier_signal -1
	s_barrier_wait -1
	global_inv scope:SCOPE_SE
	s_cbranch_scc0 .LBB175_5
; %bb.10:
	s_clause 0x1
	scratch_load_b32 v2, off, off th:TH_LOAD_LU
	scratch_load_b32 v3, off, off offset:4
	v_mov_b32_e32 v1, v89
.LBB175_11:
	s_mov_b32 s0, exec_lo
	s_wait_loadcnt 0x0
	v_cmpx_gt_u32_e64 s4, v3
	s_cbranch_execz .LBB175_62
; %bb.12:
	v_add_nc_u32_e32 v0, s14, v2
	v_mul_lo_u32 v5, v3, s6
	s_delay_alu instid0(VALU_DEP_2)
	v_cmp_gt_u32_e32 vcc_lo, s6, v0
	s_and_saveexec_b32 s1, vcc_lo
	s_cbranch_execz .LBB175_14
; %bb.13:
	v_bfe_u32 v3, v99, 16, 1
	s_delay_alu instid0(VALU_DEP_3) | instskip(SKIP_1) | instid1(VALU_DEP_3)
	v_add_nc_u32_e32 v2, v0, v5
	v_cmp_o_f32_e64 s0, v99, v99
	v_add3_u32 v4, v99, v3, 0x7fff
	v_mov_b32_e32 v3, 0
	s_delay_alu instid0(VALU_DEP_2) | instskip(NEXT) | instid1(VALU_DEP_2)
	v_lshrrev_b32_e32 v4, 16, v4
	v_lshlrev_b64_e32 v[2:3], 1, v[2:3]
	s_delay_alu instid0(VALU_DEP_2) | instskip(SKIP_1) | instid1(VALU_DEP_2)
	v_cndmask_b32_e64 v4, 0x7fc0, v4, s0
	s_wait_kmcnt 0x0
	v_add_co_u32 v2, s0, s8, v2
	s_wait_alu 0xf1ff
	s_delay_alu instid0(VALU_DEP_3)
	v_add_co_ci_u32_e64 v3, null, s9, v3, s0
	global_store_b16 v[2:3], v4, off
.LBB175_14:
	s_or_b32 exec_lo, exec_lo, s1
	v_add_nc_u32_e32 v2, 32, v0
	s_delay_alu instid0(VALU_DEP_1)
	v_cmp_gt_u32_e64 s0, s6, v2
	s_and_saveexec_b32 s2, s0
	s_cbranch_execz .LBB175_16
; %bb.15:
	v_bfe_u32 v4, v120, 16, 1
	v_add_nc_u32_e32 v3, v2, v5
	v_cmp_o_f32_e64 s1, v120, v120
	s_delay_alu instid0(VALU_DEP_3) | instskip(SKIP_1) | instid1(VALU_DEP_2)
	v_add3_u32 v6, v120, v4, 0x7fff
	v_mov_b32_e32 v4, 0
	v_lshrrev_b32_e32 v6, 16, v6
	s_delay_alu instid0(VALU_DEP_2) | instskip(SKIP_1) | instid1(VALU_DEP_2)
	v_lshlrev_b64_e32 v[3:4], 1, v[3:4]
	s_wait_alu 0xf1ff
	v_cndmask_b32_e64 v6, 0x7fc0, v6, s1
	s_wait_kmcnt 0x0
	s_delay_alu instid0(VALU_DEP_2)
	v_add_co_u32 v3, s1, s8, v3
	s_wait_alu 0xf1ff
	v_add_co_ci_u32_e64 v4, null, s9, v4, s1
	global_store_b16 v[3:4], v6, off
.LBB175_16:
	s_wait_alu 0xfffe
	s_or_b32 exec_lo, exec_lo, s2
	v_add_nc_u32_e32 v3, 64, v0
	s_delay_alu instid0(VALU_DEP_1)
	v_cmp_gt_u32_e64 s1, s6, v3
	s_and_saveexec_b32 s3, s1
	s_cbranch_execz .LBB175_18
; %bb.17:
	v_bfe_u32 v4, v111, 16, 1
	v_dual_mov_b32 v7, 0 :: v_dual_add_nc_u32 v6, v3, v5
	v_cmp_o_f32_e64 s2, v111, v111
	s_delay_alu instid0(VALU_DEP_3) | instskip(NEXT) | instid1(VALU_DEP_3)
	v_add3_u32 v4, v111, v4, 0x7fff
	v_lshlrev_b64_e32 v[6:7], 1, v[6:7]
	s_delay_alu instid0(VALU_DEP_2) | instskip(SKIP_1) | instid1(VALU_DEP_1)
	v_lshrrev_b32_e32 v4, 16, v4
	s_wait_alu 0xf1ff
	v_cndmask_b32_e64 v4, 0x7fc0, v4, s2
	s_wait_kmcnt 0x0
	s_delay_alu instid0(VALU_DEP_3)
	v_add_co_u32 v6, s2, s8, v6
	s_wait_alu 0xf1ff
	v_add_co_ci_u32_e64 v7, null, s9, v7, s2
	global_store_b16 v[6:7], v4, off
.LBB175_18:
	s_wait_alu 0xfffe
	s_or_b32 exec_lo, exec_lo, s3
	v_add_nc_u32_e32 v4, 0x60, v0
	s_delay_alu instid0(VALU_DEP_1)
	v_cmp_gt_u32_e64 s2, s6, v4
	s_and_saveexec_b32 s5, s2
	s_cbranch_execz .LBB175_20
; %bb.19:
	v_bfe_u32 v6, v105, 16, 1
	v_add_nc_u32_e32 v5, v4, v5
	v_cmp_o_f32_e64 s3, v105, v105
	s_delay_alu instid0(VALU_DEP_3) | instskip(SKIP_1) | instid1(VALU_DEP_2)
	v_add3_u32 v7, v105, v6, 0x7fff
	v_mov_b32_e32 v6, 0
	v_lshrrev_b32_e32 v7, 16, v7
	s_delay_alu instid0(VALU_DEP_2) | instskip(SKIP_1) | instid1(VALU_DEP_2)
	v_lshlrev_b64_e32 v[5:6], 1, v[5:6]
	s_wait_alu 0xf1ff
	v_cndmask_b32_e64 v7, 0x7fc0, v7, s3
	s_wait_kmcnt 0x0
	s_delay_alu instid0(VALU_DEP_2)
	v_add_co_u32 v5, s3, s8, v5
	s_wait_alu 0xf1ff
	v_add_co_ci_u32_e64 v6, null, s9, v6, s3
	global_store_b16 v[5:6], v7, off
.LBB175_20:
	s_wait_alu 0xfffe
	s_or_b32 exec_lo, exec_lo, s5
	v_add3_u32 v5, v1, s7, 8
	s_delay_alu instid0(VALU_DEP_1)
	v_cmp_gt_u32_e64 s3, s4, v5
	s_and_b32 exec_lo, exec_lo, s3
	s_cbranch_execz .LBB175_62
; %bb.21:
	v_mul_lo_u32 v5, v5, s6
	s_and_saveexec_b32 s5, vcc_lo
	s_cbranch_execnz .LBB175_63
; %bb.22:
	s_wait_alu 0xfffe
	s_or_b32 exec_lo, exec_lo, s5
	s_and_saveexec_b32 s5, s0
	s_cbranch_execnz .LBB175_64
.LBB175_23:
	s_wait_alu 0xfffe
	s_or_b32 exec_lo, exec_lo, s5
	s_and_saveexec_b32 s5, s1
	s_cbranch_execnz .LBB175_65
.LBB175_24:
	s_wait_alu 0xfffe
	s_or_b32 exec_lo, exec_lo, s5
	s_and_saveexec_b32 s5, s2
	s_cbranch_execz .LBB175_26
.LBB175_25:
	v_bfe_u32 v6, v97, 16, 1
	v_add_nc_u32_e32 v5, v5, v4
	v_cmp_o_f32_e64 s3, v97, v97
	s_delay_alu instid0(VALU_DEP_3) | instskip(SKIP_1) | instid1(VALU_DEP_2)
	v_add3_u32 v7, v97, v6, 0x7fff
	v_mov_b32_e32 v6, 0
	v_lshrrev_b32_e32 v7, 16, v7
	s_delay_alu instid0(VALU_DEP_2) | instskip(SKIP_1) | instid1(VALU_DEP_2)
	v_lshlrev_b64_e32 v[5:6], 1, v[5:6]
	s_wait_alu 0xf1ff
	v_cndmask_b32_e64 v7, 0x7fc0, v7, s3
	s_wait_kmcnt 0x0
	s_delay_alu instid0(VALU_DEP_2)
	v_add_co_u32 v5, s3, s8, v5
	s_wait_alu 0xf1ff
	v_add_co_ci_u32_e64 v6, null, s9, v6, s3
	global_store_b16 v[5:6], v7, off
.LBB175_26:
	s_wait_alu 0xfffe
	s_or_b32 exec_lo, exec_lo, s5
	v_add3_u32 v5, v1, s7, 16
	s_delay_alu instid0(VALU_DEP_1)
	v_cmp_gt_u32_e64 s3, s4, v5
	s_and_b32 exec_lo, exec_lo, s3
	s_cbranch_execz .LBB175_62
; %bb.27:
	v_mul_lo_u32 v5, v5, s6
	s_and_saveexec_b32 s5, vcc_lo
	s_cbranch_execnz .LBB175_66
; %bb.28:
	s_wait_alu 0xfffe
	s_or_b32 exec_lo, exec_lo, s5
	s_and_saveexec_b32 s5, s0
	s_cbranch_execnz .LBB175_67
.LBB175_29:
	s_wait_alu 0xfffe
	s_or_b32 exec_lo, exec_lo, s5
	s_and_saveexec_b32 s5, s1
	s_cbranch_execnz .LBB175_68
.LBB175_30:
	s_wait_alu 0xfffe
	s_or_b32 exec_lo, exec_lo, s5
	s_and_saveexec_b32 s5, s2
	s_cbranch_execz .LBB175_32
.LBB175_31:
	v_bfe_u32 v6, v92, 16, 1
	v_add_nc_u32_e32 v5, v5, v4
	v_cmp_o_f32_e64 s3, v92, v92
	s_delay_alu instid0(VALU_DEP_3) | instskip(SKIP_1) | instid1(VALU_DEP_2)
	v_add3_u32 v7, v92, v6, 0x7fff
	v_mov_b32_e32 v6, 0
	v_lshrrev_b32_e32 v7, 16, v7
	s_delay_alu instid0(VALU_DEP_2) | instskip(SKIP_1) | instid1(VALU_DEP_2)
	v_lshlrev_b64_e32 v[5:6], 1, v[5:6]
	s_wait_alu 0xf1ff
	v_cndmask_b32_e64 v7, 0x7fc0, v7, s3
	s_wait_kmcnt 0x0
	s_delay_alu instid0(VALU_DEP_2)
	v_add_co_u32 v5, s3, s8, v5
	s_wait_alu 0xf1ff
	v_add_co_ci_u32_e64 v6, null, s9, v6, s3
	global_store_b16 v[5:6], v7, off
.LBB175_32:
	s_wait_alu 0xfffe
	s_or_b32 exec_lo, exec_lo, s5
	v_add3_u32 v5, v1, s7, 24
	s_delay_alu instid0(VALU_DEP_1)
	v_cmp_gt_u32_e64 s3, s4, v5
	s_and_b32 exec_lo, exec_lo, s3
	s_cbranch_execz .LBB175_62
; %bb.33:
	v_mul_lo_u32 v5, v5, s6
	s_and_saveexec_b32 s5, vcc_lo
	s_cbranch_execnz .LBB175_69
; %bb.34:
	s_wait_alu 0xfffe
	s_or_b32 exec_lo, exec_lo, s5
	s_and_saveexec_b32 s5, s0
	s_cbranch_execnz .LBB175_70
.LBB175_35:
	s_wait_alu 0xfffe
	s_or_b32 exec_lo, exec_lo, s5
	s_and_saveexec_b32 s5, s1
	s_cbranch_execnz .LBB175_71
.LBB175_36:
	s_wait_alu 0xfffe
	s_or_b32 exec_lo, exec_lo, s5
	s_and_saveexec_b32 s5, s2
	s_cbranch_execz .LBB175_38
.LBB175_37:
	v_bfe_u32 v6, v86, 16, 1
	v_add_nc_u32_e32 v5, v5, v4
	v_cmp_o_f32_e64 s3, v86, v86
	s_delay_alu instid0(VALU_DEP_3) | instskip(SKIP_1) | instid1(VALU_DEP_2)
	v_add3_u32 v7, v86, v6, 0x7fff
	v_mov_b32_e32 v6, 0
	v_lshrrev_b32_e32 v7, 16, v7
	s_delay_alu instid0(VALU_DEP_2) | instskip(SKIP_1) | instid1(VALU_DEP_2)
	v_lshlrev_b64_e32 v[5:6], 1, v[5:6]
	s_wait_alu 0xf1ff
	v_cndmask_b32_e64 v7, 0x7fc0, v7, s3
	s_wait_kmcnt 0x0
	s_delay_alu instid0(VALU_DEP_2)
	v_add_co_u32 v5, s3, s8, v5
	s_wait_alu 0xf1ff
	v_add_co_ci_u32_e64 v6, null, s9, v6, s3
	global_store_b16 v[5:6], v7, off
.LBB175_38:
	s_wait_alu 0xfffe
	s_or_b32 exec_lo, exec_lo, s5
	v_add3_u32 v5, v1, s7, 32
	s_delay_alu instid0(VALU_DEP_1)
	v_cmp_gt_u32_e64 s3, s4, v5
	s_and_b32 exec_lo, exec_lo, s3
	s_cbranch_execz .LBB175_62
; %bb.39:
	v_mul_lo_u32 v5, v5, s6
	s_and_saveexec_b32 s5, vcc_lo
	s_cbranch_execnz .LBB175_72
; %bb.40:
	s_wait_alu 0xfffe
	s_or_b32 exec_lo, exec_lo, s5
	s_and_saveexec_b32 s5, s0
	s_cbranch_execnz .LBB175_73
.LBB175_41:
	s_wait_alu 0xfffe
	s_or_b32 exec_lo, exec_lo, s5
	s_and_saveexec_b32 s5, s1
	s_cbranch_execnz .LBB175_74
.LBB175_42:
	s_wait_alu 0xfffe
	s_or_b32 exec_lo, exec_lo, s5
	s_and_saveexec_b32 s5, s2
	s_cbranch_execz .LBB175_44
.LBB175_43:
	v_bfe_u32 v6, v82, 16, 1
	v_add_nc_u32_e32 v5, v5, v4
	v_cmp_o_f32_e64 s3, v82, v82
	s_delay_alu instid0(VALU_DEP_3) | instskip(SKIP_1) | instid1(VALU_DEP_2)
	v_add3_u32 v7, v82, v6, 0x7fff
	v_mov_b32_e32 v6, 0
	v_lshrrev_b32_e32 v7, 16, v7
	s_delay_alu instid0(VALU_DEP_2) | instskip(SKIP_1) | instid1(VALU_DEP_2)
	v_lshlrev_b64_e32 v[5:6], 1, v[5:6]
	s_wait_alu 0xf1ff
	v_cndmask_b32_e64 v7, 0x7fc0, v7, s3
	s_wait_kmcnt 0x0
	s_delay_alu instid0(VALU_DEP_2)
	v_add_co_u32 v5, s3, s8, v5
	s_wait_alu 0xf1ff
	v_add_co_ci_u32_e64 v6, null, s9, v6, s3
	global_store_b16 v[5:6], v7, off
.LBB175_44:
	s_wait_alu 0xfffe
	s_or_b32 exec_lo, exec_lo, s5
	v_add3_u32 v5, v1, s7, 40
	s_delay_alu instid0(VALU_DEP_1)
	v_cmp_gt_u32_e64 s3, s4, v5
	s_and_b32 exec_lo, exec_lo, s3
	s_cbranch_execz .LBB175_62
; %bb.45:
	v_mul_lo_u32 v5, v5, s6
	s_and_saveexec_b32 s5, vcc_lo
	s_cbranch_execnz .LBB175_75
; %bb.46:
	s_wait_alu 0xfffe
	s_or_b32 exec_lo, exec_lo, s5
	s_and_saveexec_b32 s5, s0
	s_cbranch_execnz .LBB175_76
.LBB175_47:
	s_wait_alu 0xfffe
	s_or_b32 exec_lo, exec_lo, s5
	s_and_saveexec_b32 s5, s1
	s_cbranch_execnz .LBB175_77
.LBB175_48:
	s_wait_alu 0xfffe
	s_or_b32 exec_lo, exec_lo, s5
	s_and_saveexec_b32 s5, s2
	s_cbranch_execz .LBB175_50
.LBB175_49:
	v_bfe_u32 v6, v78, 16, 1
	v_add_nc_u32_e32 v5, v5, v4
	v_cmp_o_f32_e64 s3, v78, v78
	s_delay_alu instid0(VALU_DEP_3) | instskip(SKIP_1) | instid1(VALU_DEP_2)
	v_add3_u32 v7, v78, v6, 0x7fff
	v_mov_b32_e32 v6, 0
	v_lshrrev_b32_e32 v7, 16, v7
	s_delay_alu instid0(VALU_DEP_2) | instskip(SKIP_1) | instid1(VALU_DEP_2)
	v_lshlrev_b64_e32 v[5:6], 1, v[5:6]
	s_wait_alu 0xf1ff
	v_cndmask_b32_e64 v7, 0x7fc0, v7, s3
	s_wait_kmcnt 0x0
	s_delay_alu instid0(VALU_DEP_2)
	v_add_co_u32 v5, s3, s8, v5
	s_wait_alu 0xf1ff
	v_add_co_ci_u32_e64 v6, null, s9, v6, s3
	global_store_b16 v[5:6], v7, off
.LBB175_50:
	s_wait_alu 0xfffe
	s_or_b32 exec_lo, exec_lo, s5
	v_add3_u32 v5, v1, s7, 48
	s_delay_alu instid0(VALU_DEP_1)
	v_cmp_gt_u32_e64 s3, s4, v5
	s_and_b32 exec_lo, exec_lo, s3
	s_cbranch_execz .LBB175_62
; %bb.51:
	v_mul_lo_u32 v5, v5, s6
	s_and_saveexec_b32 s5, vcc_lo
	s_cbranch_execnz .LBB175_78
; %bb.52:
	s_wait_alu 0xfffe
	s_or_b32 exec_lo, exec_lo, s5
	s_and_saveexec_b32 s5, s0
	s_cbranch_execnz .LBB175_79
.LBB175_53:
	s_wait_alu 0xfffe
	s_or_b32 exec_lo, exec_lo, s5
	s_and_saveexec_b32 s5, s1
	s_cbranch_execnz .LBB175_80
.LBB175_54:
	s_wait_alu 0xfffe
	s_or_b32 exec_lo, exec_lo, s5
	s_and_saveexec_b32 s5, s2
	s_cbranch_execz .LBB175_56
.LBB175_55:
	v_bfe_u32 v6, v74, 16, 1
	v_add_nc_u32_e32 v5, v5, v4
	v_cmp_o_f32_e64 s3, v74, v74
	s_delay_alu instid0(VALU_DEP_3) | instskip(SKIP_1) | instid1(VALU_DEP_2)
	v_add3_u32 v7, v74, v6, 0x7fff
	v_mov_b32_e32 v6, 0
	v_lshrrev_b32_e32 v7, 16, v7
	s_delay_alu instid0(VALU_DEP_2) | instskip(SKIP_1) | instid1(VALU_DEP_2)
	v_lshlrev_b64_e32 v[5:6], 1, v[5:6]
	s_wait_alu 0xf1ff
	v_cndmask_b32_e64 v7, 0x7fc0, v7, s3
	s_wait_kmcnt 0x0
	s_delay_alu instid0(VALU_DEP_2)
	v_add_co_u32 v5, s3, s8, v5
	s_wait_alu 0xf1ff
	v_add_co_ci_u32_e64 v6, null, s9, v6, s3
	global_store_b16 v[5:6], v7, off
.LBB175_56:
	s_wait_alu 0xfffe
	s_or_b32 exec_lo, exec_lo, s5
	v_add3_u32 v1, v1, s7, 56
	s_delay_alu instid0(VALU_DEP_1)
	v_cmp_gt_u32_e64 s3, s4, v1
	s_and_b32 exec_lo, exec_lo, s3
	s_cbranch_execz .LBB175_62
; %bb.57:
	v_mul_lo_u32 v1, v1, s6
	s_and_saveexec_b32 s3, vcc_lo
	s_cbranch_execnz .LBB175_81
; %bb.58:
	s_wait_alu 0xfffe
	s_or_b32 exec_lo, exec_lo, s3
	s_and_saveexec_b32 s3, s0
	s_cbranch_execnz .LBB175_82
.LBB175_59:
	s_wait_alu 0xfffe
	s_or_b32 exec_lo, exec_lo, s3
	s_and_saveexec_b32 s0, s1
	s_cbranch_execnz .LBB175_83
.LBB175_60:
	s_wait_alu 0xfffe
	s_or_b32 exec_lo, exec_lo, s0
	s_delay_alu instid0(SALU_CYCLE_1)
	s_and_b32 exec_lo, exec_lo, s2
	s_cbranch_execz .LBB175_62
.LBB175_61:
	v_bfe_u32 v2, v70, 16, 1
	v_dual_mov_b32 v1, 0 :: v_dual_add_nc_u32 v0, v1, v4
	v_cmp_o_f32_e32 vcc_lo, v70, v70
	s_delay_alu instid0(VALU_DEP_3) | instskip(NEXT) | instid1(VALU_DEP_3)
	v_add3_u32 v2, v70, v2, 0x7fff
	v_lshlrev_b64_e32 v[0:1], 1, v[0:1]
	s_delay_alu instid0(VALU_DEP_2) | instskip(SKIP_1) | instid1(VALU_DEP_1)
	v_lshrrev_b32_e32 v2, 16, v2
	s_wait_alu 0xfffd
	v_cndmask_b32_e32 v2, 0x7fc0, v2, vcc_lo
	s_wait_kmcnt 0x0
	s_delay_alu instid0(VALU_DEP_3)
	v_add_co_u32 v0, vcc_lo, s8, v0
	s_wait_alu 0xfffd
	v_add_co_ci_u32_e64 v1, null, s9, v1, vcc_lo
	global_store_b16 v[0:1], v2, off
.LBB175_62:
	s_nop 0
	s_sendmsg sendmsg(MSG_DEALLOC_VGPRS)
	s_endpgm
.LBB175_63:
	v_bfe_u32 v7, v103, 16, 1
	s_delay_alu instid0(VALU_DEP_2) | instskip(SKIP_1) | instid1(VALU_DEP_3)
	v_add_nc_u32_e32 v6, v5, v0
	v_cmp_o_f32_e64 s3, v103, v103
	v_add3_u32 v8, v103, v7, 0x7fff
	v_mov_b32_e32 v7, 0
	s_delay_alu instid0(VALU_DEP_2) | instskip(NEXT) | instid1(VALU_DEP_2)
	v_lshrrev_b32_e32 v8, 16, v8
	v_lshlrev_b64_e32 v[6:7], 1, v[6:7]
	s_wait_alu 0xf1ff
	s_delay_alu instid0(VALU_DEP_2) | instskip(SKIP_1) | instid1(VALU_DEP_2)
	v_cndmask_b32_e64 v8, 0x7fc0, v8, s3
	s_wait_kmcnt 0x0
	v_add_co_u32 v6, s3, s8, v6
	s_wait_alu 0xf1ff
	v_add_co_ci_u32_e64 v7, null, s9, v7, s3
	global_store_b16 v[6:7], v8, off
	s_wait_alu 0xfffe
	s_or_b32 exec_lo, exec_lo, s5
	s_and_saveexec_b32 s5, s0
	s_cbranch_execz .LBB175_23
.LBB175_64:
	v_bfe_u32 v7, v100, 16, 1
	v_add_nc_u32_e32 v6, v5, v2
	v_cmp_o_f32_e64 s3, v100, v100
	s_delay_alu instid0(VALU_DEP_3) | instskip(SKIP_1) | instid1(VALU_DEP_2)
	v_add3_u32 v8, v100, v7, 0x7fff
	v_mov_b32_e32 v7, 0
	v_lshrrev_b32_e32 v8, 16, v8
	s_delay_alu instid0(VALU_DEP_2) | instskip(SKIP_1) | instid1(VALU_DEP_2)
	v_lshlrev_b64_e32 v[6:7], 1, v[6:7]
	s_wait_alu 0xf1ff
	v_cndmask_b32_e64 v8, 0x7fc0, v8, s3
	s_wait_kmcnt 0x0
	s_delay_alu instid0(VALU_DEP_2)
	v_add_co_u32 v6, s3, s8, v6
	s_wait_alu 0xf1ff
	v_add_co_ci_u32_e64 v7, null, s9, v7, s3
	global_store_b16 v[6:7], v8, off
	s_wait_alu 0xfffe
	s_or_b32 exec_lo, exec_lo, s5
	s_and_saveexec_b32 s5, s1
	s_cbranch_execz .LBB175_24
.LBB175_65:
	v_bfe_u32 v7, v98, 16, 1
	v_add_nc_u32_e32 v6, v5, v3
	v_cmp_o_f32_e64 s3, v98, v98
	s_delay_alu instid0(VALU_DEP_3) | instskip(SKIP_1) | instid1(VALU_DEP_2)
	v_add3_u32 v8, v98, v7, 0x7fff
	v_mov_b32_e32 v7, 0
	v_lshrrev_b32_e32 v8, 16, v8
	s_delay_alu instid0(VALU_DEP_2) | instskip(SKIP_1) | instid1(VALU_DEP_2)
	v_lshlrev_b64_e32 v[6:7], 1, v[6:7]
	s_wait_alu 0xf1ff
	v_cndmask_b32_e64 v8, 0x7fc0, v8, s3
	s_wait_kmcnt 0x0
	s_delay_alu instid0(VALU_DEP_2)
	v_add_co_u32 v6, s3, s8, v6
	s_wait_alu 0xf1ff
	v_add_co_ci_u32_e64 v7, null, s9, v7, s3
	global_store_b16 v[6:7], v8, off
	s_wait_alu 0xfffe
	s_or_b32 exec_lo, exec_lo, s5
	s_and_saveexec_b32 s5, s2
	s_cbranch_execnz .LBB175_25
	s_branch .LBB175_26
.LBB175_66:
	v_bfe_u32 v7, v96, 16, 1
	s_delay_alu instid0(VALU_DEP_2) | instskip(SKIP_1) | instid1(VALU_DEP_3)
	v_add_nc_u32_e32 v6, v5, v0
	v_cmp_o_f32_e64 s3, v96, v96
	v_add3_u32 v8, v96, v7, 0x7fff
	v_mov_b32_e32 v7, 0
	s_delay_alu instid0(VALU_DEP_2) | instskip(NEXT) | instid1(VALU_DEP_2)
	v_lshrrev_b32_e32 v8, 16, v8
	v_lshlrev_b64_e32 v[6:7], 1, v[6:7]
	s_wait_alu 0xf1ff
	s_delay_alu instid0(VALU_DEP_2) | instskip(SKIP_1) | instid1(VALU_DEP_2)
	v_cndmask_b32_e64 v8, 0x7fc0, v8, s3
	s_wait_kmcnt 0x0
	v_add_co_u32 v6, s3, s8, v6
	s_wait_alu 0xf1ff
	v_add_co_ci_u32_e64 v7, null, s9, v7, s3
	global_store_b16 v[6:7], v8, off
	s_wait_alu 0xfffe
	s_or_b32 exec_lo, exec_lo, s5
	s_and_saveexec_b32 s5, s0
	s_cbranch_execz .LBB175_29
.LBB175_67:
	v_bfe_u32 v7, v95, 16, 1
	v_add_nc_u32_e32 v6, v5, v2
	v_cmp_o_f32_e64 s3, v95, v95
	s_delay_alu instid0(VALU_DEP_3) | instskip(SKIP_1) | instid1(VALU_DEP_2)
	v_add3_u32 v8, v95, v7, 0x7fff
	v_mov_b32_e32 v7, 0
	v_lshrrev_b32_e32 v8, 16, v8
	s_delay_alu instid0(VALU_DEP_2) | instskip(SKIP_1) | instid1(VALU_DEP_2)
	v_lshlrev_b64_e32 v[6:7], 1, v[6:7]
	s_wait_alu 0xf1ff
	v_cndmask_b32_e64 v8, 0x7fc0, v8, s3
	s_wait_kmcnt 0x0
	s_delay_alu instid0(VALU_DEP_2)
	v_add_co_u32 v6, s3, s8, v6
	s_wait_alu 0xf1ff
	v_add_co_ci_u32_e64 v7, null, s9, v7, s3
	global_store_b16 v[6:7], v8, off
	s_wait_alu 0xfffe
	s_or_b32 exec_lo, exec_lo, s5
	s_and_saveexec_b32 s5, s1
	s_cbranch_execz .LBB175_30
.LBB175_68:
	v_bfe_u32 v7, v94, 16, 1
	v_add_nc_u32_e32 v6, v5, v3
	v_cmp_o_f32_e64 s3, v94, v94
	s_delay_alu instid0(VALU_DEP_3) | instskip(SKIP_1) | instid1(VALU_DEP_2)
	v_add3_u32 v8, v94, v7, 0x7fff
	v_mov_b32_e32 v7, 0
	v_lshrrev_b32_e32 v8, 16, v8
	s_delay_alu instid0(VALU_DEP_2) | instskip(SKIP_1) | instid1(VALU_DEP_2)
	v_lshlrev_b64_e32 v[6:7], 1, v[6:7]
	s_wait_alu 0xf1ff
	v_cndmask_b32_e64 v8, 0x7fc0, v8, s3
	s_wait_kmcnt 0x0
	s_delay_alu instid0(VALU_DEP_2)
	v_add_co_u32 v6, s3, s8, v6
	s_wait_alu 0xf1ff
	v_add_co_ci_u32_e64 v7, null, s9, v7, s3
	global_store_b16 v[6:7], v8, off
	s_wait_alu 0xfffe
	s_or_b32 exec_lo, exec_lo, s5
	s_and_saveexec_b32 s5, s2
	s_cbranch_execnz .LBB175_31
	s_branch .LBB175_32
.LBB175_69:
	v_bfe_u32 v7, v91, 16, 1
	s_delay_alu instid0(VALU_DEP_2) | instskip(SKIP_1) | instid1(VALU_DEP_3)
	v_add_nc_u32_e32 v6, v5, v0
	v_cmp_o_f32_e64 s3, v91, v91
	v_add3_u32 v8, v91, v7, 0x7fff
	v_mov_b32_e32 v7, 0
	s_delay_alu instid0(VALU_DEP_2) | instskip(NEXT) | instid1(VALU_DEP_2)
	v_lshrrev_b32_e32 v8, 16, v8
	v_lshlrev_b64_e32 v[6:7], 1, v[6:7]
	s_wait_alu 0xf1ff
	s_delay_alu instid0(VALU_DEP_2) | instskip(SKIP_1) | instid1(VALU_DEP_2)
	v_cndmask_b32_e64 v8, 0x7fc0, v8, s3
	s_wait_kmcnt 0x0
	v_add_co_u32 v6, s3, s8, v6
	s_wait_alu 0xf1ff
	v_add_co_ci_u32_e64 v7, null, s9, v7, s3
	global_store_b16 v[6:7], v8, off
	s_wait_alu 0xfffe
	s_or_b32 exec_lo, exec_lo, s5
	s_and_saveexec_b32 s5, s0
	s_cbranch_execz .LBB175_35
.LBB175_70:
	v_bfe_u32 v7, v88, 16, 1
	v_add_nc_u32_e32 v6, v5, v2
	v_cmp_o_f32_e64 s3, v88, v88
	s_delay_alu instid0(VALU_DEP_3) | instskip(SKIP_1) | instid1(VALU_DEP_2)
	v_add3_u32 v8, v88, v7, 0x7fff
	v_mov_b32_e32 v7, 0
	v_lshrrev_b32_e32 v8, 16, v8
	s_delay_alu instid0(VALU_DEP_2) | instskip(SKIP_1) | instid1(VALU_DEP_2)
	v_lshlrev_b64_e32 v[6:7], 1, v[6:7]
	s_wait_alu 0xf1ff
	v_cndmask_b32_e64 v8, 0x7fc0, v8, s3
	s_wait_kmcnt 0x0
	s_delay_alu instid0(VALU_DEP_2)
	v_add_co_u32 v6, s3, s8, v6
	s_wait_alu 0xf1ff
	v_add_co_ci_u32_e64 v7, null, s9, v7, s3
	global_store_b16 v[6:7], v8, off
	s_wait_alu 0xfffe
	s_or_b32 exec_lo, exec_lo, s5
	s_and_saveexec_b32 s5, s1
	s_cbranch_execz .LBB175_36
.LBB175_71:
	v_bfe_u32 v7, v87, 16, 1
	v_add_nc_u32_e32 v6, v5, v3
	v_cmp_o_f32_e64 s3, v87, v87
	s_delay_alu instid0(VALU_DEP_3) | instskip(SKIP_1) | instid1(VALU_DEP_2)
	v_add3_u32 v8, v87, v7, 0x7fff
	v_mov_b32_e32 v7, 0
	v_lshrrev_b32_e32 v8, 16, v8
	s_delay_alu instid0(VALU_DEP_2) | instskip(SKIP_1) | instid1(VALU_DEP_2)
	v_lshlrev_b64_e32 v[6:7], 1, v[6:7]
	s_wait_alu 0xf1ff
	v_cndmask_b32_e64 v8, 0x7fc0, v8, s3
	s_wait_kmcnt 0x0
	s_delay_alu instid0(VALU_DEP_2)
	v_add_co_u32 v6, s3, s8, v6
	s_wait_alu 0xf1ff
	v_add_co_ci_u32_e64 v7, null, s9, v7, s3
	global_store_b16 v[6:7], v8, off
	s_wait_alu 0xfffe
	s_or_b32 exec_lo, exec_lo, s5
	s_and_saveexec_b32 s5, s2
	s_cbranch_execnz .LBB175_37
	s_branch .LBB175_38
.LBB175_72:
	v_bfe_u32 v7, v85, 16, 1
	s_delay_alu instid0(VALU_DEP_2) | instskip(SKIP_1) | instid1(VALU_DEP_3)
	v_add_nc_u32_e32 v6, v5, v0
	v_cmp_o_f32_e64 s3, v85, v85
	v_add3_u32 v8, v85, v7, 0x7fff
	v_mov_b32_e32 v7, 0
	s_delay_alu instid0(VALU_DEP_2) | instskip(NEXT) | instid1(VALU_DEP_2)
	v_lshrrev_b32_e32 v8, 16, v8
	v_lshlrev_b64_e32 v[6:7], 1, v[6:7]
	s_wait_alu 0xf1ff
	s_delay_alu instid0(VALU_DEP_2) | instskip(SKIP_1) | instid1(VALU_DEP_2)
	v_cndmask_b32_e64 v8, 0x7fc0, v8, s3
	s_wait_kmcnt 0x0
	v_add_co_u32 v6, s3, s8, v6
	s_wait_alu 0xf1ff
	v_add_co_ci_u32_e64 v7, null, s9, v7, s3
	global_store_b16 v[6:7], v8, off
	s_wait_alu 0xfffe
	s_or_b32 exec_lo, exec_lo, s5
	s_and_saveexec_b32 s5, s0
	s_cbranch_execz .LBB175_41
.LBB175_73:
	v_bfe_u32 v7, v84, 16, 1
	v_add_nc_u32_e32 v6, v5, v2
	v_cmp_o_f32_e64 s3, v84, v84
	s_delay_alu instid0(VALU_DEP_3) | instskip(SKIP_1) | instid1(VALU_DEP_2)
	v_add3_u32 v8, v84, v7, 0x7fff
	v_mov_b32_e32 v7, 0
	v_lshrrev_b32_e32 v8, 16, v8
	s_delay_alu instid0(VALU_DEP_2) | instskip(SKIP_1) | instid1(VALU_DEP_2)
	v_lshlrev_b64_e32 v[6:7], 1, v[6:7]
	s_wait_alu 0xf1ff
	v_cndmask_b32_e64 v8, 0x7fc0, v8, s3
	s_wait_kmcnt 0x0
	s_delay_alu instid0(VALU_DEP_2)
	v_add_co_u32 v6, s3, s8, v6
	s_wait_alu 0xf1ff
	v_add_co_ci_u32_e64 v7, null, s9, v7, s3
	global_store_b16 v[6:7], v8, off
	s_wait_alu 0xfffe
	s_or_b32 exec_lo, exec_lo, s5
	s_and_saveexec_b32 s5, s1
	s_cbranch_execz .LBB175_42
.LBB175_74:
	v_bfe_u32 v7, v83, 16, 1
	v_add_nc_u32_e32 v6, v5, v3
	v_cmp_o_f32_e64 s3, v83, v83
	s_delay_alu instid0(VALU_DEP_3) | instskip(SKIP_1) | instid1(VALU_DEP_2)
	v_add3_u32 v8, v83, v7, 0x7fff
	v_mov_b32_e32 v7, 0
	v_lshrrev_b32_e32 v8, 16, v8
	s_delay_alu instid0(VALU_DEP_2) | instskip(SKIP_1) | instid1(VALU_DEP_2)
	v_lshlrev_b64_e32 v[6:7], 1, v[6:7]
	s_wait_alu 0xf1ff
	v_cndmask_b32_e64 v8, 0x7fc0, v8, s3
	s_wait_kmcnt 0x0
	s_delay_alu instid0(VALU_DEP_2)
	v_add_co_u32 v6, s3, s8, v6
	s_wait_alu 0xf1ff
	v_add_co_ci_u32_e64 v7, null, s9, v7, s3
	global_store_b16 v[6:7], v8, off
	s_wait_alu 0xfffe
	s_or_b32 exec_lo, exec_lo, s5
	s_and_saveexec_b32 s5, s2
	s_cbranch_execnz .LBB175_43
	s_branch .LBB175_44
.LBB175_75:
	v_bfe_u32 v7, v81, 16, 1
	s_delay_alu instid0(VALU_DEP_2) | instskip(SKIP_1) | instid1(VALU_DEP_3)
	v_add_nc_u32_e32 v6, v5, v0
	v_cmp_o_f32_e64 s3, v81, v81
	v_add3_u32 v8, v81, v7, 0x7fff
	v_mov_b32_e32 v7, 0
	s_delay_alu instid0(VALU_DEP_2) | instskip(NEXT) | instid1(VALU_DEP_2)
	v_lshrrev_b32_e32 v8, 16, v8
	v_lshlrev_b64_e32 v[6:7], 1, v[6:7]
	s_wait_alu 0xf1ff
	s_delay_alu instid0(VALU_DEP_2) | instskip(SKIP_1) | instid1(VALU_DEP_2)
	v_cndmask_b32_e64 v8, 0x7fc0, v8, s3
	s_wait_kmcnt 0x0
	v_add_co_u32 v6, s3, s8, v6
	s_wait_alu 0xf1ff
	v_add_co_ci_u32_e64 v7, null, s9, v7, s3
	global_store_b16 v[6:7], v8, off
	s_wait_alu 0xfffe
	s_or_b32 exec_lo, exec_lo, s5
	s_and_saveexec_b32 s5, s0
	s_cbranch_execz .LBB175_47
.LBB175_76:
	v_bfe_u32 v7, v80, 16, 1
	v_add_nc_u32_e32 v6, v5, v2
	v_cmp_o_f32_e64 s3, v80, v80
	s_delay_alu instid0(VALU_DEP_3) | instskip(SKIP_1) | instid1(VALU_DEP_2)
	v_add3_u32 v8, v80, v7, 0x7fff
	v_mov_b32_e32 v7, 0
	v_lshrrev_b32_e32 v8, 16, v8
	s_delay_alu instid0(VALU_DEP_2) | instskip(SKIP_1) | instid1(VALU_DEP_2)
	v_lshlrev_b64_e32 v[6:7], 1, v[6:7]
	s_wait_alu 0xf1ff
	v_cndmask_b32_e64 v8, 0x7fc0, v8, s3
	s_wait_kmcnt 0x0
	s_delay_alu instid0(VALU_DEP_2)
	v_add_co_u32 v6, s3, s8, v6
	s_wait_alu 0xf1ff
	v_add_co_ci_u32_e64 v7, null, s9, v7, s3
	global_store_b16 v[6:7], v8, off
	s_wait_alu 0xfffe
	s_or_b32 exec_lo, exec_lo, s5
	s_and_saveexec_b32 s5, s1
	s_cbranch_execz .LBB175_48
.LBB175_77:
	v_bfe_u32 v7, v79, 16, 1
	v_add_nc_u32_e32 v6, v5, v3
	v_cmp_o_f32_e64 s3, v79, v79
	s_delay_alu instid0(VALU_DEP_3) | instskip(SKIP_1) | instid1(VALU_DEP_2)
	v_add3_u32 v8, v79, v7, 0x7fff
	v_mov_b32_e32 v7, 0
	v_lshrrev_b32_e32 v8, 16, v8
	s_delay_alu instid0(VALU_DEP_2) | instskip(SKIP_1) | instid1(VALU_DEP_2)
	v_lshlrev_b64_e32 v[6:7], 1, v[6:7]
	s_wait_alu 0xf1ff
	v_cndmask_b32_e64 v8, 0x7fc0, v8, s3
	s_wait_kmcnt 0x0
	s_delay_alu instid0(VALU_DEP_2)
	v_add_co_u32 v6, s3, s8, v6
	s_wait_alu 0xf1ff
	v_add_co_ci_u32_e64 v7, null, s9, v7, s3
	global_store_b16 v[6:7], v8, off
	s_wait_alu 0xfffe
	s_or_b32 exec_lo, exec_lo, s5
	s_and_saveexec_b32 s5, s2
	s_cbranch_execnz .LBB175_49
	s_branch .LBB175_50
.LBB175_78:
	v_bfe_u32 v7, v77, 16, 1
	s_delay_alu instid0(VALU_DEP_2) | instskip(SKIP_1) | instid1(VALU_DEP_3)
	v_add_nc_u32_e32 v6, v5, v0
	v_cmp_o_f32_e64 s3, v77, v77
	v_add3_u32 v8, v77, v7, 0x7fff
	v_mov_b32_e32 v7, 0
	s_delay_alu instid0(VALU_DEP_2) | instskip(NEXT) | instid1(VALU_DEP_2)
	v_lshrrev_b32_e32 v8, 16, v8
	v_lshlrev_b64_e32 v[6:7], 1, v[6:7]
	s_wait_alu 0xf1ff
	s_delay_alu instid0(VALU_DEP_2) | instskip(SKIP_1) | instid1(VALU_DEP_2)
	v_cndmask_b32_e64 v8, 0x7fc0, v8, s3
	s_wait_kmcnt 0x0
	v_add_co_u32 v6, s3, s8, v6
	s_wait_alu 0xf1ff
	v_add_co_ci_u32_e64 v7, null, s9, v7, s3
	global_store_b16 v[6:7], v8, off
	s_wait_alu 0xfffe
	s_or_b32 exec_lo, exec_lo, s5
	s_and_saveexec_b32 s5, s0
	s_cbranch_execz .LBB175_53
.LBB175_79:
	v_bfe_u32 v7, v76, 16, 1
	v_add_nc_u32_e32 v6, v5, v2
	v_cmp_o_f32_e64 s3, v76, v76
	s_delay_alu instid0(VALU_DEP_3) | instskip(SKIP_1) | instid1(VALU_DEP_2)
	v_add3_u32 v8, v76, v7, 0x7fff
	v_mov_b32_e32 v7, 0
	v_lshrrev_b32_e32 v8, 16, v8
	s_delay_alu instid0(VALU_DEP_2) | instskip(SKIP_1) | instid1(VALU_DEP_2)
	v_lshlrev_b64_e32 v[6:7], 1, v[6:7]
	s_wait_alu 0xf1ff
	v_cndmask_b32_e64 v8, 0x7fc0, v8, s3
	s_wait_kmcnt 0x0
	s_delay_alu instid0(VALU_DEP_2)
	v_add_co_u32 v6, s3, s8, v6
	s_wait_alu 0xf1ff
	v_add_co_ci_u32_e64 v7, null, s9, v7, s3
	global_store_b16 v[6:7], v8, off
	s_wait_alu 0xfffe
	s_or_b32 exec_lo, exec_lo, s5
	s_and_saveexec_b32 s5, s1
	s_cbranch_execz .LBB175_54
.LBB175_80:
	v_bfe_u32 v7, v75, 16, 1
	v_add_nc_u32_e32 v6, v5, v3
	v_cmp_o_f32_e64 s3, v75, v75
	s_delay_alu instid0(VALU_DEP_3) | instskip(SKIP_1) | instid1(VALU_DEP_2)
	v_add3_u32 v8, v75, v7, 0x7fff
	v_mov_b32_e32 v7, 0
	v_lshrrev_b32_e32 v8, 16, v8
	s_delay_alu instid0(VALU_DEP_2) | instskip(SKIP_1) | instid1(VALU_DEP_2)
	v_lshlrev_b64_e32 v[6:7], 1, v[6:7]
	s_wait_alu 0xf1ff
	v_cndmask_b32_e64 v8, 0x7fc0, v8, s3
	s_wait_kmcnt 0x0
	s_delay_alu instid0(VALU_DEP_2)
	v_add_co_u32 v6, s3, s8, v6
	s_wait_alu 0xf1ff
	v_add_co_ci_u32_e64 v7, null, s9, v7, s3
	global_store_b16 v[6:7], v8, off
	s_wait_alu 0xfffe
	s_or_b32 exec_lo, exec_lo, s5
	s_and_saveexec_b32 s5, s2
	s_cbranch_execnz .LBB175_55
	s_branch .LBB175_56
.LBB175_81:
	v_bfe_u32 v6, v73, 16, 1
	s_delay_alu instid0(VALU_DEP_2) | instskip(SKIP_1) | instid1(VALU_DEP_3)
	v_add_nc_u32_e32 v5, v1, v0
	v_cmp_o_f32_e32 vcc_lo, v73, v73
	v_add3_u32 v0, v73, v6, 0x7fff
	v_mov_b32_e32 v6, 0
	s_delay_alu instid0(VALU_DEP_2) | instskip(NEXT) | instid1(VALU_DEP_2)
	v_lshrrev_b32_e32 v0, 16, v0
	v_lshlrev_b64_e32 v[5:6], 1, v[5:6]
	s_wait_alu 0xfffd
	s_delay_alu instid0(VALU_DEP_2) | instskip(SKIP_1) | instid1(VALU_DEP_2)
	v_cndmask_b32_e32 v0, 0x7fc0, v0, vcc_lo
	s_wait_kmcnt 0x0
	v_add_co_u32 v5, vcc_lo, s8, v5
	s_wait_alu 0xfffd
	v_add_co_ci_u32_e64 v6, null, s9, v6, vcc_lo
	global_store_b16 v[5:6], v0, off
	s_wait_alu 0xfffe
	s_or_b32 exec_lo, exec_lo, s3
	s_and_saveexec_b32 s3, s0
	s_cbranch_execz .LBB175_59
.LBB175_82:
	v_bfe_u32 v0, v72, 16, 1
	v_dual_mov_b32 v6, 0 :: v_dual_add_nc_u32 v5, v1, v2
	v_cmp_o_f32_e32 vcc_lo, v72, v72
	s_delay_alu instid0(VALU_DEP_3) | instskip(NEXT) | instid1(VALU_DEP_3)
	v_add3_u32 v0, v72, v0, 0x7fff
	v_lshlrev_b64_e32 v[5:6], 1, v[5:6]
	s_delay_alu instid0(VALU_DEP_2) | instskip(SKIP_1) | instid1(VALU_DEP_1)
	v_lshrrev_b32_e32 v0, 16, v0
	s_wait_alu 0xfffd
	v_cndmask_b32_e32 v0, 0x7fc0, v0, vcc_lo
	s_wait_kmcnt 0x0
	s_delay_alu instid0(VALU_DEP_3)
	v_add_co_u32 v5, vcc_lo, s8, v5
	s_wait_alu 0xfffd
	v_add_co_ci_u32_e64 v6, null, s9, v6, vcc_lo
	global_store_b16 v[5:6], v0, off
	s_wait_alu 0xfffe
	s_or_b32 exec_lo, exec_lo, s3
	s_and_saveexec_b32 s0, s1
	s_cbranch_execz .LBB175_60
.LBB175_83:
	v_bfe_u32 v0, v71, 16, 1
	v_dual_mov_b32 v3, 0 :: v_dual_add_nc_u32 v2, v1, v3
	v_cmp_o_f32_e32 vcc_lo, v71, v71
	s_delay_alu instid0(VALU_DEP_3) | instskip(NEXT) | instid1(VALU_DEP_3)
	v_add3_u32 v0, v71, v0, 0x7fff
	v_lshlrev_b64_e32 v[2:3], 1, v[2:3]
	s_delay_alu instid0(VALU_DEP_2) | instskip(SKIP_1) | instid1(VALU_DEP_1)
	v_lshrrev_b32_e32 v0, 16, v0
	s_wait_alu 0xfffd
	v_cndmask_b32_e32 v0, 0x7fc0, v0, vcc_lo
	s_wait_kmcnt 0x0
	s_delay_alu instid0(VALU_DEP_3)
	v_add_co_u32 v2, vcc_lo, s8, v2
	s_wait_alu 0xfffd
	v_add_co_ci_u32_e64 v3, null, s9, v3, vcc_lo
	global_store_b16 v[2:3], v0, off
	s_wait_alu 0xfffe
	s_or_b32 exec_lo, exec_lo, s0
	s_delay_alu instid0(SALU_CYCLE_1)
	s_and_b32 exec_lo, exec_lo, s2
	s_cbranch_execnz .LBB175_61
	s_branch .LBB175_62
	.section	.rodata,"a",@progbits
	.p2align	6, 0x0
	.amdhsa_kernel _ZL12mul_mat_q6_KIN3c108BFloat16ELb0EEvPKvS3_PT_iiiii
		.amdhsa_group_segment_fixed_size 45136
		.amdhsa_private_segment_fixed_size 12
		.amdhsa_kernarg_size 44
		.amdhsa_user_sgpr_count 2
		.amdhsa_user_sgpr_dispatch_ptr 0
		.amdhsa_user_sgpr_queue_ptr 0
		.amdhsa_user_sgpr_kernarg_segment_ptr 1
		.amdhsa_user_sgpr_dispatch_id 0
		.amdhsa_user_sgpr_private_segment_size 0
		.amdhsa_wavefront_size32 1
		.amdhsa_uses_dynamic_stack 0
		.amdhsa_enable_private_segment 1
		.amdhsa_system_sgpr_workgroup_id_x 1
		.amdhsa_system_sgpr_workgroup_id_y 1
		.amdhsa_system_sgpr_workgroup_id_z 0
		.amdhsa_system_sgpr_workgroup_info 0
		.amdhsa_system_vgpr_workitem_id 1
		.amdhsa_next_free_vgpr 256
		.amdhsa_next_free_sgpr 18
		.amdhsa_reserve_vcc 1
		.amdhsa_float_round_mode_32 0
		.amdhsa_float_round_mode_16_64 0
		.amdhsa_float_denorm_mode_32 3
		.amdhsa_float_denorm_mode_16_64 3
		.amdhsa_fp16_overflow 0
		.amdhsa_workgroup_processor_mode 1
		.amdhsa_memory_ordered 1
		.amdhsa_forward_progress 1
		.amdhsa_inst_pref_size 255
		.amdhsa_round_robin_scheduling 0
		.amdhsa_exception_fp_ieee_invalid_op 0
		.amdhsa_exception_fp_denorm_src 0
		.amdhsa_exception_fp_ieee_div_zero 0
		.amdhsa_exception_fp_ieee_overflow 0
		.amdhsa_exception_fp_ieee_underflow 0
		.amdhsa_exception_fp_ieee_inexact 0
		.amdhsa_exception_int_div_zero 0
	.end_amdhsa_kernel
	.section	.text._ZL12mul_mat_q6_KIN3c108BFloat16ELb0EEvPKvS3_PT_iiiii,"axG",@progbits,_ZL12mul_mat_q6_KIN3c108BFloat16ELb0EEvPKvS3_PT_iiiii,comdat
.Lfunc_end175:
	.size	_ZL12mul_mat_q6_KIN3c108BFloat16ELb0EEvPKvS3_PT_iiiii, .Lfunc_end175-_ZL12mul_mat_q6_KIN3c108BFloat16ELb0EEvPKvS3_PT_iiiii
                                        ; -- End function
	.set _ZL12mul_mat_q6_KIN3c108BFloat16ELb0EEvPKvS3_PT_iiiii.num_vgpr, 256
	.set _ZL12mul_mat_q6_KIN3c108BFloat16ELb0EEvPKvS3_PT_iiiii.num_agpr, 0
	.set _ZL12mul_mat_q6_KIN3c108BFloat16ELb0EEvPKvS3_PT_iiiii.numbered_sgpr, 18
	.set _ZL12mul_mat_q6_KIN3c108BFloat16ELb0EEvPKvS3_PT_iiiii.num_named_barrier, 0
	.set _ZL12mul_mat_q6_KIN3c108BFloat16ELb0EEvPKvS3_PT_iiiii.private_seg_size, 12
	.set _ZL12mul_mat_q6_KIN3c108BFloat16ELb0EEvPKvS3_PT_iiiii.uses_vcc, 1
	.set _ZL12mul_mat_q6_KIN3c108BFloat16ELb0EEvPKvS3_PT_iiiii.uses_flat_scratch, 1
	.set _ZL12mul_mat_q6_KIN3c108BFloat16ELb0EEvPKvS3_PT_iiiii.has_dyn_sized_stack, 0
	.set _ZL12mul_mat_q6_KIN3c108BFloat16ELb0EEvPKvS3_PT_iiiii.has_recursion, 0
	.set _ZL12mul_mat_q6_KIN3c108BFloat16ELb0EEvPKvS3_PT_iiiii.has_indirect_call, 0
	.section	.AMDGPU.csdata,"",@progbits
; Kernel info:
; codeLenInByte = 39200
; TotalNumSgprs: 20
; NumVgprs: 256
; ScratchSize: 12
; MemoryBound: 0
; FloatMode: 240
; IeeeMode: 1
; LDSByteSize: 45136 bytes/workgroup (compile time only)
; SGPRBlocks: 0
; VGPRBlocks: 31
; NumSGPRsForWavesPerEU: 20
; NumVGPRsForWavesPerEU: 256
; Occupancy: 4
; WaveLimiterHint : 0
; COMPUTE_PGM_RSRC2:SCRATCH_EN: 1
; COMPUTE_PGM_RSRC2:USER_SGPR: 2
; COMPUTE_PGM_RSRC2:TRAP_HANDLER: 0
; COMPUTE_PGM_RSRC2:TGID_X_EN: 1
; COMPUTE_PGM_RSRC2:TGID_Y_EN: 1
; COMPUTE_PGM_RSRC2:TGID_Z_EN: 0
; COMPUTE_PGM_RSRC2:TIDIG_COMP_CNT: 1
	.section	.text._ZL12mul_mat_q6_KIN3c108BFloat16ELb1EEvPKvS3_PT_iiiii,"axG",@progbits,_ZL12mul_mat_q6_KIN3c108BFloat16ELb1EEvPKvS3_PT_iiiii,comdat
	.globl	_ZL12mul_mat_q6_KIN3c108BFloat16ELb1EEvPKvS3_PT_iiiii ; -- Begin function _ZL12mul_mat_q6_KIN3c108BFloat16ELb1EEvPKvS3_PT_iiiii
	.p2align	8
	.type	_ZL12mul_mat_q6_KIN3c108BFloat16ELb1EEvPKvS3_PT_iiiii,@function
_ZL12mul_mat_q6_KIN3c108BFloat16ELb1EEvPKvS3_PT_iiiii: ; @_ZL12mul_mat_q6_KIN3c108BFloat16ELb1EEvPKvS3_PT_iiiii
; %bb.0:
	s_clause 0x1
	s_load_b128 s[4:7], s[0:1], 0x18
	s_load_b32 s12, s[0:1], 0x28
	v_bfe_u32 v106, v0, 10, 10
	v_and_b32_e32 v43, 0x3ff, v0
	s_lshl_b32 s13, ttmp7, 6
	s_wait_kmcnt 0x0
	s_cmp_gt_i32 s4, 0xff
	s_cbranch_scc1 .LBB176_2
; %bb.1:
	v_bfe_u32 v1, v0, 10, 10
	v_and_b32_e32 v2, 0x3ff, v0
	s_mov_b32 s2, 0
	s_delay_alu instid0(VALU_DEP_2)
	v_add_nc_u32_e32 v3, s13, v1
	s_branch .LBB176_3
.LBB176_2:
	s_mov_b32 s2, -1
                                        ; implicit-def: $vgpr1
                                        ; implicit-def: $vgpr2
                                        ; implicit-def: $vgpr3
.LBB176_3:
	s_load_b64 s[8:9], s[0:1], 0x10
	v_dual_mov_b32 v79, 0 :: v_dual_mov_b32 v102, 0
	v_dual_mov_b32 v83, 0 :: v_dual_mov_b32 v118, 0
	v_dual_mov_b32 v87, 0 :: v_dual_mov_b32 v80, 0
	v_dual_mov_b32 v91, 0 :: v_dual_mov_b32 v84, 0
	v_dual_mov_b32 v95, 0 :: v_dual_mov_b32 v88, 0
	v_dual_mov_b32 v123, 0 :: v_dual_mov_b32 v92, 0
	v_dual_mov_b32 v98, 0 :: v_dual_mov_b32 v103, 0
	v_dual_mov_b32 v119, 0 :: v_dual_mov_b32 v124, 0
	v_dual_mov_b32 v81, 0 :: v_dual_mov_b32 v104, 0
	v_dual_mov_b32 v85, 0 :: v_dual_mov_b32 v120, 0
	v_dual_mov_b32 v89, 0 :: v_dual_mov_b32 v82, 0
	v_dual_mov_b32 v93, 0 :: v_dual_mov_b32 v86, 0
	v_dual_mov_b32 v99, 0 :: v_dual_mov_b32 v90, 0
	v_dual_mov_b32 v131, 0 :: v_dual_mov_b32 v94, 0
	v_dual_mov_b32 v101, 0 :: v_dual_mov_b32 v100, 0
	v_mov_b32_e32 v111, 0
	v_mov_b32_e32 v121, 0
	s_and_not1_b32 vcc_lo, exec_lo, s2
	s_lshl_b32 s14, ttmp9, 7
	s_cbranch_vccnz .LBB176_11
; %bb.4:
	v_and_b32_e32 v1, 31, v0
	s_ashr_i32 s10, s4, 31
	s_ashr_i32 s11, s7, 31
	s_lshr_b32 s10, s10, 24
	v_dual_mov_b32 v93, 0 :: v_dual_add_nc_u32 v34, 8, v106
	v_dual_mov_b32 v121, 0 :: v_dual_lshlrev_b32 v2, 1, v1
	v_cmp_gt_u32_e32 vcc_lo, 16, v1
	s_add_co_i32 s4, s4, s10
	s_lshr_b32 s10, s11, 27
	s_delay_alu instid0(VALU_DEP_2)
	v_add_nc_u32_e32 v4, 0xe0, v2
	s_ashr_i32 s15, s4, 8
	s_add_co_i32 s4, s7, s10
	s_not_b32 s7, s14
	v_dual_mov_b32 v94, 0 :: v_dual_add_nc_u32 v35, 16, v106
	v_cndmask_b32_e32 v4, v4, v2, vcc_lo
	v_add_nc_u16 v3, v1, -16
	s_add_co_i32 s5, s5, s7
	v_dual_mov_b32 v100, 0 :: v_dual_lshlrev_b32 v107, 2, v1
	s_delay_alu instid0(VALU_DEP_3) | instskip(NEXT) | instid1(VALU_DEP_3)
	v_dual_mov_b32 v101, 0 :: v_dual_and_b32 v4, 0xfe, v4
	v_cndmask_b32_e32 v3, v3, v1, vcc_lo
	v_dual_mov_b32 v99, 0 :: v_dual_add_nc_u32 v36, 24, v106
	v_mov_b32_e32 v89, 0
	s_delay_alu instid0(VALU_DEP_4)
	v_sub_nc_u32_e32 v1, v2, v4
	v_and_b32_e32 v2, 15, v0
	v_min_i32_e32 v4, s5, v106
	v_cmp_lt_u16_e32 vcc_lo, 7, v3
	v_min_i32_e32 v3, s5, v35
	v_dual_mov_b32 v90, 0 :: v_dual_add_nc_u32 v37, 32, v106
	v_add_lshl_u32 v1, v1, v2, 2
	v_mul_lo_u32 v2, v4, s15
	v_dual_mov_b32 v85, 0 :: v_dual_add_nc_u32 v38, 40, v106
	v_dual_mov_b32 v103, 0 :: v_dual_add_nc_u32 v24, s13, v106
	;; [unrolled: 1-line block ×3, first 2 shown]
	s_add_co_i32 s7, s6, -1
	s_clause 0x1
	scratch_store_b32 off, v2, off
	scratch_store_b32 off, v43, off offset:12
	v_min_i32_e32 v2, s5, v34
	v_lshrrev_b32_e32 v5, 1, v0
	v_dual_mov_b32 v111, 0 :: v_dual_and_b32 v6, 7, v0
	v_dual_mov_b32 v95, 0 :: v_dual_add_nc_u32 v8, 16, v24
	s_delay_alu instid0(VALU_DEP_4)
	v_mad_co_u64_u32 v[96:97], null, 0x104, v4, v[1:2]
	v_mul_lo_u32 v110, v2, s15
	v_mad_co_u64_u32 v[97:98], null, 0x104, v2, v[1:2]
	v_min_i32_e32 v2, s5, v36
	v_mul_lo_u32 v4, v3, s15
	v_and_or_b32 v5, v5, 8, v6
	v_dual_mov_b32 v123, 0 :: v_dual_add_nc_u32 v6, 8, v24
	s_delay_alu instid0(VALU_DEP_4)
	v_mad_co_u64_u32 v[112:113], null, 0x104, v3, v[1:2]
	v_mul_lo_u32 v3, v2, s15
	v_mad_co_u64_u32 v[113:114], null, 0x104, v2, v[1:2]
	s_clause 0x1
	scratch_store_b32 off, v4, off offset:4
	scratch_store_b32 off, v24, off offset:16
	v_min_i32_e32 v2, s5, v38
	v_dual_mov_b32 v119, 0 :: v_dual_add_nc_u32 v10, 24, v24
	v_mov_b32_e32 v91, 0
	scratch_store_b32 off, v3, off offset:8 ; 4-byte Folded Spill
	v_min_i32_e32 v3, s5, v37
	v_mul_lo_u32 v116, v2, s15
	v_dual_mov_b32 v87, 0 :: v_dual_add_nc_u32 v12, 32, v24
	v_dual_mov_b32 v83, 0 :: v_dual_add_nc_u32 v14, 40, v24
	s_delay_alu instid0(VALU_DEP_4)
	v_mad_co_u64_u32 v[20:21], null, 0x104, v3, v[1:2]
	v_mul_lo_u32 v115, v3, s15
	v_min_i32_e32 v3, s5, v39
	v_mad_co_u64_u32 v[21:22], null, 0x104, v2, v[1:2]
	v_add_nc_u32_e32 v2, 64, v106
	v_dual_mov_b32 v81, 0 :: v_dual_add_nc_u32 v40, 56, v106
	s_delay_alu instid0(VALU_DEP_4) | instskip(SKIP_1) | instid1(VALU_DEP_4)
	v_mul_lo_u32 v117, v3, s15
	v_dual_mov_b32 v79, 0 :: v_dual_add_nc_u32 v16, 48, v24
	v_mad_co_u64_u32 v[22:23], null, 0x104, v3, v[1:2]
	v_min_i32_e32 v25, s5, v2
	v_cvt_f64_i32_e32 v[2:3], s7
	v_dual_mov_b32 v131, 0 :: v_dual_lshlrev_b32 v108, 2, v5
	v_cvt_f64_u32_e32 v[4:5], v24
	v_cvt_f64_u32_e32 v[6:7], v6
	;; [unrolled: 1-line block ×6, first 2 shown]
	v_min_i32_e32 v18, s5, v40
	v_dual_mov_b32 v82, 0 :: v_dual_add_nc_u32 v19, 0x48, v106
	v_cvt_f64_u32_e32 v[16:17], v16
	v_add_nc_u32_e32 v26, 56, v24
	s_delay_alu instid0(VALU_DEP_4) | instskip(NEXT) | instid1(VALU_DEP_4)
	v_mul_lo_u32 v122, v18, s15
	v_min_i32_e32 v27, s5, v19
	v_add_nc_u32_e32 v28, 0x50, v106
	v_dual_mov_b32 v120, 0 :: v_dual_add_nc_u32 v29, 0x58, v106
	v_add_nc_u32_e32 v30, 0x60, v106
	v_mul_lo_u32 v125, v25, s15
	s_delay_alu instid0(VALU_DEP_4) | instskip(NEXT) | instid1(VALU_DEP_4)
	v_min_i32_e32 v28, s5, v28
	v_min_i32_e32 v29, s5, v29
	v_mul_lo_u32 v126, v27, s15
	v_min_i32_e32 v30, s5, v30
	v_dual_mov_b32 v104, 0 :: v_dual_lshlrev_b32 v129, 5, v106
	v_mul_lo_u32 v127, v28, s15
	v_mul_lo_u32 v128, v29, s15
	v_dual_mov_b32 v124, 0 :: v_dual_add_nc_u32 v31, 0x68, v106
	s_delay_alu instid0(VALU_DEP_4)
	v_add_nc_u32_e32 v32, v129, v43
	v_mul_lo_u32 v130, v30, s15
	v_mov_b32_e32 v98, 0
	s_load_b128 s[0:3], s[0:1], 0x0
	s_ashr_i32 s4, s4, 5
	v_lshlrev_b32_e32 v140, 2, v43
	v_bfe_u32 v105, v0, 5, 5
	v_mad_co_u64_u32 v[23:24], null, 0x104, v18, v[1:2]
	v_cvt_f64_u32_e32 v[18:19], v26
	v_min_num_f64_e32 v[4:5], v[4:5], v[2:3]
	v_min_num_f64_e32 v[6:7], v[6:7], v[2:3]
	;; [unrolled: 1-line block ×6, first 2 shown]
	v_mad_co_u64_u32 v[24:25], null, 0x104, v25, v[1:2]
	v_mad_co_u64_u32 v[25:26], null, 0x104, v27, v[1:2]
	v_min_num_f64_e32 v[16:17], v[16:17], v[2:3]
	v_mad_co_u64_u32 v[26:27], null, 0x104, v28, v[1:2]
	v_mad_co_u64_u32 v[27:28], null, 0x104, v29, v[1:2]
	;; [unrolled: 1-line block ×3, first 2 shown]
	v_and_b32_e32 v30, 0x7f, v32
	v_min_i32_e32 v29, s5, v31
	v_add_nc_u32_e32 v31, 0x70, v106
	v_add_nc_u32_e32 v32, 0x78, v106
	v_mov_b32_e32 v92, 0
	v_min_i32_e32 v33, s5, v30
	v_bfe_u32 v30, v0, 2, 8
	v_min_i32_e32 v31, s5, v31
	v_min_i32_e32 v32, s5, v32
	v_mul_lo_u32 v132, v29, s15
	v_mul_lo_u32 v135, v33, s15
	s_mul_i32 s10, s15, s14
	v_mul_lo_u32 v133, v31, s15
	v_mul_lo_u32 v134, v32, s15
	s_ashr_i32 s11, s10, 31
	v_cndmask_b32_e64 v109, 0, 2, vcc_lo
	v_bfe_u32 v153, v0, 3, 7
	v_lshlrev_b32_e32 v158, 5, v34
	v_lshlrev_b32_e32 v159, 5, v35
	;; [unrolled: 1-line block ×3, first 2 shown]
	v_min_num_f64_e32 v[2:3], v[18:19], v[2:3]
	v_cvt_i32_f64_e32 v4, v[4:5]
	v_cvt_i32_f64_e32 v5, v[6:7]
	;; [unrolled: 1-line block ×6, first 2 shown]
	v_lshl_add_u32 v19, v106, 3, v30
	v_ashrrev_i32_e32 v18, 31, v33
	v_lshlrev_b32_e32 v14, 2, v33
	v_lshlrev_b32_e32 v161, 5, v37
	v_cvt_i32_f64_e32 v13, v[16:17]
	v_and_b32_e32 v41, 0x7f, v19
	v_lshrrev_b32_e32 v18, 27, v18
	v_and_b32_e32 v16, 28, v140
	v_or_b32_e32 v17, 0x8200, v107
	v_lshlrev_b32_e32 v162, 5, v38
	v_min_i32_e32 v42, s5, v41
	v_xor_b32_e32 v41, 64, v41
	v_add_nc_u32_e32 v18, v33, v18
	v_dual_mov_b32 v88, 0 :: v_dual_lshlrev_b32 v163, 5, v39
	s_delay_alu instid0(VALU_DEP_4) | instskip(SKIP_1) | instid1(VALU_DEP_4)
	v_mul_lo_u32 v138, v42, s15
	v_lshlrev_b32_e32 v164, 5, v40
	v_ashrrev_i32_e32 v18, 5, v18
	v_mul_u32_u24_e32 v165, 0x104, v43
	v_mov_b32_e32 v80, 0
	s_mul_u64 s[10:11], s[10:11], 0xd2
	v_mov_b32_e32 v84, 0
	v_lshlrev_b32_e32 v8, 2, v18
	v_lshlrev_b32_e32 v18, 2, v105
	s_wait_kmcnt 0x0
	s_add_nc_u64 s[0:1], s[0:1], s[10:11]
	v_mov_b32_e32 v118, 0
	v_mov_b32_e32 v102, 0
	v_add3_u32 v137, v8, v14, 0xae40
	v_and_b32_e32 v8, 63, v19
	v_add3_u32 v154, v18, v140, 0xae40
	v_mad_co_u64_u32 v[29:30], null, 0x104, v29, v[1:2]
	v_mad_co_u64_u32 v[30:31], null, 0x104, v31, v[1:2]
	;; [unrolled: 1-line block ×3, first 2 shown]
	v_cvt_i32_f64_e32 v2, v[2:3]
	v_min_i32_e32 v32, s5, v41
	v_ashrrev_i32_e32 v1, 31, v42
	v_or_b32_e32 v14, s13, v8
	s_wait_alu 0xfffe
	v_mul_lo_u32 v147, s4, v12
	v_add_nc_u32_e32 v12, 64, v43
	v_ashrrev_i32_e32 v6, 31, v32
	v_lshrrev_b32_e32 v1, 29, v1
	v_mul_lo_u32 v146, s4, v11
	v_mul_lo_u32 v148, s4, v13
	v_add_nc_u32_e32 v11, 32, v43
	v_lshrrev_b32_e32 v6, 29, v6
	v_add_nc_u32_e32 v10, v42, v1
	v_and_b32_e32 v1, 3, v0
	v_add_nc_u32_e32 v13, 0x60, v43
	v_min_i32_e32 v14, s7, v14
	v_add_nc_u32_e32 v6, v32, v6
	v_ashrrev_i32_e32 v10, 3, v10
	v_lshlrev_b32_e32 v136, 2, v1
	v_lshrrev_b32_e32 v151, 3, v12
	v_lshrrev_b32_e32 v150, 3, v11
	v_ashrrev_i32_e32 v6, 3, v6
	v_lshlrev_b32_e32 v3, 2, v10
	v_lshl_or_b32 v8, v8, 4, v136
	v_lshrrev_b32_e32 v152, 3, v13
	v_mul_lo_u32 v139, v32, s15
	v_lshlrev_b32_e32 v6, 2, v6
	v_lshlrev_b32_e32 v15, 4, v32
	v_mul_lo_u32 v142, s4, v4
	v_mul_lo_u32 v143, s4, v5
	;; [unrolled: 1-line block ×4, first 2 shown]
	v_add3_u32 v3, v3, v136, 0xa200
	v_lshlrev_b32_e32 v10, 4, v42
	v_add3_u32 v6, v6, v136, 0xa200
	v_add_nc_u32_e32 v141, 0xaa40, v8
	v_lshlrev_b32_e32 v4, 7, v34
	v_lshlrev_b32_e32 v5, 7, v35
	v_mad_co_u64_u32 v[32:33], null, v14, s4, v[1:2]
	v_mul_lo_u32 v149, s4, v2
	s_movk_i32 s4, 0x2080
	v_and_b32_e32 v33, 60, v151
	s_wait_alu 0xfffe
	v_mad_u32_u24 v167, 0x104, v43, s4
	s_movk_i32 s4, 0x4100
	v_lshlrev_b32_e32 v1, 7, v106
	v_lshlrev_b32_e32 v7, 7, v36
	;; [unrolled: 1-line block ×6, first 2 shown]
	v_and_b32_e32 v19, 60, v150
	v_and_b32_e32 v41, 60, v152
	s_wait_alu 0xfffe
	v_mad_u32_u24 v169, 0x104, v43, s4
	s_movk_i32 s4, 0x6180
	v_add3_u32 v156, v140, v33, 0xae40
	s_wait_alu 0xfffe
	v_mad_u32_u24 v171, 0x104, v43, s4
	v_add_co_u32 v33, s4, s2, v16
	v_add3_u32 v155, v140, v19, 0xae40
	v_add3_u32 v157, v140, v41, 0xae40
	v_lshlrev_b32_e32 v166, 4, v11
	v_lshlrev_b32_e32 v168, 4, v12
	;; [unrolled: 1-line block ×3, first 2 shown]
	s_wait_alu 0xf1ff
	v_add_co_ci_u32_e64 v34, null, s3, 0, s4
	v_add_nc_u32_e32 v172, v3, v10
	v_add_nc_u32_e32 v173, v6, v15
	;; [unrolled: 1-line block ×10, first 2 shown]
	s_mov_b32 s5, 0
	s_wait_alu 0xfffe
	s_mov_b32 s4, s5
.LBB176_5:                              ; =>This Loop Header: Depth=1
                                        ;     Child Loop BB176_6 Depth 2
                                        ;     Child Loop BB176_8 Depth 2
	s_clause 0x2
	scratch_load_b32 v2, off, off
	scratch_load_b32 v6, off, off offset:4
	scratch_load_b32 v14, off, off offset:8
	s_wait_alu 0xfffe
	s_mul_u64 s[10:11], s[4:5], 0xd2
	s_lshl_b32 s7, s4, 3
	s_wait_alu 0xfffe
	s_add_nc_u64 s[10:11], s[0:1], s[10:11]
	s_mov_b32 s16, 0
	s_wait_alu 0xfffe
	v_mad_co_u64_u32 v[0:1], null, 0xd2, v105, s[10:11]
	s_delay_alu instid0(VALU_DEP_1)
	v_mad_co_i64_i32 v[4:5], null, 0xd2, v110, v[0:1]
	v_mad_co_i64_i32 v[16:17], null, 0xd2, v115, v[0:1]
	s_wait_loadcnt 0x2
	v_mad_co_i64_i32 v[2:3], null, 0xd2, v2, v[0:1]
	s_wait_loadcnt 0x1
	;; [unrolled: 2-line block ×3, first 2 shown]
	v_mad_co_i64_i32 v[14:15], null, 0xd2, v14, v[0:1]
	s_delay_alu instid0(VALU_DEP_3) | instskip(SKIP_1) | instid1(VALU_DEP_4)
	v_add_co_u32 v8, vcc_lo, v2, v107
	s_wait_alu 0xfffd
	v_add_co_ci_u32_e64 v9, null, 0, v3, vcc_lo
	v_add_co_u32 v2, vcc_lo, v2, v108
	s_wait_alu 0xfffd
	v_add_co_ci_u32_e64 v3, null, 0, v3, vcc_lo
	;; [unrolled: 3-line block ×9, first 2 shown]
	s_clause 0x8
	global_load_b32 v39, v[8:9], off
	global_load_b32 v40, v[2:3], off offset:128
	global_load_b32 v41, v[10:11], off
	global_load_b32 v42, v[4:5], off offset:128
	;; [unrolled: 2-line block ×4, first 2 shown]
	global_load_b32 v47, v[35:36], off
	v_mad_co_i64_i32 v[2:3], null, 0xd2, v116, v[0:1]
	v_mad_co_i64_i32 v[6:7], null, 0xd2, v117, v[0:1]
	v_add_co_u32 v4, vcc_lo, v16, v108
	s_wait_alu 0xfffd
	v_add_co_ci_u32_e64 v5, null, 0, v17, vcc_lo
	s_delay_alu instid0(VALU_DEP_4)
	v_add_co_u32 v8, vcc_lo, v2, v107
	s_wait_alu 0xfffd
	v_add_co_ci_u32_e64 v9, null, 0, v3, vcc_lo
	v_add_co_u32 v2, vcc_lo, v2, v108
	s_wait_alu 0xfffd
	v_add_co_ci_u32_e64 v3, null, 0, v3, vcc_lo
	;; [unrolled: 3-line block ×4, first 2 shown]
	s_clause 0x4
	global_load_b32 v48, v[4:5], off offset:128
	global_load_b32 v49, v[8:9], off
	global_load_b32 v50, v[2:3], off offset:128
	global_load_b32 v51, v[10:11], off
	global_load_b32 v52, v[6:7], off offset:128
	v_mad_co_i64_i32 v[2:3], null, 0xd2, v122, v[0:1]
	v_mad_co_i64_i32 v[4:5], null, 0xd2, v125, v[0:1]
	;; [unrolled: 1-line block ×4, first 2 shown]
	s_delay_alu instid0(VALU_DEP_4)
	v_add_co_u32 v14, vcc_lo, v2, v107
	s_wait_alu 0xfffd
	v_add_co_ci_u32_e64 v15, null, 0, v3, vcc_lo
	v_add_co_u32 v2, vcc_lo, v2, v108
	s_wait_alu 0xfffd
	v_add_co_ci_u32_e64 v3, null, 0, v3, vcc_lo
	s_clause 0x1
	global_load_b32 v53, v[14:15], off
	global_load_b32 v54, v[2:3], off offset:128
	v_add_co_u32 v16, vcc_lo, v4, v107
	s_wait_alu 0xfffd
	v_add_co_ci_u32_e64 v17, null, 0, v5, vcc_lo
	v_add_co_u32 v4, vcc_lo, v4, v108
	v_mad_co_i64_i32 v[10:11], null, 0xd2, v128, v[0:1]
	s_wait_alu 0xfffd
	v_add_co_ci_u32_e64 v5, null, 0, v5, vcc_lo
	v_add_co_u32 v2, vcc_lo, v6, v107
	s_wait_alu 0xfffd
	v_add_co_ci_u32_e64 v3, null, 0, v7, vcc_lo
	v_add_co_u32 v6, vcc_lo, v6, v108
	v_mad_co_i64_i32 v[12:13], null, 0xd2, v130, v[0:1]
	s_wait_alu 0xfffd
	v_add_co_ci_u32_e64 v7, null, 0, v7, vcc_lo
	v_add_co_u32 v14, vcc_lo, v8, v107
	s_wait_alu 0xfffd
	v_add_co_ci_u32_e64 v15, null, 0, v9, vcc_lo
	v_add_co_u32 v18, vcc_lo, v8, v108
	;; [unrolled: 3-line block ×6, first 2 shown]
	s_wait_alu 0xfffd
	v_add_co_ci_u32_e64 v13, null, 0, v13, vcc_lo
	s_clause 0x9
	global_load_b32 v16, v[16:17], off
	global_load_b32 v17, v[4:5], off offset:128
	global_load_b32 v8, v[2:3], off
	global_load_b32 v9, v[6:7], off offset:128
	;; [unrolled: 2-line block ×5, first 2 shown]
	s_wait_loadcnt 0x19
	v_lshrrev_b32_e32 v11, 4, v39
	s_wait_loadcnt 0x18
	v_ashrrev_i32_e32 v12, v109, v40
	s_wait_loadcnt 0x17
	v_lshrrev_b32_e32 v14, 4, v41
	s_wait_loadcnt 0x16
	v_ashrrev_i32_e32 v15, v109, v42
	;; [unrolled: 4-line block ×4, first 2 shown]
	v_and_b32_e32 v13, 0xf0f0f0f, v41
	s_wait_loadcnt 0x11
	v_lshrrev_b32_e32 v40, 4, v47
	v_and_b32_e32 v10, 0xf0f0f0f, v39
	v_and_b32_e32 v11, 0xf0f0f0f, v11
	;; [unrolled: 1-line block ×9, first 2 shown]
	v_and_or_b32 v11, 0x30303030, v12, v11
	s_wait_loadcnt 0x10
	v_ashrrev_i32_e32 v41, v109, v48
	v_lshlrev_b32_e32 v48, 4, v12
	s_wait_loadcnt 0xe
	v_ashrrev_i32_e32 v44, v109, v50
	v_and_b32_e32 v42, 0xf0f0f0f, v49
	v_lshrrev_b32_e32 v43, 4, v49
	v_lshlrev_b32_e32 v49, 4, v15
	s_wait_loadcnt 0xc
	v_ashrrev_i32_e32 v47, v109, v52
	v_lshlrev_b32_e32 v50, 4, v35
	v_and_b32_e32 v45, 0xf0f0f0f, v51
	v_lshrrev_b32_e32 v46, 4, v51
	v_lshlrev_b32_e32 v51, 4, v38
	v_lshlrev_b32_e32 v52, 4, v41
	;; [unrolled: 1-line block ×3, first 2 shown]
	v_and_or_b32 v10, 0x30303030, v48, v10
	v_and_b32_e32 v43, 0xf0f0f0f, v43
	v_and_or_b32 v12, 0x30303030, v49, v13
	v_and_or_b32 v13, 0x30303030, v15, v14
	v_lshlrev_b32_e32 v56, 4, v47
	v_and_or_b32 v14, 0x30303030, v50, v18
	v_and_or_b32 v15, 0x30303030, v35, v19
	;; [unrolled: 1-line block ×7, first 2 shown]
	v_lshrrev_b32_e32 v40, 16, v10
	v_and_b32_e32 v41, 0x3f00, v10
	v_lshlrev_b16 v10, 8, v10
	v_lshrrev_b32_e32 v42, 16, v11
	v_and_or_b32 v38, 0x30303030, v44, v43
	v_and_b32_e32 v43, 0x3f00, v11
	v_lshlrev_b16 v11, 8, v11
	v_lshrrev_b32_e32 v44, 16, v12
	v_lshrrev_b32_e32 v48, 16, v13
	v_and_or_b32 v39, 0x30303030, v56, v45
	v_and_b32_e32 v45, 0x3f00, v12
	v_lshlrev_b16 v12, 8, v12
	v_lshrrev_b32_e32 v50, 16, v14
	v_lshrrev_b32_e32 v52, 16, v15
	v_and_b32_e32 v49, 0x3f00, v13
	v_lshlrev_b16 v13, 8, v13
	v_lshrrev_b32_e32 v56, 16, v18
	v_lshrrev_b32_e32 v58, 16, v19
	;; [unrolled: 4-line block ×3, first 2 shown]
	v_add_nc_u16 v10, 0xe000, v10
	v_and_b32_e32 v70, 0x3f00, v40
	v_lshlrev_b16 v40, 8, v40
	v_and_b32_e32 v71, 0x3f00, v42
	v_lshlrev_b16 v42, 8, v42
	v_add_nc_u16 v11, 0xe000, v11
	v_and_b32_e32 v72, 0x3f00, v44
	v_lshlrev_b16 v44, 8, v44
	v_and_b32_e32 v73, 0x3f00, v48
	v_lshlrev_b16 v48, 8, v48
	v_and_b32_e32 v55, 0x3f00, v15
	v_lshlrev_b16 v15, 8, v15
	v_add_nc_u16 v12, 0xe000, v12
	v_and_b32_e32 v74, 0x3f00, v50
	v_lshlrev_b16 v50, 8, v50
	v_and_b32_e32 v75, 0x3f00, v52
	v_lshlrev_b16 v52, 8, v52
	v_and_b32_e32 v57, 0x3f00, v18
	v_lshlrev_b16 v18, 8, v18
	v_and_b32_e32 v59, 0x3f00, v19
	v_lshlrev_b16 v19, 8, v19
	v_add_nc_u16 v13, 0xe000, v13
	v_and_b32_e32 v76, 0x3f00, v56
	v_lshlrev_b16 v56, 8, v56
	;; [unrolled: 9-line block ×3, first 2 shown]
	v_and_b32_e32 v182, 0x3f00, v62
	v_lshlrev_b16 v62, 8, v62
	v_lshrrev_b16 v10, 8, v10
	v_add_nc_u16 v40, 0xe000, v40
	v_add_nc_u16 v42, 0xe000, v42
	v_lshrrev_b16 v11, 8, v11
	v_add_nc_u16 v44, 0xe000, v44
	v_add_nc_u16 v48, 0xe000, v48
	v_add_nc_u16 v15, 0xe000, v15
	v_lshrrev_b16 v12, 8, v12
	v_add_nc_u16 v50, 0xe000, v50
	v_add_nc_u16 v52, 0xe000, v52
	v_add_nc_u16 v18, 0xe000, v18
	v_add_nc_u16 v19, 0xe000, v19
	v_lshrrev_b16 v13, 8, v13
	v_add_nc_u16 v56, 0xe000, v56
	;; [unrolled: 5-line block ×3, first 2 shown]
	v_add_nc_u16 v62, 0xe000, v62
	v_or_b32_e32 v10, v41, v10
	v_lshrrev_b16 v40, 8, v40
	v_lshrrev_b16 v41, 8, v42
	v_or_b32_e32 v11, v43, v11
	v_lshrrev_b16 v42, 8, v44
	v_lshrrev_b16 v43, 8, v48
	v_lshrrev_b16 v15, 8, v15
	v_or_b32_e32 v12, v45, v12
	v_lshrrev_b16 v44, 8, v50
	v_lshrrev_b16 v45, 8, v52
	v_lshrrev_b16 v18, 8, v18
	v_lshrrev_b16 v19, 8, v19
	v_or_b32_e32 v13, v49, v13
	v_lshrrev_b16 v48, 8, v56
	;; [unrolled: 5-line block ×3, first 2 shown]
	v_lshrrev_b16 v51, 8, v62
	v_or_b32_e32 v40, v70, v40
	v_or_b32_e32 v41, v71, v41
	;; [unrolled: 1-line block ×15, first 2 shown]
	v_lshrrev_b32_e32 v64, 16, v37
	v_add_nc_u16 v10, 0xe000, v10
	v_add_nc_u16 v11, 0xe000, v11
	;; [unrolled: 1-line block ×12, first 2 shown]
	v_lshrrev_b32_e32 v66, 16, v38
	v_add_nc_u16 v18, 0xe000, v18
	v_add_nc_u16 v19, 0xe000, v19
	;; [unrolled: 1-line block ×8, first 2 shown]
	v_and_b32_e32 v65, 0x3f00, v37
	v_lshlrev_b16 v37, 8, v37
	v_and_b32_e32 v183, 0x3f00, v64
	v_lshlrev_b16 v64, 8, v64
	v_and_b32_e32 v10, 0xffff, v10
	v_and_b32_e32 v11, 0xffff, v11
	v_lshlrev_b32_e32 v40, 16, v40
	v_lshlrev_b32_e32 v41, 16, v41
	v_and_b32_e32 v12, 0xffff, v12
	v_and_b32_e32 v13, 0xffff, v13
	v_lshlrev_b32_e32 v42, 16, v42
	v_lshlrev_b32_e32 v43, 16, v43
	v_and_b32_e32 v14, 0xffff, v14
	v_and_b32_e32 v15, 0xffff, v15
	v_lshlrev_b32_e32 v44, 16, v44
	v_lshlrev_b32_e32 v45, 16, v45
	v_and_b32_e32 v67, 0x3f00, v38
	v_lshlrev_b16 v38, 8, v38
	v_and_b32_e32 v184, 0x3f00, v66
	v_lshlrev_b16 v66, 8, v66
	v_and_b32_e32 v18, 0xffff, v18
	v_and_b32_e32 v19, 0xffff, v19
	v_lshlrev_b32_e32 v48, 16, v48
	v_lshlrev_b32_e32 v49, 16, v49
	v_and_b32_e32 v35, 0xffff, v35
	v_and_b32_e32 v36, 0xffff, v36
	v_lshlrev_b32_e32 v50, 16, v50
	v_lshlrev_b32_e32 v51, 16, v51
	v_lshrrev_b32_e32 v68, 16, v39
	v_add_nc_u16 v37, 0xe000, v37
	v_add_nc_u16 v64, 0xe000, v64
	v_or_b32_e32 v10, v10, v40
	v_or_b32_e32 v11, v11, v41
	;; [unrolled: 1-line block ×6, first 2 shown]
	v_add_nc_u16 v38, 0xe000, v38
	v_add_nc_u16 v66, 0xe000, v66
	v_or_b32_e32 v18, v18, v48
	v_or_b32_e32 v19, v19, v49
	v_or_b32_e32 v35, v35, v50
	v_or_b32_e32 v36, v36, v51
	v_lshrrev_b16 v37, 8, v37
	v_lshrrev_b16 v52, 8, v64
	ds_store_2addr_b32 v96, v10, v11 offset1:16
	ds_store_2addr_b32 v97, v12, v13 offset1:16
	;; [unrolled: 1-line block ×5, first 2 shown]
	v_lshlrev_b16 v10, 8, v68
	v_lshrrev_b16 v38, 8, v38
	v_lshrrev_b16 v55, 8, v66
	v_lshlrev_b16 v69, 8, v39
	v_or_b32_e32 v37, v65, v37
	v_or_b32_e32 v52, v183, v52
	v_add_nc_u16 v18, 0xe000, v10
	v_mad_co_i64_i32 v[10:11], null, 0xd2, v132, v[0:1]
	v_or_b32_e32 v38, v67, v38
	v_or_b32_e32 v55, v184, v55
	v_and_b32_e32 v12, 0xf0f0f0f, v46
	v_add_nc_u16 v37, 0xe000, v37
	v_add_nc_u16 v52, 0xe000, v52
	;; [unrolled: 1-line block ×5, first 2 shown]
	v_and_or_b32 v19, 0x30303030, v47, v12
	v_add_co_u32 v12, vcc_lo, v10, v107
	v_and_b32_e32 v37, 0xffff, v37
	v_lshlrev_b32_e32 v52, 16, v52
	v_lshrrev_b16 v36, 8, v13
	s_wait_alu 0xfffd
	v_add_co_ci_u32_e64 v13, null, 0, v11, vcc_lo
	v_add_co_u32 v10, vcc_lo, v10, v108
	s_wait_alu 0xfffd
	v_add_co_ci_u32_e64 v11, null, 0, v11, vcc_lo
	v_and_b32_e32 v38, 0xffff, v38
	v_lshlrev_b32_e32 v55, 16, v55
	v_or_b32_e32 v14, v37, v52
	v_and_b32_e32 v35, 0x3f00, v39
	v_and_b32_e32 v37, 0x3f00, v68
	v_lshrrev_b16 v18, 8, v18
	s_clause 0x1
	global_load_b32 v41, v[12:13], off
	global_load_b32 v42, v[10:11], off offset:128
	v_or_b32_e32 v15, v38, v55
	v_lshlrev_b16 v38, 8, v19
	v_or_b32_e32 v35, v35, v36
	v_or_b32_e32 v18, v37, v18
	v_and_b32_e32 v12, 0x3f00, v19
	ds_store_2addr_b32 v21, v14, v15 offset1:16
	v_add_nc_u16 v36, 0xe000, v38
	v_add_nc_u16 v10, 0xe000, v35
	v_add_nc_u16 v11, 0xe000, v18
	v_lshrrev_b32_e32 v18, 16, v19
	s_wait_loadcnt 0xc
	v_ashrrev_i32_e32 v19, v109, v54
	v_lshrrev_b16 v13, 8, v36
	v_and_b32_e32 v10, 0xffff, v10
	v_lshlrev_b32_e32 v11, 16, v11
	v_and_b32_e32 v35, 0xf0f0f0f, v53
	v_lshlrev_b32_e32 v36, 4, v19
	v_or_b32_e32 v12, v12, v13
	v_lshlrev_b16 v13, 8, v18
	v_or_b32_e32 v14, v10, v11
	v_mad_co_i64_i32 v[10:11], null, 0xd2, v133, v[0:1]
	s_delay_alu instid0(VALU_DEP_4) | instskip(NEXT) | instid1(VALU_DEP_4)
	v_add_nc_u16 v12, 0xe000, v12
	v_add_nc_u16 v13, 0xe000, v13
	v_and_or_b32 v15, 0x30303030, v36, v35
	v_lshrrev_b32_e32 v37, 4, v53
	v_and_b32_e32 v18, 0x3f00, v18
	v_and_b32_e32 v35, 0xffff, v12
	v_add_co_u32 v12, vcc_lo, v10, v107
	v_lshrrev_b16 v36, 8, v13
	s_wait_alu 0xfffd
	v_add_co_ci_u32_e64 v13, null, 0, v11, vcc_lo
	v_add_co_u32 v10, vcc_lo, v10, v108
	s_wait_alu 0xfffd
	v_add_co_ci_u32_e64 v11, null, 0, v11, vcc_lo
	s_clause 0x1
	global_load_b32 v43, v[12:13], off
	global_load_b32 v44, v[10:11], off offset:128
	v_and_b32_e32 v37, 0xf0f0f0f, v37
	v_lshrrev_b32_e32 v38, 16, v15
	v_or_b32_e32 v11, v18, v36
	v_lshlrev_b16 v39, 8, v15
	v_mad_co_i64_i32 v[0:1], null, 0xd2, v134, v[0:1]
	v_and_or_b32 v10, 0x30303030, v19, v37
	v_lshlrev_b16 v40, 8, v38
	v_add_nc_u16 v11, 0xe000, v11
	v_add_nc_u16 v39, 0xe000, v39
	v_and_b32_e32 v19, 0x3f00, v38
	v_lshlrev_b16 v18, 8, v10
	v_add_nc_u16 v13, 0xe000, v40
	v_lshrrev_b32_e32 v36, 16, v10
	v_and_b32_e32 v10, 0x3f00, v10
	v_lshlrev_b32_e32 v11, 16, v11
	v_add_nc_u16 v18, 0xe000, v18
	v_lshrrev_b16 v13, 8, v13
	v_and_b32_e32 v12, 0x3f00, v15
	v_lshrrev_b16 v15, 8, v39
	s_wait_loadcnt 0xc
	v_ashrrev_i32_e32 v17, v109, v17
	v_lshrrev_b16 v18, 8, v18
	v_or_b32_e32 v13, v19, v13
	v_or_b32_e32 v19, v35, v11
	;; [unrolled: 1-line block ×3, first 2 shown]
	v_lshlrev_b16 v15, 8, v36
	v_or_b32_e32 v10, v10, v18
	v_and_b32_e32 v18, 0x3f00, v36
	v_add_nc_u16 v13, 0xe000, v13
	v_add_nc_u16 v12, 0xe000, v12
	;; [unrolled: 1-line block ×4, first 2 shown]
	v_add_co_u32 v10, vcc_lo, v0, v107
	s_wait_alu 0xfffd
	v_add_co_ci_u32_e64 v11, null, 0, v1, vcc_lo
	v_add_co_u32 v0, vcc_lo, v0, v108
	s_wait_alu 0xfffd
	v_add_co_ci_u32_e64 v1, null, 0, v1, vcc_lo
	s_clause 0x1
	global_load_b32 v45, v[10:11], off
	global_load_b32 v46, v[0:1], off offset:128
	v_lshrrev_b16 v15, 8, v15
	v_lshlrev_b32_e32 v36, 4, v17
	v_and_b32_e32 v0, 0xffff, v35
	v_and_b32_e32 v12, 0xffff, v12
	v_lshlrev_b32_e32 v13, 16, v13
	v_or_b32_e32 v15, v18, v15
	v_and_b32_e32 v18, 0xf0f0f0f, v16
	v_lshrrev_b32_e32 v10, 4, v16
	ds_store_2addr_b32 v22, v14, v19 offset1:16
	v_or_b32_e32 v48, v12, v13
	v_add_nc_u16 v15, 0xe000, v15
	v_and_or_b32 v47, 0x30303030, v36, v18
	v_mad_co_i64_i32 v[12:13], null, 0xd2, v139, s[10:11]
	v_and_b32_e32 v14, 0xf0f0f0f, v10
	s_delay_alu instid0(VALU_DEP_4) | instskip(NEXT) | instid1(VALU_DEP_4)
	v_lshlrev_b32_e32 v1, 16, v15
	v_lshlrev_b16 v11, 8, v47
	v_add_nc_u32_e32 v35, s7, v153
	v_add_nc_u32_e32 v77, s7, v32
	v_and_or_b32 v52, 0x30303030, v17, v14
	v_or_b32_e32 v49, v0, v1
	v_mad_co_i64_i32 v[0:1], null, 0xd2, v138, s[10:11]
	v_add_nc_u16 v51, 0xe000, v11
	v_mad_co_i64_i32 v[10:11], null, 0xd2, v135, s[10:11]
	v_add_nc_u32_e32 v14, v35, v142
	v_add_nc_u32_e32 v16, v35, v146
	v_mad_co_u64_u32 v[18:19], null, v77, 36, s[2:3]
	v_add_co_u32 v0, vcc_lo, v0, v136
	s_wait_alu 0xfffd
	v_add_co_ci_u32_e64 v1, null, 0, v1, vcc_lo
	v_add_co_u32 v12, vcc_lo, v12, v136
	s_wait_alu 0xfffd
	v_add_co_ci_u32_e64 v13, null, 0, v13, vcc_lo
	s_clause 0x2
	global_load_u16 v53, v[10:11], off offset:208
	global_load_b32 v54, v[0:1], off offset:192
	global_load_b32 v55, v[12:13], off offset:192
	v_add_nc_u32_e32 v10, v35, v143
	v_add_nc_u32_e32 v12, v35, v144
	v_mad_co_i64_i32 v[0:1], null, v14, 36, v[33:34]
	v_add_nc_u32_e32 v14, v35, v145
	v_add_nc_u32_e32 v36, v35, v147
	v_mad_co_i64_i32 v[10:11], null, v10, 36, v[33:34]
	v_add_nc_u32_e32 v37, v35, v148
	v_mad_co_i64_i32 v[12:13], null, v12, 36, v[33:34]
	;; [unrolled: 2-line block ×3, first 2 shown]
	v_mad_co_i64_i32 v[16:17], null, v16, 36, v[33:34]
	v_mad_co_i64_i32 v[35:36], null, v36, 36, v[33:34]
	;; [unrolled: 1-line block ×4, first 2 shown]
	s_clause 0x8
	global_load_b32 v18, v[18:19], off
	global_load_b32 v0, v[0:1], off offset:4
	global_load_b32 v1, v[10:11], off offset:4
	;; [unrolled: 1-line block ×8, first 2 shown]
	v_lshrrev_b32_e32 v50, 16, v47
	v_lshrrev_b32_e32 v35, 16, v52
	v_lshlrev_b16 v36, 8, v52
	v_and_b32_e32 v16, 0x3f00, v47
	v_lshrrev_b16 v19, 8, v51
	v_lshlrev_b16 v17, 8, v50
	v_lshlrev_b16 v37, 8, v35
	v_add_nc_u16 v36, 0xe000, v36
	v_and_b32_e32 v38, 0x3f00, v52
	v_or_b32_e32 v16, v16, v19
	v_add_nc_u16 v17, 0xe000, v17
	v_and_b32_e32 v19, 0x3f00, v50
	v_add_nc_u16 v37, 0xe000, v37
	v_lshrrev_b16 v36, 8, v36
	s_wait_loadcnt 0x18
	v_ashrrev_i32_e32 v9, v109, v9
	v_lshrrev_b16 v17, 8, v17
	v_add_nc_u16 v16, 0xe000, v16
	ds_store_2addr_b32 v23, v48, v49 offset1:16
	v_or_b32_e32 v36, v38, v36
	v_lshlrev_b32_e32 v38, 4, v9
	v_or_b32_e32 v17, v19, v17
	v_and_b32_e32 v19, 0x3f00, v35
	v_lshrrev_b16 v35, 8, v37
	v_and_b32_e32 v37, 0xf0f0f0f, v8
	v_lshrrev_b32_e32 v8, 4, v8
	v_add_nc_u16 v17, 0xe000, v17
	v_and_b32_e32 v16, 0xffff, v16
	v_or_b32_e32 v19, v19, v35
	v_add_nc_u16 v35, 0xe000, v36
	v_and_or_b32 v36, 0x30303030, v38, v37
	v_lshlrev_b32_e32 v17, 16, v17
	v_and_b32_e32 v8, 0xf0f0f0f, v8
	v_add_nc_u16 v19, 0xe000, v19
	v_and_b32_e32 v35, 0xffff, v35
	v_lshrrev_b32_e32 v37, 16, v36
	v_lshlrev_b16 v38, 8, v36
	v_or_b32_e32 v16, v16, v17
	v_lshlrev_b32_e32 v19, 16, v19
	v_and_or_b32 v8, 0x30303030, v9, v8
	v_lshlrev_b16 v17, 8, v37
	v_add_nc_u16 v38, 0xe000, v38
	v_and_b32_e32 v9, 0x3f00, v36
	v_or_b32_e32 v19, v35, v19
	v_and_b32_e32 v36, 0x3f00, v37
	v_add_nc_u16 v17, 0xe000, v17
	v_lshrrev_b16 v35, 8, v38
	v_lshrrev_b32_e32 v37, 16, v8
	v_lshlrev_b16 v38, 8, v8
	ds_store_2addr_b32 v24, v16, v19 offset1:16
	v_lshrrev_b16 v17, 8, v17
	s_wait_loadcnt 0x16
	v_ashrrev_i32_e32 v7, v109, v7
	v_lshlrev_b16 v16, 8, v37
	v_add_nc_u16 v19, 0xe000, v38
	v_or_b32_e32 v9, v9, v35
	v_or_b32_e32 v17, v36, v17
	v_and_b32_e32 v8, 0x3f00, v8
	v_add_nc_u16 v16, 0xe000, v16
	v_lshrrev_b16 v19, 8, v19
	v_and_b32_e32 v35, 0x3f00, v37
	v_and_b32_e32 v36, 0xf0f0f0f, v6
	v_lshlrev_b32_e32 v37, 4, v7
	v_lshrrev_b16 v16, 8, v16
	v_or_b32_e32 v8, v8, v19
	v_lshrrev_b32_e32 v6, 4, v6
	v_add_nc_u16 v9, 0xe000, v9
	v_and_or_b32 v19, 0x30303030, v37, v36
	v_or_b32_e32 v16, v35, v16
	v_add_nc_u16 v17, 0xe000, v17
	v_add_nc_u16 v8, 0xe000, v8
	v_and_b32_e32 v6, 0xf0f0f0f, v6
	v_lshlrev_b16 v35, 8, v19
	v_add_nc_u16 v16, 0xe000, v16
	v_lshrrev_b32_e32 v36, 16, v19
	v_and_b32_e32 v9, 0xffff, v9
	v_lshlrev_b32_e32 v17, 16, v17
	v_add_nc_u16 v35, 0xe000, v35
	v_and_b32_e32 v8, 0xffff, v8
	v_lshlrev_b32_e32 v16, 16, v16
	v_and_b32_e32 v19, 0x3f00, v19
	v_lshlrev_b16 v37, 8, v36
	v_lshrrev_b16 v35, 8, v35
	v_and_or_b32 v6, 0x30303030, v7, v6
	v_or_b32_e32 v9, v9, v17
	v_or_b32_e32 v7, v8, v16
	v_add_nc_u16 v8, 0xe000, v37
	v_or_b32_e32 v16, v19, v35
	v_lshrrev_b32_e32 v19, 16, v6
	v_lshlrev_b16 v35, 8, v6
	v_and_b32_e32 v17, 0x3f00, v36
	v_lshrrev_b16 v8, 8, v8
	ds_store_2addr_b32 v25, v9, v7 offset1:16
	v_add_nc_u16 v7, 0xe000, v16
	v_lshlrev_b16 v9, 8, v19
	v_add_nc_u16 v16, 0xe000, v35
	s_wait_loadcnt 0x14
	v_ashrrev_i32_e32 v5, v109, v5
	v_or_b32_e32 v8, v17, v8
	v_and_b32_e32 v6, 0x3f00, v6
	v_add_nc_u16 v9, 0xe000, v9
	v_lshrrev_b16 v16, 8, v16
	v_and_b32_e32 v17, 0x3f00, v19
	v_and_b32_e32 v19, 0xf0f0f0f, v4
	v_lshlrev_b32_e32 v35, 4, v5
	v_lshrrev_b16 v9, 8, v9
	v_or_b32_e32 v6, v6, v16
	v_lshrrev_b32_e32 v4, 4, v4
	v_add_nc_u16 v8, 0xe000, v8
	v_and_or_b32 v16, 0x30303030, v35, v19
	v_or_b32_e32 v9, v17, v9
	v_and_b32_e32 v7, 0xffff, v7
	v_and_b32_e32 v4, 0xf0f0f0f, v4
	v_add_nc_u16 v6, 0xe000, v6
	v_lshlrev_b16 v17, 8, v16
	v_lshlrev_b32_e32 v8, 16, v8
	v_add_nc_u16 v9, 0xe000, v9
	v_lshrrev_b32_e32 v19, 16, v16
	v_and_or_b32 v4, 0x30303030, v5, v4
	v_add_nc_u16 v17, 0xe000, v17
	v_and_b32_e32 v6, 0xffff, v6
	v_lshlrev_b32_e32 v9, 16, v9
	v_and_b32_e32 v16, 0x3f00, v16
	v_lshlrev_b16 v5, 8, v19
	v_lshrrev_b16 v17, 8, v17
	v_or_b32_e32 v7, v7, v8
	v_lshrrev_b32_e32 v8, 16, v4
	v_or_b32_e32 v6, v6, v9
	v_add_nc_u16 v5, 0xe000, v5
	v_or_b32_e32 v9, v16, v17
	v_lshlrev_b16 v16, 8, v4
	v_and_b32_e32 v17, 0x3f00, v19
	v_lshlrev_b16 v19, 8, v8
	s_wait_loadcnt 0x12
	v_ashrrev_i32_e32 v3, v109, v3
	v_lshrrev_b16 v5, 8, v5
	v_add_nc_u16 v16, 0xe000, v16
	v_and_b32_e32 v35, 0xf0f0f0f, v2
	v_add_nc_u16 v19, 0xe000, v19
	v_lshlrev_b32_e32 v36, 4, v3
	v_and_b32_e32 v4, 0x3f00, v4
	v_lshrrev_b16 v16, 8, v16
	v_and_b32_e32 v8, 0x3f00, v8
	v_lshrrev_b16 v19, 8, v19
	v_or_b32_e32 v5, v17, v5
	v_and_or_b32 v17, 0x30303030, v36, v35
	v_or_b32_e32 v4, v4, v16
	v_lshrrev_b32_e32 v2, 4, v2
	v_or_b32_e32 v8, v8, v19
	v_add_nc_u16 v9, 0xe000, v9
	v_lshlrev_b16 v16, 8, v17
	v_add_nc_u16 v4, 0xe000, v4
	v_add_nc_u16 v5, 0xe000, v5
	;; [unrolled: 1-line block ×3, first 2 shown]
	v_and_b32_e32 v19, 0x3f00, v17
	v_add_nc_u16 v16, 0xe000, v16
	v_and_b32_e32 v4, 0xffff, v4
	v_and_b32_e32 v2, 0xf0f0f0f, v2
	v_lshlrev_b32_e32 v8, 16, v8
	v_and_b32_e32 v9, 0xffff, v9
	v_lshrrev_b16 v16, 8, v16
	v_lshlrev_b32_e32 v5, 16, v5
	v_lshrrev_b32_e32 v17, 16, v17
	v_or_b32_e32 v4, v4, v8
	v_and_or_b32 v2, 0x30303030, v3, v2
	v_or_b32_e32 v8, v19, v16
	v_or_b32_e32 v5, v9, v5
	v_lshlrev_b16 v9, 8, v17
	ds_store_2addr_b32 v26, v7, v6 offset1:16
	ds_store_2addr_b32 v27, v5, v4 offset1:16
	v_add_nc_u16 v3, 0xe000, v8
	v_lshlrev_b16 v5, 8, v2
	v_lshrrev_b32_e32 v6, 16, v2
	v_add_nc_u16 v4, 0xe000, v9
	v_and_b32_e32 v7, 0x3f00, v17
	v_and_b32_e32 v2, 0x3f00, v2
	v_add_nc_u16 v5, 0xe000, v5
	s_wait_loadcnt 0x10
	v_ashrrev_i32_e32 v8, v109, v42
	v_lshlrev_b16 v9, 8, v6
	v_and_b32_e32 v16, 0xf0f0f0f, v41
	v_lshrrev_b16 v4, 8, v4
	v_lshrrev_b16 v5, 8, v5
	v_lshlrev_b32_e32 v17, 4, v8
	v_add_nc_u16 v9, 0xe000, v9
	v_and_b32_e32 v3, 0xffff, v3
	v_or_b32_e32 v4, v7, v4
	v_or_b32_e32 v2, v2, v5
	v_and_or_b32 v16, 0x30303030, v17, v16
	v_and_b32_e32 v5, 0x3f00, v6
	v_lshrrev_b16 v6, 8, v9
	v_add_nc_u16 v4, 0xe000, v4
	v_add_nc_u16 v2, 0xe000, v2
	v_lshrrev_b32_e32 v7, 16, v16
	v_lshlrev_b16 v9, 8, v16
	v_or_b32_e32 v5, v5, v6
	v_lshrrev_b32_e32 v17, 4, v41
	v_lshlrev_b32_e32 v4, 16, v4
	v_lshlrev_b16 v6, 8, v7
	v_add_nc_u16 v9, 0xe000, v9
	v_add_nc_u16 v5, 0xe000, v5
	v_and_b32_e32 v2, 0xffff, v2
	v_and_b32_e32 v16, 0x3f00, v16
	v_add_nc_u16 v6, 0xe000, v6
	v_lshrrev_b16 v9, 8, v9
	v_and_b32_e32 v7, 0x3f00, v7
	v_and_b32_e32 v17, 0xf0f0f0f, v17
	v_lshlrev_b32_e32 v5, 16, v5
	v_lshrrev_b16 v6, 8, v6
	v_or_b32_e32 v3, v3, v4
	v_or_b32_e32 v4, v16, v9
	s_mov_b32 s10, -1
	v_or_b32_e32 v2, v2, v5
	v_or_b32_e32 v6, v7, v6
	v_and_or_b32 v7, 0x30303030, v8, v17
	v_add_nc_u16 v4, 0xe000, v4
	s_wait_loadcnt 0xf
	v_and_b32_e32 v9, 0xf0f0f0f, v43
	s_wait_loadcnt 0xe
	v_ashrrev_i32_e32 v5, v109, v44
	v_add_nc_u16 v6, 0xe000, v6
	v_lshlrev_b16 v8, 8, v7
	v_and_b32_e32 v4, 0xffff, v4
	v_lshrrev_b32_e32 v17, 16, v7
	v_lshlrev_b32_e32 v16, 4, v5
	v_lshlrev_b32_e32 v6, 16, v6
	v_add_nc_u16 v8, 0xe000, v8
	v_and_b32_e32 v7, 0x3f00, v7
	v_lshrrev_b32_e32 v19, 4, v43
	v_and_or_b32 v9, 0x30303030, v16, v9
	v_lshlrev_b16 v16, 8, v17
	v_lshrrev_b16 v8, 8, v8
	v_or_b32_e32 v4, v4, v6
	ds_store_2addr_b32 v28, v3, v2 offset1:16
	v_lshlrev_b16 v6, 8, v9
	v_add_nc_u16 v16, 0xe000, v16
	v_or_b32_e32 v7, v7, v8
	v_and_b32_e32 v8, 0x3f00, v17
	v_and_b32_e32 v17, 0xf0f0f0f, v19
	v_add_nc_u16 v6, 0xe000, v6
	v_lshrrev_b32_e32 v19, 16, v9
	v_lshrrev_b16 v16, 8, v16
	v_and_b32_e32 v9, 0x3f00, v9
	v_and_or_b32 v5, 0x30303030, v5, v17
	v_lshrrev_b16 v6, 8, v6
	v_lshlrev_b16 v17, 8, v19
	v_or_b32_e32 v8, v8, v16
	v_add_nc_u16 v7, 0xe000, v7
	s_delay_alu instid0(VALU_DEP_4)
	v_or_b32_e32 v6, v9, v6
	v_lshlrev_b16 v9, 8, v5
	v_add_nc_u16 v16, 0xe000, v17
	v_and_b32_e32 v17, 0x3f00, v19
	v_and_b32_e32 v19, 0x3f00, v5
	v_lshrrev_b32_e32 v5, 16, v5
	v_add_nc_u16 v9, 0xe000, v9
	v_lshrrev_b16 v16, 8, v16
	v_add_nc_u16 v8, 0xe000, v8
	v_add_nc_u16 v6, 0xe000, v6
	v_lshlrev_b16 v37, 8, v5
	v_lshrrev_b16 v9, 8, v9
	v_or_b32_e32 v16, v17, v16
	s_wait_loadcnt 0xc
	v_ashrrev_i32_e32 v17, v109, v46
	v_lshrrev_b32_e32 v35, 4, v45
	v_and_b32_e32 v5, 0x3f00, v5
	v_or_b32_e32 v9, v19, v9
	v_and_b32_e32 v19, 0xf0f0f0f, v45
	v_lshlrev_b32_e32 v36, 4, v17
	v_and_b32_e32 v35, 0xf0f0f0f, v35
	v_add_nc_u16 v16, 0xe000, v16
	v_add_nc_u16 v9, 0xe000, v9
	v_and_b32_e32 v7, 0xffff, v7
	v_and_or_b32 v19, 0x30303030, v36, v19
	v_and_or_b32 v17, 0x30303030, v17, v35
	v_add_nc_u16 v36, 0xe000, v37
	v_lshlrev_b32_e32 v8, 16, v8
	v_and_b32_e32 v6, 0xffff, v6
	v_lshrrev_b32_e32 v35, 16, v19
	v_lshrrev_b32_e32 v38, 16, v17
	v_lshlrev_b16 v37, 8, v19
	v_lshlrev_b16 v40, 8, v17
	v_lshrrev_b16 v36, 8, v36
	v_lshlrev_b16 v39, 8, v35
	v_lshlrev_b16 v41, 8, v38
	v_add_nc_u16 v37, 0xe000, v37
	v_add_nc_u16 v40, 0xe000, v40
	v_and_b32_e32 v19, 0x3f00, v19
	v_add_nc_u16 v39, 0xe000, v39
	v_add_nc_u16 v41, 0xe000, v41
	v_lshrrev_b16 v37, 8, v37
	v_and_b32_e32 v35, 0x3f00, v35
	v_and_b32_e32 v17, 0x3f00, v17
	v_lshrrev_b16 v39, 8, v39
	v_lshrrev_b16 v40, 8, v40
	v_and_b32_e32 v38, 0x3f00, v38
	v_lshrrev_b16 v41, 8, v41
	v_or_b32_e32 v5, v5, v36
	v_or_b32_e32 v19, v19, v37
	;; [unrolled: 1-line block ×5, first 2 shown]
	v_add_nc_u16 v5, 0xe000, v5
	v_add_nc_u16 v19, 0xe000, v19
	;; [unrolled: 1-line block ×5, first 2 shown]
	v_lshlrev_b32_e32 v16, 16, v16
	v_and_b32_e32 v9, 0xffff, v9
	v_lshlrev_b32_e32 v5, 16, v5
	v_and_b32_e32 v19, 0xffff, v19
	;; [unrolled: 2-line block ×3, first 2 shown]
	v_lshlrev_b32_e32 v36, 16, v36
	v_or_b32_e32 v7, v7, v8
	s_wait_loadcnt 0xb
	v_cvt_f32_f16_e32 v2, v53
	v_or_b32_e32 v6, v6, v16
	v_or_b32_e32 v5, v9, v5
	;; [unrolled: 1-line block ×4, first 2 shown]
	ds_store_2addr_b32 v29, v4, v7 offset1:16
	ds_store_2addr_b32 v30, v6, v5 offset1:16
	ds_store_2addr_b32 v31, v8, v9 offset1:16
	s_wait_loadcnt 0x8
	v_cvt_f32_f16_e32 v3, v18
	ds_store_b32 v137, v2
	ds_store_b32 v172, v54
	;; [unrolled: 1-line block ×3, first 2 shown]
	s_wait_loadcnt 0x6
	ds_store_b32 v175, v1
	s_wait_loadcnt 0x4
	ds_store_b32 v177, v11
	;; [unrolled: 2-line block ×4, first 2 shown]
	ds_store_b32 v174, v0
	ds_store_b32 v176, v10
	ds_store_b32 v178, v12
	ds_store_b32 v180, v14
	ds_store_b32 v141, v3
	s_wait_storecnt_dscnt 0x0
	s_barrier_signal -1
	s_barrier_wait -1
	global_inv scope:SCOPE_SE
	ds_load_b32 v78, v154
	ds_load_b32 v187, v155 offset:128
	ds_load_b32 v188, v156 offset:256
	;; [unrolled: 1-line block ×3, first 2 shown]
.LBB176_6:                              ;   Parent Loop BB176_5 Depth=1
                                        ; =>  This Inner Loop Header: Depth=2
	s_wait_alu 0xfffe
	s_lshl_b32 s11, s16, 1
	v_lshlrev_b32_e32 v183, 2, v140
	s_wait_alu 0xfffe
	v_or_b32_e32 v0, s11, v129
	s_lshr_b32 s17, s16, 1
	s_lshl_b32 s16, s16, 3
	s_wait_alu 0xfffe
	s_add_co_i32 s17, s17, 0xa200
	v_lshlrev_b32_e32 v185, 2, v151
	v_lshlrev_b32_e32 v1, 2, v0
	v_lshrrev_b32_e32 v0, 1, v0
	v_lshlrev_b32_e32 v186, 2, v152
	v_add_nc_u32_e32 v69, s16, v171
	s_and_b32 vcc_lo, exec_lo, s10
	ds_load_b128 v[231:234], v1 offset:33280
	ds_load_b128 v[190:193], v1 offset:33296
	;; [unrolled: 1-line block ×4, first 2 shown]
	ds_load_b64 v[16:17], v0 offset:43584
	v_lshlrev_b32_e32 v182, 2, v153
	v_add_nc_u32_e32 v37, s16, v165
	v_lshlrev_b32_e32 v184, 2, v150
	ds_load_2addr_b32 v[39:40], v37 offset0:6 offset1:7
	ds_load_2addr_b32 v[43:44], v37 offset0:4 offset1:5
	s_wait_alu 0xfffe
	v_add3_u32 v0, s17, v182, v183
	ds_load_2addr_b32 v[35:36], v37 offset0:2 offset1:3
	ds_load_2addr_b32 v[41:42], v37 offset1:1
	ds_load_b32 v46, v0
	ds_load_u16 v229, v37 offset:32
	ds_load_b128 v[0:3], v37 offset:34
	ds_load_b64 v[67:68], v37 offset:50
	ds_load_u16 v230, v37 offset:58
	ds_load_b32 v224, v37 offset:60
	s_mov_b32 s10, 0
	s_wait_dscnt 0xe
	v_lshrrev_b16 v5, 8, v232
	s_wait_dscnt 0xd
	v_lshrrev_b16 v4, 8, v191
	s_wait_dscnt 0xc
	v_bfe_i32 v9, v195, 16, 8
	s_wait_dscnt 0xb
	v_bfe_i32 v7, v236, 16, 8
	v_bfe_i32 v48, v237, 16, 8
	v_ashrrev_i32_e32 v50, 24, v236
	v_bfe_i32 v49, v237, 0, 8
	v_bfe_i32 v6, v237, 8, 8
	;; [unrolled: 1-line block ×4, first 2 shown]
	s_wait_dscnt 0x9
	v_bfe_i32 v57, v40, 8, 8
	s_wait_dscnt 0x8
	v_lshrrev_b16 v38, 8, v44
	v_ashrrev_i32_e32 v55, 24, v192
	v_bfe_i32 v56, v192, 16, 8
	s_wait_dscnt 0x3
	v_bfe_i32 v227, v2, 0, 8
	s_wait_dscnt 0x2
	;; [unrolled: 2-line block ×3, first 2 shown]
	v_lshrrev_b16 v51, 8, v230
	v_bfe_i32 v52, v230, 0, 8
	v_bfe_i32 v54, v68, 8, 8
	;; [unrolled: 1-line block ×3, first 2 shown]
	v_mul_i32_i24_e32 v7, v47, v7
	v_ashrrev_i32_e32 v47, 24, v237
	v_bfe_i32 v51, v51, 0, 8
	v_mul_i32_i24_e32 v48, v52, v48
	v_perm_b32 v52, v238, v236, 0xc0c0600
	v_mul_i32_i24_e32 v50, v54, v50
	v_mul_i32_i24_e32 v49, v53, v49
	;; [unrolled: 1-line block ×3, first 2 shown]
	s_wait_dscnt 0x0
	v_perm_b32 v51, v224, v67, 0xc0c0602
	v_ashrrev_i32_e32 v37, 24, v68
	v_bfe_i32 v226, v2, 8, 8
	v_ashrrev_i32_e32 v225, 24, v1
	v_bfe_i32 v53, v193, 8, 8
	v_dot4_i32_iu8 v48, v51, v52, v48 neg_lo:[1,1,0]
	v_perm_b32 v51, v224, v67, 0xc0c0400
	v_perm_b32 v52, v238, v235, 0xc0c0402
	v_bfe_i32 v38, v38, 0, 8
	v_bfe_i32 v54, v193, 0, 8
	;; [unrolled: 1-line block ×3, first 2 shown]
	v_ashrrev_i32_e32 v59, 24, v39
	v_dot4_i32_iu8 v50, v51, v52, v50 neg_lo:[1,1,0]
	v_perm_b32 v51, v224, v67, 0xc0c0703
	v_perm_b32 v52, v238, v236, 0xc0c0701
	v_bfe_i32 v60, v39, 16, 8
	v_mul_i32_i24_e32 v53, v57, v53
	v_add_nc_u32_e32 v48, v50, v48
	v_bfe_i32 v50, v235, 0, 8
	v_dot4_i32_iu8 v47, v51, v52, v47 neg_lo:[1,1,0]
	v_perm_b32 v51, v224, v67, 0xc0c0501
	v_perm_b32 v52, v238, v235, 0xc0c0503
	v_mul_i32_i24_e32 v4, v38, v4
	v_mul_i32_i24_e32 v56, v60, v56
	;; [unrolled: 1-line block ×4, first 2 shown]
	v_dot4_i32_iu8 v49, v51, v52, v49 neg_lo:[1,1,0]
	v_ashrrev_i32_e32 v51, 24, v3
	v_bfe_i32 v52, v3, 16, 8
	v_bfe_i32 v12, v193, 16, 8
	;; [unrolled: 1-line block ×3, first 2 shown]
	v_add_nc_u32_e32 v47, v49, v47
	v_bfe_i32 v49, v235, 8, 8
	v_mul_i32_i24_e32 v50, v52, v50
	v_bfe_i32 v52, v44, 16, 8
	v_bfe_i32 v10, v192, 8, 8
	;; [unrolled: 1-line block ×3, first 2 shown]
	v_mul_i32_i24_e32 v49, v51, v49
	v_mad_i32_i24 v6, v37, v6, v50
	v_bfe_i32 v37, v196, 16, 8
	v_bfe_i32 v50, v1, 8, 8
	;; [unrolled: 1-line block ×3, first 2 shown]
	v_add3_u32 v47, v48, v47, v49
	v_ashrrev_i32_e32 v48, 24, v195
	v_bfe_i32 v49, v1, 16, 8
	v_mul_i32_i24_e32 v37, v227, v37
	v_bfe_i32 v38, v39, 0, 8
	v_add3_u32 v6, v47, v6, v7
	v_bfe_i32 v47, v196, 0, 8
	v_bfe_i32 v7, v1, 0, 8
	v_mul_i32_i24_e32 v48, v50, v48
	v_perm_b32 v50, v197, v195, 0xc0c0600
	v_mul_i32_i24_e32 v12, v57, v12
	v_mul_i32_i24_e32 v47, v49, v47
	v_perm_b32 v49, v3, v0, 0xc0c0402
	v_mul_i32_i24_e32 v7, v7, v9
	v_ashrrev_i32_e32 v9, 24, v196
	v_ashrrev_i32_e32 v13, 24, v193
	v_lshrrev_b16 v45, 8, v42
	v_dot4_i32_iu8 v37, v49, v50, v37 neg_lo:[1,1,0]
	v_perm_b32 v49, v2, v0, 0xc0c0600
	v_perm_b32 v50, v197, v194, 0xc0c0402
	v_mul_i32_i24_e32 v9, v226, v9
	v_ashrrev_i32_e32 v57, 24, v40
	v_bfe_i32 v5, v5, 0, 8
	v_bfe_i32 v45, v45, 0, 8
	v_dot4_i32_iu8 v48, v49, v50, v48 neg_lo:[1,1,0]
	v_perm_b32 v49, v3, v0, 0xc0c0503
	v_perm_b32 v50, v197, v195, 0xc0c0701
	v_mul_i32_i24_e32 v13, v57, v13
	v_mul_i32_i24_e32 v5, v45, v5
	v_add_nc_u32_e32 v37, v48, v37
	v_bfe_i32 v48, v194, 0, 8
	v_dot4_i32_iu8 v9, v49, v50, v9 neg_lo:[1,1,0]
	v_perm_b32 v49, v2, v0, 0xc0c0701
	v_perm_b32 v50, v197, v194, 0xc0c0503
	v_bfe_i32 v18, v234, 16, 8
	v_bfe_i32 v14, v233, 8, 8
	v_bfe_i32 v15, v233, 0, 8
	v_bfe_i32 v45, v35, 0, 8
	v_dot4_i32_iu8 v47, v49, v50, v47 neg_lo:[1,1,0]
	v_lshrrev_b16 v49, 8, v229
	v_ashrrev_i32_e32 v50, 24, v44
	v_ashrrev_i32_e32 v19, 24, v234
	v_bfe_i32 v209, v46, 8, 8
	v_add_nc_u32_e32 v9, v47, v9
	v_bfe_i32 v47, v194, 8, 8
	v_bfe_i32 v228, v49, 0, 8
	;; [unrolled: 1-line block ×5, first 2 shown]
	v_ashrrev_i32_e32 v221, 24, v46
	v_mul_i32_i24_e32 v47, v228, v47
	v_mul_i32_i24_e32 v48, v49, v48
	v_bfe_i32 v49, v191, 16, 8
	v_perm_b32 v239, v191, v190, 0x6040503
	v_perm_b32 v240, v232, v231, 0x6040503
	v_add3_u32 v9, v37, v9, v47
	v_mad_i32_i24 v8, v225, v8, v48
	v_ashrrev_i32_e32 v47, 24, v43
	v_bfe_i32 v37, v190, 16, 8
	v_bfe_i32 v48, v43, 16, 8
	v_mad_i32_i24 v49, v52, v49, v54
	v_add3_u32 v7, v9, v8, v7
	v_ashrrev_i32_e32 v9, 24, v190
	v_bfe_i32 v8, v39, 8, 8
	v_mul_i32_i24_e32 v37, v48, v37
	v_bfe_i32 v48, v191, 0, 8
	v_bfe_i32 v52, v36, 8, 8
	v_mul_i32_i24_e32 v9, v47, v9
	v_ashrrev_i32_e32 v47, 24, v191
	v_ashrrev_i32_e32 v54, 24, v35
	v_mad_i32_i24 v48, v51, v48, v56
	v_bfe_i32 v51, v233, 16, 8
	v_perm_b32 v191, v192, v191, 0x7060403
	v_mad_i32_i24 v47, v50, v47, v53
	v_bfe_i32 v50, v43, 0, 8
	v_bfe_i32 v53, v36, 0, 8
	s_delay_alu instid0(VALU_DEP_3) | instskip(SKIP_2) | instid1(VALU_DEP_3)
	v_add3_u32 v4, v4, v55, v47
	v_bfe_i32 v47, v190, 8, 8
	v_bfe_i32 v55, v35, 16, 8
	v_add3_u32 v4, v48, v49, v4
	v_bfe_i32 v49, v43, 8, 8
	v_bfe_i32 v48, v190, 0, 8
	s_delay_alu instid0(VALU_DEP_4) | instskip(NEXT) | instid1(VALU_DEP_3)
	v_mul_i32_i24_e32 v51, v55, v51
	v_mul_i32_i24_e32 v47, v49, v47
	s_delay_alu instid0(VALU_DEP_3) | instskip(SKIP_2) | instid1(VALU_DEP_4)
	v_mul_i32_i24_e32 v48, v50, v48
	v_bfe_i32 v49, v234, 0, 8
	v_ashrrev_i32_e32 v50, 24, v233
	v_mad_i32_i24 v8, v8, v10, v47
	v_mad_i32_i24 v10, v38, v11, v12
	v_ashrrev_i32_e32 v11, 24, v41
	v_bfe_i32 v12, v41, 16, 8
	v_bfe_i32 v38, v42, 0, 8
	v_add3_u32 v4, v4, v48, v8
	v_add3_u32 v8, v37, v9, v10
	v_ashrrev_i32_e32 v9, 24, v231
	v_bfe_i32 v48, v234, 8, 8
	v_bfe_i32 v10, v231, 16, 8
	v_ashrrev_i32_e32 v37, 24, v42
	v_add3_u32 v4, v4, v8, v13
	v_mul_i32_i24_e32 v9, v11, v9
	v_ashrrev_i32_e32 v11, 24, v232
	v_mul_i32_i24_e32 v48, v52, v48
	v_mul_i32_i24_e32 v10, v12, v10
	v_bfe_i32 v12, v232, 0, 8
	v_bfe_i32 v13, v232, 16, 8
	;; [unrolled: 1-line block ×3, first 2 shown]
	v_mul_i32_i24_e32 v50, v54, v50
	v_mul_i32_i24_e32 v49, v53, v49
	v_mad_i32_i24 v11, v37, v11, v48
	v_mad_i32_i24 v12, v38, v12, v51
	v_bfe_i32 v52, v36, 16, 8
	v_bfe_i32 v8, v35, 8, 8
	v_mad_i32_i24 v13, v47, v13, v49
	v_add3_u32 v5, v5, v50, v11
	v_bfe_i32 v11, v231, 8, 8
	v_mul_i32_i24_e32 v18, v52, v18
	v_bfe_i32 v37, v41, 0, 8
	v_ashrrev_i32_e32 v52, 24, v36
	v_add3_u32 v5, v12, v13, v5
	v_bfe_i32 v13, v41, 8, 8
	v_bfe_i32 v12, v231, 0, 8
	v_mul_lo_u32 v4, v4, v209
	v_mul_i32_i24_e32 v19, v52, v19
	v_perm_b32 v232, v233, v232, 0x7060403
	v_mul_i32_i24_e32 v11, v13, v11
	v_mul_i32_i24_e32 v12, v37, v12
	s_delay_alu instid0(VALU_DEP_2) | instskip(SKIP_2) | instid1(VALU_DEP_3)
	v_mad_i32_i24 v8, v8, v14, v11
	v_mad_i32_i24 v11, v45, v15, v18
	v_perm_b32 v18, v237, v236, 0x7060403
	v_add3_u32 v5, v5, v12, v8
	s_delay_alu instid0(VALU_DEP_3) | instskip(NEXT) | instid1(VALU_DEP_1)
	v_add3_u32 v8, v10, v9, v11
	v_add3_u32 v5, v5, v8, v19
	v_perm_b32 v19, v196, v195, 0x7060403
	s_delay_alu instid0(VALU_DEP_2) | instskip(NEXT) | instid1(VALU_DEP_1)
	v_mad_co_u64_u32 v[4:5], null, v5, v219, v[4:5]
	v_cvt_f32_i32_e32 v4, v4
	s_delay_alu instid0(VALU_DEP_1) | instskip(SKIP_1) | instid1(VALU_DEP_1)
	v_fma_f32 v8, v16, v4, 0
	v_mul_lo_u32 v4, v7, v220
	v_mad_co_u64_u32 v[4:5], null, v6, v221, v[4:5]
	v_add_nc_u32_e32 v5, s16, v167
	s_delay_alu instid0(VALU_DEP_2) | instskip(NEXT) | instid1(VALU_DEP_1)
	v_cvt_f32_i32_e32 v4, v4
	v_fmac_f32_e32 v8, v17, v4
	v_add3_u32 v4, s17, v184, v166
	s_delay_alu instid0(VALU_DEP_2)
	v_fmac_f32_e32 v100, v78, v8
	ds_load_2addr_b32 v[53:54], v5 offset0:6 offset1:7
	ds_load_2addr_b32 v[10:11], v5 offset0:4 offset1:5
	ds_load_2addr_b32 v[51:52], v5 offset0:2 offset1:3
	ds_load_2addr_b32 v[6:7], v5 offset1:1
	ds_load_b32 v8, v4
	ds_load_2addr_b32 v[63:64], v5 offset0:14 offset1:15
	ds_load_2addr_b32 v[73:74], v5 offset0:12 offset1:13
	;; [unrolled: 1-line block ×4, first 2 shown]
	s_wait_dscnt 0x7
	v_perm_b32 v206, v11, v10, 0x6040503
	v_perm_b32 v207, v53, v11, 0x7060403
	s_wait_dscnt 0x6
	v_perm_b32 v11, v231, v51, 0x6050401
	s_wait_dscnt 0x5
	;; [unrolled: 2-line block ×4, first 2 shown]
	v_perm_b32 v4, v73, v237, 0x6040501
	v_perm_b32 v12, v74, v235, 0x6040503
	v_perm_b32 v222, v63, v74, 0x7060403
	s_wait_dscnt 0x1
	v_perm_b32 v5, v194, v65, 0x6040501
	s_wait_dscnt 0x0
	v_perm_b32 v223, v65, v76, 0x7060403
	v_dot4_i32_iu8 v4, v9, v4, 0 neg_lo:[1,1,0]
	v_perm_b32 v9, v236, v73, 0x6040503
	v_perm_b32 v212, v51, v7, 0x7060403
	v_bfe_i32 v208, v8, 8, 8
	v_bfe_i32 v213, v8, 0, 8
	;; [unrolled: 1-line block ×3, first 2 shown]
	v_dot4_i32_iu8 v4, v12, v9, v4 neg_lo:[1,1,0]
	v_perm_b32 v12, v76, v194, 0x6040503
	v_ashrrev_i32_e32 v215, 24, v8
	s_delay_alu instid0(VALU_DEP_3) | instskip(NEXT) | instid1(VALU_DEP_1)
	v_dot4_i32_iu8 v4, v18, v222, v4 neg_lo:[1,1,0]
	v_dot4_i32_iu8 v9, v238, v64, v4 neg_lo:[1,1,0]
	v_perm_b32 v4, v75, v196, 0x6040501
	s_delay_alu instid0(VALU_DEP_1) | instskip(SKIP_1) | instid1(VALU_DEP_1)
	v_dot4_i32_iu8 v4, v5, v4, 0 neg_lo:[1,1,0]
	v_perm_b32 v5, v195, v75, 0x6040503
	v_dot4_i32_iu8 v4, v12, v5, v4 neg_lo:[1,1,0]
	v_perm_b32 v5, v190, v53, 0x6050401
	s_delay_alu instid0(VALU_DEP_2) | instskip(NEXT) | instid1(VALU_DEP_1)
	v_dot4_i32_iu8 v4, v19, v223, v4 neg_lo:[1,1,0]
	v_dot4_i32_iu8 v12, v197, v66, v4 neg_lo:[1,1,0]
	v_perm_b32 v4, v10, v192, 0x6050401
	s_delay_alu instid0(VALU_DEP_1) | instskip(SKIP_1) | instid1(VALU_DEP_2)
	v_dot4_i32_iu8 v4, v5, v4, 0 neg_lo:[1,1,0]
	v_perm_b32 v5, v6, v233, 0x6050401
	v_dot4_i32_iu8 v4, v239, v206, v4 neg_lo:[1,1,0]
	s_delay_alu instid0(VALU_DEP_2) | instskip(NEXT) | instid1(VALU_DEP_2)
	v_dot4_i32_iu8 v5, v11, v5, 0 neg_lo:[1,1,0]
	v_dot4_i32_iu8 v4, v191, v207, v4 neg_lo:[1,1,0]
	s_delay_alu instid0(VALU_DEP_2) | instskip(NEXT) | instid1(VALU_DEP_2)
	v_dot4_i32_iu8 v5, v240, v210, v5 neg_lo:[1,1,0]
	;; [unrolled: 3-line block ×3, first 2 shown]
	v_mul_lo_u32 v4, v4, v208
	s_delay_alu instid0(VALU_DEP_2) | instskip(NEXT) | instid1(VALU_DEP_1)
	v_dot4_i32_iu8 v5, v52, v234, v5 neg_lo:[1,1,0]
	v_mad_co_u64_u32 v[4:5], null, v5, v213, v[4:5]
	s_delay_alu instid0(VALU_DEP_1) | instskip(NEXT) | instid1(VALU_DEP_1)
	v_cvt_f32_i32_e32 v4, v4
	v_fma_f32 v7, v16, v4, 0
	v_mul_lo_u32 v4, v12, v214
	s_delay_alu instid0(VALU_DEP_1) | instskip(SKIP_2) | instid1(VALU_DEP_2)
	v_mad_co_u64_u32 v[4:5], null, v9, v215, v[4:5]
	v_add_nc_u32_e32 v5, s16, v169
	s_mov_b32 s16, 8
	v_cvt_f32_i32_e32 v4, v4
	s_delay_alu instid0(VALU_DEP_1) | instskip(SKIP_1) | instid1(VALU_DEP_2)
	v_fmac_f32_e32 v7, v17, v4
	v_add3_u32 v4, s17, v185, v168
	v_fmac_f32_e32 v131, v187, v7
	ds_load_2addr_b32 v[49:50], v5 offset0:6 offset1:7
	ds_load_2addr_b32 v[11:12], v5 offset0:4 offset1:5
	;; [unrolled: 1-line block ×3, first 2 shown]
	ds_load_2addr_b32 v[7:8], v5 offset1:1
	ds_load_b32 v9, v4
	ds_load_2addr_b32 v[59:60], v5 offset0:14 offset1:15
	ds_load_2addr_b32 v[14:15], v5 offset0:12 offset1:13
	;; [unrolled: 1-line block ×4, first 2 shown]
	s_wait_dscnt 0x7
	v_perm_b32 v198, v12, v11, 0x6040503
	v_perm_b32 v199, v49, v12, 0x7060403
	s_wait_dscnt 0x6
	v_perm_b32 v12, v231, v47, 0x6050401
	s_wait_dscnt 0x5
	;; [unrolled: 2-line block ×4, first 2 shown]
	v_perm_b32 v4, v14, v237, 0x6040501
	v_perm_b32 v37, v15, v235, 0x6040503
	v_perm_b32 v217, v59, v15, 0x7060403
	s_wait_dscnt 0x1
	v_perm_b32 v5, v194, v61, 0x6040501
	s_wait_dscnt 0x0
	v_perm_b32 v218, v61, v72, 0x7060403
	v_dot4_i32_iu8 v4, v13, v4, 0 neg_lo:[1,1,0]
	v_perm_b32 v13, v236, v14, 0x6040503
	v_perm_b32 v202, v47, v8, 0x7060403
	v_bfe_i32 v200, v9, 8, 8
	v_bfe_i32 v203, v9, 0, 8
	;; [unrolled: 1-line block ×3, first 2 shown]
	v_dot4_i32_iu8 v4, v37, v13, v4 neg_lo:[1,1,0]
	v_perm_b32 v37, v72, v194, 0x6040503
	v_ashrrev_i32_e32 v205, 24, v9
	v_perm_b32 v59, v14, v59, 0x6040501
	v_perm_b32 v61, v71, v61, 0x6040501
	v_dot4_i32_iu8 v4, v18, v217, v4 neg_lo:[1,1,0]
	v_perm_b32 v47, v7, v47, 0x6050401
	s_delay_alu instid0(VALU_DEP_2) | instskip(SKIP_1) | instid1(VALU_DEP_1)
	v_dot4_i32_iu8 v13, v238, v60, v4 neg_lo:[1,1,0]
	v_perm_b32 v4, v71, v196, 0x6040501
	v_dot4_i32_iu8 v4, v5, v4, 0 neg_lo:[1,1,0]
	v_perm_b32 v5, v195, v71, 0x6040503
	v_perm_b32 v71, v72, v71, 0x6040503
	s_delay_alu instid0(VALU_DEP_2) | instskip(SKIP_2) | instid1(VALU_DEP_3)
	v_dot4_i32_iu8 v4, v37, v5, v4 neg_lo:[1,1,0]
	v_perm_b32 v5, v190, v49, 0x6050401
	v_perm_b32 v49, v11, v49, 0x6050401
	v_dot4_i32_iu8 v4, v19, v218, v4 neg_lo:[1,1,0]
	s_delay_alu instid0(VALU_DEP_1) | instskip(SKIP_1) | instid1(VALU_DEP_1)
	v_dot4_i32_iu8 v37, v197, v62, v4 neg_lo:[1,1,0]
	v_perm_b32 v4, v11, v192, 0x6050401
	v_dot4_i32_iu8 v4, v5, v4, 0 neg_lo:[1,1,0]
	v_perm_b32 v5, v7, v233, 0x6050401
	s_delay_alu instid0(VALU_DEP_2) | instskip(NEXT) | instid1(VALU_DEP_2)
	v_dot4_i32_iu8 v4, v239, v198, v4 neg_lo:[1,1,0]
	v_dot4_i32_iu8 v5, v12, v5, 0 neg_lo:[1,1,0]
	v_add3_u32 v12, s17, v186, v170
	s_delay_alu instid0(VALU_DEP_3) | instskip(NEXT) | instid1(VALU_DEP_3)
	v_dot4_i32_iu8 v4, v191, v199, v4 neg_lo:[1,1,0]
	v_dot4_i32_iu8 v5, v240, v201, v5 neg_lo:[1,1,0]
	s_delay_alu instid0(VALU_DEP_2) | instskip(NEXT) | instid1(VALU_DEP_2)
	v_dot4_i32_iu8 v4, v50, v193, v4 neg_lo:[1,1,0]
	v_dot4_i32_iu8 v5, v232, v202, v5 neg_lo:[1,1,0]
	s_delay_alu instid0(VALU_DEP_2) | instskip(NEXT) | instid1(VALU_DEP_2)
	v_mul_lo_u32 v4, v4, v200
	v_dot4_i32_iu8 v5, v48, v234, v5 neg_lo:[1,1,0]
	s_delay_alu instid0(VALU_DEP_1) | instskip(NEXT) | instid1(VALU_DEP_1)
	v_mad_co_u64_u32 v[4:5], null, v5, v203, v[4:5]
	v_cvt_f32_i32_e32 v4, v4
	s_delay_alu instid0(VALU_DEP_1) | instskip(SKIP_1) | instid1(VALU_DEP_1)
	v_fma_f32 v8, v16, v4, 0
	v_mul_lo_u32 v4, v37, v204
	v_mad_co_u64_u32 v[4:5], null, v13, v205, v[4:5]
	s_delay_alu instid0(VALU_DEP_1) | instskip(NEXT) | instid1(VALU_DEP_1)
	v_cvt_f32_i32_e32 v4, v4
	v_fmac_f32_e32 v8, v17, v4
	s_delay_alu instid0(VALU_DEP_1)
	v_fmac_f32_e32 v124, v188, v8
	ds_load_2addr_b32 v[45:46], v69 offset0:6 offset1:7
	ds_load_2addr_b32 v[8:9], v69 offset0:4 offset1:5
	ds_load_2addr_b32 v[37:38], v69 offset0:2 offset1:3
	ds_load_2addr_b32 v[4:5], v69 offset1:1
	ds_load_b32 v241, v12
	ds_load_2addr_b32 v[55:56], v69 offset0:14 offset1:15
	ds_load_2addr_b32 v[12:13], v69 offset0:12 offset1:13
	s_wait_dscnt 0x1
	v_perm_b32 v58, v235, v55, 0x6040501
	s_wait_dscnt 0x0
	v_perm_b32 v57, v12, v237, 0x6040501
	v_perm_b32 v70, v13, v235, 0x6040503
	;; [unrolled: 1-line block ×5, first 2 shown]
	v_dot4_i32_iu8 v57, v58, v57, 0 neg_lo:[1,1,0]
	v_perm_b32 v58, v236, v12, 0x6040503
	s_delay_alu instid0(VALU_DEP_1) | instskip(NEXT) | instid1(VALU_DEP_1)
	v_dot4_i32_iu8 v57, v70, v58, v57 neg_lo:[1,1,0]
	v_dot4_i32_iu8 v18, v18, v211, v57 neg_lo:[1,1,0]
	ds_load_2addr_b32 v[57:58], v69 offset0:10 offset1:11
	ds_load_2addr_b32 v[69:70], v69 offset0:8 offset1:9
	v_dot4_i32_iu8 v235, v238, v56, v18 neg_lo:[1,1,0]
	v_perm_b32 v238, v1, v0, 0x6050402
	s_wait_dscnt 0x0
	v_perm_b32 v18, v69, v196, 0x6040501
	v_perm_b32 v196, v194, v57, 0x6040501
	;; [unrolled: 1-line block ×5, first 2 shown]
	s_delay_alu instid0(VALU_DEP_4) | instskip(SKIP_1) | instid1(VALU_DEP_2)
	v_dot4_i32_iu8 v18, v196, v18, 0 neg_lo:[1,1,0]
	v_perm_b32 v196, v45, v9, 0x7060403
	v_dot4_i32_iu8 v18, v194, v195, v18 neg_lo:[1,1,0]
	v_perm_b32 v194, v5, v4, 0x6040503
	v_bfe_i32 v195, v241, 8, 8
	s_delay_alu instid0(VALU_DEP_3) | instskip(SKIP_2) | instid1(VALU_DEP_3)
	v_dot4_i32_iu8 v18, v19, v216, v18 neg_lo:[1,1,0]
	v_perm_b32 v19, v190, v45, 0x6050401
	v_bfe_i32 v190, v241, 16, 8
	v_dot4_i32_iu8 v236, v197, v58, v18 neg_lo:[1,1,0]
	v_perm_b32 v18, v8, v192, 0x6050401
	v_perm_b32 v197, v9, v8, 0x6040503
	v_ashrrev_i32_e32 v192, 24, v241
	s_delay_alu instid0(VALU_DEP_3) | instskip(SKIP_1) | instid1(VALU_DEP_2)
	v_dot4_i32_iu8 v18, v19, v18, 0 neg_lo:[1,1,0]
	v_perm_b32 v19, v231, v37, 0x6050401
	v_dot4_i32_iu8 v18, v239, v197, v18 neg_lo:[1,1,0]
	v_perm_b32 v239, v3, v2, 0x5040203
	s_delay_alu instid0(VALU_DEP_2)
	v_dot4_i32_iu8 v9, v191, v196, v18 neg_lo:[1,1,0]
	v_perm_b32 v18, v4, v233, 0x6050401
	v_bfe_i32 v191, v241, 0, 8
	v_perm_b32 v233, v73, v63, 0x6040501
	v_perm_b32 v73, v74, v73, 0x6040503
	v_dot4_i32_iu8 v9, v46, v193, v9 neg_lo:[1,1,0]
	v_dot4_i32_iu8 v18, v19, v18, 0 neg_lo:[1,1,0]
	v_perm_b32 v193, v37, v5, 0x7060403
	v_perm_b32 v74, v75, v65, 0x6040501
	;; [unrolled: 1-line block ×3, first 2 shown]
	v_mul_lo_u32 v9, v9, v195
	v_dot4_i32_iu8 v18, v240, v194, v18 neg_lo:[1,1,0]
	v_perm_b32 v63, v10, v53, 0x6050401
	v_perm_b32 v65, v6, v51, 0x6050401
	;; [unrolled: 1-line block ×4, first 2 shown]
	v_dot4_i32_iu8 v5, v232, v193, v18 neg_lo:[1,1,0]
	v_perm_b32 v55, v69, v57, 0x6040501
	v_perm_b32 v57, v70, v69, 0x6040503
	;; [unrolled: 1-line block ×3, first 2 shown]
	s_delay_alu instid0(VALU_DEP_4) | instskip(SKIP_1) | instid1(VALU_DEP_2)
	v_dot4_i32_iu8 v5, v38, v234, v5 neg_lo:[1,1,0]
	v_perm_b32 v234, v67, v3, 0x402030c
	v_mad_co_u64_u32 v[18:19], null, v5, v191, v[9:10]
	s_delay_alu instid0(VALU_DEP_1) | instskip(NEXT) | instid1(VALU_DEP_1)
	v_cvt_f32_i32_e32 v5, v18
	v_fma_f32 v9, v16, v5, 0
	v_mul_lo_u32 v5, v236, v190
	v_perm_b32 v236, v230, v68, 0x5040201
	v_perm_b32 v230, v39, v44, 0x7060403
	s_delay_alu instid0(VALU_DEP_3) | instskip(SKIP_1) | instid1(VALU_DEP_2)
	v_mad_co_u64_u32 v[18:19], null, v235, v192, v[5:6]
	v_perm_b32 v235, v68, v67, 0x4020301
	v_cvt_f32_i32_e32 v5, v18
	s_delay_alu instid0(VALU_DEP_1) | instskip(SKIP_1) | instid1(VALU_DEP_2)
	v_fmac_f32_e32 v9, v17, v5
	v_or_b32_e32 v5, s11, v158
	v_fmac_f32_e32 v123, v189, v9
	s_delay_alu instid0(VALU_DEP_2)
	v_lshlrev_b32_e32 v9, 2, v5
	v_lshrrev_b32_e32 v5, 1, v5
	ds_load_b128 v[240:243], v9 offset:33280
	ds_load_b128 v[244:247], v9 offset:33296
	;; [unrolled: 1-line block ×4, first 2 shown]
	ds_load_b64 v[16:17], v5 offset:43584
	s_wait_dscnt 0x4
	v_perm_b32 v10, v240, v242, 0x6050401
	s_wait_dscnt 0x3
	v_perm_b32 v3, v245, v244, 0x6040503
	s_wait_dscnt 0x2
	v_bfe_i32 v5, v250, 8, 8
	v_bfe_i32 v9, v248, 8, 8
	;; [unrolled: 1-line block ×3, first 2 shown]
	v_ashrrev_i32_e32 v19, 24, v250
	v_perm_b32 v1, v251, v251, 0x3020001
	v_mul_i32_i24_e32 v5, v5, v225
	s_wait_dscnt 0x1
	v_perm_b32 v232, v254, v254, 0xc0c0c01
	v_mul_i32_i24_e32 v18, v227, v18
	v_mul_i32_i24_e32 v19, v226, v19
	v_perm_b32 v231, v252, v68, 0x6040503
	v_mad_i32_i24 v5, v228, v9, v5
	v_perm_b32 v9, v249, v248, 0x5030200
	v_or_b32_e32 v232, v234, v232
	v_perm_b32 v114, v253, v252, 0x6040503
	v_perm_b32 v253, v254, v253, 0x7060403
	;; [unrolled: 1-line block ×3, first 2 shown]
	v_dot4_i32_iu8 v5, v237, v9, v5 neg_lo:[1,1,0]
	v_perm_b32 v9, v250, v249, 0x4030200
	v_dot4_i32_iu8 v231, v232, v231, 0 neg_lo:[1,1,0]
	v_perm_b32 v232, v35, v42, 0x7060403
	v_perm_b32 v76, v250, v249, 0x7060403
	s_delay_alu instid0(VALU_DEP_4)
	v_dot4_i32_iu8 v0, v238, v9, v5 neg_lo:[1,1,0]
	v_perm_b32 v9, v41, v242, 0x6050401
	v_perm_b32 v5, v246, v245, 0x7060403
	v_dot4_i32_iu8 v67, v114, v235, v231 neg_lo:[1,1,0]
	v_perm_b32 v231, v42, v41, 0x6040503
	v_add3_u32 v0, v0, v18, v19
	v_perm_b32 v18, v242, v241, 0x7060403
	v_perm_b32 v42, v248, v250, 0x6040501
	v_dot4_i32_iu8 v67, v236, v253, v67 neg_lo:[1,1,0]
	s_delay_alu instid0(VALU_DEP_4) | instskip(SKIP_2) | instid1(VALU_DEP_4)
	v_dot4_i32_iu8 v2, v239, v1, v0 neg_lo:[1,1,0]
	v_perm_b32 v0, v244, v39, 0x6050401
	v_perm_b32 v1, v43, v246, 0x6050401
	v_dot4_i32_iu8 v67, v224, v255, v67 neg_lo:[1,1,0]
	s_delay_alu instid0(VALU_DEP_2) | instskip(SKIP_1) | instid1(VALU_DEP_2)
	v_dot4_i32_iu8 v0, v1, v0, 0 neg_lo:[1,1,0]
	v_perm_b32 v1, v240, v35, 0x6050401
	v_dot4_i32_iu8 v0, v229, v3, v0 neg_lo:[1,1,0]
	s_delay_alu instid0(VALU_DEP_2) | instskip(SKIP_2) | instid1(VALU_DEP_4)
	v_dot4_i32_iu8 v1, v9, v1, 0 neg_lo:[1,1,0]
	v_perm_b32 v9, v241, v240, 0x6040503
	v_perm_b32 v241, v244, v246, 0x6050401
	v_dot4_i32_iu8 v0, v230, v5, v0 neg_lo:[1,1,0]
	s_delay_alu instid0(VALU_DEP_3) | instskip(NEXT) | instid1(VALU_DEP_2)
	v_dot4_i32_iu8 v1, v231, v9, v1 neg_lo:[1,1,0]
	v_dot4_i32_iu8 v0, v247, v40, v0 neg_lo:[1,1,0]
	s_delay_alu instid0(VALU_DEP_2) | instskip(NEXT) | instid1(VALU_DEP_2)
	v_dot4_i32_iu8 v1, v232, v18, v1 neg_lo:[1,1,0]
	v_mul_lo_u32 v0, v0, v209
	s_delay_alu instid0(VALU_DEP_2) | instskip(NEXT) | instid1(VALU_DEP_1)
	v_dot4_i32_iu8 v1, v243, v36, v1 neg_lo:[1,1,0]
	v_mad_co_u64_u32 v[0:1], null, v1, v219, v[0:1]
	s_delay_alu instid0(VALU_DEP_1) | instskip(SKIP_1) | instid1(VALU_DEP_1)
	v_cvt_f32_i32_e32 v0, v0
	s_wait_dscnt 0x0
	v_fma_f32 v19, v16, v0, 0
	v_mul_lo_u32 v0, v67, v221
	s_delay_alu instid0(VALU_DEP_1) | instskip(SKIP_2) | instid1(VALU_DEP_3)
	v_mad_co_u64_u32 v[0:1], null, v2, v220, v[0:1]
	v_perm_b32 v2, v252, v254, 0x6040501
	v_dot4_i32_iu8 v1, v10, v65, 0 neg_lo:[1,1,0]
	v_cvt_f32_i32_e32 v0, v0
	s_delay_alu instid0(VALU_DEP_2) | instskip(NEXT) | instid1(VALU_DEP_2)
	v_dot4_i32_iu8 v1, v9, v210, v1 neg_lo:[1,1,0]
	v_fmac_f32_e32 v19, v17, v0
	v_dot4_i32_iu8 v0, v2, v233, 0 neg_lo:[1,1,0]
	s_delay_alu instid0(VALU_DEP_3) | instskip(NEXT) | instid1(VALU_DEP_3)
	v_dot4_i32_iu8 v1, v18, v212, v1 neg_lo:[1,1,0]
	v_fmac_f32_e32 v121, v78, v19
	s_delay_alu instid0(VALU_DEP_3) | instskip(NEXT) | instid1(VALU_DEP_3)
	v_dot4_i32_iu8 v0, v114, v73, v0 neg_lo:[1,1,0]
	v_dot4_i32_iu8 v1, v243, v52, v1 neg_lo:[1,1,0]
	s_delay_alu instid0(VALU_DEP_2) | instskip(NEXT) | instid1(VALU_DEP_1)
	v_dot4_i32_iu8 v0, v253, v222, v0 neg_lo:[1,1,0]
	v_dot4_i32_iu8 v19, v255, v64, v0 neg_lo:[1,1,0]
	;; [unrolled: 1-line block ×3, first 2 shown]
	s_delay_alu instid0(VALU_DEP_1) | instskip(NEXT) | instid1(VALU_DEP_1)
	v_dot4_i32_iu8 v0, v44, v75, v0 neg_lo:[1,1,0]
	v_dot4_i32_iu8 v0, v76, v223, v0 neg_lo:[1,1,0]
	s_delay_alu instid0(VALU_DEP_1) | instskip(SKIP_1) | instid1(VALU_DEP_1)
	v_dot4_i32_iu8 v67, v251, v66, v0 neg_lo:[1,1,0]
	v_dot4_i32_iu8 v0, v241, v63, 0 neg_lo:[1,1,0]
	;; [unrolled: 1-line block ×3, first 2 shown]
	s_delay_alu instid0(VALU_DEP_1) | instskip(NEXT) | instid1(VALU_DEP_1)
	v_dot4_i32_iu8 v0, v5, v207, v0 neg_lo:[1,1,0]
	v_dot4_i32_iu8 v0, v247, v54, v0 neg_lo:[1,1,0]
	s_delay_alu instid0(VALU_DEP_1) | instskip(NEXT) | instid1(VALU_DEP_1)
	v_mul_lo_u32 v0, v0, v208
	v_mad_co_u64_u32 v[0:1], null, v1, v213, v[0:1]
	s_delay_alu instid0(VALU_DEP_1) | instskip(NEXT) | instid1(VALU_DEP_1)
	v_cvt_f32_i32_e32 v0, v0
	v_fma_f32 v6, v16, v0, 0
	v_mul_lo_u32 v0, v19, v215
	s_delay_alu instid0(VALU_DEP_1) | instskip(SKIP_2) | instid1(VALU_DEP_3)
	v_mad_co_u64_u32 v[0:1], null, v67, v214, v[0:1]
	v_perm_b32 v67, v15, v14, 0x6040503
	v_dot4_i32_iu8 v1, v10, v47, 0 neg_lo:[1,1,0]
	v_cvt_f32_i32_e32 v0, v0
	s_delay_alu instid0(VALU_DEP_2) | instskip(NEXT) | instid1(VALU_DEP_2)
	v_dot4_i32_iu8 v1, v9, v201, v1 neg_lo:[1,1,0]
	v_fmac_f32_e32 v6, v17, v0
	v_dot4_i32_iu8 v0, v2, v59, 0 neg_lo:[1,1,0]
	s_delay_alu instid0(VALU_DEP_3) | instskip(NEXT) | instid1(VALU_DEP_3)
	v_dot4_i32_iu8 v1, v18, v202, v1 neg_lo:[1,1,0]
	v_fmac_f32_e32 v120, v187, v6
	s_delay_alu instid0(VALU_DEP_3) | instskip(NEXT) | instid1(VALU_DEP_3)
	v_dot4_i32_iu8 v0, v114, v67, v0 neg_lo:[1,1,0]
	v_dot4_i32_iu8 v1, v243, v48, v1 neg_lo:[1,1,0]
	s_delay_alu instid0(VALU_DEP_2) | instskip(NEXT) | instid1(VALU_DEP_1)
	v_dot4_i32_iu8 v0, v253, v217, v0 neg_lo:[1,1,0]
	v_dot4_i32_iu8 v6, v255, v60, v0 neg_lo:[1,1,0]
	;; [unrolled: 1-line block ×3, first 2 shown]
	s_delay_alu instid0(VALU_DEP_1) | instskip(NEXT) | instid1(VALU_DEP_1)
	v_dot4_i32_iu8 v0, v44, v71, v0 neg_lo:[1,1,0]
	v_dot4_i32_iu8 v0, v76, v218, v0 neg_lo:[1,1,0]
	s_delay_alu instid0(VALU_DEP_1) | instskip(SKIP_1) | instid1(VALU_DEP_1)
	v_dot4_i32_iu8 v14, v251, v62, v0 neg_lo:[1,1,0]
	v_dot4_i32_iu8 v0, v241, v49, 0 neg_lo:[1,1,0]
	;; [unrolled: 1-line block ×3, first 2 shown]
	s_delay_alu instid0(VALU_DEP_1) | instskip(NEXT) | instid1(VALU_DEP_1)
	v_dot4_i32_iu8 v0, v5, v199, v0 neg_lo:[1,1,0]
	v_dot4_i32_iu8 v0, v247, v50, v0 neg_lo:[1,1,0]
	s_delay_alu instid0(VALU_DEP_1) | instskip(NEXT) | instid1(VALU_DEP_1)
	v_mul_lo_u32 v0, v0, v200
	v_mad_co_u64_u32 v[0:1], null, v1, v203, v[0:1]
	s_delay_alu instid0(VALU_DEP_1) | instskip(NEXT) | instid1(VALU_DEP_1)
	v_cvt_f32_i32_e32 v0, v0
	v_fma_f32 v7, v16, v0, 0
	v_mul_lo_u32 v0, v6, v205
	s_delay_alu instid0(VALU_DEP_1) | instskip(SKIP_1) | instid1(VALU_DEP_1)
	v_mad_co_u64_u32 v[0:1], null, v14, v204, v[0:1]
	v_dot4_i32_iu8 v1, v10, v37, 0 neg_lo:[1,1,0]
	v_dot4_i32_iu8 v1, v9, v194, v1 neg_lo:[1,1,0]
	s_delay_alu instid0(VALU_DEP_3) | instskip(NEXT) | instid1(VALU_DEP_2)
	v_cvt_f32_i32_e32 v0, v0
	v_dot4_i32_iu8 v1, v18, v193, v1 neg_lo:[1,1,0]
	s_delay_alu instid0(VALU_DEP_2) | instskip(SKIP_1) | instid1(VALU_DEP_3)
	v_fmac_f32_e32 v7, v17, v0
	v_dot4_i32_iu8 v0, v2, v51, 0 neg_lo:[1,1,0]
	v_dot4_i32_iu8 v1, v243, v38, v1 neg_lo:[1,1,0]
	s_delay_alu instid0(VALU_DEP_3) | instskip(NEXT) | instid1(VALU_DEP_3)
	v_fmac_f32_e32 v119, v188, v7
	v_dot4_i32_iu8 v0, v114, v53, v0 neg_lo:[1,1,0]
	s_delay_alu instid0(VALU_DEP_1) | instskip(NEXT) | instid1(VALU_DEP_1)
	v_dot4_i32_iu8 v0, v253, v211, v0 neg_lo:[1,1,0]
	v_dot4_i32_iu8 v2, v255, v56, v0 neg_lo:[1,1,0]
	;; [unrolled: 1-line block ×3, first 2 shown]
	v_perm_b32 v42, v8, v45, 0x6050401
	s_delay_alu instid0(VALU_DEP_2) | instskip(NEXT) | instid1(VALU_DEP_1)
	v_dot4_i32_iu8 v0, v44, v57, v0 neg_lo:[1,1,0]
	v_dot4_i32_iu8 v0, v76, v216, v0 neg_lo:[1,1,0]
	s_delay_alu instid0(VALU_DEP_1) | instskip(NEXT) | instid1(VALU_DEP_4)
	v_dot4_i32_iu8 v6, v251, v58, v0 neg_lo:[1,1,0]
	v_dot4_i32_iu8 v0, v241, v42, 0 neg_lo:[1,1,0]
	s_delay_alu instid0(VALU_DEP_1) | instskip(NEXT) | instid1(VALU_DEP_1)
	v_dot4_i32_iu8 v0, v3, v197, v0 neg_lo:[1,1,0]
	v_dot4_i32_iu8 v0, v5, v196, v0 neg_lo:[1,1,0]
	s_delay_alu instid0(VALU_DEP_1) | instskip(NEXT) | instid1(VALU_DEP_1)
	v_dot4_i32_iu8 v0, v247, v46, v0 neg_lo:[1,1,0]
	v_mul_lo_u32 v0, v0, v195
	s_delay_alu instid0(VALU_DEP_1) | instskip(NEXT) | instid1(VALU_DEP_1)
	v_mad_co_u64_u32 v[0:1], null, v1, v191, v[0:1]
	v_cvt_f32_i32_e32 v0, v0
	s_delay_alu instid0(VALU_DEP_1) | instskip(SKIP_1) | instid1(VALU_DEP_1)
	v_fma_f32 v3, v16, v0, 0
	v_mul_lo_u32 v0, v2, v192
	v_mad_co_u64_u32 v[0:1], null, v6, v190, v[0:1]
	s_delay_alu instid0(VALU_DEP_1) | instskip(NEXT) | instid1(VALU_DEP_1)
	v_cvt_f32_i32_e32 v0, v0
	v_fmac_f32_e32 v3, v17, v0
	v_or_b32_e32 v0, s11, v159
	s_delay_alu instid0(VALU_DEP_2) | instskip(NEXT) | instid1(VALU_DEP_2)
	v_fmac_f32_e32 v118, v189, v3
	v_lshlrev_b32_e32 v12, 2, v0
	v_lshrrev_b32_e32 v16, 1, v0
	ds_load_b128 v[0:3], v12 offset:33280
	ds_load_b128 v[4:7], v12 offset:33296
	;; [unrolled: 1-line block ×4, first 2 shown]
	ds_load_b64 v[16:17], v16 offset:43584
	s_wait_dscnt 0x4
	v_perm_b32 v76, v1, v0, 0x6040503
	s_wait_dscnt 0x3
	v_perm_b32 v72, v6, v5, 0x7060403
	s_wait_dscnt 0x2
	v_bfe_i32 v18, v10, 8, 8
	v_bfe_i32 v19, v8, 8, 8
	;; [unrolled: 1-line block ×3, first 2 shown]
	v_ashrrev_i32_e32 v45, 24, v10
	s_wait_dscnt 0x1
	v_perm_b32 v70, v14, v14, 0xc0c0c01
	v_mul_i32_i24_e32 v18, v18, v225
	v_perm_b32 v114, v2, v1, 0x7060403
	v_mul_i32_i24_e32 v44, v227, v44
	v_mul_i32_i24_e32 v45, v226, v45
	v_perm_b32 v69, v12, v68, 0x6040503
	v_mad_i32_i24 v18, v228, v19, v18
	v_perm_b32 v19, v9, v8, 0x5030200
	v_or_b32_e32 v70, v234, v70
	s_delay_alu instid0(VALU_DEP_2) | instskip(SKIP_1) | instid1(VALU_DEP_3)
	v_dot4_i32_iu8 v18, v237, v19, v18 neg_lo:[1,1,0]
	v_perm_b32 v19, v10, v9, 0x4030200
	v_dot4_i32_iu8 v69, v70, v69, 0 neg_lo:[1,1,0]
	v_perm_b32 v70, v13, v12, 0x6040503
	v_perm_b32 v13, v14, v13, 0x7060403
	s_delay_alu instid0(VALU_DEP_4) | instskip(SKIP_1) | instid1(VALU_DEP_4)
	v_dot4_i32_iu8 v18, v238, v19, v18 neg_lo:[1,1,0]
	v_perm_b32 v19, v11, v11, 0x3020001
	v_dot4_i32_iu8 v69, v70, v235, v69 neg_lo:[1,1,0]
	s_delay_alu instid0(VALU_DEP_3) | instskip(SKIP_1) | instid1(VALU_DEP_3)
	v_add3_u32 v18, v18, v44, v45
	v_perm_b32 v45, v5, v4, 0x6040503
	v_dot4_i32_iu8 v69, v236, v13, v69 neg_lo:[1,1,0]
	s_delay_alu instid0(VALU_DEP_3) | instskip(SKIP_2) | instid1(VALU_DEP_4)
	v_dot4_i32_iu8 v44, v239, v19, v18 neg_lo:[1,1,0]
	v_perm_b32 v18, v4, v39, 0x6050401
	v_perm_b32 v19, v43, v6, 0x6050401
	v_dot4_i32_iu8 v69, v224, v15, v69 neg_lo:[1,1,0]
	v_perm_b32 v4, v4, v6, 0x6050401
	s_delay_alu instid0(VALU_DEP_3) | instskip(SKIP_1) | instid1(VALU_DEP_2)
	v_dot4_i32_iu8 v18, v19, v18, 0 neg_lo:[1,1,0]
	v_perm_b32 v19, v41, v2, 0x6050401
	v_dot4_i32_iu8 v18, v229, v45, v18 neg_lo:[1,1,0]
	s_delay_alu instid0(VALU_DEP_1) | instskip(SKIP_1) | instid1(VALU_DEP_2)
	v_dot4_i32_iu8 v5, v230, v72, v18 neg_lo:[1,1,0]
	v_perm_b32 v18, v0, v35, 0x6050401
	v_dot4_i32_iu8 v5, v7, v40, v5 neg_lo:[1,1,0]
	s_delay_alu instid0(VALU_DEP_2) | instskip(NEXT) | instid1(VALU_DEP_2)
	v_dot4_i32_iu8 v18, v19, v18, 0 neg_lo:[1,1,0]
	v_mul_lo_u32 v5, v5, v209
	s_delay_alu instid0(VALU_DEP_2) | instskip(NEXT) | instid1(VALU_DEP_1)
	v_dot4_i32_iu8 v18, v231, v76, v18 neg_lo:[1,1,0]
	v_dot4_i32_iu8 v1, v232, v114, v18 neg_lo:[1,1,0]
	s_delay_alu instid0(VALU_DEP_1) | instskip(NEXT) | instid1(VALU_DEP_1)
	v_dot4_i32_iu8 v1, v3, v36, v1 neg_lo:[1,1,0]
	v_mad_co_u64_u32 v[18:19], null, v1, v219, v[5:6]
	s_delay_alu instid0(VALU_DEP_1) | instskip(SKIP_1) | instid1(VALU_DEP_1)
	v_cvt_f32_i32_e32 v1, v18
	s_wait_dscnt 0x0
	v_fma_f32 v5, v16, v1, 0
	v_mul_lo_u32 v1, v69, v221
	s_delay_alu instid0(VALU_DEP_1) | instskip(SKIP_1) | instid1(VALU_DEP_1)
	v_mad_co_u64_u32 v[18:19], null, v44, v220, v[1:2]
	v_perm_b32 v2, v0, v2, 0x6050401
	v_dot4_i32_iu8 v0, v2, v65, 0 neg_lo:[1,1,0]
	s_delay_alu instid0(VALU_DEP_3) | instskip(NEXT) | instid1(VALU_DEP_2)
	v_cvt_f32_i32_e32 v1, v18
	v_dot4_i32_iu8 v0, v76, v210, v0 neg_lo:[1,1,0]
	s_delay_alu instid0(VALU_DEP_2) | instskip(NEXT) | instid1(VALU_DEP_2)
	v_fmac_f32_e32 v5, v17, v1
	v_dot4_i32_iu8 v0, v114, v212, v0 neg_lo:[1,1,0]
	s_delay_alu instid0(VALU_DEP_2)
	v_fmac_f32_e32 v111, v78, v5
	v_perm_b32 v5, v12, v14, 0x6040501
	v_perm_b32 v14, v8, v10, 0x6040501
	v_perm_b32 v8, v9, v8, 0x6040503
	v_perm_b32 v9, v10, v9, 0x7060403
	v_dot4_i32_iu8 v0, v3, v52, v0 neg_lo:[1,1,0]
	v_dot4_i32_iu8 v1, v5, v233, 0 neg_lo:[1,1,0]
	s_delay_alu instid0(VALU_DEP_1) | instskip(NEXT) | instid1(VALU_DEP_1)
	v_dot4_i32_iu8 v1, v70, v73, v1 neg_lo:[1,1,0]
	v_dot4_i32_iu8 v1, v13, v222, v1 neg_lo:[1,1,0]
	s_delay_alu instid0(VALU_DEP_1) | instskip(SKIP_1) | instid1(VALU_DEP_1)
	v_dot4_i32_iu8 v12, v15, v64, v1 neg_lo:[1,1,0]
	v_dot4_i32_iu8 v1, v14, v74, 0 neg_lo:[1,1,0]
	;; [unrolled: 1-line block ×3, first 2 shown]
	s_delay_alu instid0(VALU_DEP_1) | instskip(NEXT) | instid1(VALU_DEP_1)
	v_dot4_i32_iu8 v1, v9, v223, v1 neg_lo:[1,1,0]
	v_dot4_i32_iu8 v10, v11, v66, v1 neg_lo:[1,1,0]
	v_dot4_i32_iu8 v1, v4, v63, 0 neg_lo:[1,1,0]
	s_delay_alu instid0(VALU_DEP_1) | instskip(NEXT) | instid1(VALU_DEP_1)
	v_dot4_i32_iu8 v1, v45, v206, v1 neg_lo:[1,1,0]
	v_dot4_i32_iu8 v1, v72, v207, v1 neg_lo:[1,1,0]
	s_delay_alu instid0(VALU_DEP_1) | instskip(NEXT) | instid1(VALU_DEP_1)
	v_dot4_i32_iu8 v1, v7, v54, v1 neg_lo:[1,1,0]
	v_mul_lo_u32 v1, v1, v208
	s_delay_alu instid0(VALU_DEP_1) | instskip(NEXT) | instid1(VALU_DEP_1)
	v_mad_co_u64_u32 v[0:1], null, v0, v213, v[1:2]
	v_cvt_f32_i32_e32 v0, v0
	s_delay_alu instid0(VALU_DEP_1) | instskip(SKIP_1) | instid1(VALU_DEP_1)
	v_fma_f32 v6, v16, v0, 0
	v_mul_lo_u32 v0, v12, v215
	v_mad_co_u64_u32 v[0:1], null, v10, v214, v[0:1]
	v_dot4_i32_iu8 v1, v2, v47, 0 neg_lo:[1,1,0]
	s_delay_alu instid0(VALU_DEP_1) | instskip(NEXT) | instid1(VALU_DEP_3)
	v_dot4_i32_iu8 v1, v76, v201, v1 neg_lo:[1,1,0]
	v_cvt_f32_i32_e32 v0, v0
	s_delay_alu instid0(VALU_DEP_2) | instskip(NEXT) | instid1(VALU_DEP_2)
	v_dot4_i32_iu8 v1, v114, v202, v1 neg_lo:[1,1,0]
	v_fmac_f32_e32 v6, v17, v0
	v_dot4_i32_iu8 v0, v5, v59, 0 neg_lo:[1,1,0]
	s_delay_alu instid0(VALU_DEP_3) | instskip(NEXT) | instid1(VALU_DEP_3)
	v_dot4_i32_iu8 v1, v3, v48, v1 neg_lo:[1,1,0]
	v_fmac_f32_e32 v104, v187, v6
	s_delay_alu instid0(VALU_DEP_3) | instskip(NEXT) | instid1(VALU_DEP_1)
	v_dot4_i32_iu8 v0, v70, v67, v0 neg_lo:[1,1,0]
	v_dot4_i32_iu8 v0, v13, v217, v0 neg_lo:[1,1,0]
	s_delay_alu instid0(VALU_DEP_1) | instskip(SKIP_1) | instid1(VALU_DEP_1)
	v_dot4_i32_iu8 v6, v15, v60, v0 neg_lo:[1,1,0]
	v_dot4_i32_iu8 v0, v14, v61, 0 neg_lo:[1,1,0]
	;; [unrolled: 1-line block ×3, first 2 shown]
	s_delay_alu instid0(VALU_DEP_1) | instskip(NEXT) | instid1(VALU_DEP_1)
	v_dot4_i32_iu8 v0, v9, v218, v0 neg_lo:[1,1,0]
	v_dot4_i32_iu8 v10, v11, v62, v0 neg_lo:[1,1,0]
	;; [unrolled: 1-line block ×3, first 2 shown]
	s_delay_alu instid0(VALU_DEP_1) | instskip(NEXT) | instid1(VALU_DEP_1)
	v_dot4_i32_iu8 v0, v45, v198, v0 neg_lo:[1,1,0]
	v_dot4_i32_iu8 v0, v72, v199, v0 neg_lo:[1,1,0]
	s_delay_alu instid0(VALU_DEP_1) | instskip(NEXT) | instid1(VALU_DEP_1)
	v_dot4_i32_iu8 v0, v7, v50, v0 neg_lo:[1,1,0]
	v_mul_lo_u32 v0, v0, v200
	s_delay_alu instid0(VALU_DEP_1) | instskip(NEXT) | instid1(VALU_DEP_1)
	v_mad_co_u64_u32 v[0:1], null, v1, v203, v[0:1]
	v_cvt_f32_i32_e32 v0, v0
	s_delay_alu instid0(VALU_DEP_1) | instskip(SKIP_1) | instid1(VALU_DEP_1)
	v_fma_f32 v12, v16, v0, 0
	v_mul_lo_u32 v0, v6, v205
	v_mad_co_u64_u32 v[0:1], null, v10, v204, v[0:1]
	v_dot4_i32_iu8 v1, v2, v37, 0 neg_lo:[1,1,0]
	s_delay_alu instid0(VALU_DEP_1) | instskip(NEXT) | instid1(VALU_DEP_3)
	v_dot4_i32_iu8 v1, v76, v194, v1 neg_lo:[1,1,0]
	v_cvt_f32_i32_e32 v0, v0
	s_delay_alu instid0(VALU_DEP_2) | instskip(NEXT) | instid1(VALU_DEP_2)
	v_dot4_i32_iu8 v1, v114, v193, v1 neg_lo:[1,1,0]
	v_fmac_f32_e32 v12, v17, v0
	v_dot4_i32_iu8 v0, v5, v51, 0 neg_lo:[1,1,0]
	s_delay_alu instid0(VALU_DEP_3) | instskip(NEXT) | instid1(VALU_DEP_3)
	v_dot4_i32_iu8 v1, v3, v38, v1 neg_lo:[1,1,0]
	v_fmac_f32_e32 v103, v188, v12
	s_delay_alu instid0(VALU_DEP_3) | instskip(NEXT) | instid1(VALU_DEP_1)
	v_dot4_i32_iu8 v0, v70, v53, v0 neg_lo:[1,1,0]
	v_dot4_i32_iu8 v0, v13, v211, v0 neg_lo:[1,1,0]
	s_delay_alu instid0(VALU_DEP_1) | instskip(SKIP_1) | instid1(VALU_DEP_1)
	v_dot4_i32_iu8 v5, v15, v56, v0 neg_lo:[1,1,0]
	v_dot4_i32_iu8 v0, v14, v55, 0 neg_lo:[1,1,0]
	;; [unrolled: 1-line block ×3, first 2 shown]
	s_delay_alu instid0(VALU_DEP_1) | instskip(NEXT) | instid1(VALU_DEP_1)
	v_dot4_i32_iu8 v0, v9, v216, v0 neg_lo:[1,1,0]
	v_dot4_i32_iu8 v6, v11, v58, v0 neg_lo:[1,1,0]
	;; [unrolled: 1-line block ×3, first 2 shown]
	s_delay_alu instid0(VALU_DEP_1) | instskip(NEXT) | instid1(VALU_DEP_1)
	v_dot4_i32_iu8 v0, v45, v197, v0 neg_lo:[1,1,0]
	v_dot4_i32_iu8 v0, v72, v196, v0 neg_lo:[1,1,0]
	s_delay_alu instid0(VALU_DEP_1) | instskip(NEXT) | instid1(VALU_DEP_1)
	v_dot4_i32_iu8 v0, v7, v46, v0 neg_lo:[1,1,0]
	v_mul_lo_u32 v0, v0, v195
	s_delay_alu instid0(VALU_DEP_1) | instskip(NEXT) | instid1(VALU_DEP_1)
	v_mad_co_u64_u32 v[0:1], null, v1, v191, v[0:1]
	v_cvt_f32_i32_e32 v0, v0
	s_delay_alu instid0(VALU_DEP_1) | instskip(SKIP_1) | instid1(VALU_DEP_1)
	v_fma_f32 v2, v16, v0, 0
	v_mul_lo_u32 v0, v5, v192
	v_mad_co_u64_u32 v[0:1], null, v6, v190, v[0:1]
	s_delay_alu instid0(VALU_DEP_1) | instskip(NEXT) | instid1(VALU_DEP_1)
	v_cvt_f32_i32_e32 v0, v0
	v_fmac_f32_e32 v2, v17, v0
	v_or_b32_e32 v0, s11, v160
	s_delay_alu instid0(VALU_DEP_2) | instskip(NEXT) | instid1(VALU_DEP_2)
	v_fmac_f32_e32 v102, v189, v2
	v_lshlrev_b32_e32 v12, 2, v0
	v_lshrrev_b32_e32 v16, 1, v0
	ds_load_b128 v[0:3], v12 offset:33280
	ds_load_b128 v[4:7], v12 offset:33296
	;; [unrolled: 1-line block ×4, first 2 shown]
	ds_load_b64 v[16:17], v16 offset:43584
	s_wait_dscnt 0x4
	v_perm_b32 v76, v1, v0, 0x6040503
	s_wait_dscnt 0x3
	v_perm_b32 v72, v6, v5, 0x7060403
	s_wait_dscnt 0x2
	v_bfe_i32 v18, v10, 8, 8
	v_bfe_i32 v19, v8, 8, 8
	;; [unrolled: 1-line block ×3, first 2 shown]
	v_ashrrev_i32_e32 v45, 24, v10
	s_wait_dscnt 0x1
	v_perm_b32 v70, v14, v14, 0xc0c0c01
	v_mul_i32_i24_e32 v18, v18, v225
	v_perm_b32 v114, v2, v1, 0x7060403
	v_mul_i32_i24_e32 v44, v227, v44
	v_mul_i32_i24_e32 v45, v226, v45
	v_perm_b32 v69, v12, v68, 0x6040503
	v_mad_i32_i24 v18, v228, v19, v18
	v_perm_b32 v19, v9, v8, 0x5030200
	v_or_b32_e32 v70, v234, v70
	s_delay_alu instid0(VALU_DEP_2) | instskip(SKIP_1) | instid1(VALU_DEP_3)
	v_dot4_i32_iu8 v18, v237, v19, v18 neg_lo:[1,1,0]
	v_perm_b32 v19, v10, v9, 0x4030200
	v_dot4_i32_iu8 v69, v70, v69, 0 neg_lo:[1,1,0]
	v_perm_b32 v70, v13, v12, 0x6040503
	v_perm_b32 v13, v14, v13, 0x7060403
	s_delay_alu instid0(VALU_DEP_4) | instskip(SKIP_1) | instid1(VALU_DEP_4)
	v_dot4_i32_iu8 v18, v238, v19, v18 neg_lo:[1,1,0]
	v_perm_b32 v19, v11, v11, 0x3020001
	v_dot4_i32_iu8 v69, v70, v235, v69 neg_lo:[1,1,0]
	s_delay_alu instid0(VALU_DEP_3) | instskip(SKIP_1) | instid1(VALU_DEP_3)
	v_add3_u32 v18, v18, v44, v45
	v_perm_b32 v45, v5, v4, 0x6040503
	v_dot4_i32_iu8 v69, v236, v13, v69 neg_lo:[1,1,0]
	s_delay_alu instid0(VALU_DEP_3) | instskip(SKIP_2) | instid1(VALU_DEP_4)
	v_dot4_i32_iu8 v44, v239, v19, v18 neg_lo:[1,1,0]
	v_perm_b32 v18, v4, v39, 0x6050401
	v_perm_b32 v19, v43, v6, 0x6050401
	v_dot4_i32_iu8 v69, v224, v15, v69 neg_lo:[1,1,0]
	v_perm_b32 v4, v4, v6, 0x6050401
	s_delay_alu instid0(VALU_DEP_3) | instskip(SKIP_1) | instid1(VALU_DEP_2)
	v_dot4_i32_iu8 v18, v19, v18, 0 neg_lo:[1,1,0]
	v_perm_b32 v19, v41, v2, 0x6050401
	v_dot4_i32_iu8 v18, v229, v45, v18 neg_lo:[1,1,0]
	s_delay_alu instid0(VALU_DEP_1) | instskip(SKIP_1) | instid1(VALU_DEP_2)
	v_dot4_i32_iu8 v5, v230, v72, v18 neg_lo:[1,1,0]
	v_perm_b32 v18, v0, v35, 0x6050401
	v_dot4_i32_iu8 v5, v7, v40, v5 neg_lo:[1,1,0]
	s_delay_alu instid0(VALU_DEP_2) | instskip(NEXT) | instid1(VALU_DEP_2)
	v_dot4_i32_iu8 v18, v19, v18, 0 neg_lo:[1,1,0]
	v_mul_lo_u32 v5, v5, v209
	s_delay_alu instid0(VALU_DEP_2) | instskip(NEXT) | instid1(VALU_DEP_1)
	v_dot4_i32_iu8 v18, v231, v76, v18 neg_lo:[1,1,0]
	v_dot4_i32_iu8 v1, v232, v114, v18 neg_lo:[1,1,0]
	s_delay_alu instid0(VALU_DEP_1) | instskip(NEXT) | instid1(VALU_DEP_1)
	v_dot4_i32_iu8 v1, v3, v36, v1 neg_lo:[1,1,0]
	v_mad_co_u64_u32 v[18:19], null, v1, v219, v[5:6]
	s_delay_alu instid0(VALU_DEP_1) | instskip(SKIP_1) | instid1(VALU_DEP_1)
	v_cvt_f32_i32_e32 v1, v18
	s_wait_dscnt 0x0
	v_fma_f32 v5, v16, v1, 0
	v_mul_lo_u32 v1, v69, v221
	s_delay_alu instid0(VALU_DEP_1) | instskip(SKIP_1) | instid1(VALU_DEP_1)
	v_mad_co_u64_u32 v[18:19], null, v44, v220, v[1:2]
	v_perm_b32 v2, v0, v2, 0x6050401
	v_dot4_i32_iu8 v0, v2, v65, 0 neg_lo:[1,1,0]
	s_delay_alu instid0(VALU_DEP_3) | instskip(NEXT) | instid1(VALU_DEP_2)
	v_cvt_f32_i32_e32 v1, v18
	v_dot4_i32_iu8 v0, v76, v210, v0 neg_lo:[1,1,0]
	s_delay_alu instid0(VALU_DEP_2) | instskip(NEXT) | instid1(VALU_DEP_2)
	v_fmac_f32_e32 v5, v17, v1
	v_dot4_i32_iu8 v0, v114, v212, v0 neg_lo:[1,1,0]
	s_delay_alu instid0(VALU_DEP_2)
	v_fmac_f32_e32 v101, v78, v5
	v_perm_b32 v5, v12, v14, 0x6040501
	v_perm_b32 v14, v8, v10, 0x6040501
	;; [unrolled: 1-line block ×4, first 2 shown]
	v_dot4_i32_iu8 v0, v3, v52, v0 neg_lo:[1,1,0]
	v_dot4_i32_iu8 v1, v5, v233, 0 neg_lo:[1,1,0]
	s_delay_alu instid0(VALU_DEP_1) | instskip(NEXT) | instid1(VALU_DEP_1)
	v_dot4_i32_iu8 v1, v70, v73, v1 neg_lo:[1,1,0]
	v_dot4_i32_iu8 v1, v13, v222, v1 neg_lo:[1,1,0]
	s_delay_alu instid0(VALU_DEP_1) | instskip(SKIP_1) | instid1(VALU_DEP_1)
	v_dot4_i32_iu8 v12, v15, v64, v1 neg_lo:[1,1,0]
	v_dot4_i32_iu8 v1, v14, v74, 0 neg_lo:[1,1,0]
	;; [unrolled: 1-line block ×3, first 2 shown]
	s_delay_alu instid0(VALU_DEP_1) | instskip(NEXT) | instid1(VALU_DEP_1)
	v_dot4_i32_iu8 v1, v9, v223, v1 neg_lo:[1,1,0]
	v_dot4_i32_iu8 v10, v11, v66, v1 neg_lo:[1,1,0]
	;; [unrolled: 1-line block ×3, first 2 shown]
	s_delay_alu instid0(VALU_DEP_1) | instskip(NEXT) | instid1(VALU_DEP_1)
	v_dot4_i32_iu8 v1, v45, v206, v1 neg_lo:[1,1,0]
	v_dot4_i32_iu8 v1, v72, v207, v1 neg_lo:[1,1,0]
	s_delay_alu instid0(VALU_DEP_1) | instskip(NEXT) | instid1(VALU_DEP_1)
	v_dot4_i32_iu8 v1, v7, v54, v1 neg_lo:[1,1,0]
	v_mul_lo_u32 v1, v1, v208
	s_delay_alu instid0(VALU_DEP_1) | instskip(NEXT) | instid1(VALU_DEP_1)
	v_mad_co_u64_u32 v[0:1], null, v0, v213, v[1:2]
	v_cvt_f32_i32_e32 v0, v0
	s_delay_alu instid0(VALU_DEP_1) | instskip(SKIP_1) | instid1(VALU_DEP_1)
	v_fma_f32 v6, v16, v0, 0
	v_mul_lo_u32 v0, v12, v215
	v_mad_co_u64_u32 v[0:1], null, v10, v214, v[0:1]
	v_dot4_i32_iu8 v1, v2, v47, 0 neg_lo:[1,1,0]
	s_delay_alu instid0(VALU_DEP_1) | instskip(NEXT) | instid1(VALU_DEP_3)
	v_dot4_i32_iu8 v1, v76, v201, v1 neg_lo:[1,1,0]
	v_cvt_f32_i32_e32 v0, v0
	s_delay_alu instid0(VALU_DEP_2) | instskip(NEXT) | instid1(VALU_DEP_2)
	v_dot4_i32_iu8 v1, v114, v202, v1 neg_lo:[1,1,0]
	v_fmac_f32_e32 v6, v17, v0
	v_dot4_i32_iu8 v0, v5, v59, 0 neg_lo:[1,1,0]
	s_delay_alu instid0(VALU_DEP_3) | instskip(NEXT) | instid1(VALU_DEP_3)
	v_dot4_i32_iu8 v1, v3, v48, v1 neg_lo:[1,1,0]
	v_fmac_f32_e32 v99, v187, v6
	s_delay_alu instid0(VALU_DEP_3) | instskip(NEXT) | instid1(VALU_DEP_1)
	v_dot4_i32_iu8 v0, v70, v67, v0 neg_lo:[1,1,0]
	v_dot4_i32_iu8 v0, v13, v217, v0 neg_lo:[1,1,0]
	s_delay_alu instid0(VALU_DEP_1) | instskip(SKIP_1) | instid1(VALU_DEP_1)
	v_dot4_i32_iu8 v6, v15, v60, v0 neg_lo:[1,1,0]
	v_dot4_i32_iu8 v0, v14, v61, 0 neg_lo:[1,1,0]
	;; [unrolled: 1-line block ×3, first 2 shown]
	s_delay_alu instid0(VALU_DEP_1) | instskip(NEXT) | instid1(VALU_DEP_1)
	v_dot4_i32_iu8 v0, v9, v218, v0 neg_lo:[1,1,0]
	v_dot4_i32_iu8 v10, v11, v62, v0 neg_lo:[1,1,0]
	;; [unrolled: 1-line block ×3, first 2 shown]
	s_delay_alu instid0(VALU_DEP_1) | instskip(NEXT) | instid1(VALU_DEP_1)
	v_dot4_i32_iu8 v0, v45, v198, v0 neg_lo:[1,1,0]
	v_dot4_i32_iu8 v0, v72, v199, v0 neg_lo:[1,1,0]
	s_delay_alu instid0(VALU_DEP_1) | instskip(NEXT) | instid1(VALU_DEP_1)
	v_dot4_i32_iu8 v0, v7, v50, v0 neg_lo:[1,1,0]
	v_mul_lo_u32 v0, v0, v200
	s_delay_alu instid0(VALU_DEP_1) | instskip(NEXT) | instid1(VALU_DEP_1)
	v_mad_co_u64_u32 v[0:1], null, v1, v203, v[0:1]
	v_cvt_f32_i32_e32 v0, v0
	s_delay_alu instid0(VALU_DEP_1) | instskip(SKIP_1) | instid1(VALU_DEP_1)
	v_fma_f32 v12, v16, v0, 0
	v_mul_lo_u32 v0, v6, v205
	v_mad_co_u64_u32 v[0:1], null, v10, v204, v[0:1]
	v_dot4_i32_iu8 v1, v2, v37, 0 neg_lo:[1,1,0]
	s_delay_alu instid0(VALU_DEP_1) | instskip(NEXT) | instid1(VALU_DEP_3)
	v_dot4_i32_iu8 v1, v76, v194, v1 neg_lo:[1,1,0]
	v_cvt_f32_i32_e32 v0, v0
	s_delay_alu instid0(VALU_DEP_2) | instskip(NEXT) | instid1(VALU_DEP_2)
	v_dot4_i32_iu8 v1, v114, v193, v1 neg_lo:[1,1,0]
	v_fmac_f32_e32 v12, v17, v0
	v_dot4_i32_iu8 v0, v5, v51, 0 neg_lo:[1,1,0]
	s_delay_alu instid0(VALU_DEP_3) | instskip(NEXT) | instid1(VALU_DEP_3)
	v_dot4_i32_iu8 v1, v3, v38, v1 neg_lo:[1,1,0]
	v_fmac_f32_e32 v98, v188, v12
	s_delay_alu instid0(VALU_DEP_3) | instskip(NEXT) | instid1(VALU_DEP_1)
	v_dot4_i32_iu8 v0, v70, v53, v0 neg_lo:[1,1,0]
	v_dot4_i32_iu8 v0, v13, v211, v0 neg_lo:[1,1,0]
	s_delay_alu instid0(VALU_DEP_1) | instskip(SKIP_1) | instid1(VALU_DEP_1)
	v_dot4_i32_iu8 v5, v15, v56, v0 neg_lo:[1,1,0]
	v_dot4_i32_iu8 v0, v14, v55, 0 neg_lo:[1,1,0]
	;; [unrolled: 1-line block ×3, first 2 shown]
	s_delay_alu instid0(VALU_DEP_1) | instskip(NEXT) | instid1(VALU_DEP_1)
	v_dot4_i32_iu8 v0, v9, v216, v0 neg_lo:[1,1,0]
	v_dot4_i32_iu8 v6, v11, v58, v0 neg_lo:[1,1,0]
	;; [unrolled: 1-line block ×3, first 2 shown]
	s_delay_alu instid0(VALU_DEP_1) | instskip(NEXT) | instid1(VALU_DEP_1)
	v_dot4_i32_iu8 v0, v45, v197, v0 neg_lo:[1,1,0]
	v_dot4_i32_iu8 v0, v72, v196, v0 neg_lo:[1,1,0]
	s_delay_alu instid0(VALU_DEP_1) | instskip(NEXT) | instid1(VALU_DEP_1)
	v_dot4_i32_iu8 v0, v7, v46, v0 neg_lo:[1,1,0]
	v_mul_lo_u32 v0, v0, v195
	s_delay_alu instid0(VALU_DEP_1) | instskip(NEXT) | instid1(VALU_DEP_1)
	v_mad_co_u64_u32 v[0:1], null, v1, v191, v[0:1]
	v_cvt_f32_i32_e32 v0, v0
	s_delay_alu instid0(VALU_DEP_1) | instskip(SKIP_1) | instid1(VALU_DEP_1)
	v_fma_f32 v2, v16, v0, 0
	v_mul_lo_u32 v0, v5, v192
	v_mad_co_u64_u32 v[0:1], null, v6, v190, v[0:1]
	s_delay_alu instid0(VALU_DEP_1) | instskip(NEXT) | instid1(VALU_DEP_1)
	v_cvt_f32_i32_e32 v0, v0
	v_fmac_f32_e32 v2, v17, v0
	v_or_b32_e32 v0, s11, v161
	s_delay_alu instid0(VALU_DEP_1)
	v_dual_fmac_f32 v95, v189, v2 :: v_dual_lshlrev_b32 v12, 2, v0
	v_lshrrev_b32_e32 v16, 1, v0
	ds_load_b128 v[0:3], v12 offset:33280
	ds_load_b128 v[4:7], v12 offset:33296
	;; [unrolled: 1-line block ×4, first 2 shown]
	ds_load_b64 v[16:17], v16 offset:43584
	s_wait_dscnt 0x4
	v_perm_b32 v76, v1, v0, 0x6040503
	s_wait_dscnt 0x3
	v_perm_b32 v72, v6, v5, 0x7060403
	s_wait_dscnt 0x2
	v_bfe_i32 v18, v10, 8, 8
	v_bfe_i32 v19, v8, 8, 8
	;; [unrolled: 1-line block ×3, first 2 shown]
	v_ashrrev_i32_e32 v45, 24, v10
	s_wait_dscnt 0x1
	v_perm_b32 v70, v14, v14, 0xc0c0c01
	v_mul_i32_i24_e32 v18, v18, v225
	v_perm_b32 v114, v2, v1, 0x7060403
	v_mul_i32_i24_e32 v44, v227, v44
	v_mul_i32_i24_e32 v45, v226, v45
	v_perm_b32 v69, v12, v68, 0x6040503
	v_mad_i32_i24 v18, v228, v19, v18
	v_perm_b32 v19, v9, v8, 0x5030200
	v_or_b32_e32 v70, v234, v70
	s_delay_alu instid0(VALU_DEP_2) | instskip(SKIP_1) | instid1(VALU_DEP_3)
	v_dot4_i32_iu8 v18, v237, v19, v18 neg_lo:[1,1,0]
	v_perm_b32 v19, v10, v9, 0x4030200
	v_dot4_i32_iu8 v69, v70, v69, 0 neg_lo:[1,1,0]
	v_perm_b32 v70, v13, v12, 0x6040503
	v_perm_b32 v13, v14, v13, 0x7060403
	s_delay_alu instid0(VALU_DEP_4) | instskip(SKIP_1) | instid1(VALU_DEP_4)
	v_dot4_i32_iu8 v18, v238, v19, v18 neg_lo:[1,1,0]
	v_perm_b32 v19, v11, v11, 0x3020001
	v_dot4_i32_iu8 v69, v70, v235, v69 neg_lo:[1,1,0]
	s_delay_alu instid0(VALU_DEP_3) | instskip(SKIP_1) | instid1(VALU_DEP_3)
	v_add3_u32 v18, v18, v44, v45
	v_perm_b32 v45, v5, v4, 0x6040503
	v_dot4_i32_iu8 v69, v236, v13, v69 neg_lo:[1,1,0]
	s_delay_alu instid0(VALU_DEP_3) | instskip(SKIP_2) | instid1(VALU_DEP_4)
	v_dot4_i32_iu8 v44, v239, v19, v18 neg_lo:[1,1,0]
	v_perm_b32 v18, v4, v39, 0x6050401
	v_perm_b32 v19, v43, v6, 0x6050401
	v_dot4_i32_iu8 v69, v224, v15, v69 neg_lo:[1,1,0]
	v_perm_b32 v4, v4, v6, 0x6050401
	s_delay_alu instid0(VALU_DEP_3) | instskip(SKIP_1) | instid1(VALU_DEP_2)
	v_dot4_i32_iu8 v18, v19, v18, 0 neg_lo:[1,1,0]
	v_perm_b32 v19, v41, v2, 0x6050401
	v_dot4_i32_iu8 v18, v229, v45, v18 neg_lo:[1,1,0]
	s_delay_alu instid0(VALU_DEP_1) | instskip(SKIP_1) | instid1(VALU_DEP_2)
	v_dot4_i32_iu8 v5, v230, v72, v18 neg_lo:[1,1,0]
	v_perm_b32 v18, v0, v35, 0x6050401
	v_dot4_i32_iu8 v5, v7, v40, v5 neg_lo:[1,1,0]
	s_delay_alu instid0(VALU_DEP_2) | instskip(NEXT) | instid1(VALU_DEP_2)
	v_dot4_i32_iu8 v18, v19, v18, 0 neg_lo:[1,1,0]
	v_mul_lo_u32 v5, v5, v209
	s_delay_alu instid0(VALU_DEP_2) | instskip(NEXT) | instid1(VALU_DEP_1)
	v_dot4_i32_iu8 v18, v231, v76, v18 neg_lo:[1,1,0]
	v_dot4_i32_iu8 v1, v232, v114, v18 neg_lo:[1,1,0]
	s_delay_alu instid0(VALU_DEP_1) | instskip(NEXT) | instid1(VALU_DEP_1)
	v_dot4_i32_iu8 v1, v3, v36, v1 neg_lo:[1,1,0]
	v_mad_co_u64_u32 v[18:19], null, v1, v219, v[5:6]
	s_delay_alu instid0(VALU_DEP_1) | instskip(SKIP_1) | instid1(VALU_DEP_1)
	v_cvt_f32_i32_e32 v1, v18
	s_wait_dscnt 0x0
	v_fma_f32 v5, v16, v1, 0
	v_mul_lo_u32 v1, v69, v221
	s_delay_alu instid0(VALU_DEP_1) | instskip(SKIP_1) | instid1(VALU_DEP_1)
	v_mad_co_u64_u32 v[18:19], null, v44, v220, v[1:2]
	v_perm_b32 v2, v0, v2, 0x6050401
	v_dot4_i32_iu8 v0, v2, v65, 0 neg_lo:[1,1,0]
	s_delay_alu instid0(VALU_DEP_3) | instskip(NEXT) | instid1(VALU_DEP_2)
	v_cvt_f32_i32_e32 v1, v18
	v_dot4_i32_iu8 v0, v76, v210, v0 neg_lo:[1,1,0]
	s_delay_alu instid0(VALU_DEP_2) | instskip(NEXT) | instid1(VALU_DEP_2)
	v_fmac_f32_e32 v5, v17, v1
	v_dot4_i32_iu8 v0, v114, v212, v0 neg_lo:[1,1,0]
	s_delay_alu instid0(VALU_DEP_2)
	v_fmac_f32_e32 v94, v78, v5
	v_perm_b32 v5, v12, v14, 0x6040501
	v_perm_b32 v14, v8, v10, 0x6040501
	;; [unrolled: 1-line block ×4, first 2 shown]
	v_dot4_i32_iu8 v0, v3, v52, v0 neg_lo:[1,1,0]
	v_dot4_i32_iu8 v1, v5, v233, 0 neg_lo:[1,1,0]
	s_delay_alu instid0(VALU_DEP_1) | instskip(NEXT) | instid1(VALU_DEP_1)
	v_dot4_i32_iu8 v1, v70, v73, v1 neg_lo:[1,1,0]
	v_dot4_i32_iu8 v1, v13, v222, v1 neg_lo:[1,1,0]
	s_delay_alu instid0(VALU_DEP_1) | instskip(SKIP_1) | instid1(VALU_DEP_1)
	v_dot4_i32_iu8 v12, v15, v64, v1 neg_lo:[1,1,0]
	v_dot4_i32_iu8 v1, v14, v74, 0 neg_lo:[1,1,0]
	;; [unrolled: 1-line block ×3, first 2 shown]
	s_delay_alu instid0(VALU_DEP_1) | instskip(NEXT) | instid1(VALU_DEP_1)
	v_dot4_i32_iu8 v1, v9, v223, v1 neg_lo:[1,1,0]
	v_dot4_i32_iu8 v10, v11, v66, v1 neg_lo:[1,1,0]
	;; [unrolled: 1-line block ×3, first 2 shown]
	s_delay_alu instid0(VALU_DEP_1) | instskip(NEXT) | instid1(VALU_DEP_1)
	v_dot4_i32_iu8 v1, v45, v206, v1 neg_lo:[1,1,0]
	v_dot4_i32_iu8 v1, v72, v207, v1 neg_lo:[1,1,0]
	s_delay_alu instid0(VALU_DEP_1) | instskip(NEXT) | instid1(VALU_DEP_1)
	v_dot4_i32_iu8 v1, v7, v54, v1 neg_lo:[1,1,0]
	v_mul_lo_u32 v1, v1, v208
	s_delay_alu instid0(VALU_DEP_1) | instskip(NEXT) | instid1(VALU_DEP_1)
	v_mad_co_u64_u32 v[0:1], null, v0, v213, v[1:2]
	v_cvt_f32_i32_e32 v0, v0
	s_delay_alu instid0(VALU_DEP_1) | instskip(SKIP_1) | instid1(VALU_DEP_1)
	v_fma_f32 v6, v16, v0, 0
	v_mul_lo_u32 v0, v12, v215
	v_mad_co_u64_u32 v[0:1], null, v10, v214, v[0:1]
	v_dot4_i32_iu8 v1, v2, v47, 0 neg_lo:[1,1,0]
	s_delay_alu instid0(VALU_DEP_1) | instskip(NEXT) | instid1(VALU_DEP_3)
	v_dot4_i32_iu8 v1, v76, v201, v1 neg_lo:[1,1,0]
	v_cvt_f32_i32_e32 v0, v0
	s_delay_alu instid0(VALU_DEP_2) | instskip(NEXT) | instid1(VALU_DEP_2)
	v_dot4_i32_iu8 v1, v114, v202, v1 neg_lo:[1,1,0]
	v_fmac_f32_e32 v6, v17, v0
	v_dot4_i32_iu8 v0, v5, v59, 0 neg_lo:[1,1,0]
	s_delay_alu instid0(VALU_DEP_3) | instskip(NEXT) | instid1(VALU_DEP_3)
	v_dot4_i32_iu8 v1, v3, v48, v1 neg_lo:[1,1,0]
	v_fmac_f32_e32 v93, v187, v6
	s_delay_alu instid0(VALU_DEP_3) | instskip(NEXT) | instid1(VALU_DEP_1)
	v_dot4_i32_iu8 v0, v70, v67, v0 neg_lo:[1,1,0]
	v_dot4_i32_iu8 v0, v13, v217, v0 neg_lo:[1,1,0]
	s_delay_alu instid0(VALU_DEP_1) | instskip(SKIP_1) | instid1(VALU_DEP_1)
	v_dot4_i32_iu8 v6, v15, v60, v0 neg_lo:[1,1,0]
	v_dot4_i32_iu8 v0, v14, v61, 0 neg_lo:[1,1,0]
	;; [unrolled: 1-line block ×3, first 2 shown]
	s_delay_alu instid0(VALU_DEP_1) | instskip(NEXT) | instid1(VALU_DEP_1)
	v_dot4_i32_iu8 v0, v9, v218, v0 neg_lo:[1,1,0]
	v_dot4_i32_iu8 v10, v11, v62, v0 neg_lo:[1,1,0]
	;; [unrolled: 1-line block ×3, first 2 shown]
	s_delay_alu instid0(VALU_DEP_1) | instskip(NEXT) | instid1(VALU_DEP_1)
	v_dot4_i32_iu8 v0, v45, v198, v0 neg_lo:[1,1,0]
	v_dot4_i32_iu8 v0, v72, v199, v0 neg_lo:[1,1,0]
	s_delay_alu instid0(VALU_DEP_1) | instskip(NEXT) | instid1(VALU_DEP_1)
	v_dot4_i32_iu8 v0, v7, v50, v0 neg_lo:[1,1,0]
	v_mul_lo_u32 v0, v0, v200
	s_delay_alu instid0(VALU_DEP_1) | instskip(NEXT) | instid1(VALU_DEP_1)
	v_mad_co_u64_u32 v[0:1], null, v1, v203, v[0:1]
	v_cvt_f32_i32_e32 v0, v0
	s_delay_alu instid0(VALU_DEP_1) | instskip(SKIP_1) | instid1(VALU_DEP_1)
	v_fma_f32 v12, v16, v0, 0
	v_mul_lo_u32 v0, v6, v205
	v_mad_co_u64_u32 v[0:1], null, v10, v204, v[0:1]
	v_dot4_i32_iu8 v1, v2, v37, 0 neg_lo:[1,1,0]
	s_delay_alu instid0(VALU_DEP_1) | instskip(NEXT) | instid1(VALU_DEP_3)
	v_dot4_i32_iu8 v1, v76, v194, v1 neg_lo:[1,1,0]
	v_cvt_f32_i32_e32 v0, v0
	s_delay_alu instid0(VALU_DEP_2) | instskip(NEXT) | instid1(VALU_DEP_2)
	v_dot4_i32_iu8 v1, v114, v193, v1 neg_lo:[1,1,0]
	v_fmac_f32_e32 v12, v17, v0
	v_dot4_i32_iu8 v0, v5, v51, 0 neg_lo:[1,1,0]
	s_delay_alu instid0(VALU_DEP_3) | instskip(NEXT) | instid1(VALU_DEP_3)
	v_dot4_i32_iu8 v1, v3, v38, v1 neg_lo:[1,1,0]
	v_fmac_f32_e32 v92, v188, v12
	s_delay_alu instid0(VALU_DEP_3) | instskip(NEXT) | instid1(VALU_DEP_1)
	v_dot4_i32_iu8 v0, v70, v53, v0 neg_lo:[1,1,0]
	v_dot4_i32_iu8 v0, v13, v211, v0 neg_lo:[1,1,0]
	s_delay_alu instid0(VALU_DEP_1) | instskip(SKIP_1) | instid1(VALU_DEP_1)
	v_dot4_i32_iu8 v5, v15, v56, v0 neg_lo:[1,1,0]
	v_dot4_i32_iu8 v0, v14, v55, 0 neg_lo:[1,1,0]
	;; [unrolled: 1-line block ×3, first 2 shown]
	s_delay_alu instid0(VALU_DEP_1) | instskip(NEXT) | instid1(VALU_DEP_1)
	v_dot4_i32_iu8 v0, v9, v216, v0 neg_lo:[1,1,0]
	v_dot4_i32_iu8 v6, v11, v58, v0 neg_lo:[1,1,0]
	;; [unrolled: 1-line block ×3, first 2 shown]
	s_delay_alu instid0(VALU_DEP_1) | instskip(NEXT) | instid1(VALU_DEP_1)
	v_dot4_i32_iu8 v0, v45, v197, v0 neg_lo:[1,1,0]
	v_dot4_i32_iu8 v0, v72, v196, v0 neg_lo:[1,1,0]
	s_delay_alu instid0(VALU_DEP_1) | instskip(NEXT) | instid1(VALU_DEP_1)
	v_dot4_i32_iu8 v0, v7, v46, v0 neg_lo:[1,1,0]
	v_mul_lo_u32 v0, v0, v195
	s_delay_alu instid0(VALU_DEP_1) | instskip(NEXT) | instid1(VALU_DEP_1)
	v_mad_co_u64_u32 v[0:1], null, v1, v191, v[0:1]
	v_cvt_f32_i32_e32 v0, v0
	s_delay_alu instid0(VALU_DEP_1) | instskip(SKIP_1) | instid1(VALU_DEP_1)
	v_fma_f32 v2, v16, v0, 0
	v_mul_lo_u32 v0, v5, v192
	v_mad_co_u64_u32 v[0:1], null, v6, v190, v[0:1]
	s_delay_alu instid0(VALU_DEP_1) | instskip(NEXT) | instid1(VALU_DEP_1)
	v_cvt_f32_i32_e32 v0, v0
	v_fmac_f32_e32 v2, v17, v0
	v_or_b32_e32 v0, s11, v162
	s_delay_alu instid0(VALU_DEP_1)
	v_dual_fmac_f32 v91, v189, v2 :: v_dual_lshlrev_b32 v12, 2, v0
	v_lshrrev_b32_e32 v16, 1, v0
	ds_load_b128 v[0:3], v12 offset:33280
	ds_load_b128 v[4:7], v12 offset:33296
	;; [unrolled: 1-line block ×4, first 2 shown]
	ds_load_b64 v[16:17], v16 offset:43584
	s_wait_dscnt 0x4
	v_perm_b32 v76, v1, v0, 0x6040503
	s_wait_dscnt 0x3
	v_perm_b32 v72, v6, v5, 0x7060403
	s_wait_dscnt 0x2
	v_bfe_i32 v18, v10, 8, 8
	v_bfe_i32 v19, v8, 8, 8
	;; [unrolled: 1-line block ×3, first 2 shown]
	v_ashrrev_i32_e32 v45, 24, v10
	s_wait_dscnt 0x1
	v_perm_b32 v70, v14, v14, 0xc0c0c01
	v_mul_i32_i24_e32 v18, v18, v225
	v_perm_b32 v114, v2, v1, 0x7060403
	v_mul_i32_i24_e32 v44, v227, v44
	v_mul_i32_i24_e32 v45, v226, v45
	v_perm_b32 v69, v12, v68, 0x6040503
	v_mad_i32_i24 v18, v228, v19, v18
	v_perm_b32 v19, v9, v8, 0x5030200
	v_or_b32_e32 v70, v234, v70
	s_delay_alu instid0(VALU_DEP_2) | instskip(SKIP_1) | instid1(VALU_DEP_3)
	v_dot4_i32_iu8 v18, v237, v19, v18 neg_lo:[1,1,0]
	v_perm_b32 v19, v10, v9, 0x4030200
	v_dot4_i32_iu8 v69, v70, v69, 0 neg_lo:[1,1,0]
	v_perm_b32 v70, v13, v12, 0x6040503
	v_perm_b32 v13, v14, v13, 0x7060403
	s_delay_alu instid0(VALU_DEP_4) | instskip(SKIP_1) | instid1(VALU_DEP_4)
	v_dot4_i32_iu8 v18, v238, v19, v18 neg_lo:[1,1,0]
	v_perm_b32 v19, v11, v11, 0x3020001
	v_dot4_i32_iu8 v69, v70, v235, v69 neg_lo:[1,1,0]
	s_delay_alu instid0(VALU_DEP_3) | instskip(SKIP_1) | instid1(VALU_DEP_3)
	v_add3_u32 v18, v18, v44, v45
	v_perm_b32 v45, v5, v4, 0x6040503
	v_dot4_i32_iu8 v69, v236, v13, v69 neg_lo:[1,1,0]
	s_delay_alu instid0(VALU_DEP_3) | instskip(SKIP_2) | instid1(VALU_DEP_4)
	v_dot4_i32_iu8 v44, v239, v19, v18 neg_lo:[1,1,0]
	v_perm_b32 v18, v4, v39, 0x6050401
	v_perm_b32 v19, v43, v6, 0x6050401
	v_dot4_i32_iu8 v69, v224, v15, v69 neg_lo:[1,1,0]
	v_perm_b32 v4, v4, v6, 0x6050401
	s_delay_alu instid0(VALU_DEP_3) | instskip(SKIP_1) | instid1(VALU_DEP_2)
	v_dot4_i32_iu8 v18, v19, v18, 0 neg_lo:[1,1,0]
	v_perm_b32 v19, v41, v2, 0x6050401
	v_dot4_i32_iu8 v18, v229, v45, v18 neg_lo:[1,1,0]
	s_delay_alu instid0(VALU_DEP_1) | instskip(SKIP_1) | instid1(VALU_DEP_2)
	v_dot4_i32_iu8 v5, v230, v72, v18 neg_lo:[1,1,0]
	v_perm_b32 v18, v0, v35, 0x6050401
	v_dot4_i32_iu8 v5, v7, v40, v5 neg_lo:[1,1,0]
	s_delay_alu instid0(VALU_DEP_2) | instskip(NEXT) | instid1(VALU_DEP_2)
	v_dot4_i32_iu8 v18, v19, v18, 0 neg_lo:[1,1,0]
	v_mul_lo_u32 v5, v5, v209
	s_delay_alu instid0(VALU_DEP_2) | instskip(NEXT) | instid1(VALU_DEP_1)
	v_dot4_i32_iu8 v18, v231, v76, v18 neg_lo:[1,1,0]
	v_dot4_i32_iu8 v1, v232, v114, v18 neg_lo:[1,1,0]
	s_delay_alu instid0(VALU_DEP_1) | instskip(NEXT) | instid1(VALU_DEP_1)
	v_dot4_i32_iu8 v1, v3, v36, v1 neg_lo:[1,1,0]
	v_mad_co_u64_u32 v[18:19], null, v1, v219, v[5:6]
	s_delay_alu instid0(VALU_DEP_1) | instskip(SKIP_1) | instid1(VALU_DEP_1)
	v_cvt_f32_i32_e32 v1, v18
	s_wait_dscnt 0x0
	v_fma_f32 v5, v16, v1, 0
	v_mul_lo_u32 v1, v69, v221
	s_delay_alu instid0(VALU_DEP_1) | instskip(SKIP_1) | instid1(VALU_DEP_1)
	v_mad_co_u64_u32 v[18:19], null, v44, v220, v[1:2]
	v_perm_b32 v2, v0, v2, 0x6050401
	v_dot4_i32_iu8 v0, v2, v65, 0 neg_lo:[1,1,0]
	s_delay_alu instid0(VALU_DEP_3) | instskip(NEXT) | instid1(VALU_DEP_2)
	v_cvt_f32_i32_e32 v1, v18
	v_dot4_i32_iu8 v0, v76, v210, v0 neg_lo:[1,1,0]
	s_delay_alu instid0(VALU_DEP_2) | instskip(NEXT) | instid1(VALU_DEP_2)
	v_fmac_f32_e32 v5, v17, v1
	v_dot4_i32_iu8 v0, v114, v212, v0 neg_lo:[1,1,0]
	s_delay_alu instid0(VALU_DEP_2)
	v_fmac_f32_e32 v90, v78, v5
	v_perm_b32 v5, v12, v14, 0x6040501
	v_perm_b32 v14, v8, v10, 0x6040501
	;; [unrolled: 1-line block ×4, first 2 shown]
	v_dot4_i32_iu8 v0, v3, v52, v0 neg_lo:[1,1,0]
	v_dot4_i32_iu8 v1, v5, v233, 0 neg_lo:[1,1,0]
	s_delay_alu instid0(VALU_DEP_1) | instskip(NEXT) | instid1(VALU_DEP_1)
	v_dot4_i32_iu8 v1, v70, v73, v1 neg_lo:[1,1,0]
	v_dot4_i32_iu8 v1, v13, v222, v1 neg_lo:[1,1,0]
	s_delay_alu instid0(VALU_DEP_1) | instskip(SKIP_1) | instid1(VALU_DEP_1)
	v_dot4_i32_iu8 v12, v15, v64, v1 neg_lo:[1,1,0]
	v_dot4_i32_iu8 v1, v14, v74, 0 neg_lo:[1,1,0]
	;; [unrolled: 1-line block ×3, first 2 shown]
	s_delay_alu instid0(VALU_DEP_1) | instskip(NEXT) | instid1(VALU_DEP_1)
	v_dot4_i32_iu8 v1, v9, v223, v1 neg_lo:[1,1,0]
	v_dot4_i32_iu8 v10, v11, v66, v1 neg_lo:[1,1,0]
	;; [unrolled: 1-line block ×3, first 2 shown]
	s_delay_alu instid0(VALU_DEP_1) | instskip(NEXT) | instid1(VALU_DEP_1)
	v_dot4_i32_iu8 v1, v45, v206, v1 neg_lo:[1,1,0]
	v_dot4_i32_iu8 v1, v72, v207, v1 neg_lo:[1,1,0]
	s_delay_alu instid0(VALU_DEP_1) | instskip(NEXT) | instid1(VALU_DEP_1)
	v_dot4_i32_iu8 v1, v7, v54, v1 neg_lo:[1,1,0]
	v_mul_lo_u32 v1, v1, v208
	s_delay_alu instid0(VALU_DEP_1) | instskip(NEXT) | instid1(VALU_DEP_1)
	v_mad_co_u64_u32 v[0:1], null, v0, v213, v[1:2]
	v_cvt_f32_i32_e32 v0, v0
	s_delay_alu instid0(VALU_DEP_1) | instskip(SKIP_1) | instid1(VALU_DEP_1)
	v_fma_f32 v6, v16, v0, 0
	v_mul_lo_u32 v0, v12, v215
	v_mad_co_u64_u32 v[0:1], null, v10, v214, v[0:1]
	v_dot4_i32_iu8 v1, v2, v47, 0 neg_lo:[1,1,0]
	s_delay_alu instid0(VALU_DEP_1) | instskip(NEXT) | instid1(VALU_DEP_3)
	v_dot4_i32_iu8 v1, v76, v201, v1 neg_lo:[1,1,0]
	v_cvt_f32_i32_e32 v0, v0
	s_delay_alu instid0(VALU_DEP_2) | instskip(NEXT) | instid1(VALU_DEP_2)
	v_dot4_i32_iu8 v1, v114, v202, v1 neg_lo:[1,1,0]
	v_fmac_f32_e32 v6, v17, v0
	v_dot4_i32_iu8 v0, v5, v59, 0 neg_lo:[1,1,0]
	s_delay_alu instid0(VALU_DEP_3) | instskip(NEXT) | instid1(VALU_DEP_3)
	v_dot4_i32_iu8 v1, v3, v48, v1 neg_lo:[1,1,0]
	v_fmac_f32_e32 v89, v187, v6
	s_delay_alu instid0(VALU_DEP_3) | instskip(NEXT) | instid1(VALU_DEP_1)
	v_dot4_i32_iu8 v0, v70, v67, v0 neg_lo:[1,1,0]
	v_dot4_i32_iu8 v0, v13, v217, v0 neg_lo:[1,1,0]
	s_delay_alu instid0(VALU_DEP_1) | instskip(SKIP_1) | instid1(VALU_DEP_1)
	v_dot4_i32_iu8 v6, v15, v60, v0 neg_lo:[1,1,0]
	v_dot4_i32_iu8 v0, v14, v61, 0 neg_lo:[1,1,0]
	;; [unrolled: 1-line block ×3, first 2 shown]
	s_delay_alu instid0(VALU_DEP_1) | instskip(NEXT) | instid1(VALU_DEP_1)
	v_dot4_i32_iu8 v0, v9, v218, v0 neg_lo:[1,1,0]
	v_dot4_i32_iu8 v10, v11, v62, v0 neg_lo:[1,1,0]
	;; [unrolled: 1-line block ×3, first 2 shown]
	s_delay_alu instid0(VALU_DEP_1) | instskip(NEXT) | instid1(VALU_DEP_1)
	v_dot4_i32_iu8 v0, v45, v198, v0 neg_lo:[1,1,0]
	v_dot4_i32_iu8 v0, v72, v199, v0 neg_lo:[1,1,0]
	s_delay_alu instid0(VALU_DEP_1) | instskip(NEXT) | instid1(VALU_DEP_1)
	v_dot4_i32_iu8 v0, v7, v50, v0 neg_lo:[1,1,0]
	v_mul_lo_u32 v0, v0, v200
	s_delay_alu instid0(VALU_DEP_1) | instskip(NEXT) | instid1(VALU_DEP_1)
	v_mad_co_u64_u32 v[0:1], null, v1, v203, v[0:1]
	v_cvt_f32_i32_e32 v0, v0
	s_delay_alu instid0(VALU_DEP_1) | instskip(SKIP_1) | instid1(VALU_DEP_1)
	v_fma_f32 v12, v16, v0, 0
	v_mul_lo_u32 v0, v6, v205
	v_mad_co_u64_u32 v[0:1], null, v10, v204, v[0:1]
	v_dot4_i32_iu8 v1, v2, v37, 0 neg_lo:[1,1,0]
	s_delay_alu instid0(VALU_DEP_1) | instskip(NEXT) | instid1(VALU_DEP_3)
	v_dot4_i32_iu8 v1, v76, v194, v1 neg_lo:[1,1,0]
	v_cvt_f32_i32_e32 v0, v0
	s_delay_alu instid0(VALU_DEP_2) | instskip(NEXT) | instid1(VALU_DEP_2)
	v_dot4_i32_iu8 v1, v114, v193, v1 neg_lo:[1,1,0]
	v_fmac_f32_e32 v12, v17, v0
	v_dot4_i32_iu8 v0, v5, v51, 0 neg_lo:[1,1,0]
	s_delay_alu instid0(VALU_DEP_3) | instskip(NEXT) | instid1(VALU_DEP_3)
	v_dot4_i32_iu8 v1, v3, v38, v1 neg_lo:[1,1,0]
	v_fmac_f32_e32 v88, v188, v12
	s_delay_alu instid0(VALU_DEP_3) | instskip(NEXT) | instid1(VALU_DEP_1)
	v_dot4_i32_iu8 v0, v70, v53, v0 neg_lo:[1,1,0]
	v_dot4_i32_iu8 v0, v13, v211, v0 neg_lo:[1,1,0]
	s_delay_alu instid0(VALU_DEP_1) | instskip(SKIP_1) | instid1(VALU_DEP_1)
	v_dot4_i32_iu8 v5, v15, v56, v0 neg_lo:[1,1,0]
	v_dot4_i32_iu8 v0, v14, v55, 0 neg_lo:[1,1,0]
	;; [unrolled: 1-line block ×3, first 2 shown]
	s_delay_alu instid0(VALU_DEP_1) | instskip(NEXT) | instid1(VALU_DEP_1)
	v_dot4_i32_iu8 v0, v9, v216, v0 neg_lo:[1,1,0]
	v_dot4_i32_iu8 v6, v11, v58, v0 neg_lo:[1,1,0]
	v_dot4_i32_iu8 v0, v4, v42, 0 neg_lo:[1,1,0]
	s_delay_alu instid0(VALU_DEP_1) | instskip(NEXT) | instid1(VALU_DEP_1)
	v_dot4_i32_iu8 v0, v45, v197, v0 neg_lo:[1,1,0]
	v_dot4_i32_iu8 v0, v72, v196, v0 neg_lo:[1,1,0]
	s_delay_alu instid0(VALU_DEP_1) | instskip(NEXT) | instid1(VALU_DEP_1)
	v_dot4_i32_iu8 v0, v7, v46, v0 neg_lo:[1,1,0]
	v_mul_lo_u32 v0, v0, v195
	s_delay_alu instid0(VALU_DEP_1) | instskip(NEXT) | instid1(VALU_DEP_1)
	v_mad_co_u64_u32 v[0:1], null, v1, v191, v[0:1]
	v_cvt_f32_i32_e32 v0, v0
	s_delay_alu instid0(VALU_DEP_1) | instskip(SKIP_1) | instid1(VALU_DEP_1)
	v_fma_f32 v2, v16, v0, 0
	v_mul_lo_u32 v0, v5, v192
	v_mad_co_u64_u32 v[0:1], null, v6, v190, v[0:1]
	s_delay_alu instid0(VALU_DEP_1) | instskip(NEXT) | instid1(VALU_DEP_1)
	v_cvt_f32_i32_e32 v0, v0
	v_fmac_f32_e32 v2, v17, v0
	v_or_b32_e32 v0, s11, v163
	s_delay_alu instid0(VALU_DEP_1)
	v_dual_fmac_f32 v87, v189, v2 :: v_dual_lshlrev_b32 v12, 2, v0
	v_lshrrev_b32_e32 v16, 1, v0
	ds_load_b128 v[0:3], v12 offset:33280
	ds_load_b128 v[4:7], v12 offset:33296
	;; [unrolled: 1-line block ×4, first 2 shown]
	ds_load_b64 v[16:17], v16 offset:43584
	s_wait_dscnt 0x4
	v_perm_b32 v76, v1, v0, 0x6040503
	s_wait_dscnt 0x3
	v_perm_b32 v72, v6, v5, 0x7060403
	s_wait_dscnt 0x2
	v_bfe_i32 v18, v10, 8, 8
	v_bfe_i32 v19, v8, 8, 8
	;; [unrolled: 1-line block ×3, first 2 shown]
	v_ashrrev_i32_e32 v45, 24, v10
	s_wait_dscnt 0x1
	v_perm_b32 v70, v14, v14, 0xc0c0c01
	v_mul_i32_i24_e32 v18, v18, v225
	v_perm_b32 v114, v2, v1, 0x7060403
	v_mul_i32_i24_e32 v44, v227, v44
	v_mul_i32_i24_e32 v45, v226, v45
	v_perm_b32 v69, v12, v68, 0x6040503
	v_mad_i32_i24 v18, v228, v19, v18
	v_perm_b32 v19, v9, v8, 0x5030200
	v_or_b32_e32 v70, v234, v70
	s_delay_alu instid0(VALU_DEP_2) | instskip(SKIP_1) | instid1(VALU_DEP_3)
	v_dot4_i32_iu8 v18, v237, v19, v18 neg_lo:[1,1,0]
	v_perm_b32 v19, v10, v9, 0x4030200
	v_dot4_i32_iu8 v69, v70, v69, 0 neg_lo:[1,1,0]
	v_perm_b32 v70, v13, v12, 0x6040503
	v_perm_b32 v13, v14, v13, 0x7060403
	s_delay_alu instid0(VALU_DEP_4) | instskip(SKIP_1) | instid1(VALU_DEP_4)
	v_dot4_i32_iu8 v18, v238, v19, v18 neg_lo:[1,1,0]
	v_perm_b32 v19, v11, v11, 0x3020001
	v_dot4_i32_iu8 v69, v70, v235, v69 neg_lo:[1,1,0]
	s_delay_alu instid0(VALU_DEP_3) | instskip(SKIP_1) | instid1(VALU_DEP_3)
	v_add3_u32 v18, v18, v44, v45
	v_perm_b32 v45, v5, v4, 0x6040503
	v_dot4_i32_iu8 v69, v236, v13, v69 neg_lo:[1,1,0]
	s_delay_alu instid0(VALU_DEP_3) | instskip(SKIP_2) | instid1(VALU_DEP_4)
	v_dot4_i32_iu8 v44, v239, v19, v18 neg_lo:[1,1,0]
	v_perm_b32 v18, v4, v39, 0x6050401
	v_perm_b32 v19, v43, v6, 0x6050401
	v_dot4_i32_iu8 v69, v224, v15, v69 neg_lo:[1,1,0]
	v_perm_b32 v4, v4, v6, 0x6050401
	s_delay_alu instid0(VALU_DEP_3) | instskip(SKIP_1) | instid1(VALU_DEP_2)
	v_dot4_i32_iu8 v18, v19, v18, 0 neg_lo:[1,1,0]
	v_perm_b32 v19, v41, v2, 0x6050401
	v_dot4_i32_iu8 v18, v229, v45, v18 neg_lo:[1,1,0]
	s_delay_alu instid0(VALU_DEP_1) | instskip(SKIP_1) | instid1(VALU_DEP_2)
	v_dot4_i32_iu8 v5, v230, v72, v18 neg_lo:[1,1,0]
	v_perm_b32 v18, v0, v35, 0x6050401
	v_dot4_i32_iu8 v5, v7, v40, v5 neg_lo:[1,1,0]
	s_delay_alu instid0(VALU_DEP_2) | instskip(NEXT) | instid1(VALU_DEP_2)
	v_dot4_i32_iu8 v18, v19, v18, 0 neg_lo:[1,1,0]
	v_mul_lo_u32 v5, v5, v209
	s_delay_alu instid0(VALU_DEP_2) | instskip(NEXT) | instid1(VALU_DEP_1)
	v_dot4_i32_iu8 v18, v231, v76, v18 neg_lo:[1,1,0]
	v_dot4_i32_iu8 v1, v232, v114, v18 neg_lo:[1,1,0]
	s_delay_alu instid0(VALU_DEP_1) | instskip(NEXT) | instid1(VALU_DEP_1)
	v_dot4_i32_iu8 v1, v3, v36, v1 neg_lo:[1,1,0]
	v_mad_co_u64_u32 v[18:19], null, v1, v219, v[5:6]
	s_delay_alu instid0(VALU_DEP_1) | instskip(SKIP_1) | instid1(VALU_DEP_1)
	v_cvt_f32_i32_e32 v1, v18
	s_wait_dscnt 0x0
	v_fma_f32 v5, v16, v1, 0
	v_mul_lo_u32 v1, v69, v221
	s_delay_alu instid0(VALU_DEP_1) | instskip(SKIP_1) | instid1(VALU_DEP_1)
	v_mad_co_u64_u32 v[18:19], null, v44, v220, v[1:2]
	v_perm_b32 v2, v0, v2, 0x6050401
	v_dot4_i32_iu8 v0, v2, v65, 0 neg_lo:[1,1,0]
	s_delay_alu instid0(VALU_DEP_3) | instskip(NEXT) | instid1(VALU_DEP_2)
	v_cvt_f32_i32_e32 v1, v18
	v_dot4_i32_iu8 v0, v76, v210, v0 neg_lo:[1,1,0]
	s_delay_alu instid0(VALU_DEP_2) | instskip(NEXT) | instid1(VALU_DEP_2)
	v_fmac_f32_e32 v5, v17, v1
	v_dot4_i32_iu8 v0, v114, v212, v0 neg_lo:[1,1,0]
	s_delay_alu instid0(VALU_DEP_2)
	v_fmac_f32_e32 v86, v78, v5
	v_perm_b32 v5, v12, v14, 0x6040501
	v_perm_b32 v14, v8, v10, 0x6040501
	;; [unrolled: 1-line block ×4, first 2 shown]
	v_dot4_i32_iu8 v0, v3, v52, v0 neg_lo:[1,1,0]
	v_dot4_i32_iu8 v1, v5, v233, 0 neg_lo:[1,1,0]
	s_delay_alu instid0(VALU_DEP_1) | instskip(NEXT) | instid1(VALU_DEP_1)
	v_dot4_i32_iu8 v1, v70, v73, v1 neg_lo:[1,1,0]
	v_dot4_i32_iu8 v1, v13, v222, v1 neg_lo:[1,1,0]
	s_delay_alu instid0(VALU_DEP_1) | instskip(SKIP_1) | instid1(VALU_DEP_1)
	v_dot4_i32_iu8 v12, v15, v64, v1 neg_lo:[1,1,0]
	v_dot4_i32_iu8 v1, v14, v74, 0 neg_lo:[1,1,0]
	;; [unrolled: 1-line block ×3, first 2 shown]
	s_delay_alu instid0(VALU_DEP_1) | instskip(NEXT) | instid1(VALU_DEP_1)
	v_dot4_i32_iu8 v1, v9, v223, v1 neg_lo:[1,1,0]
	v_dot4_i32_iu8 v10, v11, v66, v1 neg_lo:[1,1,0]
	;; [unrolled: 1-line block ×3, first 2 shown]
	s_delay_alu instid0(VALU_DEP_1) | instskip(NEXT) | instid1(VALU_DEP_1)
	v_dot4_i32_iu8 v1, v45, v206, v1 neg_lo:[1,1,0]
	v_dot4_i32_iu8 v1, v72, v207, v1 neg_lo:[1,1,0]
	s_delay_alu instid0(VALU_DEP_1) | instskip(NEXT) | instid1(VALU_DEP_1)
	v_dot4_i32_iu8 v1, v7, v54, v1 neg_lo:[1,1,0]
	v_mul_lo_u32 v1, v1, v208
	s_delay_alu instid0(VALU_DEP_1) | instskip(NEXT) | instid1(VALU_DEP_1)
	v_mad_co_u64_u32 v[0:1], null, v0, v213, v[1:2]
	v_cvt_f32_i32_e32 v0, v0
	s_delay_alu instid0(VALU_DEP_1) | instskip(SKIP_1) | instid1(VALU_DEP_1)
	v_fma_f32 v6, v16, v0, 0
	v_mul_lo_u32 v0, v12, v215
	v_mad_co_u64_u32 v[0:1], null, v10, v214, v[0:1]
	v_dot4_i32_iu8 v1, v2, v47, 0 neg_lo:[1,1,0]
	s_delay_alu instid0(VALU_DEP_1) | instskip(NEXT) | instid1(VALU_DEP_3)
	v_dot4_i32_iu8 v1, v76, v201, v1 neg_lo:[1,1,0]
	v_cvt_f32_i32_e32 v0, v0
	s_delay_alu instid0(VALU_DEP_2) | instskip(NEXT) | instid1(VALU_DEP_2)
	v_dot4_i32_iu8 v1, v114, v202, v1 neg_lo:[1,1,0]
	v_fmac_f32_e32 v6, v17, v0
	v_dot4_i32_iu8 v0, v5, v59, 0 neg_lo:[1,1,0]
	s_delay_alu instid0(VALU_DEP_3) | instskip(NEXT) | instid1(VALU_DEP_3)
	v_dot4_i32_iu8 v1, v3, v48, v1 neg_lo:[1,1,0]
	v_fmac_f32_e32 v85, v187, v6
	s_delay_alu instid0(VALU_DEP_3) | instskip(NEXT) | instid1(VALU_DEP_1)
	v_dot4_i32_iu8 v0, v70, v67, v0 neg_lo:[1,1,0]
	v_dot4_i32_iu8 v0, v13, v217, v0 neg_lo:[1,1,0]
	s_delay_alu instid0(VALU_DEP_1) | instskip(SKIP_1) | instid1(VALU_DEP_1)
	v_dot4_i32_iu8 v6, v15, v60, v0 neg_lo:[1,1,0]
	v_dot4_i32_iu8 v0, v14, v61, 0 neg_lo:[1,1,0]
	;; [unrolled: 1-line block ×3, first 2 shown]
	s_delay_alu instid0(VALU_DEP_1) | instskip(NEXT) | instid1(VALU_DEP_1)
	v_dot4_i32_iu8 v0, v9, v218, v0 neg_lo:[1,1,0]
	v_dot4_i32_iu8 v10, v11, v62, v0 neg_lo:[1,1,0]
	;; [unrolled: 1-line block ×3, first 2 shown]
	s_delay_alu instid0(VALU_DEP_1) | instskip(NEXT) | instid1(VALU_DEP_1)
	v_dot4_i32_iu8 v0, v45, v198, v0 neg_lo:[1,1,0]
	v_dot4_i32_iu8 v0, v72, v199, v0 neg_lo:[1,1,0]
	s_delay_alu instid0(VALU_DEP_1) | instskip(NEXT) | instid1(VALU_DEP_1)
	v_dot4_i32_iu8 v0, v7, v50, v0 neg_lo:[1,1,0]
	v_mul_lo_u32 v0, v0, v200
	s_delay_alu instid0(VALU_DEP_1) | instskip(NEXT) | instid1(VALU_DEP_1)
	v_mad_co_u64_u32 v[0:1], null, v1, v203, v[0:1]
	v_cvt_f32_i32_e32 v0, v0
	s_delay_alu instid0(VALU_DEP_1) | instskip(SKIP_1) | instid1(VALU_DEP_1)
	v_fma_f32 v12, v16, v0, 0
	v_mul_lo_u32 v0, v6, v205
	v_mad_co_u64_u32 v[0:1], null, v10, v204, v[0:1]
	v_dot4_i32_iu8 v1, v2, v37, 0 neg_lo:[1,1,0]
	s_delay_alu instid0(VALU_DEP_1) | instskip(NEXT) | instid1(VALU_DEP_3)
	v_dot4_i32_iu8 v1, v76, v194, v1 neg_lo:[1,1,0]
	v_cvt_f32_i32_e32 v0, v0
	s_delay_alu instid0(VALU_DEP_2) | instskip(NEXT) | instid1(VALU_DEP_2)
	v_dot4_i32_iu8 v1, v114, v193, v1 neg_lo:[1,1,0]
	v_fmac_f32_e32 v12, v17, v0
	v_dot4_i32_iu8 v0, v5, v51, 0 neg_lo:[1,1,0]
	s_delay_alu instid0(VALU_DEP_3) | instskip(NEXT) | instid1(VALU_DEP_3)
	v_dot4_i32_iu8 v1, v3, v38, v1 neg_lo:[1,1,0]
	v_fmac_f32_e32 v84, v188, v12
	s_delay_alu instid0(VALU_DEP_3) | instskip(NEXT) | instid1(VALU_DEP_1)
	v_dot4_i32_iu8 v0, v70, v53, v0 neg_lo:[1,1,0]
	v_dot4_i32_iu8 v0, v13, v211, v0 neg_lo:[1,1,0]
	s_delay_alu instid0(VALU_DEP_1) | instskip(SKIP_1) | instid1(VALU_DEP_1)
	v_dot4_i32_iu8 v5, v15, v56, v0 neg_lo:[1,1,0]
	v_dot4_i32_iu8 v0, v14, v55, 0 neg_lo:[1,1,0]
	v_dot4_i32_iu8 v0, v8, v57, v0 neg_lo:[1,1,0]
	s_delay_alu instid0(VALU_DEP_1) | instskip(NEXT) | instid1(VALU_DEP_1)
	v_dot4_i32_iu8 v0, v9, v216, v0 neg_lo:[1,1,0]
	v_dot4_i32_iu8 v6, v11, v58, v0 neg_lo:[1,1,0]
	;; [unrolled: 1-line block ×3, first 2 shown]
	s_delay_alu instid0(VALU_DEP_1) | instskip(NEXT) | instid1(VALU_DEP_1)
	v_dot4_i32_iu8 v0, v45, v197, v0 neg_lo:[1,1,0]
	v_dot4_i32_iu8 v0, v72, v196, v0 neg_lo:[1,1,0]
	s_delay_alu instid0(VALU_DEP_1) | instskip(NEXT) | instid1(VALU_DEP_1)
	v_dot4_i32_iu8 v0, v7, v46, v0 neg_lo:[1,1,0]
	v_mul_lo_u32 v0, v0, v195
	s_delay_alu instid0(VALU_DEP_1) | instskip(NEXT) | instid1(VALU_DEP_1)
	v_mad_co_u64_u32 v[0:1], null, v1, v191, v[0:1]
	v_cvt_f32_i32_e32 v0, v0
	s_delay_alu instid0(VALU_DEP_1) | instskip(SKIP_1) | instid1(VALU_DEP_1)
	v_fma_f32 v2, v16, v0, 0
	v_mul_lo_u32 v0, v5, v192
	v_mad_co_u64_u32 v[0:1], null, v6, v190, v[0:1]
	s_delay_alu instid0(VALU_DEP_1) | instskip(NEXT) | instid1(VALU_DEP_1)
	v_cvt_f32_i32_e32 v0, v0
	v_fmac_f32_e32 v2, v17, v0
	v_or_b32_e32 v0, s11, v164
	s_delay_alu instid0(VALU_DEP_1)
	v_dual_fmac_f32 v83, v189, v2 :: v_dual_lshlrev_b32 v12, 2, v0
	v_lshrrev_b32_e32 v16, 1, v0
	ds_load_b128 v[0:3], v12 offset:33280
	ds_load_b128 v[4:7], v12 offset:33296
	;; [unrolled: 1-line block ×4, first 2 shown]
	ds_load_b64 v[44:45], v16 offset:43584
	s_wait_dscnt 0x2
	v_bfe_i32 v16, v10, 8, 8
	v_bfe_i32 v17, v8, 8, 8
	;; [unrolled: 1-line block ×3, first 2 shown]
	v_ashrrev_i32_e32 v19, 24, v10
	s_wait_dscnt 0x1
	v_perm_b32 v69, v14, v14, 0xc0c0c01
	v_mul_i32_i24_e32 v16, v16, v225
	v_perm_b32 v68, v12, v68, 0x6040503
	v_mul_i32_i24_e32 v18, v227, v18
	v_mul_i32_i24_e32 v19, v226, v19
	v_or_b32_e32 v69, v234, v69
	v_mad_i32_i24 v16, v228, v17, v16
	v_perm_b32 v17, v9, v8, 0x5030200
	s_delay_alu instid0(VALU_DEP_3) | instskip(SKIP_1) | instid1(VALU_DEP_3)
	v_dot4_i32_iu8 v69, v69, v68, 0 neg_lo:[1,1,0]
	v_perm_b32 v68, v13, v12, 0x6040503
	v_dot4_i32_iu8 v16, v237, v17, v16 neg_lo:[1,1,0]
	v_perm_b32 v17, v10, v9, 0x4030200
	v_perm_b32 v13, v14, v13, 0x7060403
	s_delay_alu instid0(VALU_DEP_4) | instskip(NEXT) | instid1(VALU_DEP_3)
	v_dot4_i32_iu8 v69, v68, v235, v69 neg_lo:[1,1,0]
	v_dot4_i32_iu8 v16, v238, v17, v16 neg_lo:[1,1,0]
	v_perm_b32 v17, v11, v11, 0x3020001
	s_delay_alu instid0(VALU_DEP_3) | instskip(NEXT) | instid1(VALU_DEP_3)
	v_dot4_i32_iu8 v69, v236, v13, v69 neg_lo:[1,1,0]
	v_add3_u32 v16, v16, v18, v19
	v_perm_b32 v19, v5, v4, 0x6040503
	s_delay_alu instid0(VALU_DEP_3) | instskip(NEXT) | instid1(VALU_DEP_3)
	v_dot4_i32_iu8 v69, v224, v15, v69 neg_lo:[1,1,0]
	v_dot4_i32_iu8 v18, v239, v17, v16 neg_lo:[1,1,0]
	v_perm_b32 v16, v4, v39, 0x6050401
	v_perm_b32 v17, v43, v6, 0x6050401
	;; [unrolled: 1-line block ×4, first 2 shown]
	s_delay_alu instid0(VALU_DEP_3) | instskip(SKIP_1) | instid1(VALU_DEP_2)
	v_dot4_i32_iu8 v16, v17, v16, 0 neg_lo:[1,1,0]
	v_perm_b32 v17, v41, v2, 0x6050401
	v_dot4_i32_iu8 v16, v229, v19, v16 neg_lo:[1,1,0]
	s_delay_alu instid0(VALU_DEP_1) | instskip(SKIP_2) | instid1(VALU_DEP_3)
	v_dot4_i32_iu8 v5, v230, v39, v16 neg_lo:[1,1,0]
	v_perm_b32 v16, v0, v35, 0x6050401
	v_perm_b32 v35, v1, v0, 0x6040503
	v_dot4_i32_iu8 v5, v7, v40, v5 neg_lo:[1,1,0]
	s_delay_alu instid0(VALU_DEP_3) | instskip(SKIP_1) | instid1(VALU_DEP_3)
	v_dot4_i32_iu8 v16, v17, v16, 0 neg_lo:[1,1,0]
	v_perm_b32 v40, v2, v1, 0x7060403
	v_mul_lo_u32 v5, v5, v209
	s_delay_alu instid0(VALU_DEP_3) | instskip(NEXT) | instid1(VALU_DEP_1)
	v_dot4_i32_iu8 v16, v231, v35, v16 neg_lo:[1,1,0]
	v_dot4_i32_iu8 v1, v232, v40, v16 neg_lo:[1,1,0]
	s_delay_alu instid0(VALU_DEP_1) | instskip(NEXT) | instid1(VALU_DEP_1)
	v_dot4_i32_iu8 v1, v3, v36, v1 neg_lo:[1,1,0]
	v_mad_co_u64_u32 v[16:17], null, v1, v219, v[5:6]
	v_perm_b32 v6, v0, v2, 0x6050401
	s_delay_alu instid0(VALU_DEP_1) | instskip(NEXT) | instid1(VALU_DEP_3)
	v_dot4_i32_iu8 v0, v6, v65, 0 neg_lo:[1,1,0]
	v_cvt_f32_i32_e32 v1, v16
	s_delay_alu instid0(VALU_DEP_2) | instskip(SKIP_1) | instid1(VALU_DEP_2)
	v_dot4_i32_iu8 v0, v35, v210, v0 neg_lo:[1,1,0]
	s_wait_dscnt 0x0
	v_fma_f32 v5, v44, v1, 0
	v_mul_lo_u32 v1, v69, v221
	s_delay_alu instid0(VALU_DEP_3) | instskip(NEXT) | instid1(VALU_DEP_2)
	v_dot4_i32_iu8 v0, v40, v212, v0 neg_lo:[1,1,0]
	v_mad_co_u64_u32 v[16:17], null, v18, v220, v[1:2]
	s_delay_alu instid0(VALU_DEP_2) | instskip(NEXT) | instid1(VALU_DEP_2)
	v_dot4_i32_iu8 v0, v3, v52, v0 neg_lo:[1,1,0]
	v_cvt_f32_i32_e32 v1, v16
	s_delay_alu instid0(VALU_DEP_1) | instskip(NEXT) | instid1(VALU_DEP_1)
	v_fmac_f32_e32 v5, v45, v1
	v_fmac_f32_e32 v82, v78, v5
	v_perm_b32 v5, v12, v14, 0x6040501
	v_perm_b32 v14, v8, v10, 0x6040501
	;; [unrolled: 1-line block ×4, first 2 shown]
	s_delay_alu instid0(VALU_DEP_4) | instskip(NEXT) | instid1(VALU_DEP_1)
	v_dot4_i32_iu8 v1, v5, v233, 0 neg_lo:[1,1,0]
	v_dot4_i32_iu8 v1, v68, v73, v1 neg_lo:[1,1,0]
	s_delay_alu instid0(VALU_DEP_1) | instskip(NEXT) | instid1(VALU_DEP_1)
	v_dot4_i32_iu8 v1, v13, v222, v1 neg_lo:[1,1,0]
	v_dot4_i32_iu8 v12, v15, v64, v1 neg_lo:[1,1,0]
	;; [unrolled: 1-line block ×3, first 2 shown]
	s_delay_alu instid0(VALU_DEP_1) | instskip(NEXT) | instid1(VALU_DEP_1)
	v_dot4_i32_iu8 v1, v8, v75, v1 neg_lo:[1,1,0]
	v_dot4_i32_iu8 v1, v9, v223, v1 neg_lo:[1,1,0]
	s_delay_alu instid0(VALU_DEP_1) | instskip(SKIP_1) | instid1(VALU_DEP_1)
	v_dot4_i32_iu8 v10, v11, v66, v1 neg_lo:[1,1,0]
	v_dot4_i32_iu8 v1, v4, v63, 0 neg_lo:[1,1,0]
	;; [unrolled: 1-line block ×3, first 2 shown]
	s_delay_alu instid0(VALU_DEP_1) | instskip(NEXT) | instid1(VALU_DEP_1)
	v_dot4_i32_iu8 v1, v39, v207, v1 neg_lo:[1,1,0]
	v_dot4_i32_iu8 v1, v7, v54, v1 neg_lo:[1,1,0]
	s_delay_alu instid0(VALU_DEP_1) | instskip(NEXT) | instid1(VALU_DEP_1)
	v_mul_lo_u32 v1, v1, v208
	v_mad_co_u64_u32 v[0:1], null, v0, v213, v[1:2]
	s_delay_alu instid0(VALU_DEP_1) | instskip(NEXT) | instid1(VALU_DEP_1)
	v_cvt_f32_i32_e32 v0, v0
	v_fma_f32 v2, v44, v0, 0
	v_mul_lo_u32 v0, v12, v215
	s_delay_alu instid0(VALU_DEP_1) | instskip(SKIP_1) | instid1(VALU_DEP_1)
	v_mad_co_u64_u32 v[0:1], null, v10, v214, v[0:1]
	v_dot4_i32_iu8 v1, v6, v47, 0 neg_lo:[1,1,0]
	v_dot4_i32_iu8 v1, v35, v201, v1 neg_lo:[1,1,0]
	s_delay_alu instid0(VALU_DEP_3) | instskip(NEXT) | instid1(VALU_DEP_2)
	v_cvt_f32_i32_e32 v0, v0
	v_dot4_i32_iu8 v1, v40, v202, v1 neg_lo:[1,1,0]
	s_delay_alu instid0(VALU_DEP_2) | instskip(SKIP_1) | instid1(VALU_DEP_3)
	v_fmac_f32_e32 v2, v45, v0
	v_dot4_i32_iu8 v0, v5, v59, 0 neg_lo:[1,1,0]
	v_dot4_i32_iu8 v1, v3, v48, v1 neg_lo:[1,1,0]
	s_delay_alu instid0(VALU_DEP_3) | instskip(NEXT) | instid1(VALU_DEP_3)
	v_fmac_f32_e32 v81, v187, v2
	v_dot4_i32_iu8 v0, v68, v67, v0 neg_lo:[1,1,0]
	s_delay_alu instid0(VALU_DEP_1) | instskip(NEXT) | instid1(VALU_DEP_1)
	v_dot4_i32_iu8 v0, v13, v217, v0 neg_lo:[1,1,0]
	v_dot4_i32_iu8 v2, v15, v60, v0 neg_lo:[1,1,0]
	;; [unrolled: 1-line block ×3, first 2 shown]
	s_delay_alu instid0(VALU_DEP_1) | instskip(NEXT) | instid1(VALU_DEP_1)
	v_dot4_i32_iu8 v0, v8, v71, v0 neg_lo:[1,1,0]
	v_dot4_i32_iu8 v0, v9, v218, v0 neg_lo:[1,1,0]
	s_delay_alu instid0(VALU_DEP_1) | instskip(SKIP_1) | instid1(VALU_DEP_1)
	v_dot4_i32_iu8 v10, v11, v62, v0 neg_lo:[1,1,0]
	v_dot4_i32_iu8 v0, v4, v49, 0 neg_lo:[1,1,0]
	v_dot4_i32_iu8 v0, v19, v198, v0 neg_lo:[1,1,0]
	s_delay_alu instid0(VALU_DEP_1) | instskip(NEXT) | instid1(VALU_DEP_1)
	v_dot4_i32_iu8 v0, v39, v199, v0 neg_lo:[1,1,0]
	v_dot4_i32_iu8 v0, v7, v50, v0 neg_lo:[1,1,0]
	s_delay_alu instid0(VALU_DEP_1) | instskip(NEXT) | instid1(VALU_DEP_1)
	v_mul_lo_u32 v0, v0, v200
	v_mad_co_u64_u32 v[0:1], null, v1, v203, v[0:1]
	s_delay_alu instid0(VALU_DEP_1) | instskip(NEXT) | instid1(VALU_DEP_1)
	v_cvt_f32_i32_e32 v0, v0
	v_fma_f32 v12, v44, v0, 0
	v_mul_lo_u32 v0, v2, v205
	s_delay_alu instid0(VALU_DEP_1) | instskip(NEXT) | instid1(VALU_DEP_1)
	v_mad_co_u64_u32 v[0:1], null, v10, v204, v[0:1]
	v_cvt_f32_i32_e32 v0, v0
	s_delay_alu instid0(VALU_DEP_1) | instskip(SKIP_1) | instid1(VALU_DEP_2)
	v_fmac_f32_e32 v12, v45, v0
	v_dot4_i32_iu8 v0, v5, v51, 0 neg_lo:[1,1,0]
	v_fmac_f32_e32 v80, v188, v12
	s_delay_alu instid0(VALU_DEP_2) | instskip(NEXT) | instid1(VALU_DEP_1)
	v_dot4_i32_iu8 v0, v68, v53, v0 neg_lo:[1,1,0]
	v_dot4_i32_iu8 v0, v13, v211, v0 neg_lo:[1,1,0]
	s_delay_alu instid0(VALU_DEP_1) | instskip(SKIP_1) | instid1(VALU_DEP_1)
	v_dot4_i32_iu8 v1, v15, v56, v0 neg_lo:[1,1,0]
	v_dot4_i32_iu8 v0, v14, v55, 0 neg_lo:[1,1,0]
	;; [unrolled: 1-line block ×3, first 2 shown]
	s_delay_alu instid0(VALU_DEP_1) | instskip(NEXT) | instid1(VALU_DEP_1)
	v_dot4_i32_iu8 v0, v9, v216, v0 neg_lo:[1,1,0]
	v_dot4_i32_iu8 v2, v11, v58, v0 neg_lo:[1,1,0]
	;; [unrolled: 1-line block ×4, first 2 shown]
	s_delay_alu instid0(VALU_DEP_2) | instskip(NEXT) | instid1(VALU_DEP_2)
	v_dot4_i32_iu8 v0, v19, v197, v0 neg_lo:[1,1,0]
	v_dot4_i32_iu8 v4, v35, v194, v4 neg_lo:[1,1,0]
	s_delay_alu instid0(VALU_DEP_2) | instskip(NEXT) | instid1(VALU_DEP_2)
	v_dot4_i32_iu8 v0, v39, v196, v0 neg_lo:[1,1,0]
	v_dot4_i32_iu8 v4, v40, v193, v4 neg_lo:[1,1,0]
	;; [unrolled: 3-line block ×3, first 2 shown]
	s_delay_alu instid0(VALU_DEP_2) | instskip(NEXT) | instid1(VALU_DEP_1)
	v_mul_lo_u32 v0, v0, v195
	v_mad_co_u64_u32 v[3:4], null, v3, v191, v[0:1]
	s_delay_alu instid0(VALU_DEP_1) | instskip(NEXT) | instid1(VALU_DEP_1)
	v_cvt_f32_i32_e32 v0, v3
	v_fma_f32 v3, v44, v0, 0
	v_mul_lo_u32 v0, v1, v192
	s_delay_alu instid0(VALU_DEP_1) | instskip(NEXT) | instid1(VALU_DEP_1)
	v_mad_co_u64_u32 v[0:1], null, v2, v190, v[0:1]
	v_cvt_f32_i32_e32 v0, v0
	s_delay_alu instid0(VALU_DEP_1) | instskip(NEXT) | instid1(VALU_DEP_1)
	v_fmac_f32_e32 v3, v45, v0
	v_fmac_f32_e32 v79, v189, v3
	s_cbranch_vccnz .LBB176_6
; %bb.7:                                ;   in Loop: Header=BB176_5 Depth=1
	v_add_nc_u32_e32 v8, s7, v150
	v_add_nc_u32_e32 v9, 4, v77
	s_wait_loadcnt 0x0
	s_barrier_signal -1
	s_barrier_wait -1
	v_add_nc_u32_e32 v10, v8, v149
	v_add_nc_u32_e32 v0, v8, v142
	;; [unrolled: 1-line block ×8, first 2 shown]
	v_mad_co_u64_u32 v[8:9], null, v9, 36, s[2:3]
	v_mad_co_i64_i32 v[10:11], null, v10, 36, v[33:34]
	v_mad_co_i64_i32 v[0:1], null, v0, 36, v[33:34]
	;; [unrolled: 1-line block ×7, first 2 shown]
	global_inv scope:SCOPE_SE
	v_mad_co_i64_i32 v[16:17], null, v16, 36, v[33:34]
	s_clause 0x8
	global_load_b32 v8, v[8:9], off
	global_load_b32 v9, v[10:11], off offset:4
	global_load_b32 v0, v[0:1], off offset:4
	;; [unrolled: 1-line block ×8, first 2 shown]
	s_mov_b32 s7, 16
	s_wait_loadcnt 0x8
	v_cvt_f32_f16_e32 v7, v8
	s_wait_loadcnt 0x7
	ds_store_b32 v181, v9
	s_wait_loadcnt 0x6
	ds_store_b32 v174, v0
	;; [unrolled: 2-line block ×8, first 2 shown]
	ds_store_b32 v141, v7
	s_wait_dscnt 0x0
	s_barrier_signal -1
	s_barrier_wait -1
	global_inv scope:SCOPE_SE
	ds_load_b32 v187, v154
	ds_load_b32 v188, v155 offset:128
	ds_load_b32 v189, v156 offset:256
	;; [unrolled: 1-line block ×3, first 2 shown]
.LBB176_8:                              ;   Parent Loop BB176_5 Depth=1
                                        ; =>  This Inner Loop Header: Depth=2
	s_wait_alu 0xfffe
	s_lshl_b32 s10, s7, 1
	s_lshr_b32 s11, s7, 1
	s_wait_alu 0xfffe
	s_and_b32 s10, s10, 16
	s_add_co_i32 s11, s11, 0xa200
	s_wait_alu 0xfffe
	v_or_b32_e32 v0, s10, v129
	s_lshl_b32 s16, s7, 3
	s_delay_alu instid0(VALU_DEP_1)
	v_lshlrev_b32_e32 v1, 2, v0
	v_lshrrev_b32_e32 v0, 1, v0
	ds_load_b128 v[232:235], v1 offset:33280
	ds_load_b128 v[191:194], v1 offset:33296
	;; [unrolled: 1-line block ×4, first 2 shown]
	ds_load_b64 v[16:17], v0 offset:43584
	v_add3_u32 v0, s11, v182, v183
	s_wait_alu 0xfffe
	v_add_nc_u32_e32 v35, s16, v165
	ds_load_2addr_b32 v[39:40], v35 offset0:6 offset1:7
	ds_load_2addr_b32 v[43:44], v35 offset0:4 offset1:5
	;; [unrolled: 1-line block ×3, first 2 shown]
	ds_load_2addr_b32 v[41:42], v35 offset1:1
	ds_load_b32 v46, v0
	ds_load_u16 v230, v35 offset:32
	ds_load_b128 v[0:3], v35 offset:34
	ds_load_b64 v[67:68], v35 offset:50
	ds_load_u16 v231, v35 offset:58
	ds_load_b32 v225, v35 offset:60
	s_wait_dscnt 0xe
	v_lshrrev_b16 v5, 8, v233
	s_wait_dscnt 0xd
	v_lshrrev_b16 v4, 8, v192
	s_wait_dscnt 0xc
	v_bfe_i32 v9, v196, 16, 8
	s_wait_dscnt 0xb
	v_bfe_i32 v7, v237, 16, 8
	v_bfe_i32 v48, v238, 16, 8
	v_ashrrev_i32_e32 v50, 24, v237
	v_bfe_i32 v49, v238, 0, 8
	v_bfe_i32 v6, v238, 8, 8
	;; [unrolled: 1-line block ×4, first 2 shown]
	s_wait_dscnt 0x3
	v_bfe_i32 v228, v2, 0, 8
	s_wait_dscnt 0x2
	v_bfe_i32 v47, v68, 0, 8
	s_wait_dscnt 0x1
	v_lshrrev_b16 v51, 8, v231
	v_bfe_i32 v52, v231, 0, 8
	v_bfe_i32 v54, v68, 8, 8
	;; [unrolled: 1-line block ×3, first 2 shown]
	v_mul_i32_i24_e32 v7, v47, v7
	v_ashrrev_i32_e32 v47, 24, v238
	v_bfe_i32 v51, v51, 0, 8
	v_mul_i32_i24_e32 v48, v52, v48
	v_perm_b32 v52, v239, v237, 0xc0c0600
	v_mul_i32_i24_e32 v50, v54, v50
	v_mul_i32_i24_e32 v49, v53, v49
	;; [unrolled: 1-line block ×3, first 2 shown]
	s_wait_dscnt 0x0
	v_perm_b32 v51, v225, v67, 0xc0c0602
	v_ashrrev_i32_e32 v35, 24, v68
	v_bfe_i32 v227, v2, 8, 8
	v_ashrrev_i32_e32 v226, 24, v1
	v_lshrrev_b16 v36, 8, v44
	v_dot4_i32_iu8 v48, v51, v52, v48 neg_lo:[1,1,0]
	v_perm_b32 v51, v225, v67, 0xc0c0400
	v_perm_b32 v52, v239, v236, 0xc0c0402
	v_bfe_i32 v53, v194, 8, 8
	v_bfe_i32 v57, v40, 8, 8
	;; [unrolled: 1-line block ×4, first 2 shown]
	v_dot4_i32_iu8 v50, v51, v52, v50 neg_lo:[1,1,0]
	v_perm_b32 v51, v225, v67, 0xc0c0703
	v_perm_b32 v52, v239, v237, 0xc0c0701
	v_ashrrev_i32_e32 v55, 24, v193
	v_bfe_i32 v56, v193, 16, 8
	v_add_nc_u32_e32 v48, v50, v48
	v_bfe_i32 v50, v236, 0, 8
	v_dot4_i32_iu8 v47, v51, v52, v47 neg_lo:[1,1,0]
	v_perm_b32 v51, v225, v67, 0xc0c0501
	v_perm_b32 v52, v239, v236, 0xc0c0503
	v_bfe_i32 v58, v40, 0, 8
	v_ashrrev_i32_e32 v59, 24, v39
	v_bfe_i32 v60, v39, 16, 8
	v_mul_i32_i24_e32 v53, v57, v53
	v_dot4_i32_iu8 v49, v51, v52, v49 neg_lo:[1,1,0]
	v_ashrrev_i32_e32 v51, 24, v3
	v_bfe_i32 v52, v3, 16, 8
	v_mul_i32_i24_e32 v4, v36, v4
	v_mul_i32_i24_e32 v56, v60, v56
	v_add_nc_u32_e32 v47, v49, v47
	v_bfe_i32 v49, v236, 8, 8
	v_mul_i32_i24_e32 v50, v52, v50
	v_bfe_i32 v52, v44, 16, 8
	v_mul_i32_i24_e32 v55, v59, v55
	v_mul_i32_i24_e32 v54, v58, v54
	;; [unrolled: 1-line block ×3, first 2 shown]
	v_mad_i32_i24 v6, v35, v6, v50
	v_bfe_i32 v35, v197, 16, 8
	v_bfe_i32 v50, v1, 8, 8
	;; [unrolled: 1-line block ×3, first 2 shown]
	v_add3_u32 v47, v48, v47, v49
	v_ashrrev_i32_e32 v48, 24, v196
	v_bfe_i32 v49, v1, 16, 8
	v_mul_i32_i24_e32 v35, v228, v35
	v_bfe_i32 v12, v194, 16, 8
	v_add3_u32 v6, v47, v6, v7
	v_bfe_i32 v47, v197, 0, 8
	v_bfe_i32 v7, v1, 0, 8
	v_mul_i32_i24_e32 v48, v50, v48
	v_perm_b32 v50, v198, v196, 0xc0c0600
	v_bfe_i32 v57, v40, 16, 8
	v_mul_i32_i24_e32 v47, v49, v47
	v_perm_b32 v49, v3, v0, 0xc0c0402
	v_mul_i32_i24_e32 v7, v7, v9
	v_ashrrev_i32_e32 v9, 24, v197
	v_bfe_i32 v10, v193, 8, 8
	v_bfe_i32 v11, v193, 0, 8
	v_dot4_i32_iu8 v35, v49, v50, v35 neg_lo:[1,1,0]
	v_perm_b32 v49, v2, v0, 0xc0c0600
	v_perm_b32 v50, v198, v195, 0xc0c0402
	v_mul_i32_i24_e32 v9, v227, v9
	v_bfe_i32 v36, v39, 0, 8
	v_mul_i32_i24_e32 v12, v57, v12
	v_ashrrev_i32_e32 v13, 24, v194
	v_dot4_i32_iu8 v48, v49, v50, v48 neg_lo:[1,1,0]
	v_perm_b32 v49, v3, v0, 0xc0c0503
	v_perm_b32 v50, v198, v196, 0xc0c0701
	v_lshrrev_b16 v45, 8, v42
	v_ashrrev_i32_e32 v57, 24, v40
	v_add_nc_u32_e32 v35, v48, v35
	v_bfe_i32 v48, v195, 0, 8
	v_dot4_i32_iu8 v9, v49, v50, v9 neg_lo:[1,1,0]
	v_perm_b32 v49, v2, v0, 0xc0c0701
	v_perm_b32 v50, v198, v195, 0xc0c0503
	v_mul_i32_i24_e32 v13, v57, v13
	v_bfe_i32 v5, v5, 0, 8
	v_bfe_i32 v45, v45, 0, 8
	;; [unrolled: 1-line block ×3, first 2 shown]
	v_dot4_i32_iu8 v47, v49, v50, v47 neg_lo:[1,1,0]
	v_lshrrev_b16 v49, 8, v230
	v_ashrrev_i32_e32 v50, 24, v44
	v_mul_i32_i24_e32 v5, v45, v5
	v_bfe_i32 v14, v234, 8, 8
	v_add_nc_u32_e32 v9, v47, v9
	v_bfe_i32 v47, v195, 8, 8
	v_bfe_i32 v229, v49, 0, 8
	;; [unrolled: 1-line block ×5, first 2 shown]
	v_ashrrev_i32_e32 v19, 24, v235
	v_mul_i32_i24_e32 v47, v229, v47
	v_mul_i32_i24_e32 v48, v49, v48
	v_bfe_i32 v49, v192, 16, 8
	v_bfe_i32 v212, v46, 8, 8
	;; [unrolled: 1-line block ×3, first 2 shown]
	v_add3_u32 v9, v35, v9, v47
	v_mad_i32_i24 v8, v226, v8, v48
	v_ashrrev_i32_e32 v47, 24, v43
	v_bfe_i32 v35, v191, 16, 8
	v_bfe_i32 v48, v43, 16, 8
	v_mad_i32_i24 v49, v52, v49, v54
	v_add3_u32 v7, v9, v8, v7
	v_ashrrev_i32_e32 v9, 24, v191
	v_bfe_i32 v8, v39, 8, 8
	v_mul_i32_i24_e32 v35, v48, v35
	v_bfe_i32 v48, v192, 0, 8
	v_bfe_i32 v52, v38, 8, 8
	v_mul_i32_i24_e32 v9, v47, v9
	v_ashrrev_i32_e32 v47, 24, v192
	v_ashrrev_i32_e32 v54, 24, v37
	v_mad_i32_i24 v48, v51, v48, v56
	v_bfe_i32 v51, v234, 16, 8
	v_bfe_i32 v221, v46, 16, 8
	v_mad_i32_i24 v47, v50, v47, v53
	v_bfe_i32 v50, v43, 0, 8
	v_bfe_i32 v53, v38, 0, 8
	v_ashrrev_i32_e32 v222, 24, v46
	v_perm_b32 v114, v192, v191, 0x6040503
	v_add3_u32 v4, v4, v55, v47
	v_bfe_i32 v47, v191, 8, 8
	v_bfe_i32 v55, v37, 16, 8
	v_perm_b32 v192, v193, v192, 0x7060403
	v_perm_b32 v240, v233, v232, 0x6040503
	v_add3_u32 v4, v48, v49, v4
	v_bfe_i32 v49, v43, 8, 8
	v_bfe_i32 v48, v191, 0, 8
	v_mul_i32_i24_e32 v51, v55, v51
	s_delay_alu instid0(VALU_DEP_3) | instskip(NEXT) | instid1(VALU_DEP_3)
	v_mul_i32_i24_e32 v47, v49, v47
	v_mul_i32_i24_e32 v48, v50, v48
	v_bfe_i32 v49, v235, 0, 8
	v_ashrrev_i32_e32 v50, 24, v234
	s_delay_alu instid0(VALU_DEP_4)
	v_mad_i32_i24 v8, v8, v10, v47
	v_mad_i32_i24 v10, v36, v11, v12
	v_ashrrev_i32_e32 v11, 24, v41
	v_bfe_i32 v12, v41, 16, 8
	v_bfe_i32 v36, v42, 0, 8
	v_add3_u32 v4, v4, v48, v8
	v_add3_u32 v8, v35, v9, v10
	v_ashrrev_i32_e32 v9, 24, v232
	v_bfe_i32 v48, v235, 8, 8
	v_bfe_i32 v10, v232, 16, 8
	v_ashrrev_i32_e32 v35, 24, v42
	v_add3_u32 v4, v4, v8, v13
	v_mul_i32_i24_e32 v9, v11, v9
	v_ashrrev_i32_e32 v11, 24, v233
	v_mul_i32_i24_e32 v48, v52, v48
	v_mul_i32_i24_e32 v10, v12, v10
	v_bfe_i32 v12, v233, 0, 8
	v_bfe_i32 v13, v233, 16, 8
	;; [unrolled: 1-line block ×3, first 2 shown]
	v_mul_i32_i24_e32 v50, v54, v50
	v_mul_i32_i24_e32 v49, v53, v49
	v_mad_i32_i24 v11, v35, v11, v48
	v_mad_i32_i24 v12, v36, v12, v51
	v_bfe_i32 v52, v38, 16, 8
	v_bfe_i32 v8, v37, 8, 8
	v_mad_i32_i24 v13, v47, v13, v49
	v_add3_u32 v5, v5, v50, v11
	v_bfe_i32 v11, v232, 8, 8
	v_mul_i32_i24_e32 v18, v52, v18
	v_bfe_i32 v35, v41, 0, 8
	v_ashrrev_i32_e32 v52, 24, v38
	v_add3_u32 v5, v12, v13, v5
	v_bfe_i32 v13, v41, 8, 8
	v_bfe_i32 v12, v232, 0, 8
	v_mul_lo_u32 v4, v4, v212
	v_mul_i32_i24_e32 v19, v52, v19
	v_perm_b32 v233, v234, v233, 0x7060403
	v_mul_i32_i24_e32 v11, v13, v11
	v_mul_i32_i24_e32 v12, v35, v12
	s_delay_alu instid0(VALU_DEP_2) | instskip(SKIP_2) | instid1(VALU_DEP_3)
	v_mad_i32_i24 v8, v8, v14, v11
	v_mad_i32_i24 v11, v45, v15, v18
	v_perm_b32 v18, v238, v237, 0x7060403
	v_add3_u32 v5, v5, v12, v8
	s_delay_alu instid0(VALU_DEP_3) | instskip(NEXT) | instid1(VALU_DEP_1)
	v_add3_u32 v8, v10, v9, v11
	v_add3_u32 v5, v5, v8, v19
	v_perm_b32 v19, v197, v196, 0x7060403
	s_delay_alu instid0(VALU_DEP_2) | instskip(NEXT) | instid1(VALU_DEP_1)
	v_mad_co_u64_u32 v[4:5], null, v5, v220, v[4:5]
	v_cvt_f32_i32_e32 v4, v4
	s_delay_alu instid0(VALU_DEP_1) | instskip(SKIP_1) | instid1(VALU_DEP_1)
	v_fma_f32 v8, v16, v4, 0
	v_mul_lo_u32 v4, v7, v221
	v_mad_co_u64_u32 v[4:5], null, v6, v222, v[4:5]
	v_add_nc_u32_e32 v5, s16, v167
	s_delay_alu instid0(VALU_DEP_2) | instskip(NEXT) | instid1(VALU_DEP_1)
	v_cvt_f32_i32_e32 v4, v4
	v_fmac_f32_e32 v8, v17, v4
	v_add3_u32 v4, s11, v184, v166
	ds_load_2addr_b32 v[53:54], v5 offset0:6 offset1:7
	ds_load_2addr_b32 v[13:14], v5 offset0:4 offset1:5
	;; [unrolled: 1-line block ×3, first 2 shown]
	ds_load_2addr_b32 v[10:11], v5 offset1:1
	ds_load_b32 v6, v4
	ds_load_2addr_b32 v[63:64], v5 offset0:14 offset1:15
	ds_load_2addr_b32 v[75:76], v5 offset0:12 offset1:13
	;; [unrolled: 1-line block ×4, first 2 shown]
	v_fmac_f32_e32 v100, v187, v8
	s_wait_dscnt 0x7
	v_perm_b32 v207, v14, v13, 0x6040503
	s_wait_dscnt 0x6
	v_perm_b32 v9, v232, v51, 0x6050401
	v_perm_b32 v208, v53, v14, 0x7060403
	s_wait_dscnt 0x5
	v_perm_b32 v211, v11, v10, 0x6040503
	s_wait_dscnt 0x3
	;; [unrolled: 2-line block ×3, first 2 shown]
	v_perm_b32 v4, v75, v238, 0x6040501
	v_perm_b32 v8, v76, v236, 0x6040503
	;; [unrolled: 1-line block ×3, first 2 shown]
	s_wait_dscnt 0x1
	v_perm_b32 v5, v195, v65, 0x6040501
	s_wait_dscnt 0x0
	v_perm_b32 v224, v65, v78, 0x7060403
	v_dot4_i32_iu8 v4, v7, v4, 0 neg_lo:[1,1,0]
	v_perm_b32 v7, v237, v75, 0x6040503
	v_perm_b32 v213, v51, v11, 0x7060403
	v_bfe_i32 v209, v6, 8, 8
	v_bfe_i32 v214, v6, 0, 8
	;; [unrolled: 1-line block ×3, first 2 shown]
	v_dot4_i32_iu8 v4, v8, v7, v4 neg_lo:[1,1,0]
	v_perm_b32 v8, v78, v195, 0x6040503
	v_ashrrev_i32_e32 v217, 24, v6
	s_delay_alu instid0(VALU_DEP_3) | instskip(NEXT) | instid1(VALU_DEP_1)
	v_dot4_i32_iu8 v4, v18, v223, v4 neg_lo:[1,1,0]
	v_dot4_i32_iu8 v7, v239, v64, v4 neg_lo:[1,1,0]
	v_perm_b32 v4, v77, v197, 0x6040501
	s_delay_alu instid0(VALU_DEP_1) | instskip(SKIP_1) | instid1(VALU_DEP_1)
	v_dot4_i32_iu8 v4, v5, v4, 0 neg_lo:[1,1,0]
	v_perm_b32 v5, v196, v77, 0x6040503
	v_dot4_i32_iu8 v4, v8, v5, v4 neg_lo:[1,1,0]
	v_perm_b32 v5, v191, v53, 0x6050401
	s_delay_alu instid0(VALU_DEP_2) | instskip(NEXT) | instid1(VALU_DEP_1)
	v_dot4_i32_iu8 v4, v19, v224, v4 neg_lo:[1,1,0]
	v_dot4_i32_iu8 v8, v198, v66, v4 neg_lo:[1,1,0]
	v_perm_b32 v4, v13, v193, 0x6050401
	s_delay_alu instid0(VALU_DEP_1) | instskip(SKIP_1) | instid1(VALU_DEP_2)
	v_dot4_i32_iu8 v4, v5, v4, 0 neg_lo:[1,1,0]
	v_perm_b32 v5, v10, v234, 0x6050401
	v_dot4_i32_iu8 v4, v114, v207, v4 neg_lo:[1,1,0]
	s_delay_alu instid0(VALU_DEP_2) | instskip(NEXT) | instid1(VALU_DEP_2)
	v_dot4_i32_iu8 v5, v9, v5, 0 neg_lo:[1,1,0]
	v_dot4_i32_iu8 v4, v192, v208, v4 neg_lo:[1,1,0]
	s_delay_alu instid0(VALU_DEP_2) | instskip(NEXT) | instid1(VALU_DEP_2)
	v_dot4_i32_iu8 v5, v240, v211, v5 neg_lo:[1,1,0]
	;; [unrolled: 3-line block ×3, first 2 shown]
	v_mul_lo_u32 v4, v4, v209
	s_delay_alu instid0(VALU_DEP_2) | instskip(NEXT) | instid1(VALU_DEP_1)
	v_dot4_i32_iu8 v5, v52, v235, v5 neg_lo:[1,1,0]
	v_mad_co_u64_u32 v[4:5], null, v5, v214, v[4:5]
	s_delay_alu instid0(VALU_DEP_1) | instskip(NEXT) | instid1(VALU_DEP_1)
	v_cvt_f32_i32_e32 v4, v4
	v_fma_f32 v9, v16, v4, 0
	v_mul_lo_u32 v4, v8, v215
	s_delay_alu instid0(VALU_DEP_1) | instskip(SKIP_1) | instid1(VALU_DEP_2)
	v_mad_co_u64_u32 v[4:5], null, v7, v217, v[4:5]
	v_add_nc_u32_e32 v5, s16, v169
	v_cvt_f32_i32_e32 v4, v4
	s_delay_alu instid0(VALU_DEP_1) | instskip(SKIP_1) | instid1(VALU_DEP_2)
	v_fmac_f32_e32 v9, v17, v4
	v_add3_u32 v4, s11, v185, v168
	v_fmac_f32_e32 v131, v188, v9
	ds_load_2addr_b32 v[49:50], v5 offset0:6 offset1:7
	ds_load_2addr_b32 v[11:12], v5 offset0:4 offset1:5
	;; [unrolled: 1-line block ×3, first 2 shown]
	ds_load_2addr_b32 v[8:9], v5 offset1:1
	ds_load_b32 v6, v4
	ds_load_2addr_b32 v[59:60], v5 offset0:14 offset1:15
	ds_load_2addr_b32 v[71:72], v5 offset0:12 offset1:13
	;; [unrolled: 1-line block ×4, first 2 shown]
	s_wait_dscnt 0x7
	v_perm_b32 v199, v12, v11, 0x6040503
	v_perm_b32 v200, v49, v12, 0x7060403
	s_wait_dscnt 0x6
	v_perm_b32 v12, v232, v47, 0x6050401
	s_wait_dscnt 0x5
	;; [unrolled: 2-line block ×4, first 2 shown]
	v_perm_b32 v4, v71, v238, 0x6040501
	v_perm_b32 v14, v72, v236, 0x6040503
	;; [unrolled: 1-line block ×3, first 2 shown]
	s_wait_dscnt 0x1
	v_perm_b32 v5, v195, v61, 0x6040501
	s_wait_dscnt 0x0
	v_perm_b32 v219, v61, v74, 0x7060403
	v_dot4_i32_iu8 v4, v7, v4, 0 neg_lo:[1,1,0]
	v_perm_b32 v7, v237, v71, 0x6040503
	v_perm_b32 v203, v47, v9, 0x7060403
	v_bfe_i32 v201, v6, 8, 8
	v_bfe_i32 v204, v6, 0, 8
	;; [unrolled: 1-line block ×3, first 2 shown]
	v_dot4_i32_iu8 v4, v14, v7, v4 neg_lo:[1,1,0]
	v_perm_b32 v14, v74, v195, 0x6040503
	v_ashrrev_i32_e32 v206, 24, v6
	v_perm_b32 v59, v71, v59, 0x6040501
	v_perm_b32 v61, v73, v61, 0x6040501
	v_dot4_i32_iu8 v4, v18, v218, v4 neg_lo:[1,1,0]
	v_perm_b32 v47, v8, v47, 0x6050401
	s_delay_alu instid0(VALU_DEP_2) | instskip(SKIP_1) | instid1(VALU_DEP_1)
	v_dot4_i32_iu8 v7, v239, v60, v4 neg_lo:[1,1,0]
	v_perm_b32 v4, v73, v197, 0x6040501
	v_dot4_i32_iu8 v4, v5, v4, 0 neg_lo:[1,1,0]
	v_perm_b32 v5, v196, v73, 0x6040503
	s_delay_alu instid0(VALU_DEP_1) | instskip(SKIP_2) | instid1(VALU_DEP_3)
	v_dot4_i32_iu8 v4, v14, v5, v4 neg_lo:[1,1,0]
	v_perm_b32 v5, v191, v49, 0x6050401
	v_perm_b32 v49, v11, v49, 0x6050401
	v_dot4_i32_iu8 v4, v19, v219, v4 neg_lo:[1,1,0]
	s_delay_alu instid0(VALU_DEP_1) | instskip(SKIP_1) | instid1(VALU_DEP_1)
	v_dot4_i32_iu8 v14, v198, v62, v4 neg_lo:[1,1,0]
	v_perm_b32 v4, v11, v193, 0x6050401
	v_dot4_i32_iu8 v4, v5, v4, 0 neg_lo:[1,1,0]
	v_perm_b32 v5, v8, v234, 0x6050401
	s_delay_alu instid0(VALU_DEP_2) | instskip(NEXT) | instid1(VALU_DEP_2)
	v_dot4_i32_iu8 v4, v114, v199, v4 neg_lo:[1,1,0]
	v_dot4_i32_iu8 v5, v12, v5, 0 neg_lo:[1,1,0]
	v_add_nc_u32_e32 v12, s16, v171
	s_delay_alu instid0(VALU_DEP_3) | instskip(NEXT) | instid1(VALU_DEP_3)
	v_dot4_i32_iu8 v4, v192, v200, v4 neg_lo:[1,1,0]
	v_dot4_i32_iu8 v5, v240, v202, v5 neg_lo:[1,1,0]
	s_delay_alu instid0(VALU_DEP_2) | instskip(NEXT) | instid1(VALU_DEP_2)
	v_dot4_i32_iu8 v4, v50, v194, v4 neg_lo:[1,1,0]
	v_dot4_i32_iu8 v5, v233, v203, v5 neg_lo:[1,1,0]
	s_delay_alu instid0(VALU_DEP_2) | instskip(NEXT) | instid1(VALU_DEP_2)
	v_mul_lo_u32 v4, v4, v201
	v_dot4_i32_iu8 v5, v48, v235, v5 neg_lo:[1,1,0]
	s_delay_alu instid0(VALU_DEP_1) | instskip(NEXT) | instid1(VALU_DEP_1)
	v_mad_co_u64_u32 v[4:5], null, v5, v204, v[4:5]
	v_cvt_f32_i32_e32 v4, v4
	s_delay_alu instid0(VALU_DEP_1) | instskip(SKIP_1) | instid1(VALU_DEP_1)
	v_fma_f32 v9, v16, v4, 0
	v_mul_lo_u32 v4, v14, v205
	v_mad_co_u64_u32 v[4:5], null, v7, v206, v[4:5]
	s_delay_alu instid0(VALU_DEP_1) | instskip(NEXT) | instid1(VALU_DEP_1)
	v_cvt_f32_i32_e32 v4, v4
	v_fmac_f32_e32 v9, v17, v4
	s_delay_alu instid0(VALU_DEP_1)
	v_fmac_f32_e32 v124, v189, v9
	v_add3_u32 v9, s11, v186, v170
	ds_load_2addr_b32 v[45:46], v12 offset0:6 offset1:7
	ds_load_2addr_b32 v[6:7], v12 offset0:4 offset1:5
	;; [unrolled: 1-line block ×3, first 2 shown]
	ds_load_2addr_b32 v[4:5], v12 offset1:1
	ds_load_b32 v9, v9
	ds_load_2addr_b32 v[55:56], v12 offset0:14 offset1:15
	ds_load_2addr_b32 v[14:15], v12 offset0:12 offset1:13
	s_wait_dscnt 0x1
	v_perm_b32 v58, v236, v55, 0x6040501
	s_wait_dscnt 0x0
	v_perm_b32 v57, v14, v238, 0x6040501
	v_perm_b32 v69, v15, v236, 0x6040503
	;; [unrolled: 1-line block ×5, first 2 shown]
	v_dot4_i32_iu8 v57, v58, v57, 0 neg_lo:[1,1,0]
	v_perm_b32 v58, v237, v14, 0x6040503
	v_perm_b32 v237, v231, v68, 0x5040201
	;; [unrolled: 1-line block ×3, first 2 shown]
	s_delay_alu instid0(VALU_DEP_3) | instskip(NEXT) | instid1(VALU_DEP_1)
	v_dot4_i32_iu8 v57, v69, v58, v57 neg_lo:[1,1,0]
	v_dot4_i32_iu8 v18, v18, v210, v57 neg_lo:[1,1,0]
	ds_load_2addr_b32 v[57:58], v12 offset0:10 offset1:11
	ds_load_2addr_b32 v[69:70], v12 offset0:8 offset1:9
	v_dot4_i32_iu8 v236, v239, v56, v18 neg_lo:[1,1,0]
	v_perm_b32 v239, v1, v0, 0x6050402
	s_wait_dscnt 0x1
	v_perm_b32 v18, v195, v57, 0x6040501
	s_wait_dscnt 0x0
	v_perm_b32 v12, v69, v197, 0x6040501
	v_perm_b32 v195, v70, v195, 0x6040503
	;; [unrolled: 1-line block ×4, first 2 shown]
	s_delay_alu instid0(VALU_DEP_4) | instskip(SKIP_2) | instid1(VALU_DEP_2)
	v_dot4_i32_iu8 v12, v18, v12, 0 neg_lo:[1,1,0]
	v_perm_b32 v18, v196, v69, 0x6040503
	v_bfe_i32 v196, v9, 8, 8
	v_dot4_i32_iu8 v12, v195, v18, v12 neg_lo:[1,1,0]
	v_perm_b32 v18, v6, v193, 0x6050401
	v_perm_b32 v195, v5, v4, 0x6040503
	v_bfe_i32 v193, v9, 0, 8
	s_delay_alu instid0(VALU_DEP_4) | instskip(SKIP_2) | instid1(VALU_DEP_3)
	v_dot4_i32_iu8 v12, v19, v216, v12 neg_lo:[1,1,0]
	v_perm_b32 v19, v191, v45, 0x6050401
	v_bfe_i32 v191, v9, 16, 8
	v_dot4_i32_iu8 v12, v198, v58, v12 neg_lo:[1,1,0]
	s_delay_alu instid0(VALU_DEP_3) | instskip(SKIP_2) | instid1(VALU_DEP_2)
	v_dot4_i32_iu8 v18, v19, v18, 0 neg_lo:[1,1,0]
	v_perm_b32 v198, v7, v6, 0x6040503
	v_perm_b32 v19, v232, v35, 0x6050401
	v_dot4_i32_iu8 v18, v114, v198, v18 neg_lo:[1,1,0]
	s_delay_alu instid0(VALU_DEP_1)
	v_dot4_i32_iu8 v7, v192, v197, v18 neg_lo:[1,1,0]
	v_perm_b32 v18, v4, v234, 0x6050401
	v_ashrrev_i32_e32 v192, 24, v9
	v_perm_b32 v234, v75, v63, 0x6040501
	v_perm_b32 v75, v76, v75, 0x6040503
	v_dot4_i32_iu8 v7, v46, v194, v7 neg_lo:[1,1,0]
	v_dot4_i32_iu8 v18, v19, v18, 0 neg_lo:[1,1,0]
	v_perm_b32 v194, v35, v5, 0x7060403
	v_perm_b32 v76, v77, v65, 0x6040501
	;; [unrolled: 1-line block ×3, first 2 shown]
	v_mul_lo_u32 v7, v7, v196
	v_dot4_i32_iu8 v18, v240, v195, v18 neg_lo:[1,1,0]
	v_perm_b32 v240, v3, v2, 0x5040203
	v_perm_b32 v63, v13, v53, 0x6050401
	;; [unrolled: 1-line block ×4, first 2 shown]
	v_dot4_i32_iu8 v5, v233, v194, v18 neg_lo:[1,1,0]
	v_perm_b32 v233, v37, v42, 0x7060403
	v_perm_b32 v35, v4, v35, 0x6050401
	s_delay_alu instid0(VALU_DEP_3) | instskip(SKIP_1) | instid1(VALU_DEP_2)
	v_dot4_i32_iu8 v5, v36, v235, v5 neg_lo:[1,1,0]
	v_perm_b32 v235, v67, v3, 0x402030c
	v_mad_co_u64_u32 v[18:19], null, v5, v193, v[7:8]
	s_delay_alu instid0(VALU_DEP_1) | instskip(NEXT) | instid1(VALU_DEP_1)
	v_cvt_f32_i32_e32 v5, v18
	v_fma_f32 v7, v16, v5, 0
	v_mul_lo_u32 v5, v12, v191
	s_delay_alu instid0(VALU_DEP_1) | instskip(SKIP_1) | instid1(VALU_DEP_2)
	v_mad_co_u64_u32 v[18:19], null, v236, v192, v[5:6]
	v_perm_b32 v236, v68, v67, 0x4020301
	v_cvt_f32_i32_e32 v5, v18
	s_delay_alu instid0(VALU_DEP_1) | instskip(SKIP_1) | instid1(VALU_DEP_2)
	v_fmac_f32_e32 v7, v17, v5
	v_or_b32_e32 v5, s10, v158
	v_fmac_f32_e32 v123, v190, v7
	s_delay_alu instid0(VALU_DEP_2)
	v_lshlrev_b32_e32 v7, 2, v5
	v_lshrrev_b32_e32 v5, 1, v5
	ds_load_b128 v[241:244], v7 offset:33280
	ds_load_b128 v[245:248], v7 offset:33296
	ds_load_b128 v[249:252], v7 offset:33312
	ds_load_b128 v[16:19], v7 offset:33328
	ds_load_b64 v[253:254], v5 offset:43584
	s_wait_dscnt 0x4
	v_perm_b32 v10, v241, v243, 0x6050401
	s_wait_dscnt 0x3
	v_perm_b32 v3, v246, v245, 0x6040503
	s_wait_dscnt 0x2
	v_bfe_i32 v5, v251, 8, 8
	v_bfe_i32 v7, v249, 8, 8
	;; [unrolled: 1-line block ×3, first 2 shown]
	v_ashrrev_i32_e32 v12, 24, v251
	v_perm_b32 v0, v251, v250, 0x4030200
	v_mul_i32_i24_e32 v5, v5, v226
	v_perm_b32 v1, v252, v252, 0x3020001
	v_mul_i32_i24_e32 v9, v228, v9
	v_mul_i32_i24_e32 v12, v227, v12
	s_wait_dscnt 0x1
	v_perm_b32 v232, v18, v18, 0xc0c0c01
	v_mad_i32_i24 v5, v229, v7, v5
	v_perm_b32 v7, v250, v249, 0x5030200
	v_perm_b32 v114, v16, v68, 0x6040503
	;; [unrolled: 1-line block ×3, first 2 shown]
	v_or_b32_e32 v232, v235, v232
	v_perm_b32 v17, v18, v17, 0x7060403
	v_dot4_i32_iu8 v5, v238, v7, v5 neg_lo:[1,1,0]
	v_perm_b32 v7, v41, v243, 0x6050401
	v_perm_b32 v13, v245, v247, 0x6050401
	v_dot4_i32_iu8 v114, v232, v114, 0 neg_lo:[1,1,0]
	v_perm_b32 v232, v42, v41, 0x6040503
	v_dot4_i32_iu8 v0, v239, v0, v5 neg_lo:[1,1,0]
	v_perm_b32 v5, v247, v246, 0x7060403
	v_perm_b32 v42, v251, v250, 0x7060403
	v_dot4_i32_iu8 v67, v255, v236, v114 neg_lo:[1,1,0]
	s_delay_alu instid0(VALU_DEP_4) | instskip(SKIP_1) | instid1(VALU_DEP_3)
	v_add3_u32 v0, v0, v9, v12
	v_perm_b32 v9, v243, v242, 0x7060403
	v_dot4_i32_iu8 v67, v237, v17, v67 neg_lo:[1,1,0]
	s_delay_alu instid0(VALU_DEP_3) | instskip(SKIP_2) | instid1(VALU_DEP_4)
	v_dot4_i32_iu8 v2, v240, v1, v0 neg_lo:[1,1,0]
	v_perm_b32 v0, v245, v39, 0x6050401
	v_perm_b32 v1, v43, v247, 0x6050401
	v_dot4_i32_iu8 v67, v225, v19, v67 neg_lo:[1,1,0]
	s_delay_alu instid0(VALU_DEP_2) | instskip(SKIP_1) | instid1(VALU_DEP_2)
	v_dot4_i32_iu8 v0, v1, v0, 0 neg_lo:[1,1,0]
	v_perm_b32 v1, v241, v37, 0x6050401
	v_dot4_i32_iu8 v0, v230, v3, v0 neg_lo:[1,1,0]
	s_delay_alu instid0(VALU_DEP_2) | instskip(SKIP_1) | instid1(VALU_DEP_3)
	v_dot4_i32_iu8 v1, v7, v1, 0 neg_lo:[1,1,0]
	v_perm_b32 v7, v242, v241, 0x6040503
	v_dot4_i32_iu8 v0, v231, v5, v0 neg_lo:[1,1,0]
	s_delay_alu instid0(VALU_DEP_2) | instskip(NEXT) | instid1(VALU_DEP_2)
	v_dot4_i32_iu8 v1, v232, v7, v1 neg_lo:[1,1,0]
	v_dot4_i32_iu8 v0, v248, v40, v0 neg_lo:[1,1,0]
	s_delay_alu instid0(VALU_DEP_2) | instskip(NEXT) | instid1(VALU_DEP_2)
	v_dot4_i32_iu8 v1, v233, v9, v1 neg_lo:[1,1,0]
	v_mul_lo_u32 v0, v0, v212
	s_delay_alu instid0(VALU_DEP_2) | instskip(NEXT) | instid1(VALU_DEP_1)
	v_dot4_i32_iu8 v1, v244, v38, v1 neg_lo:[1,1,0]
	v_mad_co_u64_u32 v[0:1], null, v1, v220, v[0:1]
	s_delay_alu instid0(VALU_DEP_1) | instskip(SKIP_1) | instid1(VALU_DEP_1)
	v_cvt_f32_i32_e32 v0, v0
	s_wait_dscnt 0x0
	v_fma_f32 v12, v253, v0, 0
	v_mul_lo_u32 v0, v67, v222
	v_perm_b32 v67, v72, v71, 0x6040503
	v_perm_b32 v71, v74, v73, 0x6040503
	s_delay_alu instid0(VALU_DEP_3)
	v_mad_co_u64_u32 v[0:1], null, v2, v221, v[0:1]
	v_perm_b32 v2, v16, v18, 0x6040501
	v_perm_b32 v16, v249, v251, 0x6040501
	;; [unrolled: 1-line block ×3, first 2 shown]
	v_dot4_i32_iu8 v1, v10, v65, 0 neg_lo:[1,1,0]
	v_cvt_f32_i32_e32 v0, v0
	s_delay_alu instid0(VALU_DEP_2) | instskip(NEXT) | instid1(VALU_DEP_2)
	v_dot4_i32_iu8 v1, v7, v211, v1 neg_lo:[1,1,0]
	v_fmac_f32_e32 v12, v254, v0
	v_dot4_i32_iu8 v0, v2, v234, 0 neg_lo:[1,1,0]
	s_delay_alu instid0(VALU_DEP_3) | instskip(NEXT) | instid1(VALU_DEP_3)
	v_dot4_i32_iu8 v1, v9, v213, v1 neg_lo:[1,1,0]
	v_fmac_f32_e32 v121, v187, v12
	s_delay_alu instid0(VALU_DEP_3) | instskip(NEXT) | instid1(VALU_DEP_3)
	v_dot4_i32_iu8 v0, v255, v75, v0 neg_lo:[1,1,0]
	v_dot4_i32_iu8 v1, v244, v52, v1 neg_lo:[1,1,0]
	s_delay_alu instid0(VALU_DEP_2) | instskip(NEXT) | instid1(VALU_DEP_1)
	v_dot4_i32_iu8 v0, v17, v223, v0 neg_lo:[1,1,0]
	v_dot4_i32_iu8 v12, v19, v64, v0 neg_lo:[1,1,0]
	;; [unrolled: 1-line block ×3, first 2 shown]
	s_delay_alu instid0(VALU_DEP_1) | instskip(NEXT) | instid1(VALU_DEP_1)
	v_dot4_i32_iu8 v0, v18, v77, v0 neg_lo:[1,1,0]
	v_dot4_i32_iu8 v0, v42, v224, v0 neg_lo:[1,1,0]
	s_delay_alu instid0(VALU_DEP_1) | instskip(SKIP_1) | instid1(VALU_DEP_1)
	v_dot4_i32_iu8 v44, v252, v66, v0 neg_lo:[1,1,0]
	v_dot4_i32_iu8 v0, v13, v63, 0 neg_lo:[1,1,0]
	;; [unrolled: 1-line block ×3, first 2 shown]
	s_delay_alu instid0(VALU_DEP_1) | instskip(NEXT) | instid1(VALU_DEP_1)
	v_dot4_i32_iu8 v0, v5, v208, v0 neg_lo:[1,1,0]
	v_dot4_i32_iu8 v0, v248, v54, v0 neg_lo:[1,1,0]
	s_delay_alu instid0(VALU_DEP_1) | instskip(NEXT) | instid1(VALU_DEP_1)
	v_mul_lo_u32 v0, v0, v209
	v_mad_co_u64_u32 v[0:1], null, v1, v214, v[0:1]
	s_delay_alu instid0(VALU_DEP_1) | instskip(NEXT) | instid1(VALU_DEP_1)
	v_cvt_f32_i32_e32 v0, v0
	v_fma_f32 v51, v253, v0, 0
	v_mul_lo_u32 v0, v12, v217
	s_delay_alu instid0(VALU_DEP_1) | instskip(SKIP_1) | instid1(VALU_DEP_1)
	v_mad_co_u64_u32 v[0:1], null, v44, v215, v[0:1]
	v_dot4_i32_iu8 v1, v10, v47, 0 neg_lo:[1,1,0]
	v_dot4_i32_iu8 v1, v7, v202, v1 neg_lo:[1,1,0]
	s_delay_alu instid0(VALU_DEP_3) | instskip(NEXT) | instid1(VALU_DEP_2)
	v_cvt_f32_i32_e32 v0, v0
	v_dot4_i32_iu8 v1, v9, v203, v1 neg_lo:[1,1,0]
	s_delay_alu instid0(VALU_DEP_2) | instskip(SKIP_1) | instid1(VALU_DEP_3)
	v_fmac_f32_e32 v51, v254, v0
	v_dot4_i32_iu8 v0, v2, v59, 0 neg_lo:[1,1,0]
	v_dot4_i32_iu8 v1, v244, v48, v1 neg_lo:[1,1,0]
	s_delay_alu instid0(VALU_DEP_3) | instskip(NEXT) | instid1(VALU_DEP_3)
	v_fmac_f32_e32 v120, v188, v51
	v_dot4_i32_iu8 v0, v255, v67, v0 neg_lo:[1,1,0]
	v_perm_b32 v51, v14, v55, 0x6040501
	v_perm_b32 v55, v69, v57, 0x6040501
	;; [unrolled: 1-line block ×3, first 2 shown]
	s_delay_alu instid0(VALU_DEP_4) | instskip(NEXT) | instid1(VALU_DEP_1)
	v_dot4_i32_iu8 v0, v17, v218, v0 neg_lo:[1,1,0]
	v_dot4_i32_iu8 v12, v19, v60, v0 neg_lo:[1,1,0]
	;; [unrolled: 1-line block ×3, first 2 shown]
	s_delay_alu instid0(VALU_DEP_1) | instskip(NEXT) | instid1(VALU_DEP_1)
	v_dot4_i32_iu8 v0, v18, v71, v0 neg_lo:[1,1,0]
	v_dot4_i32_iu8 v0, v42, v219, v0 neg_lo:[1,1,0]
	s_delay_alu instid0(VALU_DEP_1) | instskip(SKIP_1) | instid1(VALU_DEP_1)
	v_dot4_i32_iu8 v44, v252, v62, v0 neg_lo:[1,1,0]
	v_dot4_i32_iu8 v0, v13, v49, 0 neg_lo:[1,1,0]
	;; [unrolled: 1-line block ×3, first 2 shown]
	s_delay_alu instid0(VALU_DEP_1) | instskip(NEXT) | instid1(VALU_DEP_1)
	v_dot4_i32_iu8 v0, v5, v200, v0 neg_lo:[1,1,0]
	v_dot4_i32_iu8 v0, v248, v50, v0 neg_lo:[1,1,0]
	s_delay_alu instid0(VALU_DEP_1) | instskip(NEXT) | instid1(VALU_DEP_1)
	v_mul_lo_u32 v0, v0, v201
	v_mad_co_u64_u32 v[0:1], null, v1, v204, v[0:1]
	s_delay_alu instid0(VALU_DEP_1) | instskip(NEXT) | instid1(VALU_DEP_1)
	v_cvt_f32_i32_e32 v0, v0
	v_fma_f32 v8, v253, v0, 0
	v_mul_lo_u32 v0, v12, v206
	s_delay_alu instid0(VALU_DEP_1) | instskip(SKIP_1) | instid1(VALU_DEP_1)
	v_mad_co_u64_u32 v[0:1], null, v44, v205, v[0:1]
	v_dot4_i32_iu8 v1, v10, v35, 0 neg_lo:[1,1,0]
	v_dot4_i32_iu8 v1, v7, v195, v1 neg_lo:[1,1,0]
	s_delay_alu instid0(VALU_DEP_3) | instskip(NEXT) | instid1(VALU_DEP_2)
	v_cvt_f32_i32_e32 v0, v0
	v_dot4_i32_iu8 v1, v9, v194, v1 neg_lo:[1,1,0]
	s_delay_alu instid0(VALU_DEP_2) | instskip(SKIP_1) | instid1(VALU_DEP_3)
	v_fmac_f32_e32 v8, v254, v0
	v_dot4_i32_iu8 v0, v2, v51, 0 neg_lo:[1,1,0]
	v_dot4_i32_iu8 v1, v244, v36, v1 neg_lo:[1,1,0]
	s_delay_alu instid0(VALU_DEP_3) | instskip(NEXT) | instid1(VALU_DEP_3)
	v_fmac_f32_e32 v119, v189, v8
	v_dot4_i32_iu8 v0, v255, v53, v0 neg_lo:[1,1,0]
	s_delay_alu instid0(VALU_DEP_1) | instskip(NEXT) | instid1(VALU_DEP_1)
	v_dot4_i32_iu8 v0, v17, v210, v0 neg_lo:[1,1,0]
	v_dot4_i32_iu8 v2, v19, v56, v0 neg_lo:[1,1,0]
	;; [unrolled: 1-line block ×3, first 2 shown]
	s_delay_alu instid0(VALU_DEP_1) | instskip(NEXT) | instid1(VALU_DEP_1)
	v_dot4_i32_iu8 v0, v18, v57, v0 neg_lo:[1,1,0]
	v_dot4_i32_iu8 v0, v42, v216, v0 neg_lo:[1,1,0]
	v_perm_b32 v42, v6, v45, 0x6050401
	s_delay_alu instid0(VALU_DEP_2) | instskip(NEXT) | instid1(VALU_DEP_2)
	v_dot4_i32_iu8 v8, v252, v58, v0 neg_lo:[1,1,0]
	v_dot4_i32_iu8 v0, v13, v42, 0 neg_lo:[1,1,0]
	s_delay_alu instid0(VALU_DEP_1) | instskip(NEXT) | instid1(VALU_DEP_1)
	v_dot4_i32_iu8 v0, v3, v198, v0 neg_lo:[1,1,0]
	v_dot4_i32_iu8 v0, v5, v197, v0 neg_lo:[1,1,0]
	s_delay_alu instid0(VALU_DEP_1) | instskip(NEXT) | instid1(VALU_DEP_1)
	v_dot4_i32_iu8 v0, v248, v46, v0 neg_lo:[1,1,0]
	v_mul_lo_u32 v0, v0, v196
	s_delay_alu instid0(VALU_DEP_1) | instskip(NEXT) | instid1(VALU_DEP_1)
	v_mad_co_u64_u32 v[0:1], null, v1, v193, v[0:1]
	v_cvt_f32_i32_e32 v0, v0
	s_delay_alu instid0(VALU_DEP_1) | instskip(SKIP_1) | instid1(VALU_DEP_1)
	v_fma_f32 v3, v253, v0, 0
	v_mul_lo_u32 v0, v2, v192
	v_mad_co_u64_u32 v[0:1], null, v8, v191, v[0:1]
	s_delay_alu instid0(VALU_DEP_1) | instskip(NEXT) | instid1(VALU_DEP_1)
	v_cvt_f32_i32_e32 v0, v0
	v_fmac_f32_e32 v3, v254, v0
	v_or_b32_e32 v0, s10, v159
	s_delay_alu instid0(VALU_DEP_2) | instskip(NEXT) | instid1(VALU_DEP_2)
	v_fmac_f32_e32 v118, v190, v3
	v_lshlrev_b32_e32 v12, 2, v0
	v_lshrrev_b32_e32 v16, 1, v0
	ds_load_b128 v[0:3], v12 offset:33280
	ds_load_b128 v[4:7], v12 offset:33296
	;; [unrolled: 1-line block ×4, first 2 shown]
	ds_load_b64 v[16:17], v16 offset:43584
	s_wait_dscnt 0x4
	v_perm_b32 v73, v1, v0, 0x6040503
	s_wait_dscnt 0x3
	v_perm_b32 v72, v6, v5, 0x7060403
	s_wait_dscnt 0x2
	v_bfe_i32 v18, v10, 8, 8
	v_bfe_i32 v19, v8, 8, 8
	;; [unrolled: 1-line block ×3, first 2 shown]
	v_ashrrev_i32_e32 v45, 24, v10
	s_wait_dscnt 0x1
	v_perm_b32 v70, v14, v14, 0xc0c0c01
	v_mul_i32_i24_e32 v18, v18, v226
	v_perm_b32 v74, v2, v1, 0x7060403
	v_mul_i32_i24_e32 v44, v228, v44
	v_mul_i32_i24_e32 v45, v227, v45
	v_perm_b32 v69, v12, v68, 0x6040503
	v_mad_i32_i24 v18, v229, v19, v18
	v_perm_b32 v19, v9, v8, 0x5030200
	v_or_b32_e32 v70, v235, v70
	s_delay_alu instid0(VALU_DEP_2) | instskip(SKIP_1) | instid1(VALU_DEP_3)
	v_dot4_i32_iu8 v18, v238, v19, v18 neg_lo:[1,1,0]
	v_perm_b32 v19, v10, v9, 0x4030200
	v_dot4_i32_iu8 v69, v70, v69, 0 neg_lo:[1,1,0]
	v_perm_b32 v70, v13, v12, 0x6040503
	v_perm_b32 v13, v14, v13, 0x7060403
	s_delay_alu instid0(VALU_DEP_4) | instskip(SKIP_1) | instid1(VALU_DEP_4)
	v_dot4_i32_iu8 v18, v239, v19, v18 neg_lo:[1,1,0]
	v_perm_b32 v19, v11, v11, 0x3020001
	v_dot4_i32_iu8 v69, v70, v236, v69 neg_lo:[1,1,0]
	s_delay_alu instid0(VALU_DEP_3) | instskip(SKIP_1) | instid1(VALU_DEP_3)
	v_add3_u32 v18, v18, v44, v45
	v_perm_b32 v45, v5, v4, 0x6040503
	v_dot4_i32_iu8 v69, v237, v13, v69 neg_lo:[1,1,0]
	s_delay_alu instid0(VALU_DEP_3) | instskip(SKIP_2) | instid1(VALU_DEP_4)
	v_dot4_i32_iu8 v44, v240, v19, v18 neg_lo:[1,1,0]
	v_perm_b32 v18, v4, v39, 0x6050401
	v_perm_b32 v19, v43, v6, 0x6050401
	v_dot4_i32_iu8 v69, v225, v15, v69 neg_lo:[1,1,0]
	v_perm_b32 v4, v4, v6, 0x6050401
	s_delay_alu instid0(VALU_DEP_3) | instskip(SKIP_1) | instid1(VALU_DEP_2)
	v_dot4_i32_iu8 v18, v19, v18, 0 neg_lo:[1,1,0]
	v_perm_b32 v19, v41, v2, 0x6050401
	v_dot4_i32_iu8 v18, v230, v45, v18 neg_lo:[1,1,0]
	s_delay_alu instid0(VALU_DEP_1) | instskip(SKIP_1) | instid1(VALU_DEP_2)
	v_dot4_i32_iu8 v5, v231, v72, v18 neg_lo:[1,1,0]
	v_perm_b32 v18, v0, v37, 0x6050401
	v_dot4_i32_iu8 v5, v7, v40, v5 neg_lo:[1,1,0]
	s_delay_alu instid0(VALU_DEP_2) | instskip(NEXT) | instid1(VALU_DEP_2)
	v_dot4_i32_iu8 v18, v19, v18, 0 neg_lo:[1,1,0]
	v_mul_lo_u32 v5, v5, v212
	s_delay_alu instid0(VALU_DEP_2) | instskip(NEXT) | instid1(VALU_DEP_1)
	v_dot4_i32_iu8 v18, v232, v73, v18 neg_lo:[1,1,0]
	v_dot4_i32_iu8 v1, v233, v74, v18 neg_lo:[1,1,0]
	s_delay_alu instid0(VALU_DEP_1) | instskip(NEXT) | instid1(VALU_DEP_1)
	v_dot4_i32_iu8 v1, v3, v38, v1 neg_lo:[1,1,0]
	v_mad_co_u64_u32 v[18:19], null, v1, v220, v[5:6]
	s_delay_alu instid0(VALU_DEP_1) | instskip(SKIP_1) | instid1(VALU_DEP_1)
	v_cvt_f32_i32_e32 v1, v18
	s_wait_dscnt 0x0
	v_fma_f32 v5, v16, v1, 0
	v_mul_lo_u32 v1, v69, v222
	s_delay_alu instid0(VALU_DEP_1) | instskip(SKIP_1) | instid1(VALU_DEP_1)
	v_mad_co_u64_u32 v[18:19], null, v44, v221, v[1:2]
	v_perm_b32 v2, v0, v2, 0x6050401
	v_dot4_i32_iu8 v0, v2, v65, 0 neg_lo:[1,1,0]
	s_delay_alu instid0(VALU_DEP_3) | instskip(NEXT) | instid1(VALU_DEP_2)
	v_cvt_f32_i32_e32 v1, v18
	v_dot4_i32_iu8 v0, v73, v211, v0 neg_lo:[1,1,0]
	s_delay_alu instid0(VALU_DEP_2) | instskip(NEXT) | instid1(VALU_DEP_2)
	v_fmac_f32_e32 v5, v17, v1
	v_dot4_i32_iu8 v0, v74, v213, v0 neg_lo:[1,1,0]
	s_delay_alu instid0(VALU_DEP_2)
	v_fmac_f32_e32 v111, v187, v5
	v_perm_b32 v5, v12, v14, 0x6040501
	v_perm_b32 v14, v8, v10, 0x6040501
	;; [unrolled: 1-line block ×4, first 2 shown]
	v_dot4_i32_iu8 v0, v3, v52, v0 neg_lo:[1,1,0]
	v_dot4_i32_iu8 v1, v5, v234, 0 neg_lo:[1,1,0]
	s_delay_alu instid0(VALU_DEP_1) | instskip(NEXT) | instid1(VALU_DEP_1)
	v_dot4_i32_iu8 v1, v70, v75, v1 neg_lo:[1,1,0]
	v_dot4_i32_iu8 v1, v13, v223, v1 neg_lo:[1,1,0]
	s_delay_alu instid0(VALU_DEP_1) | instskip(SKIP_1) | instid1(VALU_DEP_1)
	v_dot4_i32_iu8 v12, v15, v64, v1 neg_lo:[1,1,0]
	v_dot4_i32_iu8 v1, v14, v76, 0 neg_lo:[1,1,0]
	;; [unrolled: 1-line block ×3, first 2 shown]
	s_delay_alu instid0(VALU_DEP_1) | instskip(NEXT) | instid1(VALU_DEP_1)
	v_dot4_i32_iu8 v1, v9, v224, v1 neg_lo:[1,1,0]
	v_dot4_i32_iu8 v10, v11, v66, v1 neg_lo:[1,1,0]
	;; [unrolled: 1-line block ×3, first 2 shown]
	s_delay_alu instid0(VALU_DEP_1) | instskip(NEXT) | instid1(VALU_DEP_1)
	v_dot4_i32_iu8 v1, v45, v207, v1 neg_lo:[1,1,0]
	v_dot4_i32_iu8 v1, v72, v208, v1 neg_lo:[1,1,0]
	s_delay_alu instid0(VALU_DEP_1) | instskip(NEXT) | instid1(VALU_DEP_1)
	v_dot4_i32_iu8 v1, v7, v54, v1 neg_lo:[1,1,0]
	v_mul_lo_u32 v1, v1, v209
	s_delay_alu instid0(VALU_DEP_1) | instskip(NEXT) | instid1(VALU_DEP_1)
	v_mad_co_u64_u32 v[0:1], null, v0, v214, v[1:2]
	v_cvt_f32_i32_e32 v0, v0
	s_delay_alu instid0(VALU_DEP_1) | instskip(SKIP_1) | instid1(VALU_DEP_1)
	v_fma_f32 v6, v16, v0, 0
	v_mul_lo_u32 v0, v12, v217
	v_mad_co_u64_u32 v[0:1], null, v10, v215, v[0:1]
	v_dot4_i32_iu8 v1, v2, v47, 0 neg_lo:[1,1,0]
	s_delay_alu instid0(VALU_DEP_1) | instskip(NEXT) | instid1(VALU_DEP_3)
	v_dot4_i32_iu8 v1, v73, v202, v1 neg_lo:[1,1,0]
	v_cvt_f32_i32_e32 v0, v0
	s_delay_alu instid0(VALU_DEP_2) | instskip(NEXT) | instid1(VALU_DEP_2)
	v_dot4_i32_iu8 v1, v74, v203, v1 neg_lo:[1,1,0]
	v_fmac_f32_e32 v6, v17, v0
	v_dot4_i32_iu8 v0, v5, v59, 0 neg_lo:[1,1,0]
	s_delay_alu instid0(VALU_DEP_3) | instskip(NEXT) | instid1(VALU_DEP_3)
	v_dot4_i32_iu8 v1, v3, v48, v1 neg_lo:[1,1,0]
	v_fmac_f32_e32 v104, v188, v6
	s_delay_alu instid0(VALU_DEP_3) | instskip(NEXT) | instid1(VALU_DEP_1)
	v_dot4_i32_iu8 v0, v70, v67, v0 neg_lo:[1,1,0]
	v_dot4_i32_iu8 v0, v13, v218, v0 neg_lo:[1,1,0]
	s_delay_alu instid0(VALU_DEP_1) | instskip(SKIP_1) | instid1(VALU_DEP_1)
	v_dot4_i32_iu8 v6, v15, v60, v0 neg_lo:[1,1,0]
	v_dot4_i32_iu8 v0, v14, v61, 0 neg_lo:[1,1,0]
	;; [unrolled: 1-line block ×3, first 2 shown]
	s_delay_alu instid0(VALU_DEP_1) | instskip(NEXT) | instid1(VALU_DEP_1)
	v_dot4_i32_iu8 v0, v9, v219, v0 neg_lo:[1,1,0]
	v_dot4_i32_iu8 v10, v11, v62, v0 neg_lo:[1,1,0]
	;; [unrolled: 1-line block ×3, first 2 shown]
	s_delay_alu instid0(VALU_DEP_1) | instskip(NEXT) | instid1(VALU_DEP_1)
	v_dot4_i32_iu8 v0, v45, v199, v0 neg_lo:[1,1,0]
	v_dot4_i32_iu8 v0, v72, v200, v0 neg_lo:[1,1,0]
	s_delay_alu instid0(VALU_DEP_1) | instskip(NEXT) | instid1(VALU_DEP_1)
	v_dot4_i32_iu8 v0, v7, v50, v0 neg_lo:[1,1,0]
	v_mul_lo_u32 v0, v0, v201
	s_delay_alu instid0(VALU_DEP_1) | instskip(NEXT) | instid1(VALU_DEP_1)
	v_mad_co_u64_u32 v[0:1], null, v1, v204, v[0:1]
	v_cvt_f32_i32_e32 v0, v0
	s_delay_alu instid0(VALU_DEP_1) | instskip(SKIP_1) | instid1(VALU_DEP_1)
	v_fma_f32 v12, v16, v0, 0
	v_mul_lo_u32 v0, v6, v206
	v_mad_co_u64_u32 v[0:1], null, v10, v205, v[0:1]
	v_dot4_i32_iu8 v1, v2, v35, 0 neg_lo:[1,1,0]
	s_delay_alu instid0(VALU_DEP_1) | instskip(NEXT) | instid1(VALU_DEP_3)
	v_dot4_i32_iu8 v1, v73, v195, v1 neg_lo:[1,1,0]
	v_cvt_f32_i32_e32 v0, v0
	s_delay_alu instid0(VALU_DEP_2) | instskip(NEXT) | instid1(VALU_DEP_2)
	v_dot4_i32_iu8 v1, v74, v194, v1 neg_lo:[1,1,0]
	v_fmac_f32_e32 v12, v17, v0
	v_dot4_i32_iu8 v0, v5, v51, 0 neg_lo:[1,1,0]
	s_delay_alu instid0(VALU_DEP_3) | instskip(NEXT) | instid1(VALU_DEP_3)
	v_dot4_i32_iu8 v1, v3, v36, v1 neg_lo:[1,1,0]
	v_fmac_f32_e32 v103, v189, v12
	s_delay_alu instid0(VALU_DEP_3) | instskip(NEXT) | instid1(VALU_DEP_1)
	v_dot4_i32_iu8 v0, v70, v53, v0 neg_lo:[1,1,0]
	v_dot4_i32_iu8 v0, v13, v210, v0 neg_lo:[1,1,0]
	s_delay_alu instid0(VALU_DEP_1) | instskip(SKIP_1) | instid1(VALU_DEP_1)
	v_dot4_i32_iu8 v5, v15, v56, v0 neg_lo:[1,1,0]
	v_dot4_i32_iu8 v0, v14, v55, 0 neg_lo:[1,1,0]
	;; [unrolled: 1-line block ×3, first 2 shown]
	s_delay_alu instid0(VALU_DEP_1) | instskip(NEXT) | instid1(VALU_DEP_1)
	v_dot4_i32_iu8 v0, v9, v216, v0 neg_lo:[1,1,0]
	v_dot4_i32_iu8 v6, v11, v58, v0 neg_lo:[1,1,0]
	;; [unrolled: 1-line block ×3, first 2 shown]
	s_delay_alu instid0(VALU_DEP_1) | instskip(NEXT) | instid1(VALU_DEP_1)
	v_dot4_i32_iu8 v0, v45, v198, v0 neg_lo:[1,1,0]
	v_dot4_i32_iu8 v0, v72, v197, v0 neg_lo:[1,1,0]
	s_delay_alu instid0(VALU_DEP_1) | instskip(NEXT) | instid1(VALU_DEP_1)
	v_dot4_i32_iu8 v0, v7, v46, v0 neg_lo:[1,1,0]
	v_mul_lo_u32 v0, v0, v196
	s_delay_alu instid0(VALU_DEP_1) | instskip(NEXT) | instid1(VALU_DEP_1)
	v_mad_co_u64_u32 v[0:1], null, v1, v193, v[0:1]
	v_cvt_f32_i32_e32 v0, v0
	s_delay_alu instid0(VALU_DEP_1) | instskip(SKIP_1) | instid1(VALU_DEP_1)
	v_fma_f32 v2, v16, v0, 0
	v_mul_lo_u32 v0, v5, v192
	v_mad_co_u64_u32 v[0:1], null, v6, v191, v[0:1]
	s_delay_alu instid0(VALU_DEP_1) | instskip(NEXT) | instid1(VALU_DEP_1)
	v_cvt_f32_i32_e32 v0, v0
	v_fmac_f32_e32 v2, v17, v0
	v_or_b32_e32 v0, s10, v160
	s_delay_alu instid0(VALU_DEP_2) | instskip(NEXT) | instid1(VALU_DEP_2)
	v_fmac_f32_e32 v102, v190, v2
	v_lshlrev_b32_e32 v12, 2, v0
	v_lshrrev_b32_e32 v16, 1, v0
	ds_load_b128 v[0:3], v12 offset:33280
	ds_load_b128 v[4:7], v12 offset:33296
	;; [unrolled: 1-line block ×4, first 2 shown]
	ds_load_b64 v[16:17], v16 offset:43584
	s_wait_dscnt 0x4
	v_perm_b32 v73, v1, v0, 0x6040503
	s_wait_dscnt 0x3
	v_perm_b32 v72, v6, v5, 0x7060403
	s_wait_dscnt 0x2
	v_bfe_i32 v18, v10, 8, 8
	v_bfe_i32 v19, v8, 8, 8
	;; [unrolled: 1-line block ×3, first 2 shown]
	v_ashrrev_i32_e32 v45, 24, v10
	s_wait_dscnt 0x1
	v_perm_b32 v70, v14, v14, 0xc0c0c01
	v_mul_i32_i24_e32 v18, v18, v226
	v_perm_b32 v74, v2, v1, 0x7060403
	v_mul_i32_i24_e32 v44, v228, v44
	v_mul_i32_i24_e32 v45, v227, v45
	v_perm_b32 v69, v12, v68, 0x6040503
	v_mad_i32_i24 v18, v229, v19, v18
	v_perm_b32 v19, v9, v8, 0x5030200
	v_or_b32_e32 v70, v235, v70
	s_delay_alu instid0(VALU_DEP_2) | instskip(SKIP_1) | instid1(VALU_DEP_3)
	v_dot4_i32_iu8 v18, v238, v19, v18 neg_lo:[1,1,0]
	v_perm_b32 v19, v10, v9, 0x4030200
	v_dot4_i32_iu8 v69, v70, v69, 0 neg_lo:[1,1,0]
	v_perm_b32 v70, v13, v12, 0x6040503
	v_perm_b32 v13, v14, v13, 0x7060403
	s_delay_alu instid0(VALU_DEP_4) | instskip(SKIP_1) | instid1(VALU_DEP_4)
	v_dot4_i32_iu8 v18, v239, v19, v18 neg_lo:[1,1,0]
	v_perm_b32 v19, v11, v11, 0x3020001
	v_dot4_i32_iu8 v69, v70, v236, v69 neg_lo:[1,1,0]
	s_delay_alu instid0(VALU_DEP_3) | instskip(SKIP_1) | instid1(VALU_DEP_3)
	v_add3_u32 v18, v18, v44, v45
	v_perm_b32 v45, v5, v4, 0x6040503
	v_dot4_i32_iu8 v69, v237, v13, v69 neg_lo:[1,1,0]
	s_delay_alu instid0(VALU_DEP_3) | instskip(SKIP_2) | instid1(VALU_DEP_4)
	v_dot4_i32_iu8 v44, v240, v19, v18 neg_lo:[1,1,0]
	v_perm_b32 v18, v4, v39, 0x6050401
	v_perm_b32 v19, v43, v6, 0x6050401
	v_dot4_i32_iu8 v69, v225, v15, v69 neg_lo:[1,1,0]
	v_perm_b32 v4, v4, v6, 0x6050401
	s_delay_alu instid0(VALU_DEP_3) | instskip(SKIP_1) | instid1(VALU_DEP_2)
	v_dot4_i32_iu8 v18, v19, v18, 0 neg_lo:[1,1,0]
	v_perm_b32 v19, v41, v2, 0x6050401
	v_dot4_i32_iu8 v18, v230, v45, v18 neg_lo:[1,1,0]
	s_delay_alu instid0(VALU_DEP_1) | instskip(SKIP_1) | instid1(VALU_DEP_2)
	v_dot4_i32_iu8 v5, v231, v72, v18 neg_lo:[1,1,0]
	v_perm_b32 v18, v0, v37, 0x6050401
	v_dot4_i32_iu8 v5, v7, v40, v5 neg_lo:[1,1,0]
	s_delay_alu instid0(VALU_DEP_2) | instskip(NEXT) | instid1(VALU_DEP_2)
	v_dot4_i32_iu8 v18, v19, v18, 0 neg_lo:[1,1,0]
	v_mul_lo_u32 v5, v5, v212
	s_delay_alu instid0(VALU_DEP_2) | instskip(NEXT) | instid1(VALU_DEP_1)
	v_dot4_i32_iu8 v18, v232, v73, v18 neg_lo:[1,1,0]
	v_dot4_i32_iu8 v1, v233, v74, v18 neg_lo:[1,1,0]
	s_delay_alu instid0(VALU_DEP_1) | instskip(NEXT) | instid1(VALU_DEP_1)
	v_dot4_i32_iu8 v1, v3, v38, v1 neg_lo:[1,1,0]
	v_mad_co_u64_u32 v[18:19], null, v1, v220, v[5:6]
	s_delay_alu instid0(VALU_DEP_1) | instskip(SKIP_1) | instid1(VALU_DEP_1)
	v_cvt_f32_i32_e32 v1, v18
	s_wait_dscnt 0x0
	v_fma_f32 v5, v16, v1, 0
	v_mul_lo_u32 v1, v69, v222
	s_delay_alu instid0(VALU_DEP_1) | instskip(SKIP_1) | instid1(VALU_DEP_1)
	v_mad_co_u64_u32 v[18:19], null, v44, v221, v[1:2]
	v_perm_b32 v2, v0, v2, 0x6050401
	v_dot4_i32_iu8 v0, v2, v65, 0 neg_lo:[1,1,0]
	s_delay_alu instid0(VALU_DEP_3) | instskip(NEXT) | instid1(VALU_DEP_2)
	v_cvt_f32_i32_e32 v1, v18
	v_dot4_i32_iu8 v0, v73, v211, v0 neg_lo:[1,1,0]
	s_delay_alu instid0(VALU_DEP_2) | instskip(NEXT) | instid1(VALU_DEP_2)
	v_fmac_f32_e32 v5, v17, v1
	v_dot4_i32_iu8 v0, v74, v213, v0 neg_lo:[1,1,0]
	s_delay_alu instid0(VALU_DEP_2)
	v_fmac_f32_e32 v101, v187, v5
	v_perm_b32 v5, v12, v14, 0x6040501
	v_perm_b32 v14, v8, v10, 0x6040501
	;; [unrolled: 1-line block ×4, first 2 shown]
	v_dot4_i32_iu8 v0, v3, v52, v0 neg_lo:[1,1,0]
	v_dot4_i32_iu8 v1, v5, v234, 0 neg_lo:[1,1,0]
	s_delay_alu instid0(VALU_DEP_1) | instskip(NEXT) | instid1(VALU_DEP_1)
	v_dot4_i32_iu8 v1, v70, v75, v1 neg_lo:[1,1,0]
	v_dot4_i32_iu8 v1, v13, v223, v1 neg_lo:[1,1,0]
	s_delay_alu instid0(VALU_DEP_1) | instskip(SKIP_1) | instid1(VALU_DEP_1)
	v_dot4_i32_iu8 v12, v15, v64, v1 neg_lo:[1,1,0]
	v_dot4_i32_iu8 v1, v14, v76, 0 neg_lo:[1,1,0]
	;; [unrolled: 1-line block ×3, first 2 shown]
	s_delay_alu instid0(VALU_DEP_1) | instskip(NEXT) | instid1(VALU_DEP_1)
	v_dot4_i32_iu8 v1, v9, v224, v1 neg_lo:[1,1,0]
	v_dot4_i32_iu8 v10, v11, v66, v1 neg_lo:[1,1,0]
	;; [unrolled: 1-line block ×3, first 2 shown]
	s_delay_alu instid0(VALU_DEP_1) | instskip(NEXT) | instid1(VALU_DEP_1)
	v_dot4_i32_iu8 v1, v45, v207, v1 neg_lo:[1,1,0]
	v_dot4_i32_iu8 v1, v72, v208, v1 neg_lo:[1,1,0]
	s_delay_alu instid0(VALU_DEP_1) | instskip(NEXT) | instid1(VALU_DEP_1)
	v_dot4_i32_iu8 v1, v7, v54, v1 neg_lo:[1,1,0]
	v_mul_lo_u32 v1, v1, v209
	s_delay_alu instid0(VALU_DEP_1) | instskip(NEXT) | instid1(VALU_DEP_1)
	v_mad_co_u64_u32 v[0:1], null, v0, v214, v[1:2]
	v_cvt_f32_i32_e32 v0, v0
	s_delay_alu instid0(VALU_DEP_1) | instskip(SKIP_1) | instid1(VALU_DEP_1)
	v_fma_f32 v6, v16, v0, 0
	v_mul_lo_u32 v0, v12, v217
	v_mad_co_u64_u32 v[0:1], null, v10, v215, v[0:1]
	v_dot4_i32_iu8 v1, v2, v47, 0 neg_lo:[1,1,0]
	s_delay_alu instid0(VALU_DEP_1) | instskip(NEXT) | instid1(VALU_DEP_3)
	v_dot4_i32_iu8 v1, v73, v202, v1 neg_lo:[1,1,0]
	v_cvt_f32_i32_e32 v0, v0
	s_delay_alu instid0(VALU_DEP_2) | instskip(NEXT) | instid1(VALU_DEP_2)
	v_dot4_i32_iu8 v1, v74, v203, v1 neg_lo:[1,1,0]
	v_fmac_f32_e32 v6, v17, v0
	v_dot4_i32_iu8 v0, v5, v59, 0 neg_lo:[1,1,0]
	s_delay_alu instid0(VALU_DEP_3) | instskip(NEXT) | instid1(VALU_DEP_3)
	v_dot4_i32_iu8 v1, v3, v48, v1 neg_lo:[1,1,0]
	v_fmac_f32_e32 v99, v188, v6
	s_delay_alu instid0(VALU_DEP_3) | instskip(NEXT) | instid1(VALU_DEP_1)
	v_dot4_i32_iu8 v0, v70, v67, v0 neg_lo:[1,1,0]
	v_dot4_i32_iu8 v0, v13, v218, v0 neg_lo:[1,1,0]
	s_delay_alu instid0(VALU_DEP_1) | instskip(SKIP_1) | instid1(VALU_DEP_1)
	v_dot4_i32_iu8 v6, v15, v60, v0 neg_lo:[1,1,0]
	v_dot4_i32_iu8 v0, v14, v61, 0 neg_lo:[1,1,0]
	;; [unrolled: 1-line block ×3, first 2 shown]
	s_delay_alu instid0(VALU_DEP_1) | instskip(NEXT) | instid1(VALU_DEP_1)
	v_dot4_i32_iu8 v0, v9, v219, v0 neg_lo:[1,1,0]
	v_dot4_i32_iu8 v10, v11, v62, v0 neg_lo:[1,1,0]
	;; [unrolled: 1-line block ×3, first 2 shown]
	s_delay_alu instid0(VALU_DEP_1) | instskip(NEXT) | instid1(VALU_DEP_1)
	v_dot4_i32_iu8 v0, v45, v199, v0 neg_lo:[1,1,0]
	v_dot4_i32_iu8 v0, v72, v200, v0 neg_lo:[1,1,0]
	s_delay_alu instid0(VALU_DEP_1) | instskip(NEXT) | instid1(VALU_DEP_1)
	v_dot4_i32_iu8 v0, v7, v50, v0 neg_lo:[1,1,0]
	v_mul_lo_u32 v0, v0, v201
	s_delay_alu instid0(VALU_DEP_1) | instskip(NEXT) | instid1(VALU_DEP_1)
	v_mad_co_u64_u32 v[0:1], null, v1, v204, v[0:1]
	v_cvt_f32_i32_e32 v0, v0
	s_delay_alu instid0(VALU_DEP_1) | instskip(SKIP_1) | instid1(VALU_DEP_1)
	v_fma_f32 v12, v16, v0, 0
	v_mul_lo_u32 v0, v6, v206
	v_mad_co_u64_u32 v[0:1], null, v10, v205, v[0:1]
	v_dot4_i32_iu8 v1, v2, v35, 0 neg_lo:[1,1,0]
	s_delay_alu instid0(VALU_DEP_1) | instskip(NEXT) | instid1(VALU_DEP_3)
	v_dot4_i32_iu8 v1, v73, v195, v1 neg_lo:[1,1,0]
	v_cvt_f32_i32_e32 v0, v0
	s_delay_alu instid0(VALU_DEP_2) | instskip(NEXT) | instid1(VALU_DEP_2)
	v_dot4_i32_iu8 v1, v74, v194, v1 neg_lo:[1,1,0]
	v_fmac_f32_e32 v12, v17, v0
	v_dot4_i32_iu8 v0, v5, v51, 0 neg_lo:[1,1,0]
	s_delay_alu instid0(VALU_DEP_3) | instskip(NEXT) | instid1(VALU_DEP_2)
	v_dot4_i32_iu8 v1, v3, v36, v1 neg_lo:[1,1,0]
	v_dot4_i32_iu8 v0, v70, v53, v0 neg_lo:[1,1,0]
	s_delay_alu instid0(VALU_DEP_1) | instskip(NEXT) | instid1(VALU_DEP_1)
	v_dot4_i32_iu8 v0, v13, v210, v0 neg_lo:[1,1,0]
	v_dot4_i32_iu8 v5, v15, v56, v0 neg_lo:[1,1,0]
	;; [unrolled: 1-line block ×3, first 2 shown]
	s_delay_alu instid0(VALU_DEP_1) | instskip(NEXT) | instid1(VALU_DEP_1)
	v_dot4_i32_iu8 v0, v8, v57, v0 neg_lo:[1,1,0]
	v_dot4_i32_iu8 v0, v9, v216, v0 neg_lo:[1,1,0]
	s_delay_alu instid0(VALU_DEP_1) | instskip(SKIP_1) | instid1(VALU_DEP_1)
	v_dot4_i32_iu8 v6, v11, v58, v0 neg_lo:[1,1,0]
	v_dot4_i32_iu8 v0, v4, v42, 0 neg_lo:[1,1,0]
	;; [unrolled: 1-line block ×3, first 2 shown]
	s_delay_alu instid0(VALU_DEP_1) | instskip(NEXT) | instid1(VALU_DEP_1)
	v_dot4_i32_iu8 v0, v72, v197, v0 neg_lo:[1,1,0]
	v_dot4_i32_iu8 v0, v7, v46, v0 neg_lo:[1,1,0]
	s_delay_alu instid0(VALU_DEP_1) | instskip(NEXT) | instid1(VALU_DEP_1)
	v_mul_lo_u32 v0, v0, v196
	v_mad_co_u64_u32 v[0:1], null, v1, v193, v[0:1]
	s_delay_alu instid0(VALU_DEP_1) | instskip(NEXT) | instid1(VALU_DEP_1)
	v_cvt_f32_i32_e32 v0, v0
	v_fma_f32 v2, v16, v0, 0
	v_mul_lo_u32 v0, v5, v192
	s_delay_alu instid0(VALU_DEP_1) | instskip(NEXT) | instid1(VALU_DEP_1)
	v_mad_co_u64_u32 v[0:1], null, v6, v191, v[0:1]
	v_cvt_f32_i32_e32 v0, v0
	s_delay_alu instid0(VALU_DEP_1) | instskip(SKIP_1) | instid1(VALU_DEP_2)
	v_fmac_f32_e32 v2, v17, v0
	v_or_b32_e32 v0, s10, v161
	v_dual_fmac_f32 v98, v189, v12 :: v_dual_fmac_f32 v95, v190, v2
	s_delay_alu instid0(VALU_DEP_2)
	v_lshlrev_b32_e32 v12, 2, v0
	v_lshrrev_b32_e32 v16, 1, v0
	ds_load_b128 v[0:3], v12 offset:33280
	ds_load_b128 v[4:7], v12 offset:33296
	;; [unrolled: 1-line block ×4, first 2 shown]
	ds_load_b64 v[16:17], v16 offset:43584
	s_wait_dscnt 0x4
	v_perm_b32 v73, v1, v0, 0x6040503
	s_wait_dscnt 0x3
	v_perm_b32 v72, v6, v5, 0x7060403
	s_wait_dscnt 0x2
	v_bfe_i32 v18, v10, 8, 8
	v_bfe_i32 v19, v8, 8, 8
	v_bfe_i32 v44, v10, 16, 8
	v_ashrrev_i32_e32 v45, 24, v10
	s_wait_dscnt 0x1
	v_perm_b32 v70, v14, v14, 0xc0c0c01
	v_mul_i32_i24_e32 v18, v18, v226
	v_perm_b32 v74, v2, v1, 0x7060403
	v_mul_i32_i24_e32 v44, v228, v44
	v_mul_i32_i24_e32 v45, v227, v45
	v_perm_b32 v69, v12, v68, 0x6040503
	v_mad_i32_i24 v18, v229, v19, v18
	v_perm_b32 v19, v9, v8, 0x5030200
	v_or_b32_e32 v70, v235, v70
	s_delay_alu instid0(VALU_DEP_2) | instskip(SKIP_1) | instid1(VALU_DEP_3)
	v_dot4_i32_iu8 v18, v238, v19, v18 neg_lo:[1,1,0]
	v_perm_b32 v19, v10, v9, 0x4030200
	v_dot4_i32_iu8 v69, v70, v69, 0 neg_lo:[1,1,0]
	v_perm_b32 v70, v13, v12, 0x6040503
	v_perm_b32 v13, v14, v13, 0x7060403
	s_delay_alu instid0(VALU_DEP_4) | instskip(SKIP_1) | instid1(VALU_DEP_4)
	v_dot4_i32_iu8 v18, v239, v19, v18 neg_lo:[1,1,0]
	v_perm_b32 v19, v11, v11, 0x3020001
	v_dot4_i32_iu8 v69, v70, v236, v69 neg_lo:[1,1,0]
	s_delay_alu instid0(VALU_DEP_3) | instskip(SKIP_1) | instid1(VALU_DEP_3)
	v_add3_u32 v18, v18, v44, v45
	v_perm_b32 v45, v5, v4, 0x6040503
	v_dot4_i32_iu8 v69, v237, v13, v69 neg_lo:[1,1,0]
	s_delay_alu instid0(VALU_DEP_3) | instskip(SKIP_2) | instid1(VALU_DEP_4)
	v_dot4_i32_iu8 v44, v240, v19, v18 neg_lo:[1,1,0]
	v_perm_b32 v18, v4, v39, 0x6050401
	v_perm_b32 v19, v43, v6, 0x6050401
	v_dot4_i32_iu8 v69, v225, v15, v69 neg_lo:[1,1,0]
	v_perm_b32 v4, v4, v6, 0x6050401
	s_delay_alu instid0(VALU_DEP_3) | instskip(SKIP_1) | instid1(VALU_DEP_2)
	v_dot4_i32_iu8 v18, v19, v18, 0 neg_lo:[1,1,0]
	v_perm_b32 v19, v41, v2, 0x6050401
	v_dot4_i32_iu8 v18, v230, v45, v18 neg_lo:[1,1,0]
	s_delay_alu instid0(VALU_DEP_1) | instskip(SKIP_1) | instid1(VALU_DEP_2)
	v_dot4_i32_iu8 v5, v231, v72, v18 neg_lo:[1,1,0]
	v_perm_b32 v18, v0, v37, 0x6050401
	v_dot4_i32_iu8 v5, v7, v40, v5 neg_lo:[1,1,0]
	s_delay_alu instid0(VALU_DEP_2) | instskip(NEXT) | instid1(VALU_DEP_2)
	v_dot4_i32_iu8 v18, v19, v18, 0 neg_lo:[1,1,0]
	v_mul_lo_u32 v5, v5, v212
	s_delay_alu instid0(VALU_DEP_2) | instskip(NEXT) | instid1(VALU_DEP_1)
	v_dot4_i32_iu8 v18, v232, v73, v18 neg_lo:[1,1,0]
	v_dot4_i32_iu8 v1, v233, v74, v18 neg_lo:[1,1,0]
	s_delay_alu instid0(VALU_DEP_1) | instskip(NEXT) | instid1(VALU_DEP_1)
	v_dot4_i32_iu8 v1, v3, v38, v1 neg_lo:[1,1,0]
	v_mad_co_u64_u32 v[18:19], null, v1, v220, v[5:6]
	s_delay_alu instid0(VALU_DEP_1) | instskip(SKIP_1) | instid1(VALU_DEP_1)
	v_cvt_f32_i32_e32 v1, v18
	s_wait_dscnt 0x0
	v_fma_f32 v5, v16, v1, 0
	v_mul_lo_u32 v1, v69, v222
	s_delay_alu instid0(VALU_DEP_1) | instskip(SKIP_1) | instid1(VALU_DEP_1)
	v_mad_co_u64_u32 v[18:19], null, v44, v221, v[1:2]
	v_perm_b32 v2, v0, v2, 0x6050401
	v_dot4_i32_iu8 v0, v2, v65, 0 neg_lo:[1,1,0]
	s_delay_alu instid0(VALU_DEP_3) | instskip(NEXT) | instid1(VALU_DEP_2)
	v_cvt_f32_i32_e32 v1, v18
	v_dot4_i32_iu8 v0, v73, v211, v0 neg_lo:[1,1,0]
	s_delay_alu instid0(VALU_DEP_2) | instskip(NEXT) | instid1(VALU_DEP_2)
	v_fmac_f32_e32 v5, v17, v1
	v_dot4_i32_iu8 v0, v74, v213, v0 neg_lo:[1,1,0]
	s_delay_alu instid0(VALU_DEP_2)
	v_fmac_f32_e32 v94, v187, v5
	v_perm_b32 v5, v12, v14, 0x6040501
	v_perm_b32 v14, v8, v10, 0x6040501
	;; [unrolled: 1-line block ×4, first 2 shown]
	v_dot4_i32_iu8 v0, v3, v52, v0 neg_lo:[1,1,0]
	v_dot4_i32_iu8 v1, v5, v234, 0 neg_lo:[1,1,0]
	s_delay_alu instid0(VALU_DEP_1) | instskip(NEXT) | instid1(VALU_DEP_1)
	v_dot4_i32_iu8 v1, v70, v75, v1 neg_lo:[1,1,0]
	v_dot4_i32_iu8 v1, v13, v223, v1 neg_lo:[1,1,0]
	s_delay_alu instid0(VALU_DEP_1) | instskip(SKIP_1) | instid1(VALU_DEP_1)
	v_dot4_i32_iu8 v12, v15, v64, v1 neg_lo:[1,1,0]
	v_dot4_i32_iu8 v1, v14, v76, 0 neg_lo:[1,1,0]
	v_dot4_i32_iu8 v1, v8, v77, v1 neg_lo:[1,1,0]
	s_delay_alu instid0(VALU_DEP_1) | instskip(NEXT) | instid1(VALU_DEP_1)
	v_dot4_i32_iu8 v1, v9, v224, v1 neg_lo:[1,1,0]
	v_dot4_i32_iu8 v10, v11, v66, v1 neg_lo:[1,1,0]
	;; [unrolled: 1-line block ×3, first 2 shown]
	s_delay_alu instid0(VALU_DEP_1) | instskip(NEXT) | instid1(VALU_DEP_1)
	v_dot4_i32_iu8 v1, v45, v207, v1 neg_lo:[1,1,0]
	v_dot4_i32_iu8 v1, v72, v208, v1 neg_lo:[1,1,0]
	s_delay_alu instid0(VALU_DEP_1) | instskip(NEXT) | instid1(VALU_DEP_1)
	v_dot4_i32_iu8 v1, v7, v54, v1 neg_lo:[1,1,0]
	v_mul_lo_u32 v1, v1, v209
	s_delay_alu instid0(VALU_DEP_1) | instskip(NEXT) | instid1(VALU_DEP_1)
	v_mad_co_u64_u32 v[0:1], null, v0, v214, v[1:2]
	v_cvt_f32_i32_e32 v0, v0
	s_delay_alu instid0(VALU_DEP_1) | instskip(SKIP_1) | instid1(VALU_DEP_1)
	v_fma_f32 v6, v16, v0, 0
	v_mul_lo_u32 v0, v12, v217
	v_mad_co_u64_u32 v[0:1], null, v10, v215, v[0:1]
	v_dot4_i32_iu8 v1, v2, v47, 0 neg_lo:[1,1,0]
	s_delay_alu instid0(VALU_DEP_1) | instskip(NEXT) | instid1(VALU_DEP_3)
	v_dot4_i32_iu8 v1, v73, v202, v1 neg_lo:[1,1,0]
	v_cvt_f32_i32_e32 v0, v0
	s_delay_alu instid0(VALU_DEP_2) | instskip(NEXT) | instid1(VALU_DEP_2)
	v_dot4_i32_iu8 v1, v74, v203, v1 neg_lo:[1,1,0]
	v_fmac_f32_e32 v6, v17, v0
	v_dot4_i32_iu8 v0, v5, v59, 0 neg_lo:[1,1,0]
	s_delay_alu instid0(VALU_DEP_3) | instskip(NEXT) | instid1(VALU_DEP_3)
	v_dot4_i32_iu8 v1, v3, v48, v1 neg_lo:[1,1,0]
	v_fmac_f32_e32 v93, v188, v6
	s_delay_alu instid0(VALU_DEP_3) | instskip(NEXT) | instid1(VALU_DEP_1)
	v_dot4_i32_iu8 v0, v70, v67, v0 neg_lo:[1,1,0]
	v_dot4_i32_iu8 v0, v13, v218, v0 neg_lo:[1,1,0]
	s_delay_alu instid0(VALU_DEP_1) | instskip(SKIP_1) | instid1(VALU_DEP_1)
	v_dot4_i32_iu8 v6, v15, v60, v0 neg_lo:[1,1,0]
	v_dot4_i32_iu8 v0, v14, v61, 0 neg_lo:[1,1,0]
	;; [unrolled: 1-line block ×3, first 2 shown]
	s_delay_alu instid0(VALU_DEP_1) | instskip(NEXT) | instid1(VALU_DEP_1)
	v_dot4_i32_iu8 v0, v9, v219, v0 neg_lo:[1,1,0]
	v_dot4_i32_iu8 v10, v11, v62, v0 neg_lo:[1,1,0]
	;; [unrolled: 1-line block ×3, first 2 shown]
	s_delay_alu instid0(VALU_DEP_1) | instskip(NEXT) | instid1(VALU_DEP_1)
	v_dot4_i32_iu8 v0, v45, v199, v0 neg_lo:[1,1,0]
	v_dot4_i32_iu8 v0, v72, v200, v0 neg_lo:[1,1,0]
	s_delay_alu instid0(VALU_DEP_1) | instskip(NEXT) | instid1(VALU_DEP_1)
	v_dot4_i32_iu8 v0, v7, v50, v0 neg_lo:[1,1,0]
	v_mul_lo_u32 v0, v0, v201
	s_delay_alu instid0(VALU_DEP_1) | instskip(NEXT) | instid1(VALU_DEP_1)
	v_mad_co_u64_u32 v[0:1], null, v1, v204, v[0:1]
	v_cvt_f32_i32_e32 v0, v0
	s_delay_alu instid0(VALU_DEP_1) | instskip(SKIP_1) | instid1(VALU_DEP_1)
	v_fma_f32 v12, v16, v0, 0
	v_mul_lo_u32 v0, v6, v206
	v_mad_co_u64_u32 v[0:1], null, v10, v205, v[0:1]
	v_dot4_i32_iu8 v1, v2, v35, 0 neg_lo:[1,1,0]
	s_delay_alu instid0(VALU_DEP_1) | instskip(NEXT) | instid1(VALU_DEP_3)
	v_dot4_i32_iu8 v1, v73, v195, v1 neg_lo:[1,1,0]
	v_cvt_f32_i32_e32 v0, v0
	s_delay_alu instid0(VALU_DEP_2) | instskip(NEXT) | instid1(VALU_DEP_2)
	v_dot4_i32_iu8 v1, v74, v194, v1 neg_lo:[1,1,0]
	v_fmac_f32_e32 v12, v17, v0
	v_dot4_i32_iu8 v0, v5, v51, 0 neg_lo:[1,1,0]
	s_delay_alu instid0(VALU_DEP_3) | instskip(NEXT) | instid1(VALU_DEP_3)
	v_dot4_i32_iu8 v1, v3, v36, v1 neg_lo:[1,1,0]
	v_fmac_f32_e32 v92, v189, v12
	s_delay_alu instid0(VALU_DEP_3) | instskip(NEXT) | instid1(VALU_DEP_1)
	v_dot4_i32_iu8 v0, v70, v53, v0 neg_lo:[1,1,0]
	v_dot4_i32_iu8 v0, v13, v210, v0 neg_lo:[1,1,0]
	s_delay_alu instid0(VALU_DEP_1) | instskip(SKIP_1) | instid1(VALU_DEP_1)
	v_dot4_i32_iu8 v5, v15, v56, v0 neg_lo:[1,1,0]
	v_dot4_i32_iu8 v0, v14, v55, 0 neg_lo:[1,1,0]
	;; [unrolled: 1-line block ×3, first 2 shown]
	s_delay_alu instid0(VALU_DEP_1) | instskip(NEXT) | instid1(VALU_DEP_1)
	v_dot4_i32_iu8 v0, v9, v216, v0 neg_lo:[1,1,0]
	v_dot4_i32_iu8 v6, v11, v58, v0 neg_lo:[1,1,0]
	;; [unrolled: 1-line block ×3, first 2 shown]
	s_delay_alu instid0(VALU_DEP_1) | instskip(NEXT) | instid1(VALU_DEP_1)
	v_dot4_i32_iu8 v0, v45, v198, v0 neg_lo:[1,1,0]
	v_dot4_i32_iu8 v0, v72, v197, v0 neg_lo:[1,1,0]
	s_delay_alu instid0(VALU_DEP_1) | instskip(NEXT) | instid1(VALU_DEP_1)
	v_dot4_i32_iu8 v0, v7, v46, v0 neg_lo:[1,1,0]
	v_mul_lo_u32 v0, v0, v196
	s_delay_alu instid0(VALU_DEP_1) | instskip(NEXT) | instid1(VALU_DEP_1)
	v_mad_co_u64_u32 v[0:1], null, v1, v193, v[0:1]
	v_cvt_f32_i32_e32 v0, v0
	s_delay_alu instid0(VALU_DEP_1) | instskip(SKIP_1) | instid1(VALU_DEP_1)
	v_fma_f32 v2, v16, v0, 0
	v_mul_lo_u32 v0, v5, v192
	v_mad_co_u64_u32 v[0:1], null, v6, v191, v[0:1]
	s_delay_alu instid0(VALU_DEP_1) | instskip(NEXT) | instid1(VALU_DEP_1)
	v_cvt_f32_i32_e32 v0, v0
	v_fmac_f32_e32 v2, v17, v0
	v_or_b32_e32 v0, s10, v162
	s_delay_alu instid0(VALU_DEP_1)
	v_dual_fmac_f32 v91, v190, v2 :: v_dual_lshlrev_b32 v12, 2, v0
	v_lshrrev_b32_e32 v16, 1, v0
	ds_load_b128 v[0:3], v12 offset:33280
	ds_load_b128 v[4:7], v12 offset:33296
	;; [unrolled: 1-line block ×4, first 2 shown]
	ds_load_b64 v[16:17], v16 offset:43584
	s_wait_dscnt 0x4
	v_perm_b32 v73, v1, v0, 0x6040503
	s_wait_dscnt 0x3
	v_perm_b32 v72, v6, v5, 0x7060403
	s_wait_dscnt 0x2
	v_bfe_i32 v18, v10, 8, 8
	v_bfe_i32 v19, v8, 8, 8
	;; [unrolled: 1-line block ×3, first 2 shown]
	v_ashrrev_i32_e32 v45, 24, v10
	s_wait_dscnt 0x1
	v_perm_b32 v70, v14, v14, 0xc0c0c01
	v_mul_i32_i24_e32 v18, v18, v226
	v_perm_b32 v74, v2, v1, 0x7060403
	v_mul_i32_i24_e32 v44, v228, v44
	v_mul_i32_i24_e32 v45, v227, v45
	v_perm_b32 v69, v12, v68, 0x6040503
	v_mad_i32_i24 v18, v229, v19, v18
	v_perm_b32 v19, v9, v8, 0x5030200
	v_or_b32_e32 v70, v235, v70
	s_delay_alu instid0(VALU_DEP_2) | instskip(SKIP_1) | instid1(VALU_DEP_3)
	v_dot4_i32_iu8 v18, v238, v19, v18 neg_lo:[1,1,0]
	v_perm_b32 v19, v10, v9, 0x4030200
	v_dot4_i32_iu8 v69, v70, v69, 0 neg_lo:[1,1,0]
	v_perm_b32 v70, v13, v12, 0x6040503
	v_perm_b32 v13, v14, v13, 0x7060403
	s_delay_alu instid0(VALU_DEP_4) | instskip(SKIP_1) | instid1(VALU_DEP_4)
	v_dot4_i32_iu8 v18, v239, v19, v18 neg_lo:[1,1,0]
	v_perm_b32 v19, v11, v11, 0x3020001
	v_dot4_i32_iu8 v69, v70, v236, v69 neg_lo:[1,1,0]
	s_delay_alu instid0(VALU_DEP_3) | instskip(SKIP_1) | instid1(VALU_DEP_3)
	v_add3_u32 v18, v18, v44, v45
	v_perm_b32 v45, v5, v4, 0x6040503
	v_dot4_i32_iu8 v69, v237, v13, v69 neg_lo:[1,1,0]
	s_delay_alu instid0(VALU_DEP_3) | instskip(SKIP_2) | instid1(VALU_DEP_4)
	v_dot4_i32_iu8 v44, v240, v19, v18 neg_lo:[1,1,0]
	v_perm_b32 v18, v4, v39, 0x6050401
	v_perm_b32 v19, v43, v6, 0x6050401
	v_dot4_i32_iu8 v69, v225, v15, v69 neg_lo:[1,1,0]
	v_perm_b32 v4, v4, v6, 0x6050401
	s_delay_alu instid0(VALU_DEP_3) | instskip(SKIP_1) | instid1(VALU_DEP_2)
	v_dot4_i32_iu8 v18, v19, v18, 0 neg_lo:[1,1,0]
	v_perm_b32 v19, v41, v2, 0x6050401
	v_dot4_i32_iu8 v18, v230, v45, v18 neg_lo:[1,1,0]
	s_delay_alu instid0(VALU_DEP_1) | instskip(SKIP_1) | instid1(VALU_DEP_2)
	v_dot4_i32_iu8 v5, v231, v72, v18 neg_lo:[1,1,0]
	v_perm_b32 v18, v0, v37, 0x6050401
	v_dot4_i32_iu8 v5, v7, v40, v5 neg_lo:[1,1,0]
	s_delay_alu instid0(VALU_DEP_2) | instskip(NEXT) | instid1(VALU_DEP_2)
	v_dot4_i32_iu8 v18, v19, v18, 0 neg_lo:[1,1,0]
	v_mul_lo_u32 v5, v5, v212
	s_delay_alu instid0(VALU_DEP_2) | instskip(NEXT) | instid1(VALU_DEP_1)
	v_dot4_i32_iu8 v18, v232, v73, v18 neg_lo:[1,1,0]
	v_dot4_i32_iu8 v1, v233, v74, v18 neg_lo:[1,1,0]
	s_delay_alu instid0(VALU_DEP_1) | instskip(NEXT) | instid1(VALU_DEP_1)
	v_dot4_i32_iu8 v1, v3, v38, v1 neg_lo:[1,1,0]
	v_mad_co_u64_u32 v[18:19], null, v1, v220, v[5:6]
	s_delay_alu instid0(VALU_DEP_1) | instskip(SKIP_1) | instid1(VALU_DEP_1)
	v_cvt_f32_i32_e32 v1, v18
	s_wait_dscnt 0x0
	v_fma_f32 v5, v16, v1, 0
	v_mul_lo_u32 v1, v69, v222
	s_delay_alu instid0(VALU_DEP_1) | instskip(SKIP_1) | instid1(VALU_DEP_1)
	v_mad_co_u64_u32 v[18:19], null, v44, v221, v[1:2]
	v_perm_b32 v2, v0, v2, 0x6050401
	v_dot4_i32_iu8 v0, v2, v65, 0 neg_lo:[1,1,0]
	s_delay_alu instid0(VALU_DEP_3) | instskip(NEXT) | instid1(VALU_DEP_2)
	v_cvt_f32_i32_e32 v1, v18
	v_dot4_i32_iu8 v0, v73, v211, v0 neg_lo:[1,1,0]
	s_delay_alu instid0(VALU_DEP_2) | instskip(NEXT) | instid1(VALU_DEP_2)
	v_fmac_f32_e32 v5, v17, v1
	v_dot4_i32_iu8 v0, v74, v213, v0 neg_lo:[1,1,0]
	s_delay_alu instid0(VALU_DEP_2)
	v_fmac_f32_e32 v90, v187, v5
	v_perm_b32 v5, v12, v14, 0x6040501
	v_perm_b32 v14, v8, v10, 0x6040501
	;; [unrolled: 1-line block ×4, first 2 shown]
	v_dot4_i32_iu8 v0, v3, v52, v0 neg_lo:[1,1,0]
	v_dot4_i32_iu8 v1, v5, v234, 0 neg_lo:[1,1,0]
	s_delay_alu instid0(VALU_DEP_1) | instskip(NEXT) | instid1(VALU_DEP_1)
	v_dot4_i32_iu8 v1, v70, v75, v1 neg_lo:[1,1,0]
	v_dot4_i32_iu8 v1, v13, v223, v1 neg_lo:[1,1,0]
	s_delay_alu instid0(VALU_DEP_1) | instskip(SKIP_1) | instid1(VALU_DEP_1)
	v_dot4_i32_iu8 v12, v15, v64, v1 neg_lo:[1,1,0]
	v_dot4_i32_iu8 v1, v14, v76, 0 neg_lo:[1,1,0]
	v_dot4_i32_iu8 v1, v8, v77, v1 neg_lo:[1,1,0]
	s_delay_alu instid0(VALU_DEP_1) | instskip(NEXT) | instid1(VALU_DEP_1)
	v_dot4_i32_iu8 v1, v9, v224, v1 neg_lo:[1,1,0]
	v_dot4_i32_iu8 v10, v11, v66, v1 neg_lo:[1,1,0]
	;; [unrolled: 1-line block ×3, first 2 shown]
	s_delay_alu instid0(VALU_DEP_1) | instskip(NEXT) | instid1(VALU_DEP_1)
	v_dot4_i32_iu8 v1, v45, v207, v1 neg_lo:[1,1,0]
	v_dot4_i32_iu8 v1, v72, v208, v1 neg_lo:[1,1,0]
	s_delay_alu instid0(VALU_DEP_1) | instskip(NEXT) | instid1(VALU_DEP_1)
	v_dot4_i32_iu8 v1, v7, v54, v1 neg_lo:[1,1,0]
	v_mul_lo_u32 v1, v1, v209
	s_delay_alu instid0(VALU_DEP_1) | instskip(NEXT) | instid1(VALU_DEP_1)
	v_mad_co_u64_u32 v[0:1], null, v0, v214, v[1:2]
	v_cvt_f32_i32_e32 v0, v0
	s_delay_alu instid0(VALU_DEP_1) | instskip(SKIP_1) | instid1(VALU_DEP_1)
	v_fma_f32 v6, v16, v0, 0
	v_mul_lo_u32 v0, v12, v217
	v_mad_co_u64_u32 v[0:1], null, v10, v215, v[0:1]
	v_dot4_i32_iu8 v1, v2, v47, 0 neg_lo:[1,1,0]
	s_delay_alu instid0(VALU_DEP_1) | instskip(NEXT) | instid1(VALU_DEP_3)
	v_dot4_i32_iu8 v1, v73, v202, v1 neg_lo:[1,1,0]
	v_cvt_f32_i32_e32 v0, v0
	s_delay_alu instid0(VALU_DEP_2) | instskip(NEXT) | instid1(VALU_DEP_2)
	v_dot4_i32_iu8 v1, v74, v203, v1 neg_lo:[1,1,0]
	v_fmac_f32_e32 v6, v17, v0
	v_dot4_i32_iu8 v0, v5, v59, 0 neg_lo:[1,1,0]
	s_delay_alu instid0(VALU_DEP_3) | instskip(NEXT) | instid1(VALU_DEP_3)
	v_dot4_i32_iu8 v1, v3, v48, v1 neg_lo:[1,1,0]
	v_fmac_f32_e32 v89, v188, v6
	s_delay_alu instid0(VALU_DEP_3) | instskip(NEXT) | instid1(VALU_DEP_1)
	v_dot4_i32_iu8 v0, v70, v67, v0 neg_lo:[1,1,0]
	v_dot4_i32_iu8 v0, v13, v218, v0 neg_lo:[1,1,0]
	s_delay_alu instid0(VALU_DEP_1) | instskip(SKIP_1) | instid1(VALU_DEP_1)
	v_dot4_i32_iu8 v6, v15, v60, v0 neg_lo:[1,1,0]
	v_dot4_i32_iu8 v0, v14, v61, 0 neg_lo:[1,1,0]
	;; [unrolled: 1-line block ×3, first 2 shown]
	s_delay_alu instid0(VALU_DEP_1) | instskip(NEXT) | instid1(VALU_DEP_1)
	v_dot4_i32_iu8 v0, v9, v219, v0 neg_lo:[1,1,0]
	v_dot4_i32_iu8 v10, v11, v62, v0 neg_lo:[1,1,0]
	;; [unrolled: 1-line block ×3, first 2 shown]
	s_delay_alu instid0(VALU_DEP_1) | instskip(NEXT) | instid1(VALU_DEP_1)
	v_dot4_i32_iu8 v0, v45, v199, v0 neg_lo:[1,1,0]
	v_dot4_i32_iu8 v0, v72, v200, v0 neg_lo:[1,1,0]
	s_delay_alu instid0(VALU_DEP_1) | instskip(NEXT) | instid1(VALU_DEP_1)
	v_dot4_i32_iu8 v0, v7, v50, v0 neg_lo:[1,1,0]
	v_mul_lo_u32 v0, v0, v201
	s_delay_alu instid0(VALU_DEP_1) | instskip(NEXT) | instid1(VALU_DEP_1)
	v_mad_co_u64_u32 v[0:1], null, v1, v204, v[0:1]
	v_cvt_f32_i32_e32 v0, v0
	s_delay_alu instid0(VALU_DEP_1) | instskip(SKIP_1) | instid1(VALU_DEP_1)
	v_fma_f32 v12, v16, v0, 0
	v_mul_lo_u32 v0, v6, v206
	v_mad_co_u64_u32 v[0:1], null, v10, v205, v[0:1]
	v_dot4_i32_iu8 v1, v2, v35, 0 neg_lo:[1,1,0]
	s_delay_alu instid0(VALU_DEP_1) | instskip(NEXT) | instid1(VALU_DEP_3)
	v_dot4_i32_iu8 v1, v73, v195, v1 neg_lo:[1,1,0]
	v_cvt_f32_i32_e32 v0, v0
	s_delay_alu instid0(VALU_DEP_2) | instskip(NEXT) | instid1(VALU_DEP_2)
	v_dot4_i32_iu8 v1, v74, v194, v1 neg_lo:[1,1,0]
	v_fmac_f32_e32 v12, v17, v0
	v_dot4_i32_iu8 v0, v5, v51, 0 neg_lo:[1,1,0]
	s_delay_alu instid0(VALU_DEP_3) | instskip(NEXT) | instid1(VALU_DEP_3)
	v_dot4_i32_iu8 v1, v3, v36, v1 neg_lo:[1,1,0]
	v_fmac_f32_e32 v88, v189, v12
	s_delay_alu instid0(VALU_DEP_3) | instskip(NEXT) | instid1(VALU_DEP_1)
	v_dot4_i32_iu8 v0, v70, v53, v0 neg_lo:[1,1,0]
	v_dot4_i32_iu8 v0, v13, v210, v0 neg_lo:[1,1,0]
	s_delay_alu instid0(VALU_DEP_1) | instskip(SKIP_1) | instid1(VALU_DEP_1)
	v_dot4_i32_iu8 v5, v15, v56, v0 neg_lo:[1,1,0]
	v_dot4_i32_iu8 v0, v14, v55, 0 neg_lo:[1,1,0]
	;; [unrolled: 1-line block ×3, first 2 shown]
	s_delay_alu instid0(VALU_DEP_1) | instskip(NEXT) | instid1(VALU_DEP_1)
	v_dot4_i32_iu8 v0, v9, v216, v0 neg_lo:[1,1,0]
	v_dot4_i32_iu8 v6, v11, v58, v0 neg_lo:[1,1,0]
	;; [unrolled: 1-line block ×3, first 2 shown]
	s_delay_alu instid0(VALU_DEP_1) | instskip(NEXT) | instid1(VALU_DEP_1)
	v_dot4_i32_iu8 v0, v45, v198, v0 neg_lo:[1,1,0]
	v_dot4_i32_iu8 v0, v72, v197, v0 neg_lo:[1,1,0]
	s_delay_alu instid0(VALU_DEP_1) | instskip(NEXT) | instid1(VALU_DEP_1)
	v_dot4_i32_iu8 v0, v7, v46, v0 neg_lo:[1,1,0]
	v_mul_lo_u32 v0, v0, v196
	s_delay_alu instid0(VALU_DEP_1) | instskip(NEXT) | instid1(VALU_DEP_1)
	v_mad_co_u64_u32 v[0:1], null, v1, v193, v[0:1]
	v_cvt_f32_i32_e32 v0, v0
	s_delay_alu instid0(VALU_DEP_1) | instskip(SKIP_1) | instid1(VALU_DEP_1)
	v_fma_f32 v2, v16, v0, 0
	v_mul_lo_u32 v0, v5, v192
	v_mad_co_u64_u32 v[0:1], null, v6, v191, v[0:1]
	s_delay_alu instid0(VALU_DEP_1) | instskip(NEXT) | instid1(VALU_DEP_1)
	v_cvt_f32_i32_e32 v0, v0
	v_fmac_f32_e32 v2, v17, v0
	v_or_b32_e32 v0, s10, v163
	s_delay_alu instid0(VALU_DEP_1)
	v_dual_fmac_f32 v87, v190, v2 :: v_dual_lshlrev_b32 v12, 2, v0
	v_lshrrev_b32_e32 v16, 1, v0
	ds_load_b128 v[0:3], v12 offset:33280
	ds_load_b128 v[4:7], v12 offset:33296
	;; [unrolled: 1-line block ×4, first 2 shown]
	ds_load_b64 v[16:17], v16 offset:43584
	s_wait_dscnt 0x4
	v_perm_b32 v73, v1, v0, 0x6040503
	s_wait_dscnt 0x3
	v_perm_b32 v72, v6, v5, 0x7060403
	s_wait_dscnt 0x2
	v_bfe_i32 v18, v10, 8, 8
	v_bfe_i32 v19, v8, 8, 8
	;; [unrolled: 1-line block ×3, first 2 shown]
	v_ashrrev_i32_e32 v45, 24, v10
	s_wait_dscnt 0x1
	v_perm_b32 v70, v14, v14, 0xc0c0c01
	v_mul_i32_i24_e32 v18, v18, v226
	v_perm_b32 v74, v2, v1, 0x7060403
	v_mul_i32_i24_e32 v44, v228, v44
	v_mul_i32_i24_e32 v45, v227, v45
	v_perm_b32 v69, v12, v68, 0x6040503
	v_mad_i32_i24 v18, v229, v19, v18
	v_perm_b32 v19, v9, v8, 0x5030200
	v_or_b32_e32 v70, v235, v70
	s_delay_alu instid0(VALU_DEP_2) | instskip(SKIP_1) | instid1(VALU_DEP_3)
	v_dot4_i32_iu8 v18, v238, v19, v18 neg_lo:[1,1,0]
	v_perm_b32 v19, v10, v9, 0x4030200
	v_dot4_i32_iu8 v69, v70, v69, 0 neg_lo:[1,1,0]
	v_perm_b32 v70, v13, v12, 0x6040503
	v_perm_b32 v13, v14, v13, 0x7060403
	s_delay_alu instid0(VALU_DEP_4) | instskip(SKIP_1) | instid1(VALU_DEP_4)
	v_dot4_i32_iu8 v18, v239, v19, v18 neg_lo:[1,1,0]
	v_perm_b32 v19, v11, v11, 0x3020001
	v_dot4_i32_iu8 v69, v70, v236, v69 neg_lo:[1,1,0]
	s_delay_alu instid0(VALU_DEP_3) | instskip(SKIP_1) | instid1(VALU_DEP_3)
	v_add3_u32 v18, v18, v44, v45
	v_perm_b32 v45, v5, v4, 0x6040503
	v_dot4_i32_iu8 v69, v237, v13, v69 neg_lo:[1,1,0]
	s_delay_alu instid0(VALU_DEP_3) | instskip(SKIP_2) | instid1(VALU_DEP_4)
	v_dot4_i32_iu8 v44, v240, v19, v18 neg_lo:[1,1,0]
	v_perm_b32 v18, v4, v39, 0x6050401
	v_perm_b32 v19, v43, v6, 0x6050401
	v_dot4_i32_iu8 v69, v225, v15, v69 neg_lo:[1,1,0]
	v_perm_b32 v4, v4, v6, 0x6050401
	s_delay_alu instid0(VALU_DEP_3) | instskip(SKIP_1) | instid1(VALU_DEP_2)
	v_dot4_i32_iu8 v18, v19, v18, 0 neg_lo:[1,1,0]
	v_perm_b32 v19, v41, v2, 0x6050401
	v_dot4_i32_iu8 v18, v230, v45, v18 neg_lo:[1,1,0]
	s_delay_alu instid0(VALU_DEP_1) | instskip(SKIP_1) | instid1(VALU_DEP_2)
	v_dot4_i32_iu8 v5, v231, v72, v18 neg_lo:[1,1,0]
	v_perm_b32 v18, v0, v37, 0x6050401
	v_dot4_i32_iu8 v5, v7, v40, v5 neg_lo:[1,1,0]
	s_delay_alu instid0(VALU_DEP_2) | instskip(NEXT) | instid1(VALU_DEP_2)
	v_dot4_i32_iu8 v18, v19, v18, 0 neg_lo:[1,1,0]
	v_mul_lo_u32 v5, v5, v212
	s_delay_alu instid0(VALU_DEP_2) | instskip(NEXT) | instid1(VALU_DEP_1)
	v_dot4_i32_iu8 v18, v232, v73, v18 neg_lo:[1,1,0]
	v_dot4_i32_iu8 v1, v233, v74, v18 neg_lo:[1,1,0]
	s_delay_alu instid0(VALU_DEP_1) | instskip(NEXT) | instid1(VALU_DEP_1)
	v_dot4_i32_iu8 v1, v3, v38, v1 neg_lo:[1,1,0]
	v_mad_co_u64_u32 v[18:19], null, v1, v220, v[5:6]
	s_delay_alu instid0(VALU_DEP_1) | instskip(SKIP_1) | instid1(VALU_DEP_1)
	v_cvt_f32_i32_e32 v1, v18
	s_wait_dscnt 0x0
	v_fma_f32 v5, v16, v1, 0
	v_mul_lo_u32 v1, v69, v222
	s_delay_alu instid0(VALU_DEP_1) | instskip(SKIP_1) | instid1(VALU_DEP_1)
	v_mad_co_u64_u32 v[18:19], null, v44, v221, v[1:2]
	v_perm_b32 v2, v0, v2, 0x6050401
	v_dot4_i32_iu8 v0, v2, v65, 0 neg_lo:[1,1,0]
	s_delay_alu instid0(VALU_DEP_3) | instskip(NEXT) | instid1(VALU_DEP_2)
	v_cvt_f32_i32_e32 v1, v18
	v_dot4_i32_iu8 v0, v73, v211, v0 neg_lo:[1,1,0]
	s_delay_alu instid0(VALU_DEP_2) | instskip(NEXT) | instid1(VALU_DEP_2)
	v_fmac_f32_e32 v5, v17, v1
	v_dot4_i32_iu8 v0, v74, v213, v0 neg_lo:[1,1,0]
	s_delay_alu instid0(VALU_DEP_2)
	v_fmac_f32_e32 v86, v187, v5
	v_perm_b32 v5, v12, v14, 0x6040501
	v_perm_b32 v14, v8, v10, 0x6040501
	;; [unrolled: 1-line block ×4, first 2 shown]
	v_dot4_i32_iu8 v0, v3, v52, v0 neg_lo:[1,1,0]
	v_dot4_i32_iu8 v1, v5, v234, 0 neg_lo:[1,1,0]
	s_delay_alu instid0(VALU_DEP_1) | instskip(NEXT) | instid1(VALU_DEP_1)
	v_dot4_i32_iu8 v1, v70, v75, v1 neg_lo:[1,1,0]
	v_dot4_i32_iu8 v1, v13, v223, v1 neg_lo:[1,1,0]
	s_delay_alu instid0(VALU_DEP_1) | instskip(SKIP_1) | instid1(VALU_DEP_1)
	v_dot4_i32_iu8 v12, v15, v64, v1 neg_lo:[1,1,0]
	v_dot4_i32_iu8 v1, v14, v76, 0 neg_lo:[1,1,0]
	v_dot4_i32_iu8 v1, v8, v77, v1 neg_lo:[1,1,0]
	s_delay_alu instid0(VALU_DEP_1) | instskip(NEXT) | instid1(VALU_DEP_1)
	v_dot4_i32_iu8 v1, v9, v224, v1 neg_lo:[1,1,0]
	v_dot4_i32_iu8 v10, v11, v66, v1 neg_lo:[1,1,0]
	;; [unrolled: 1-line block ×3, first 2 shown]
	s_delay_alu instid0(VALU_DEP_1) | instskip(NEXT) | instid1(VALU_DEP_1)
	v_dot4_i32_iu8 v1, v45, v207, v1 neg_lo:[1,1,0]
	v_dot4_i32_iu8 v1, v72, v208, v1 neg_lo:[1,1,0]
	s_delay_alu instid0(VALU_DEP_1) | instskip(NEXT) | instid1(VALU_DEP_1)
	v_dot4_i32_iu8 v1, v7, v54, v1 neg_lo:[1,1,0]
	v_mul_lo_u32 v1, v1, v209
	s_delay_alu instid0(VALU_DEP_1) | instskip(NEXT) | instid1(VALU_DEP_1)
	v_mad_co_u64_u32 v[0:1], null, v0, v214, v[1:2]
	v_cvt_f32_i32_e32 v0, v0
	s_delay_alu instid0(VALU_DEP_1) | instskip(SKIP_1) | instid1(VALU_DEP_1)
	v_fma_f32 v6, v16, v0, 0
	v_mul_lo_u32 v0, v12, v217
	v_mad_co_u64_u32 v[0:1], null, v10, v215, v[0:1]
	v_dot4_i32_iu8 v1, v2, v47, 0 neg_lo:[1,1,0]
	s_delay_alu instid0(VALU_DEP_1) | instskip(NEXT) | instid1(VALU_DEP_3)
	v_dot4_i32_iu8 v1, v73, v202, v1 neg_lo:[1,1,0]
	v_cvt_f32_i32_e32 v0, v0
	s_delay_alu instid0(VALU_DEP_2) | instskip(NEXT) | instid1(VALU_DEP_2)
	v_dot4_i32_iu8 v1, v74, v203, v1 neg_lo:[1,1,0]
	v_fmac_f32_e32 v6, v17, v0
	v_dot4_i32_iu8 v0, v5, v59, 0 neg_lo:[1,1,0]
	s_delay_alu instid0(VALU_DEP_3) | instskip(NEXT) | instid1(VALU_DEP_3)
	v_dot4_i32_iu8 v1, v3, v48, v1 neg_lo:[1,1,0]
	v_fmac_f32_e32 v85, v188, v6
	s_delay_alu instid0(VALU_DEP_3) | instskip(NEXT) | instid1(VALU_DEP_1)
	v_dot4_i32_iu8 v0, v70, v67, v0 neg_lo:[1,1,0]
	v_dot4_i32_iu8 v0, v13, v218, v0 neg_lo:[1,1,0]
	s_delay_alu instid0(VALU_DEP_1) | instskip(SKIP_1) | instid1(VALU_DEP_1)
	v_dot4_i32_iu8 v6, v15, v60, v0 neg_lo:[1,1,0]
	v_dot4_i32_iu8 v0, v14, v61, 0 neg_lo:[1,1,0]
	;; [unrolled: 1-line block ×3, first 2 shown]
	s_delay_alu instid0(VALU_DEP_1) | instskip(NEXT) | instid1(VALU_DEP_1)
	v_dot4_i32_iu8 v0, v9, v219, v0 neg_lo:[1,1,0]
	v_dot4_i32_iu8 v10, v11, v62, v0 neg_lo:[1,1,0]
	;; [unrolled: 1-line block ×3, first 2 shown]
	s_delay_alu instid0(VALU_DEP_1) | instskip(NEXT) | instid1(VALU_DEP_1)
	v_dot4_i32_iu8 v0, v45, v199, v0 neg_lo:[1,1,0]
	v_dot4_i32_iu8 v0, v72, v200, v0 neg_lo:[1,1,0]
	s_delay_alu instid0(VALU_DEP_1) | instskip(NEXT) | instid1(VALU_DEP_1)
	v_dot4_i32_iu8 v0, v7, v50, v0 neg_lo:[1,1,0]
	v_mul_lo_u32 v0, v0, v201
	s_delay_alu instid0(VALU_DEP_1) | instskip(NEXT) | instid1(VALU_DEP_1)
	v_mad_co_u64_u32 v[0:1], null, v1, v204, v[0:1]
	v_cvt_f32_i32_e32 v0, v0
	s_delay_alu instid0(VALU_DEP_1) | instskip(SKIP_1) | instid1(VALU_DEP_1)
	v_fma_f32 v12, v16, v0, 0
	v_mul_lo_u32 v0, v6, v206
	v_mad_co_u64_u32 v[0:1], null, v10, v205, v[0:1]
	v_dot4_i32_iu8 v1, v2, v35, 0 neg_lo:[1,1,0]
	s_delay_alu instid0(VALU_DEP_1) | instskip(NEXT) | instid1(VALU_DEP_3)
	v_dot4_i32_iu8 v1, v73, v195, v1 neg_lo:[1,1,0]
	v_cvt_f32_i32_e32 v0, v0
	s_delay_alu instid0(VALU_DEP_2) | instskip(NEXT) | instid1(VALU_DEP_2)
	v_dot4_i32_iu8 v1, v74, v194, v1 neg_lo:[1,1,0]
	v_fmac_f32_e32 v12, v17, v0
	v_dot4_i32_iu8 v0, v5, v51, 0 neg_lo:[1,1,0]
	s_delay_alu instid0(VALU_DEP_3) | instskip(NEXT) | instid1(VALU_DEP_3)
	v_dot4_i32_iu8 v1, v3, v36, v1 neg_lo:[1,1,0]
	v_fmac_f32_e32 v84, v189, v12
	s_delay_alu instid0(VALU_DEP_3) | instskip(NEXT) | instid1(VALU_DEP_1)
	v_dot4_i32_iu8 v0, v70, v53, v0 neg_lo:[1,1,0]
	v_dot4_i32_iu8 v0, v13, v210, v0 neg_lo:[1,1,0]
	s_delay_alu instid0(VALU_DEP_1) | instskip(SKIP_1) | instid1(VALU_DEP_1)
	v_dot4_i32_iu8 v5, v15, v56, v0 neg_lo:[1,1,0]
	v_dot4_i32_iu8 v0, v14, v55, 0 neg_lo:[1,1,0]
	;; [unrolled: 1-line block ×3, first 2 shown]
	s_delay_alu instid0(VALU_DEP_1) | instskip(NEXT) | instid1(VALU_DEP_1)
	v_dot4_i32_iu8 v0, v9, v216, v0 neg_lo:[1,1,0]
	v_dot4_i32_iu8 v6, v11, v58, v0 neg_lo:[1,1,0]
	;; [unrolled: 1-line block ×3, first 2 shown]
	s_delay_alu instid0(VALU_DEP_1) | instskip(NEXT) | instid1(VALU_DEP_1)
	v_dot4_i32_iu8 v0, v45, v198, v0 neg_lo:[1,1,0]
	v_dot4_i32_iu8 v0, v72, v197, v0 neg_lo:[1,1,0]
	s_delay_alu instid0(VALU_DEP_1) | instskip(NEXT) | instid1(VALU_DEP_1)
	v_dot4_i32_iu8 v0, v7, v46, v0 neg_lo:[1,1,0]
	v_mul_lo_u32 v0, v0, v196
	s_delay_alu instid0(VALU_DEP_1) | instskip(NEXT) | instid1(VALU_DEP_1)
	v_mad_co_u64_u32 v[0:1], null, v1, v193, v[0:1]
	v_cvt_f32_i32_e32 v0, v0
	s_delay_alu instid0(VALU_DEP_1) | instskip(SKIP_1) | instid1(VALU_DEP_1)
	v_fma_f32 v2, v16, v0, 0
	v_mul_lo_u32 v0, v5, v192
	v_mad_co_u64_u32 v[0:1], null, v6, v191, v[0:1]
	s_delay_alu instid0(VALU_DEP_1) | instskip(NEXT) | instid1(VALU_DEP_1)
	v_cvt_f32_i32_e32 v0, v0
	v_fmac_f32_e32 v2, v17, v0
	v_or_b32_e32 v0, s10, v164
	s_add_co_i32 s10, s7, 8
	s_cmp_lt_u32 s7, 24
	s_wait_alu 0xfffe
	s_mov_b32 s7, s10
	v_dual_fmac_f32 v83, v190, v2 :: v_dual_lshlrev_b32 v12, 2, v0
	v_lshrrev_b32_e32 v16, 1, v0
	ds_load_b128 v[0:3], v12 offset:33280
	ds_load_b128 v[4:7], v12 offset:33296
	;; [unrolled: 1-line block ×4, first 2 shown]
	ds_load_b64 v[44:45], v16 offset:43584
	s_wait_dscnt 0x2
	v_bfe_i32 v16, v10, 8, 8
	v_bfe_i32 v17, v8, 8, 8
	;; [unrolled: 1-line block ×3, first 2 shown]
	v_ashrrev_i32_e32 v19, 24, v10
	s_wait_dscnt 0x1
	v_perm_b32 v69, v14, v14, 0xc0c0c01
	v_mul_i32_i24_e32 v16, v16, v226
	v_perm_b32 v68, v12, v68, 0x6040503
	v_mul_i32_i24_e32 v18, v228, v18
	v_mul_i32_i24_e32 v19, v227, v19
	v_or_b32_e32 v69, v235, v69
	v_mad_i32_i24 v16, v229, v17, v16
	v_perm_b32 v17, v9, v8, 0x5030200
	s_delay_alu instid0(VALU_DEP_3) | instskip(SKIP_1) | instid1(VALU_DEP_3)
	v_dot4_i32_iu8 v69, v69, v68, 0 neg_lo:[1,1,0]
	v_perm_b32 v68, v13, v12, 0x6040503
	v_dot4_i32_iu8 v16, v238, v17, v16 neg_lo:[1,1,0]
	v_perm_b32 v17, v10, v9, 0x4030200
	v_perm_b32 v13, v14, v13, 0x7060403
	s_delay_alu instid0(VALU_DEP_4) | instskip(NEXT) | instid1(VALU_DEP_3)
	v_dot4_i32_iu8 v69, v68, v236, v69 neg_lo:[1,1,0]
	v_dot4_i32_iu8 v16, v239, v17, v16 neg_lo:[1,1,0]
	v_perm_b32 v17, v11, v11, 0x3020001
	s_delay_alu instid0(VALU_DEP_3) | instskip(NEXT) | instid1(VALU_DEP_3)
	v_dot4_i32_iu8 v69, v237, v13, v69 neg_lo:[1,1,0]
	v_add3_u32 v16, v16, v18, v19
	v_perm_b32 v19, v5, v4, 0x6040503
	s_delay_alu instid0(VALU_DEP_3) | instskip(NEXT) | instid1(VALU_DEP_3)
	v_dot4_i32_iu8 v69, v225, v15, v69 neg_lo:[1,1,0]
	v_dot4_i32_iu8 v18, v240, v17, v16 neg_lo:[1,1,0]
	v_perm_b32 v16, v4, v39, 0x6050401
	v_perm_b32 v17, v43, v6, 0x6050401
	v_perm_b32 v39, v6, v5, 0x7060403
	v_perm_b32 v4, v4, v6, 0x6050401
	s_delay_alu instid0(VALU_DEP_3) | instskip(SKIP_1) | instid1(VALU_DEP_2)
	v_dot4_i32_iu8 v16, v17, v16, 0 neg_lo:[1,1,0]
	v_perm_b32 v17, v41, v2, 0x6050401
	v_dot4_i32_iu8 v16, v230, v19, v16 neg_lo:[1,1,0]
	s_delay_alu instid0(VALU_DEP_1) | instskip(SKIP_2) | instid1(VALU_DEP_3)
	v_dot4_i32_iu8 v5, v231, v39, v16 neg_lo:[1,1,0]
	v_perm_b32 v16, v0, v37, 0x6050401
	v_perm_b32 v37, v1, v0, 0x6040503
	v_dot4_i32_iu8 v5, v7, v40, v5 neg_lo:[1,1,0]
	s_delay_alu instid0(VALU_DEP_3) | instskip(SKIP_1) | instid1(VALU_DEP_3)
	v_dot4_i32_iu8 v16, v17, v16, 0 neg_lo:[1,1,0]
	v_perm_b32 v40, v2, v1, 0x7060403
	v_mul_lo_u32 v5, v5, v212
	s_delay_alu instid0(VALU_DEP_3) | instskip(NEXT) | instid1(VALU_DEP_1)
	v_dot4_i32_iu8 v16, v232, v37, v16 neg_lo:[1,1,0]
	v_dot4_i32_iu8 v1, v233, v40, v16 neg_lo:[1,1,0]
	s_delay_alu instid0(VALU_DEP_1) | instskip(NEXT) | instid1(VALU_DEP_1)
	v_dot4_i32_iu8 v1, v3, v38, v1 neg_lo:[1,1,0]
	v_mad_co_u64_u32 v[16:17], null, v1, v220, v[5:6]
	v_perm_b32 v6, v0, v2, 0x6050401
	s_delay_alu instid0(VALU_DEP_1) | instskip(NEXT) | instid1(VALU_DEP_3)
	v_dot4_i32_iu8 v0, v6, v65, 0 neg_lo:[1,1,0]
	v_cvt_f32_i32_e32 v1, v16
	s_delay_alu instid0(VALU_DEP_2) | instskip(SKIP_1) | instid1(VALU_DEP_2)
	v_dot4_i32_iu8 v0, v37, v211, v0 neg_lo:[1,1,0]
	s_wait_dscnt 0x0
	v_fma_f32 v5, v44, v1, 0
	v_mul_lo_u32 v1, v69, v222
	s_delay_alu instid0(VALU_DEP_3) | instskip(NEXT) | instid1(VALU_DEP_2)
	v_dot4_i32_iu8 v0, v40, v213, v0 neg_lo:[1,1,0]
	v_mad_co_u64_u32 v[16:17], null, v18, v221, v[1:2]
	s_delay_alu instid0(VALU_DEP_2) | instskip(NEXT) | instid1(VALU_DEP_2)
	v_dot4_i32_iu8 v0, v3, v52, v0 neg_lo:[1,1,0]
	v_cvt_f32_i32_e32 v1, v16
	s_delay_alu instid0(VALU_DEP_1) | instskip(NEXT) | instid1(VALU_DEP_1)
	v_fmac_f32_e32 v5, v45, v1
	v_fmac_f32_e32 v82, v187, v5
	v_perm_b32 v5, v12, v14, 0x6040501
	v_perm_b32 v14, v8, v10, 0x6040501
	;; [unrolled: 1-line block ×4, first 2 shown]
	s_delay_alu instid0(VALU_DEP_4) | instskip(NEXT) | instid1(VALU_DEP_1)
	v_dot4_i32_iu8 v1, v5, v234, 0 neg_lo:[1,1,0]
	v_dot4_i32_iu8 v1, v68, v75, v1 neg_lo:[1,1,0]
	s_delay_alu instid0(VALU_DEP_1) | instskip(NEXT) | instid1(VALU_DEP_1)
	v_dot4_i32_iu8 v1, v13, v223, v1 neg_lo:[1,1,0]
	v_dot4_i32_iu8 v12, v15, v64, v1 neg_lo:[1,1,0]
	;; [unrolled: 1-line block ×3, first 2 shown]
	s_delay_alu instid0(VALU_DEP_1) | instskip(NEXT) | instid1(VALU_DEP_1)
	v_dot4_i32_iu8 v1, v8, v77, v1 neg_lo:[1,1,0]
	v_dot4_i32_iu8 v1, v9, v224, v1 neg_lo:[1,1,0]
	s_delay_alu instid0(VALU_DEP_1) | instskip(SKIP_1) | instid1(VALU_DEP_1)
	v_dot4_i32_iu8 v10, v11, v66, v1 neg_lo:[1,1,0]
	v_dot4_i32_iu8 v1, v4, v63, 0 neg_lo:[1,1,0]
	;; [unrolled: 1-line block ×3, first 2 shown]
	s_delay_alu instid0(VALU_DEP_1) | instskip(NEXT) | instid1(VALU_DEP_1)
	v_dot4_i32_iu8 v1, v39, v208, v1 neg_lo:[1,1,0]
	v_dot4_i32_iu8 v1, v7, v54, v1 neg_lo:[1,1,0]
	s_delay_alu instid0(VALU_DEP_1) | instskip(NEXT) | instid1(VALU_DEP_1)
	v_mul_lo_u32 v1, v1, v209
	v_mad_co_u64_u32 v[0:1], null, v0, v214, v[1:2]
	s_delay_alu instid0(VALU_DEP_1) | instskip(NEXT) | instid1(VALU_DEP_1)
	v_cvt_f32_i32_e32 v0, v0
	v_fma_f32 v2, v44, v0, 0
	v_mul_lo_u32 v0, v12, v217
	s_delay_alu instid0(VALU_DEP_1) | instskip(SKIP_1) | instid1(VALU_DEP_1)
	v_mad_co_u64_u32 v[0:1], null, v10, v215, v[0:1]
	v_dot4_i32_iu8 v1, v6, v47, 0 neg_lo:[1,1,0]
	v_dot4_i32_iu8 v1, v37, v202, v1 neg_lo:[1,1,0]
	s_delay_alu instid0(VALU_DEP_3) | instskip(NEXT) | instid1(VALU_DEP_2)
	v_cvt_f32_i32_e32 v0, v0
	v_dot4_i32_iu8 v1, v40, v203, v1 neg_lo:[1,1,0]
	s_delay_alu instid0(VALU_DEP_2) | instskip(SKIP_1) | instid1(VALU_DEP_3)
	v_fmac_f32_e32 v2, v45, v0
	v_dot4_i32_iu8 v0, v5, v59, 0 neg_lo:[1,1,0]
	v_dot4_i32_iu8 v1, v3, v48, v1 neg_lo:[1,1,0]
	s_delay_alu instid0(VALU_DEP_3) | instskip(NEXT) | instid1(VALU_DEP_3)
	v_fmac_f32_e32 v81, v188, v2
	v_dot4_i32_iu8 v0, v68, v67, v0 neg_lo:[1,1,0]
	s_delay_alu instid0(VALU_DEP_1) | instskip(NEXT) | instid1(VALU_DEP_1)
	v_dot4_i32_iu8 v0, v13, v218, v0 neg_lo:[1,1,0]
	v_dot4_i32_iu8 v2, v15, v60, v0 neg_lo:[1,1,0]
	v_dot4_i32_iu8 v0, v14, v61, 0 neg_lo:[1,1,0]
	s_delay_alu instid0(VALU_DEP_1) | instskip(NEXT) | instid1(VALU_DEP_1)
	v_dot4_i32_iu8 v0, v8, v71, v0 neg_lo:[1,1,0]
	v_dot4_i32_iu8 v0, v9, v219, v0 neg_lo:[1,1,0]
	s_delay_alu instid0(VALU_DEP_1) | instskip(SKIP_1) | instid1(VALU_DEP_1)
	v_dot4_i32_iu8 v10, v11, v62, v0 neg_lo:[1,1,0]
	v_dot4_i32_iu8 v0, v4, v49, 0 neg_lo:[1,1,0]
	;; [unrolled: 1-line block ×3, first 2 shown]
	s_delay_alu instid0(VALU_DEP_1) | instskip(NEXT) | instid1(VALU_DEP_1)
	v_dot4_i32_iu8 v0, v39, v200, v0 neg_lo:[1,1,0]
	v_dot4_i32_iu8 v0, v7, v50, v0 neg_lo:[1,1,0]
	s_delay_alu instid0(VALU_DEP_1) | instskip(NEXT) | instid1(VALU_DEP_1)
	v_mul_lo_u32 v0, v0, v201
	v_mad_co_u64_u32 v[0:1], null, v1, v204, v[0:1]
	s_delay_alu instid0(VALU_DEP_1) | instskip(NEXT) | instid1(VALU_DEP_1)
	v_cvt_f32_i32_e32 v0, v0
	v_fma_f32 v12, v44, v0, 0
	v_mul_lo_u32 v0, v2, v206
	s_delay_alu instid0(VALU_DEP_1) | instskip(NEXT) | instid1(VALU_DEP_1)
	v_mad_co_u64_u32 v[0:1], null, v10, v205, v[0:1]
	v_cvt_f32_i32_e32 v0, v0
	s_delay_alu instid0(VALU_DEP_1) | instskip(SKIP_1) | instid1(VALU_DEP_2)
	v_fmac_f32_e32 v12, v45, v0
	v_dot4_i32_iu8 v0, v5, v51, 0 neg_lo:[1,1,0]
	v_fmac_f32_e32 v80, v189, v12
	s_delay_alu instid0(VALU_DEP_2) | instskip(NEXT) | instid1(VALU_DEP_1)
	v_dot4_i32_iu8 v0, v68, v53, v0 neg_lo:[1,1,0]
	v_dot4_i32_iu8 v0, v13, v210, v0 neg_lo:[1,1,0]
	s_delay_alu instid0(VALU_DEP_1) | instskip(SKIP_1) | instid1(VALU_DEP_2)
	v_dot4_i32_iu8 v2, v15, v56, v0 neg_lo:[1,1,0]
	v_dot4_i32_iu8 v0, v14, v55, 0 neg_lo:[1,1,0]
	v_mul_lo_u32 v2, v2, v192
	s_delay_alu instid0(VALU_DEP_2) | instskip(NEXT) | instid1(VALU_DEP_1)
	v_dot4_i32_iu8 v0, v8, v57, v0 neg_lo:[1,1,0]
	v_dot4_i32_iu8 v0, v9, v216, v0 neg_lo:[1,1,0]
	s_delay_alu instid0(VALU_DEP_1) | instskip(SKIP_2) | instid1(VALU_DEP_2)
	v_dot4_i32_iu8 v1, v11, v58, v0 neg_lo:[1,1,0]
	v_dot4_i32_iu8 v0, v4, v42, 0 neg_lo:[1,1,0]
	;; [unrolled: 1-line block ×4, first 2 shown]
	s_delay_alu instid0(VALU_DEP_2) | instskip(NEXT) | instid1(VALU_DEP_2)
	v_dot4_i32_iu8 v4, v37, v195, v4 neg_lo:[1,1,0]
	v_dot4_i32_iu8 v0, v39, v197, v0 neg_lo:[1,1,0]
	s_delay_alu instid0(VALU_DEP_2) | instskip(NEXT) | instid1(VALU_DEP_2)
	v_dot4_i32_iu8 v4, v40, v194, v4 neg_lo:[1,1,0]
	v_dot4_i32_iu8 v0, v7, v46, v0 neg_lo:[1,1,0]
	s_delay_alu instid0(VALU_DEP_2) | instskip(NEXT) | instid1(VALU_DEP_2)
	v_dot4_i32_iu8 v3, v3, v36, v4 neg_lo:[1,1,0]
	v_mul_lo_u32 v0, v0, v196
	s_delay_alu instid0(VALU_DEP_1) | instskip(NEXT) | instid1(VALU_DEP_1)
	v_mad_co_u64_u32 v[3:4], null, v3, v193, v[0:1]
	v_mad_co_u64_u32 v[1:2], null, v1, v191, v[2:3]
	v_cvt_f32_i32_e32 v0, v3
	s_delay_alu instid0(VALU_DEP_1) | instskip(NEXT) | instid1(VALU_DEP_3)
	v_fma_f32 v0, v44, v0, 0
	v_cvt_f32_i32_e32 v1, v1
	s_delay_alu instid0(VALU_DEP_1) | instskip(NEXT) | instid1(VALU_DEP_1)
	v_fmac_f32_e32 v0, v45, v1
	v_fmac_f32_e32 v79, v190, v0
	s_cbranch_scc1 .LBB176_8
; %bb.9:                                ;   in Loop: Header=BB176_5 Depth=1
	s_add_co_i32 s4, s4, 1
	s_wait_loadcnt 0x0
	s_wait_alu 0xfffe
	s_cmp_eq_u32 s4, s15
	s_barrier_signal -1
	s_barrier_wait -1
	global_inv scope:SCOPE_SE
	s_cbranch_scc0 .LBB176_5
; %bb.10:
	s_clause 0x1
	scratch_load_b32 v2, off, off offset:12 th:TH_LOAD_LU
	scratch_load_b32 v3, off, off offset:16
	v_mov_b32_e32 v1, v106
.LBB176_11:
	s_mov_b32 s0, exec_lo
	s_wait_loadcnt 0x0
	v_cmpx_gt_u32_e64 s6, v3
	s_cbranch_execz .LBB176_62
; %bb.12:
	v_add_nc_u32_e32 v0, s14, v2
	v_mul_lo_u32 v5, v3, s12
	s_delay_alu instid0(VALU_DEP_2)
	v_cmp_gt_u32_e32 vcc_lo, s12, v0
	s_and_saveexec_b32 s1, vcc_lo
	s_cbranch_execz .LBB176_14
; %bb.13:
	v_bfe_u32 v3, v100, 16, 1
	s_delay_alu instid0(VALU_DEP_3) | instskip(SKIP_1) | instid1(VALU_DEP_3)
	v_add_nc_u32_e32 v2, v0, v5
	v_cmp_o_f32_e64 s0, v100, v100
	v_add3_u32 v4, v100, v3, 0x7fff
	v_mov_b32_e32 v3, 0
	s_delay_alu instid0(VALU_DEP_2) | instskip(NEXT) | instid1(VALU_DEP_2)
	v_lshrrev_b32_e32 v4, 16, v4
	v_lshlrev_b64_e32 v[2:3], 1, v[2:3]
	s_delay_alu instid0(VALU_DEP_2) | instskip(SKIP_1) | instid1(VALU_DEP_2)
	v_cndmask_b32_e64 v4, 0x7fc0, v4, s0
	s_wait_kmcnt 0x0
	v_add_co_u32 v2, s0, s8, v2
	s_wait_alu 0xf1ff
	s_delay_alu instid0(VALU_DEP_3)
	v_add_co_ci_u32_e64 v3, null, s9, v3, s0
	global_store_b16 v[2:3], v4, off
.LBB176_14:
	s_or_b32 exec_lo, exec_lo, s1
	v_add_nc_u32_e32 v2, 32, v0
	s_delay_alu instid0(VALU_DEP_1)
	v_cmp_gt_u32_e64 s0, s12, v2
	s_and_saveexec_b32 s2, s0
	s_cbranch_execz .LBB176_16
; %bb.15:
	v_bfe_u32 v4, v131, 16, 1
	v_add_nc_u32_e32 v3, v2, v5
	v_cmp_o_f32_e64 s1, v131, v131
	s_delay_alu instid0(VALU_DEP_3) | instskip(SKIP_1) | instid1(VALU_DEP_2)
	v_add3_u32 v6, v131, v4, 0x7fff
	v_mov_b32_e32 v4, 0
	v_lshrrev_b32_e32 v6, 16, v6
	s_delay_alu instid0(VALU_DEP_2) | instskip(SKIP_1) | instid1(VALU_DEP_2)
	v_lshlrev_b64_e32 v[3:4], 1, v[3:4]
	s_wait_alu 0xf1ff
	v_cndmask_b32_e64 v6, 0x7fc0, v6, s1
	s_wait_kmcnt 0x0
	s_delay_alu instid0(VALU_DEP_2)
	v_add_co_u32 v3, s1, s8, v3
	s_wait_alu 0xf1ff
	v_add_co_ci_u32_e64 v4, null, s9, v4, s1
	global_store_b16 v[3:4], v6, off
.LBB176_16:
	s_wait_alu 0xfffe
	s_or_b32 exec_lo, exec_lo, s2
	v_add_nc_u32_e32 v3, 64, v0
	s_delay_alu instid0(VALU_DEP_1)
	v_cmp_gt_u32_e64 s1, s12, v3
	s_and_saveexec_b32 s3, s1
	s_cbranch_execz .LBB176_18
; %bb.17:
	v_bfe_u32 v4, v124, 16, 1
	v_dual_mov_b32 v7, 0 :: v_dual_add_nc_u32 v6, v3, v5
	v_cmp_o_f32_e64 s2, v124, v124
	s_delay_alu instid0(VALU_DEP_3) | instskip(NEXT) | instid1(VALU_DEP_3)
	v_add3_u32 v4, v124, v4, 0x7fff
	v_lshlrev_b64_e32 v[6:7], 1, v[6:7]
	s_delay_alu instid0(VALU_DEP_2) | instskip(SKIP_1) | instid1(VALU_DEP_1)
	v_lshrrev_b32_e32 v4, 16, v4
	s_wait_alu 0xf1ff
	v_cndmask_b32_e64 v4, 0x7fc0, v4, s2
	s_wait_kmcnt 0x0
	s_delay_alu instid0(VALU_DEP_3)
	v_add_co_u32 v6, s2, s8, v6
	s_wait_alu 0xf1ff
	v_add_co_ci_u32_e64 v7, null, s9, v7, s2
	global_store_b16 v[6:7], v4, off
.LBB176_18:
	s_wait_alu 0xfffe
	s_or_b32 exec_lo, exec_lo, s3
	v_add_nc_u32_e32 v4, 0x60, v0
	s_delay_alu instid0(VALU_DEP_1)
	v_cmp_gt_u32_e64 s2, s12, v4
	s_and_saveexec_b32 s4, s2
	s_cbranch_execz .LBB176_20
; %bb.19:
	v_bfe_u32 v6, v123, 16, 1
	v_add_nc_u32_e32 v5, v4, v5
	v_cmp_o_f32_e64 s3, v123, v123
	s_delay_alu instid0(VALU_DEP_3) | instskip(SKIP_1) | instid1(VALU_DEP_2)
	v_add3_u32 v7, v123, v6, 0x7fff
	v_mov_b32_e32 v6, 0
	v_lshrrev_b32_e32 v7, 16, v7
	s_delay_alu instid0(VALU_DEP_2) | instskip(SKIP_1) | instid1(VALU_DEP_2)
	v_lshlrev_b64_e32 v[5:6], 1, v[5:6]
	s_wait_alu 0xf1ff
	v_cndmask_b32_e64 v7, 0x7fc0, v7, s3
	s_wait_kmcnt 0x0
	s_delay_alu instid0(VALU_DEP_2)
	v_add_co_u32 v5, s3, s8, v5
	s_wait_alu 0xf1ff
	v_add_co_ci_u32_e64 v6, null, s9, v6, s3
	global_store_b16 v[5:6], v7, off
.LBB176_20:
	s_wait_alu 0xfffe
	s_or_b32 exec_lo, exec_lo, s4
	v_add3_u32 v5, v1, s13, 8
	s_delay_alu instid0(VALU_DEP_1)
	v_cmp_gt_u32_e64 s3, s6, v5
	s_and_b32 exec_lo, exec_lo, s3
	s_cbranch_execz .LBB176_62
; %bb.21:
	v_mul_lo_u32 v5, v5, s12
	s_and_saveexec_b32 s4, vcc_lo
	s_cbranch_execnz .LBB176_63
; %bb.22:
	s_wait_alu 0xfffe
	s_or_b32 exec_lo, exec_lo, s4
	s_and_saveexec_b32 s4, s0
	s_cbranch_execnz .LBB176_64
.LBB176_23:
	s_wait_alu 0xfffe
	s_or_b32 exec_lo, exec_lo, s4
	s_and_saveexec_b32 s4, s1
	s_cbranch_execnz .LBB176_65
.LBB176_24:
	s_wait_alu 0xfffe
	s_or_b32 exec_lo, exec_lo, s4
	s_and_saveexec_b32 s4, s2
	s_cbranch_execz .LBB176_26
.LBB176_25:
	v_bfe_u32 v6, v118, 16, 1
	v_add_nc_u32_e32 v5, v5, v4
	v_cmp_o_f32_e64 s3, v118, v118
	s_delay_alu instid0(VALU_DEP_3) | instskip(SKIP_1) | instid1(VALU_DEP_2)
	v_add3_u32 v7, v118, v6, 0x7fff
	v_mov_b32_e32 v6, 0
	v_lshrrev_b32_e32 v7, 16, v7
	s_delay_alu instid0(VALU_DEP_2) | instskip(SKIP_1) | instid1(VALU_DEP_2)
	v_lshlrev_b64_e32 v[5:6], 1, v[5:6]
	s_wait_alu 0xf1ff
	v_cndmask_b32_e64 v7, 0x7fc0, v7, s3
	s_wait_kmcnt 0x0
	s_delay_alu instid0(VALU_DEP_2)
	v_add_co_u32 v5, s3, s8, v5
	s_wait_alu 0xf1ff
	v_add_co_ci_u32_e64 v6, null, s9, v6, s3
	global_store_b16 v[5:6], v7, off
.LBB176_26:
	s_wait_alu 0xfffe
	s_or_b32 exec_lo, exec_lo, s4
	v_add3_u32 v5, v1, s13, 16
	s_delay_alu instid0(VALU_DEP_1)
	v_cmp_gt_u32_e64 s3, s6, v5
	s_and_b32 exec_lo, exec_lo, s3
	s_cbranch_execz .LBB176_62
; %bb.27:
	v_mul_lo_u32 v5, v5, s12
	s_and_saveexec_b32 s4, vcc_lo
	s_cbranch_execnz .LBB176_66
; %bb.28:
	s_wait_alu 0xfffe
	s_or_b32 exec_lo, exec_lo, s4
	s_and_saveexec_b32 s4, s0
	s_cbranch_execnz .LBB176_67
.LBB176_29:
	s_wait_alu 0xfffe
	s_or_b32 exec_lo, exec_lo, s4
	s_and_saveexec_b32 s4, s1
	s_cbranch_execnz .LBB176_68
.LBB176_30:
	s_wait_alu 0xfffe
	s_or_b32 exec_lo, exec_lo, s4
	s_and_saveexec_b32 s4, s2
	s_cbranch_execz .LBB176_32
.LBB176_31:
	v_bfe_u32 v6, v102, 16, 1
	v_add_nc_u32_e32 v5, v5, v4
	v_cmp_o_f32_e64 s3, v102, v102
	s_delay_alu instid0(VALU_DEP_3) | instskip(SKIP_1) | instid1(VALU_DEP_2)
	v_add3_u32 v7, v102, v6, 0x7fff
	v_mov_b32_e32 v6, 0
	v_lshrrev_b32_e32 v7, 16, v7
	s_delay_alu instid0(VALU_DEP_2) | instskip(SKIP_1) | instid1(VALU_DEP_2)
	v_lshlrev_b64_e32 v[5:6], 1, v[5:6]
	s_wait_alu 0xf1ff
	v_cndmask_b32_e64 v7, 0x7fc0, v7, s3
	s_wait_kmcnt 0x0
	s_delay_alu instid0(VALU_DEP_2)
	v_add_co_u32 v5, s3, s8, v5
	s_wait_alu 0xf1ff
	v_add_co_ci_u32_e64 v6, null, s9, v6, s3
	global_store_b16 v[5:6], v7, off
.LBB176_32:
	s_wait_alu 0xfffe
	s_or_b32 exec_lo, exec_lo, s4
	v_add3_u32 v5, v1, s13, 24
	s_delay_alu instid0(VALU_DEP_1)
	v_cmp_gt_u32_e64 s3, s6, v5
	s_and_b32 exec_lo, exec_lo, s3
	s_cbranch_execz .LBB176_62
; %bb.33:
	v_mul_lo_u32 v5, v5, s12
	s_and_saveexec_b32 s4, vcc_lo
	s_cbranch_execnz .LBB176_69
; %bb.34:
	s_wait_alu 0xfffe
	s_or_b32 exec_lo, exec_lo, s4
	s_and_saveexec_b32 s4, s0
	s_cbranch_execnz .LBB176_70
.LBB176_35:
	s_wait_alu 0xfffe
	s_or_b32 exec_lo, exec_lo, s4
	s_and_saveexec_b32 s4, s1
	s_cbranch_execnz .LBB176_71
.LBB176_36:
	s_wait_alu 0xfffe
	s_or_b32 exec_lo, exec_lo, s4
	s_and_saveexec_b32 s4, s2
	s_cbranch_execz .LBB176_38
.LBB176_37:
	v_bfe_u32 v6, v95, 16, 1
	v_add_nc_u32_e32 v5, v5, v4
	v_cmp_o_f32_e64 s3, v95, v95
	s_delay_alu instid0(VALU_DEP_3) | instskip(SKIP_1) | instid1(VALU_DEP_2)
	v_add3_u32 v7, v95, v6, 0x7fff
	v_mov_b32_e32 v6, 0
	v_lshrrev_b32_e32 v7, 16, v7
	s_delay_alu instid0(VALU_DEP_2) | instskip(SKIP_1) | instid1(VALU_DEP_2)
	v_lshlrev_b64_e32 v[5:6], 1, v[5:6]
	s_wait_alu 0xf1ff
	v_cndmask_b32_e64 v7, 0x7fc0, v7, s3
	s_wait_kmcnt 0x0
	s_delay_alu instid0(VALU_DEP_2)
	v_add_co_u32 v5, s3, s8, v5
	s_wait_alu 0xf1ff
	v_add_co_ci_u32_e64 v6, null, s9, v6, s3
	global_store_b16 v[5:6], v7, off
.LBB176_38:
	s_wait_alu 0xfffe
	s_or_b32 exec_lo, exec_lo, s4
	v_add3_u32 v5, v1, s13, 32
	s_delay_alu instid0(VALU_DEP_1)
	v_cmp_gt_u32_e64 s3, s6, v5
	s_and_b32 exec_lo, exec_lo, s3
	s_cbranch_execz .LBB176_62
; %bb.39:
	v_mul_lo_u32 v5, v5, s12
	s_and_saveexec_b32 s4, vcc_lo
	s_cbranch_execnz .LBB176_72
; %bb.40:
	s_wait_alu 0xfffe
	s_or_b32 exec_lo, exec_lo, s4
	s_and_saveexec_b32 s4, s0
	s_cbranch_execnz .LBB176_73
.LBB176_41:
	s_wait_alu 0xfffe
	s_or_b32 exec_lo, exec_lo, s4
	s_and_saveexec_b32 s4, s1
	s_cbranch_execnz .LBB176_74
.LBB176_42:
	s_wait_alu 0xfffe
	s_or_b32 exec_lo, exec_lo, s4
	s_and_saveexec_b32 s4, s2
	s_cbranch_execz .LBB176_44
.LBB176_43:
	v_bfe_u32 v6, v91, 16, 1
	v_add_nc_u32_e32 v5, v5, v4
	v_cmp_o_f32_e64 s3, v91, v91
	s_delay_alu instid0(VALU_DEP_3) | instskip(SKIP_1) | instid1(VALU_DEP_2)
	v_add3_u32 v7, v91, v6, 0x7fff
	v_mov_b32_e32 v6, 0
	v_lshrrev_b32_e32 v7, 16, v7
	s_delay_alu instid0(VALU_DEP_2) | instskip(SKIP_1) | instid1(VALU_DEP_2)
	v_lshlrev_b64_e32 v[5:6], 1, v[5:6]
	s_wait_alu 0xf1ff
	v_cndmask_b32_e64 v7, 0x7fc0, v7, s3
	s_wait_kmcnt 0x0
	s_delay_alu instid0(VALU_DEP_2)
	v_add_co_u32 v5, s3, s8, v5
	s_wait_alu 0xf1ff
	v_add_co_ci_u32_e64 v6, null, s9, v6, s3
	global_store_b16 v[5:6], v7, off
.LBB176_44:
	s_wait_alu 0xfffe
	s_or_b32 exec_lo, exec_lo, s4
	v_add3_u32 v5, v1, s13, 40
	s_delay_alu instid0(VALU_DEP_1)
	v_cmp_gt_u32_e64 s3, s6, v5
	s_and_b32 exec_lo, exec_lo, s3
	s_cbranch_execz .LBB176_62
; %bb.45:
	v_mul_lo_u32 v5, v5, s12
	s_and_saveexec_b32 s4, vcc_lo
	s_cbranch_execnz .LBB176_75
; %bb.46:
	s_wait_alu 0xfffe
	s_or_b32 exec_lo, exec_lo, s4
	s_and_saveexec_b32 s4, s0
	s_cbranch_execnz .LBB176_76
.LBB176_47:
	s_wait_alu 0xfffe
	s_or_b32 exec_lo, exec_lo, s4
	s_and_saveexec_b32 s4, s1
	s_cbranch_execnz .LBB176_77
.LBB176_48:
	s_wait_alu 0xfffe
	s_or_b32 exec_lo, exec_lo, s4
	s_and_saveexec_b32 s4, s2
	s_cbranch_execz .LBB176_50
.LBB176_49:
	v_bfe_u32 v6, v87, 16, 1
	v_add_nc_u32_e32 v5, v5, v4
	v_cmp_o_f32_e64 s3, v87, v87
	s_delay_alu instid0(VALU_DEP_3) | instskip(SKIP_1) | instid1(VALU_DEP_2)
	v_add3_u32 v7, v87, v6, 0x7fff
	v_mov_b32_e32 v6, 0
	v_lshrrev_b32_e32 v7, 16, v7
	s_delay_alu instid0(VALU_DEP_2) | instskip(SKIP_1) | instid1(VALU_DEP_2)
	v_lshlrev_b64_e32 v[5:6], 1, v[5:6]
	s_wait_alu 0xf1ff
	v_cndmask_b32_e64 v7, 0x7fc0, v7, s3
	s_wait_kmcnt 0x0
	s_delay_alu instid0(VALU_DEP_2)
	v_add_co_u32 v5, s3, s8, v5
	s_wait_alu 0xf1ff
	v_add_co_ci_u32_e64 v6, null, s9, v6, s3
	global_store_b16 v[5:6], v7, off
.LBB176_50:
	s_wait_alu 0xfffe
	s_or_b32 exec_lo, exec_lo, s4
	v_add3_u32 v5, v1, s13, 48
	s_delay_alu instid0(VALU_DEP_1)
	v_cmp_gt_u32_e64 s3, s6, v5
	s_and_b32 exec_lo, exec_lo, s3
	s_cbranch_execz .LBB176_62
; %bb.51:
	v_mul_lo_u32 v5, v5, s12
	s_and_saveexec_b32 s4, vcc_lo
	s_cbranch_execnz .LBB176_78
; %bb.52:
	s_wait_alu 0xfffe
	s_or_b32 exec_lo, exec_lo, s4
	s_and_saveexec_b32 s4, s0
	s_cbranch_execnz .LBB176_79
.LBB176_53:
	s_wait_alu 0xfffe
	s_or_b32 exec_lo, exec_lo, s4
	s_and_saveexec_b32 s4, s1
	s_cbranch_execnz .LBB176_80
.LBB176_54:
	s_wait_alu 0xfffe
	s_or_b32 exec_lo, exec_lo, s4
	s_and_saveexec_b32 s4, s2
	s_cbranch_execz .LBB176_56
.LBB176_55:
	v_bfe_u32 v6, v83, 16, 1
	v_add_nc_u32_e32 v5, v5, v4
	v_cmp_o_f32_e64 s3, v83, v83
	s_delay_alu instid0(VALU_DEP_3) | instskip(SKIP_1) | instid1(VALU_DEP_2)
	v_add3_u32 v7, v83, v6, 0x7fff
	v_mov_b32_e32 v6, 0
	v_lshrrev_b32_e32 v7, 16, v7
	s_delay_alu instid0(VALU_DEP_2) | instskip(SKIP_1) | instid1(VALU_DEP_2)
	v_lshlrev_b64_e32 v[5:6], 1, v[5:6]
	s_wait_alu 0xf1ff
	v_cndmask_b32_e64 v7, 0x7fc0, v7, s3
	s_wait_kmcnt 0x0
	s_delay_alu instid0(VALU_DEP_2)
	v_add_co_u32 v5, s3, s8, v5
	s_wait_alu 0xf1ff
	v_add_co_ci_u32_e64 v6, null, s9, v6, s3
	global_store_b16 v[5:6], v7, off
.LBB176_56:
	s_wait_alu 0xfffe
	s_or_b32 exec_lo, exec_lo, s4
	v_add3_u32 v1, v1, s13, 56
	s_delay_alu instid0(VALU_DEP_1)
	v_cmp_gt_u32_e64 s3, s6, v1
	s_and_b32 exec_lo, exec_lo, s3
	s_cbranch_execz .LBB176_62
; %bb.57:
	v_mul_lo_u32 v1, v1, s12
	s_and_saveexec_b32 s3, vcc_lo
	s_cbranch_execnz .LBB176_81
; %bb.58:
	s_wait_alu 0xfffe
	s_or_b32 exec_lo, exec_lo, s3
	s_and_saveexec_b32 s3, s0
	s_cbranch_execnz .LBB176_82
.LBB176_59:
	s_wait_alu 0xfffe
	s_or_b32 exec_lo, exec_lo, s3
	s_and_saveexec_b32 s0, s1
	s_cbranch_execnz .LBB176_83
.LBB176_60:
	s_wait_alu 0xfffe
	s_or_b32 exec_lo, exec_lo, s0
	s_delay_alu instid0(SALU_CYCLE_1)
	s_and_b32 exec_lo, exec_lo, s2
	s_cbranch_execz .LBB176_62
.LBB176_61:
	v_bfe_u32 v2, v79, 16, 1
	v_dual_mov_b32 v1, 0 :: v_dual_add_nc_u32 v0, v1, v4
	v_cmp_o_f32_e32 vcc_lo, v79, v79
	s_delay_alu instid0(VALU_DEP_3) | instskip(NEXT) | instid1(VALU_DEP_3)
	v_add3_u32 v2, v79, v2, 0x7fff
	v_lshlrev_b64_e32 v[0:1], 1, v[0:1]
	s_delay_alu instid0(VALU_DEP_2) | instskip(SKIP_1) | instid1(VALU_DEP_1)
	v_lshrrev_b32_e32 v2, 16, v2
	s_wait_alu 0xfffd
	v_cndmask_b32_e32 v2, 0x7fc0, v2, vcc_lo
	s_wait_kmcnt 0x0
	s_delay_alu instid0(VALU_DEP_3)
	v_add_co_u32 v0, vcc_lo, s8, v0
	s_wait_alu 0xfffd
	v_add_co_ci_u32_e64 v1, null, s9, v1, vcc_lo
	global_store_b16 v[0:1], v2, off
.LBB176_62:
	s_nop 0
	s_sendmsg sendmsg(MSG_DEALLOC_VGPRS)
	s_endpgm
.LBB176_63:
	v_bfe_u32 v7, v121, 16, 1
	s_delay_alu instid0(VALU_DEP_2) | instskip(SKIP_1) | instid1(VALU_DEP_3)
	v_add_nc_u32_e32 v6, v5, v0
	v_cmp_o_f32_e64 s3, v121, v121
	v_add3_u32 v8, v121, v7, 0x7fff
	v_mov_b32_e32 v7, 0
	s_delay_alu instid0(VALU_DEP_2) | instskip(NEXT) | instid1(VALU_DEP_2)
	v_lshrrev_b32_e32 v8, 16, v8
	v_lshlrev_b64_e32 v[6:7], 1, v[6:7]
	s_wait_alu 0xf1ff
	s_delay_alu instid0(VALU_DEP_2) | instskip(SKIP_1) | instid1(VALU_DEP_2)
	v_cndmask_b32_e64 v8, 0x7fc0, v8, s3
	s_wait_kmcnt 0x0
	v_add_co_u32 v6, s3, s8, v6
	s_wait_alu 0xf1ff
	v_add_co_ci_u32_e64 v7, null, s9, v7, s3
	global_store_b16 v[6:7], v8, off
	s_wait_alu 0xfffe
	s_or_b32 exec_lo, exec_lo, s4
	s_and_saveexec_b32 s4, s0
	s_cbranch_execz .LBB176_23
.LBB176_64:
	v_bfe_u32 v7, v120, 16, 1
	v_add_nc_u32_e32 v6, v5, v2
	v_cmp_o_f32_e64 s3, v120, v120
	s_delay_alu instid0(VALU_DEP_3) | instskip(SKIP_1) | instid1(VALU_DEP_2)
	v_add3_u32 v8, v120, v7, 0x7fff
	v_mov_b32_e32 v7, 0
	v_lshrrev_b32_e32 v8, 16, v8
	s_delay_alu instid0(VALU_DEP_2) | instskip(SKIP_1) | instid1(VALU_DEP_2)
	v_lshlrev_b64_e32 v[6:7], 1, v[6:7]
	s_wait_alu 0xf1ff
	v_cndmask_b32_e64 v8, 0x7fc0, v8, s3
	s_wait_kmcnt 0x0
	s_delay_alu instid0(VALU_DEP_2)
	v_add_co_u32 v6, s3, s8, v6
	s_wait_alu 0xf1ff
	v_add_co_ci_u32_e64 v7, null, s9, v7, s3
	global_store_b16 v[6:7], v8, off
	s_wait_alu 0xfffe
	s_or_b32 exec_lo, exec_lo, s4
	s_and_saveexec_b32 s4, s1
	s_cbranch_execz .LBB176_24
.LBB176_65:
	v_bfe_u32 v7, v119, 16, 1
	v_add_nc_u32_e32 v6, v5, v3
	v_cmp_o_f32_e64 s3, v119, v119
	s_delay_alu instid0(VALU_DEP_3) | instskip(SKIP_1) | instid1(VALU_DEP_2)
	v_add3_u32 v8, v119, v7, 0x7fff
	v_mov_b32_e32 v7, 0
	v_lshrrev_b32_e32 v8, 16, v8
	s_delay_alu instid0(VALU_DEP_2) | instskip(SKIP_1) | instid1(VALU_DEP_2)
	v_lshlrev_b64_e32 v[6:7], 1, v[6:7]
	s_wait_alu 0xf1ff
	v_cndmask_b32_e64 v8, 0x7fc0, v8, s3
	s_wait_kmcnt 0x0
	s_delay_alu instid0(VALU_DEP_2)
	v_add_co_u32 v6, s3, s8, v6
	s_wait_alu 0xf1ff
	v_add_co_ci_u32_e64 v7, null, s9, v7, s3
	global_store_b16 v[6:7], v8, off
	s_wait_alu 0xfffe
	s_or_b32 exec_lo, exec_lo, s4
	s_and_saveexec_b32 s4, s2
	s_cbranch_execnz .LBB176_25
	s_branch .LBB176_26
.LBB176_66:
	v_bfe_u32 v7, v111, 16, 1
	s_delay_alu instid0(VALU_DEP_2) | instskip(SKIP_1) | instid1(VALU_DEP_3)
	v_add_nc_u32_e32 v6, v5, v0
	v_cmp_o_f32_e64 s3, v111, v111
	v_add3_u32 v8, v111, v7, 0x7fff
	v_mov_b32_e32 v7, 0
	s_delay_alu instid0(VALU_DEP_2) | instskip(NEXT) | instid1(VALU_DEP_2)
	v_lshrrev_b32_e32 v8, 16, v8
	v_lshlrev_b64_e32 v[6:7], 1, v[6:7]
	s_wait_alu 0xf1ff
	s_delay_alu instid0(VALU_DEP_2) | instskip(SKIP_1) | instid1(VALU_DEP_2)
	v_cndmask_b32_e64 v8, 0x7fc0, v8, s3
	s_wait_kmcnt 0x0
	v_add_co_u32 v6, s3, s8, v6
	s_wait_alu 0xf1ff
	v_add_co_ci_u32_e64 v7, null, s9, v7, s3
	global_store_b16 v[6:7], v8, off
	s_wait_alu 0xfffe
	s_or_b32 exec_lo, exec_lo, s4
	s_and_saveexec_b32 s4, s0
	s_cbranch_execz .LBB176_29
.LBB176_67:
	v_bfe_u32 v7, v104, 16, 1
	v_add_nc_u32_e32 v6, v5, v2
	v_cmp_o_f32_e64 s3, v104, v104
	s_delay_alu instid0(VALU_DEP_3) | instskip(SKIP_1) | instid1(VALU_DEP_2)
	v_add3_u32 v8, v104, v7, 0x7fff
	v_mov_b32_e32 v7, 0
	v_lshrrev_b32_e32 v8, 16, v8
	s_delay_alu instid0(VALU_DEP_2) | instskip(SKIP_1) | instid1(VALU_DEP_2)
	v_lshlrev_b64_e32 v[6:7], 1, v[6:7]
	s_wait_alu 0xf1ff
	v_cndmask_b32_e64 v8, 0x7fc0, v8, s3
	s_wait_kmcnt 0x0
	s_delay_alu instid0(VALU_DEP_2)
	v_add_co_u32 v6, s3, s8, v6
	s_wait_alu 0xf1ff
	v_add_co_ci_u32_e64 v7, null, s9, v7, s3
	global_store_b16 v[6:7], v8, off
	s_wait_alu 0xfffe
	s_or_b32 exec_lo, exec_lo, s4
	s_and_saveexec_b32 s4, s1
	s_cbranch_execz .LBB176_30
.LBB176_68:
	v_bfe_u32 v7, v103, 16, 1
	v_add_nc_u32_e32 v6, v5, v3
	v_cmp_o_f32_e64 s3, v103, v103
	s_delay_alu instid0(VALU_DEP_3) | instskip(SKIP_1) | instid1(VALU_DEP_2)
	v_add3_u32 v8, v103, v7, 0x7fff
	v_mov_b32_e32 v7, 0
	v_lshrrev_b32_e32 v8, 16, v8
	s_delay_alu instid0(VALU_DEP_2) | instskip(SKIP_1) | instid1(VALU_DEP_2)
	v_lshlrev_b64_e32 v[6:7], 1, v[6:7]
	s_wait_alu 0xf1ff
	v_cndmask_b32_e64 v8, 0x7fc0, v8, s3
	s_wait_kmcnt 0x0
	s_delay_alu instid0(VALU_DEP_2)
	v_add_co_u32 v6, s3, s8, v6
	s_wait_alu 0xf1ff
	v_add_co_ci_u32_e64 v7, null, s9, v7, s3
	global_store_b16 v[6:7], v8, off
	s_wait_alu 0xfffe
	s_or_b32 exec_lo, exec_lo, s4
	s_and_saveexec_b32 s4, s2
	s_cbranch_execnz .LBB176_31
	s_branch .LBB176_32
.LBB176_69:
	v_bfe_u32 v7, v101, 16, 1
	s_delay_alu instid0(VALU_DEP_2) | instskip(SKIP_1) | instid1(VALU_DEP_3)
	v_add_nc_u32_e32 v6, v5, v0
	v_cmp_o_f32_e64 s3, v101, v101
	v_add3_u32 v8, v101, v7, 0x7fff
	v_mov_b32_e32 v7, 0
	s_delay_alu instid0(VALU_DEP_2) | instskip(NEXT) | instid1(VALU_DEP_2)
	v_lshrrev_b32_e32 v8, 16, v8
	v_lshlrev_b64_e32 v[6:7], 1, v[6:7]
	s_wait_alu 0xf1ff
	s_delay_alu instid0(VALU_DEP_2) | instskip(SKIP_1) | instid1(VALU_DEP_2)
	v_cndmask_b32_e64 v8, 0x7fc0, v8, s3
	s_wait_kmcnt 0x0
	v_add_co_u32 v6, s3, s8, v6
	s_wait_alu 0xf1ff
	v_add_co_ci_u32_e64 v7, null, s9, v7, s3
	global_store_b16 v[6:7], v8, off
	s_wait_alu 0xfffe
	s_or_b32 exec_lo, exec_lo, s4
	s_and_saveexec_b32 s4, s0
	s_cbranch_execz .LBB176_35
.LBB176_70:
	v_bfe_u32 v7, v99, 16, 1
	v_add_nc_u32_e32 v6, v5, v2
	v_cmp_o_f32_e64 s3, v99, v99
	s_delay_alu instid0(VALU_DEP_3) | instskip(SKIP_1) | instid1(VALU_DEP_2)
	v_add3_u32 v8, v99, v7, 0x7fff
	v_mov_b32_e32 v7, 0
	v_lshrrev_b32_e32 v8, 16, v8
	s_delay_alu instid0(VALU_DEP_2) | instskip(SKIP_1) | instid1(VALU_DEP_2)
	v_lshlrev_b64_e32 v[6:7], 1, v[6:7]
	s_wait_alu 0xf1ff
	v_cndmask_b32_e64 v8, 0x7fc0, v8, s3
	s_wait_kmcnt 0x0
	s_delay_alu instid0(VALU_DEP_2)
	v_add_co_u32 v6, s3, s8, v6
	s_wait_alu 0xf1ff
	v_add_co_ci_u32_e64 v7, null, s9, v7, s3
	global_store_b16 v[6:7], v8, off
	s_wait_alu 0xfffe
	s_or_b32 exec_lo, exec_lo, s4
	s_and_saveexec_b32 s4, s1
	s_cbranch_execz .LBB176_36
.LBB176_71:
	v_bfe_u32 v7, v98, 16, 1
	v_add_nc_u32_e32 v6, v5, v3
	v_cmp_o_f32_e64 s3, v98, v98
	s_delay_alu instid0(VALU_DEP_3) | instskip(SKIP_1) | instid1(VALU_DEP_2)
	v_add3_u32 v8, v98, v7, 0x7fff
	v_mov_b32_e32 v7, 0
	v_lshrrev_b32_e32 v8, 16, v8
	s_delay_alu instid0(VALU_DEP_2) | instskip(SKIP_1) | instid1(VALU_DEP_2)
	v_lshlrev_b64_e32 v[6:7], 1, v[6:7]
	s_wait_alu 0xf1ff
	v_cndmask_b32_e64 v8, 0x7fc0, v8, s3
	s_wait_kmcnt 0x0
	s_delay_alu instid0(VALU_DEP_2)
	v_add_co_u32 v6, s3, s8, v6
	s_wait_alu 0xf1ff
	v_add_co_ci_u32_e64 v7, null, s9, v7, s3
	global_store_b16 v[6:7], v8, off
	s_wait_alu 0xfffe
	s_or_b32 exec_lo, exec_lo, s4
	s_and_saveexec_b32 s4, s2
	s_cbranch_execnz .LBB176_37
	s_branch .LBB176_38
.LBB176_72:
	v_bfe_u32 v7, v94, 16, 1
	s_delay_alu instid0(VALU_DEP_2) | instskip(SKIP_1) | instid1(VALU_DEP_3)
	v_add_nc_u32_e32 v6, v5, v0
	v_cmp_o_f32_e64 s3, v94, v94
	v_add3_u32 v8, v94, v7, 0x7fff
	v_mov_b32_e32 v7, 0
	s_delay_alu instid0(VALU_DEP_2) | instskip(NEXT) | instid1(VALU_DEP_2)
	v_lshrrev_b32_e32 v8, 16, v8
	v_lshlrev_b64_e32 v[6:7], 1, v[6:7]
	s_wait_alu 0xf1ff
	s_delay_alu instid0(VALU_DEP_2) | instskip(SKIP_1) | instid1(VALU_DEP_2)
	v_cndmask_b32_e64 v8, 0x7fc0, v8, s3
	s_wait_kmcnt 0x0
	v_add_co_u32 v6, s3, s8, v6
	s_wait_alu 0xf1ff
	v_add_co_ci_u32_e64 v7, null, s9, v7, s3
	global_store_b16 v[6:7], v8, off
	s_wait_alu 0xfffe
	s_or_b32 exec_lo, exec_lo, s4
	s_and_saveexec_b32 s4, s0
	s_cbranch_execz .LBB176_41
.LBB176_73:
	v_bfe_u32 v7, v93, 16, 1
	v_add_nc_u32_e32 v6, v5, v2
	v_cmp_o_f32_e64 s3, v93, v93
	s_delay_alu instid0(VALU_DEP_3) | instskip(SKIP_1) | instid1(VALU_DEP_2)
	v_add3_u32 v8, v93, v7, 0x7fff
	v_mov_b32_e32 v7, 0
	v_lshrrev_b32_e32 v8, 16, v8
	s_delay_alu instid0(VALU_DEP_2) | instskip(SKIP_1) | instid1(VALU_DEP_2)
	v_lshlrev_b64_e32 v[6:7], 1, v[6:7]
	s_wait_alu 0xf1ff
	v_cndmask_b32_e64 v8, 0x7fc0, v8, s3
	s_wait_kmcnt 0x0
	s_delay_alu instid0(VALU_DEP_2)
	v_add_co_u32 v6, s3, s8, v6
	s_wait_alu 0xf1ff
	v_add_co_ci_u32_e64 v7, null, s9, v7, s3
	global_store_b16 v[6:7], v8, off
	s_wait_alu 0xfffe
	s_or_b32 exec_lo, exec_lo, s4
	s_and_saveexec_b32 s4, s1
	s_cbranch_execz .LBB176_42
.LBB176_74:
	v_bfe_u32 v7, v92, 16, 1
	v_add_nc_u32_e32 v6, v5, v3
	v_cmp_o_f32_e64 s3, v92, v92
	s_delay_alu instid0(VALU_DEP_3) | instskip(SKIP_1) | instid1(VALU_DEP_2)
	v_add3_u32 v8, v92, v7, 0x7fff
	v_mov_b32_e32 v7, 0
	v_lshrrev_b32_e32 v8, 16, v8
	s_delay_alu instid0(VALU_DEP_2) | instskip(SKIP_1) | instid1(VALU_DEP_2)
	v_lshlrev_b64_e32 v[6:7], 1, v[6:7]
	s_wait_alu 0xf1ff
	v_cndmask_b32_e64 v8, 0x7fc0, v8, s3
	s_wait_kmcnt 0x0
	s_delay_alu instid0(VALU_DEP_2)
	v_add_co_u32 v6, s3, s8, v6
	s_wait_alu 0xf1ff
	v_add_co_ci_u32_e64 v7, null, s9, v7, s3
	global_store_b16 v[6:7], v8, off
	s_wait_alu 0xfffe
	s_or_b32 exec_lo, exec_lo, s4
	s_and_saveexec_b32 s4, s2
	s_cbranch_execnz .LBB176_43
	s_branch .LBB176_44
.LBB176_75:
	v_bfe_u32 v7, v90, 16, 1
	s_delay_alu instid0(VALU_DEP_2) | instskip(SKIP_1) | instid1(VALU_DEP_3)
	v_add_nc_u32_e32 v6, v5, v0
	v_cmp_o_f32_e64 s3, v90, v90
	v_add3_u32 v8, v90, v7, 0x7fff
	v_mov_b32_e32 v7, 0
	s_delay_alu instid0(VALU_DEP_2) | instskip(NEXT) | instid1(VALU_DEP_2)
	v_lshrrev_b32_e32 v8, 16, v8
	v_lshlrev_b64_e32 v[6:7], 1, v[6:7]
	s_wait_alu 0xf1ff
	s_delay_alu instid0(VALU_DEP_2) | instskip(SKIP_1) | instid1(VALU_DEP_2)
	v_cndmask_b32_e64 v8, 0x7fc0, v8, s3
	s_wait_kmcnt 0x0
	v_add_co_u32 v6, s3, s8, v6
	s_wait_alu 0xf1ff
	v_add_co_ci_u32_e64 v7, null, s9, v7, s3
	global_store_b16 v[6:7], v8, off
	s_wait_alu 0xfffe
	s_or_b32 exec_lo, exec_lo, s4
	s_and_saveexec_b32 s4, s0
	s_cbranch_execz .LBB176_47
.LBB176_76:
	v_bfe_u32 v7, v89, 16, 1
	v_add_nc_u32_e32 v6, v5, v2
	v_cmp_o_f32_e64 s3, v89, v89
	s_delay_alu instid0(VALU_DEP_3) | instskip(SKIP_1) | instid1(VALU_DEP_2)
	v_add3_u32 v8, v89, v7, 0x7fff
	v_mov_b32_e32 v7, 0
	v_lshrrev_b32_e32 v8, 16, v8
	s_delay_alu instid0(VALU_DEP_2) | instskip(SKIP_1) | instid1(VALU_DEP_2)
	v_lshlrev_b64_e32 v[6:7], 1, v[6:7]
	s_wait_alu 0xf1ff
	v_cndmask_b32_e64 v8, 0x7fc0, v8, s3
	s_wait_kmcnt 0x0
	s_delay_alu instid0(VALU_DEP_2)
	v_add_co_u32 v6, s3, s8, v6
	s_wait_alu 0xf1ff
	v_add_co_ci_u32_e64 v7, null, s9, v7, s3
	global_store_b16 v[6:7], v8, off
	s_wait_alu 0xfffe
	s_or_b32 exec_lo, exec_lo, s4
	s_and_saveexec_b32 s4, s1
	s_cbranch_execz .LBB176_48
.LBB176_77:
	v_bfe_u32 v7, v88, 16, 1
	v_add_nc_u32_e32 v6, v5, v3
	v_cmp_o_f32_e64 s3, v88, v88
	s_delay_alu instid0(VALU_DEP_3) | instskip(SKIP_1) | instid1(VALU_DEP_2)
	v_add3_u32 v8, v88, v7, 0x7fff
	v_mov_b32_e32 v7, 0
	v_lshrrev_b32_e32 v8, 16, v8
	s_delay_alu instid0(VALU_DEP_2) | instskip(SKIP_1) | instid1(VALU_DEP_2)
	v_lshlrev_b64_e32 v[6:7], 1, v[6:7]
	s_wait_alu 0xf1ff
	v_cndmask_b32_e64 v8, 0x7fc0, v8, s3
	s_wait_kmcnt 0x0
	s_delay_alu instid0(VALU_DEP_2)
	v_add_co_u32 v6, s3, s8, v6
	s_wait_alu 0xf1ff
	v_add_co_ci_u32_e64 v7, null, s9, v7, s3
	global_store_b16 v[6:7], v8, off
	s_wait_alu 0xfffe
	s_or_b32 exec_lo, exec_lo, s4
	s_and_saveexec_b32 s4, s2
	s_cbranch_execnz .LBB176_49
	s_branch .LBB176_50
.LBB176_78:
	v_bfe_u32 v7, v86, 16, 1
	s_delay_alu instid0(VALU_DEP_2) | instskip(SKIP_1) | instid1(VALU_DEP_3)
	v_add_nc_u32_e32 v6, v5, v0
	v_cmp_o_f32_e64 s3, v86, v86
	v_add3_u32 v8, v86, v7, 0x7fff
	v_mov_b32_e32 v7, 0
	s_delay_alu instid0(VALU_DEP_2) | instskip(NEXT) | instid1(VALU_DEP_2)
	v_lshrrev_b32_e32 v8, 16, v8
	v_lshlrev_b64_e32 v[6:7], 1, v[6:7]
	s_wait_alu 0xf1ff
	s_delay_alu instid0(VALU_DEP_2) | instskip(SKIP_1) | instid1(VALU_DEP_2)
	v_cndmask_b32_e64 v8, 0x7fc0, v8, s3
	s_wait_kmcnt 0x0
	v_add_co_u32 v6, s3, s8, v6
	s_wait_alu 0xf1ff
	v_add_co_ci_u32_e64 v7, null, s9, v7, s3
	global_store_b16 v[6:7], v8, off
	s_wait_alu 0xfffe
	s_or_b32 exec_lo, exec_lo, s4
	s_and_saveexec_b32 s4, s0
	s_cbranch_execz .LBB176_53
.LBB176_79:
	v_bfe_u32 v7, v85, 16, 1
	v_add_nc_u32_e32 v6, v5, v2
	v_cmp_o_f32_e64 s3, v85, v85
	s_delay_alu instid0(VALU_DEP_3) | instskip(SKIP_1) | instid1(VALU_DEP_2)
	v_add3_u32 v8, v85, v7, 0x7fff
	v_mov_b32_e32 v7, 0
	v_lshrrev_b32_e32 v8, 16, v8
	s_delay_alu instid0(VALU_DEP_2) | instskip(SKIP_1) | instid1(VALU_DEP_2)
	v_lshlrev_b64_e32 v[6:7], 1, v[6:7]
	s_wait_alu 0xf1ff
	v_cndmask_b32_e64 v8, 0x7fc0, v8, s3
	s_wait_kmcnt 0x0
	s_delay_alu instid0(VALU_DEP_2)
	v_add_co_u32 v6, s3, s8, v6
	s_wait_alu 0xf1ff
	v_add_co_ci_u32_e64 v7, null, s9, v7, s3
	global_store_b16 v[6:7], v8, off
	s_wait_alu 0xfffe
	s_or_b32 exec_lo, exec_lo, s4
	s_and_saveexec_b32 s4, s1
	s_cbranch_execz .LBB176_54
.LBB176_80:
	v_bfe_u32 v7, v84, 16, 1
	v_add_nc_u32_e32 v6, v5, v3
	v_cmp_o_f32_e64 s3, v84, v84
	s_delay_alu instid0(VALU_DEP_3) | instskip(SKIP_1) | instid1(VALU_DEP_2)
	v_add3_u32 v8, v84, v7, 0x7fff
	v_mov_b32_e32 v7, 0
	v_lshrrev_b32_e32 v8, 16, v8
	s_delay_alu instid0(VALU_DEP_2) | instskip(SKIP_1) | instid1(VALU_DEP_2)
	v_lshlrev_b64_e32 v[6:7], 1, v[6:7]
	s_wait_alu 0xf1ff
	v_cndmask_b32_e64 v8, 0x7fc0, v8, s3
	s_wait_kmcnt 0x0
	s_delay_alu instid0(VALU_DEP_2)
	v_add_co_u32 v6, s3, s8, v6
	s_wait_alu 0xf1ff
	v_add_co_ci_u32_e64 v7, null, s9, v7, s3
	global_store_b16 v[6:7], v8, off
	s_wait_alu 0xfffe
	s_or_b32 exec_lo, exec_lo, s4
	s_and_saveexec_b32 s4, s2
	s_cbranch_execnz .LBB176_55
	s_branch .LBB176_56
.LBB176_81:
	v_bfe_u32 v6, v82, 16, 1
	s_delay_alu instid0(VALU_DEP_2) | instskip(SKIP_1) | instid1(VALU_DEP_3)
	v_add_nc_u32_e32 v5, v1, v0
	v_cmp_o_f32_e32 vcc_lo, v82, v82
	v_add3_u32 v0, v82, v6, 0x7fff
	v_mov_b32_e32 v6, 0
	s_delay_alu instid0(VALU_DEP_2) | instskip(NEXT) | instid1(VALU_DEP_2)
	v_lshrrev_b32_e32 v0, 16, v0
	v_lshlrev_b64_e32 v[5:6], 1, v[5:6]
	s_wait_alu 0xfffd
	s_delay_alu instid0(VALU_DEP_2) | instskip(SKIP_1) | instid1(VALU_DEP_2)
	v_cndmask_b32_e32 v0, 0x7fc0, v0, vcc_lo
	s_wait_kmcnt 0x0
	v_add_co_u32 v5, vcc_lo, s8, v5
	s_wait_alu 0xfffd
	v_add_co_ci_u32_e64 v6, null, s9, v6, vcc_lo
	global_store_b16 v[5:6], v0, off
	s_wait_alu 0xfffe
	s_or_b32 exec_lo, exec_lo, s3
	s_and_saveexec_b32 s3, s0
	s_cbranch_execz .LBB176_59
.LBB176_82:
	v_bfe_u32 v0, v81, 16, 1
	v_dual_mov_b32 v6, 0 :: v_dual_add_nc_u32 v5, v1, v2
	v_cmp_o_f32_e32 vcc_lo, v81, v81
	s_delay_alu instid0(VALU_DEP_3) | instskip(NEXT) | instid1(VALU_DEP_3)
	v_add3_u32 v0, v81, v0, 0x7fff
	v_lshlrev_b64_e32 v[5:6], 1, v[5:6]
	s_delay_alu instid0(VALU_DEP_2) | instskip(SKIP_1) | instid1(VALU_DEP_1)
	v_lshrrev_b32_e32 v0, 16, v0
	s_wait_alu 0xfffd
	v_cndmask_b32_e32 v0, 0x7fc0, v0, vcc_lo
	s_wait_kmcnt 0x0
	s_delay_alu instid0(VALU_DEP_3)
	v_add_co_u32 v5, vcc_lo, s8, v5
	s_wait_alu 0xfffd
	v_add_co_ci_u32_e64 v6, null, s9, v6, vcc_lo
	global_store_b16 v[5:6], v0, off
	s_wait_alu 0xfffe
	s_or_b32 exec_lo, exec_lo, s3
	s_and_saveexec_b32 s0, s1
	s_cbranch_execz .LBB176_60
.LBB176_83:
	v_bfe_u32 v0, v80, 16, 1
	v_dual_mov_b32 v3, 0 :: v_dual_add_nc_u32 v2, v1, v3
	v_cmp_o_f32_e32 vcc_lo, v80, v80
	s_delay_alu instid0(VALU_DEP_3) | instskip(NEXT) | instid1(VALU_DEP_3)
	v_add3_u32 v0, v80, v0, 0x7fff
	v_lshlrev_b64_e32 v[2:3], 1, v[2:3]
	s_delay_alu instid0(VALU_DEP_2) | instskip(SKIP_1) | instid1(VALU_DEP_1)
	v_lshrrev_b32_e32 v0, 16, v0
	s_wait_alu 0xfffd
	v_cndmask_b32_e32 v0, 0x7fc0, v0, vcc_lo
	s_wait_kmcnt 0x0
	s_delay_alu instid0(VALU_DEP_3)
	v_add_co_u32 v2, vcc_lo, s8, v2
	s_wait_alu 0xfffd
	v_add_co_ci_u32_e64 v3, null, s9, v3, vcc_lo
	global_store_b16 v[2:3], v0, off
	s_wait_alu 0xfffe
	s_or_b32 exec_lo, exec_lo, s0
	s_delay_alu instid0(SALU_CYCLE_1)
	s_and_b32 exec_lo, exec_lo, s2
	s_cbranch_execnz .LBB176_61
	s_branch .LBB176_62
	.section	.rodata,"a",@progbits
	.p2align	6, 0x0
	.amdhsa_kernel _ZL12mul_mat_q6_KIN3c108BFloat16ELb1EEvPKvS3_PT_iiiii
		.amdhsa_group_segment_fixed_size 45136
		.amdhsa_private_segment_fixed_size 24
		.amdhsa_kernarg_size 44
		.amdhsa_user_sgpr_count 2
		.amdhsa_user_sgpr_dispatch_ptr 0
		.amdhsa_user_sgpr_queue_ptr 0
		.amdhsa_user_sgpr_kernarg_segment_ptr 1
		.amdhsa_user_sgpr_dispatch_id 0
		.amdhsa_user_sgpr_private_segment_size 0
		.amdhsa_wavefront_size32 1
		.amdhsa_uses_dynamic_stack 0
		.amdhsa_enable_private_segment 1
		.amdhsa_system_sgpr_workgroup_id_x 1
		.amdhsa_system_sgpr_workgroup_id_y 1
		.amdhsa_system_sgpr_workgroup_id_z 0
		.amdhsa_system_sgpr_workgroup_info 0
		.amdhsa_system_vgpr_workitem_id 1
		.amdhsa_next_free_vgpr 256
		.amdhsa_next_free_sgpr 18
		.amdhsa_reserve_vcc 1
		.amdhsa_float_round_mode_32 0
		.amdhsa_float_round_mode_16_64 0
		.amdhsa_float_denorm_mode_32 3
		.amdhsa_float_denorm_mode_16_64 3
		.amdhsa_fp16_overflow 0
		.amdhsa_workgroup_processor_mode 1
		.amdhsa_memory_ordered 1
		.amdhsa_forward_progress 1
		.amdhsa_inst_pref_size 255
		.amdhsa_round_robin_scheduling 0
		.amdhsa_exception_fp_ieee_invalid_op 0
		.amdhsa_exception_fp_denorm_src 0
		.amdhsa_exception_fp_ieee_div_zero 0
		.amdhsa_exception_fp_ieee_overflow 0
		.amdhsa_exception_fp_ieee_underflow 0
		.amdhsa_exception_fp_ieee_inexact 0
		.amdhsa_exception_int_div_zero 0
	.end_amdhsa_kernel
	.section	.text._ZL12mul_mat_q6_KIN3c108BFloat16ELb1EEvPKvS3_PT_iiiii,"axG",@progbits,_ZL12mul_mat_q6_KIN3c108BFloat16ELb1EEvPKvS3_PT_iiiii,comdat
.Lfunc_end176:
	.size	_ZL12mul_mat_q6_KIN3c108BFloat16ELb1EEvPKvS3_PT_iiiii, .Lfunc_end176-_ZL12mul_mat_q6_KIN3c108BFloat16ELb1EEvPKvS3_PT_iiiii
                                        ; -- End function
	.set _ZL12mul_mat_q6_KIN3c108BFloat16ELb1EEvPKvS3_PT_iiiii.num_vgpr, 256
	.set _ZL12mul_mat_q6_KIN3c108BFloat16ELb1EEvPKvS3_PT_iiiii.num_agpr, 0
	.set _ZL12mul_mat_q6_KIN3c108BFloat16ELb1EEvPKvS3_PT_iiiii.numbered_sgpr, 18
	.set _ZL12mul_mat_q6_KIN3c108BFloat16ELb1EEvPKvS3_PT_iiiii.num_named_barrier, 0
	.set _ZL12mul_mat_q6_KIN3c108BFloat16ELb1EEvPKvS3_PT_iiiii.private_seg_size, 24
	.set _ZL12mul_mat_q6_KIN3c108BFloat16ELb1EEvPKvS3_PT_iiiii.uses_vcc, 1
	.set _ZL12mul_mat_q6_KIN3c108BFloat16ELb1EEvPKvS3_PT_iiiii.uses_flat_scratch, 1
	.set _ZL12mul_mat_q6_KIN3c108BFloat16ELb1EEvPKvS3_PT_iiiii.has_dyn_sized_stack, 0
	.set _ZL12mul_mat_q6_KIN3c108BFloat16ELb1EEvPKvS3_PT_iiiii.has_recursion, 0
	.set _ZL12mul_mat_q6_KIN3c108BFloat16ELb1EEvPKvS3_PT_iiiii.has_indirect_call, 0
	.section	.AMDGPU.csdata,"",@progbits
; Kernel info:
; codeLenInByte = 39596
; TotalNumSgprs: 20
; NumVgprs: 256
; ScratchSize: 24
; MemoryBound: 0
; FloatMode: 240
; IeeeMode: 1
; LDSByteSize: 45136 bytes/workgroup (compile time only)
; SGPRBlocks: 0
; VGPRBlocks: 31
; NumSGPRsForWavesPerEU: 20
; NumVGPRsForWavesPerEU: 256
; Occupancy: 4
; WaveLimiterHint : 0
; COMPUTE_PGM_RSRC2:SCRATCH_EN: 1
; COMPUTE_PGM_RSRC2:USER_SGPR: 2
; COMPUTE_PGM_RSRC2:TRAP_HANDLER: 0
; COMPUTE_PGM_RSRC2:TGID_X_EN: 1
; COMPUTE_PGM_RSRC2:TGID_Y_EN: 1
; COMPUTE_PGM_RSRC2:TGID_Z_EN: 0
; COMPUTE_PGM_RSRC2:TIDIG_COMP_CNT: 1
	.section	.text._ZL8moe_q4_0IfLb0EEvPKvS1_PT_PKiS5_S5_iiiiiii,"axG",@progbits,_ZL8moe_q4_0IfLb0EEvPKvS1_PT_PKiS5_S5_iiiiiii,comdat
	.globl	_ZL8moe_q4_0IfLb0EEvPKvS1_PT_PKiS5_S5_iiiiiii ; -- Begin function _ZL8moe_q4_0IfLb0EEvPKvS1_PT_PKiS5_S5_iiiiiii
	.p2align	8
	.type	_ZL8moe_q4_0IfLb0EEvPKvS1_PT_PKiS5_S5_iiiiiii,@function
_ZL8moe_q4_0IfLb0EEvPKvS1_PT_PKiS5_S5_iiiiiii: ; @_ZL8moe_q4_0IfLb0EEvPKvS1_PT_PKiS5_S5_iiiiiii
; %bb.0:
	s_load_b128 s[4:7], s[0:1], 0x18
	s_mov_b32 s2, ttmp7
	s_mov_b32 s3, 0
	s_delay_alu instid0(SALU_CYCLE_1)
	s_lshl_b64 s[2:3], s[2:3], 2
	s_wait_kmcnt 0x0
	s_add_nc_u64 s[2:3], s[6:7], s[2:3]
	s_load_b32 s12, s[2:3], 0x0
	s_wait_kmcnt 0x0
	s_cmp_gt_u32 s12, 0xff
	s_cbranch_scc1 .LBB177_30
; %bb.1:
	s_load_b64 s[2:3], s[0:1], 0x28
	s_wait_kmcnt 0x0
	s_load_b32 s3, s[2:3], 0x0
	s_lshl_b32 s2, ttmp7, 3
	s_wait_kmcnt 0x0
	s_cmp_gt_u32 s2, s3
	s_cbranch_scc1 .LBB177_30
; %bb.2:
	v_bfe_u32 v3, v0, 10, 10
	v_mov_b32_e32 v2, 0
	s_lshl_b32 s18, ttmp9, 7
	s_delay_alu instid0(VALU_DEP_2) | instskip(NEXT) | instid1(VALU_DEP_2)
	v_add_nc_u32_e32 v1, s2, v3
	v_dual_mov_b32 v55, v2 :: v_dual_and_b32 v16, 0x3ff, v0
	v_dual_mov_b32 v48, v2 :: v_dual_mov_b32 v17, v2
	s_delay_alu instid0(VALU_DEP_3) | instskip(NEXT) | instid1(VALU_DEP_1)
	v_lshlrev_b64_e32 v[4:5], 2, v[1:2]
	v_add_co_u32 v4, vcc_lo, s4, v4
	s_delay_alu instid0(VALU_DEP_1)
	v_add_co_ci_u32_e64 v5, null, s5, v5, vcc_lo
	global_load_b32 v15, v[4:5], off
	s_clause 0x2
	s_load_b64 s[10:11], s[0:1], 0x30
	s_load_b64 s[8:9], s[0:1], 0x10
	s_load_b128 s[4:7], s[0:1], 0x3c
	s_wait_kmcnt 0x0
	s_cmp_lt_i32 s11, 32
	s_cbranch_scc1 .LBB177_21
; %bb.3:
	s_abs_i32 s16, s7
	s_wait_loadcnt 0x0
	v_sub_nc_u32_e32 v2, 0, v15
	s_cvt_f32_u32 s17, s16
	s_sub_co_i32 s20, 0, s16
	s_ashr_i32 s2, s11, 31
	s_mul_i32 s12, s12, s10
	v_rcp_iflag_f32_e32 v6, s17
	v_max_i32_e32 v2, v15, v2
	s_wait_alu 0xfffe
	s_lshr_b32 s13, s2, 27
	v_bfe_u32 v21, v0, 3, 7
	s_add_co_i32 s14, s11, s13
	s_load_b128 s[0:3], s[0:1], 0x0
	s_ashr_i32 s19, s14, 5
	v_dual_mov_b32 v17, 0 :: v_dual_and_b32 v20, 7, v0
	v_mul_lo_u32 v18, s19, v3
	v_readfirstlane_b32 s17, v6
	s_lshl_b32 s10, s19, 3
	v_lshl_add_u32 v4, v3, 2, v21
	v_mov_b32_e32 v55, 0
	v_xor_b32_e32 v48, s7, v15
	s_mul_f32 s17, s17, 0x4f7ffffe
	v_lshl_add_u32 v56, v3, 7, 0x5280
	v_add_nc_u32_e32 v22, s10, v18
	v_mul_lo_u32 v43, s19, v4
	s_wait_alu 0xfffe
	s_cvt_u32_f32 s17, s17
	v_and_b32_e32 v6, 0x1ffc, v4
	v_lshlrev_b32_e32 v7, 5, v4
	v_add_nc_u32_e32 v8, 32, v4
	s_wait_alu 0xfffe
	s_mul_i32 s20, s20, s17
	v_add_nc_u32_e32 v9, 64, v4
	s_mul_hi_u32 s20, s17, s20
	v_add_nc_u32_e32 v4, 0x60, v4
	s_add_co_i32 s17, s17, s20
	v_and_b32_e32 v11, 0x3ffc, v8
	s_wait_alu 0xfffe
	v_mul_hi_u32 v10, v2, s17
	v_and_b32_e32 v13, 0x3ffc, v9
	v_ashrrev_i32_e32 v48, 31, v48
	v_lshl_add_u32 v57, v3, 4, 0x5680
	s_ashr_i32 s13, s5, 31
	s_and_b32 s21, s14, 0xffffffe0
	s_lshr_b32 s15, s13, 27
	s_mul_i32 s14, s19, s18
	v_mul_lo_u32 v12, v10, s16
	s_ashr_i32 s13, s12, 31
	s_add_co_i32 s5, s5, s15
	s_ashr_i32 s15, s14, 31
	s_wait_alu 0xfffe
	s_ashr_i32 s5, s5, 5
	s_mul_u64 s[14:15], s[14:15], 18
	s_wait_kmcnt 0x0
	s_add_nc_u64 s[0:1], s[0:1], s[12:13]
	v_bfe_u32 v19, v0, 2, 8
	v_sub_nc_u32_e32 v2, v2, v12
	v_add_nc_u32_e32 v12, 1, v10
	s_add_nc_u64 s[12:13], s[0:1], s[14:15]
	v_add_nc_u32_e32 v49, s21, v43
	v_lshlrev_b32_e32 v8, 5, v8
	v_subrev_nc_u32_e32 v14, s16, v2
	v_cmp_le_u32_e32 vcc_lo, s16, v2
	v_lshlrev_b32_e32 v1, 2, v16
	v_add_nc_u32_e32 v23, s10, v22
	v_lshlrev_b32_e32 v9, 5, v9
	v_add_nc_u32_e32 v52, s21, v49
	s_wait_alu 0xfffd
	v_cndmask_b32_e32 v10, v10, v12, vcc_lo
	v_cndmask_b32_e32 v2, v2, v14, vcc_lo
	v_and_b32_e32 v12, 0x3ffc, v4
	v_and_b32_e32 v24, 12, v1
	v_mad_u32_u24 v25, 0x84, v3, v1
	v_add_nc_u32_e32 v14, 1, v10
	v_cmp_le_u32_e32 vcc_lo, s16, v2
	v_lshlrev_b32_e32 v5, 2, v20
	v_add_nc_u32_e32 v26, s10, v23
	v_and_b32_e32 v3, 28, v1
	s_wait_alu 0xfffd
	v_dual_cndmask_b32 v2, v10, v14 :: v_dual_add_nc_u32 v59, v57, v1
	v_add3_u32 v6, v6, v5, 0x4200
	v_add3_u32 v11, v11, v5, 0x4200
	v_add3_u32 v13, v13, v5, 0x4200
	v_add3_u32 v5, v12, v5, 0x4200
	v_and_b32_e32 v12, 31, v0
	v_xor_b32_e32 v2, v2, v48
	v_add_nc_u32_e32 v1, 32, v16
	v_add_nc_u32_e32 v10, 64, v16
	;; [unrolled: 1-line block ×3, first 2 shown]
	v_lshl_or_b32 v58, v12, 2, v56
	v_sub_nc_u32_e32 v2, v2, v48
	v_add_nc_u32_e32 v12, 0x60, v16
	v_and_b32_e32 v10, 0x1fc, v10
	v_and_b32_e32 v14, 0x1fc, v1
	;; [unrolled: 1-line block ×3, first 2 shown]
	v_cmp_gt_i32_e64 s0, s4, v2
	s_wait_alu 0xfffe
	v_mul_lo_u32 v62, v2, s5
	v_lshlrev_b32_e32 v2, 5, v16
	v_and_b32_e32 v12, 0x1fc, v12
	v_add_co_u32 v0, s1, s2, v3
	v_lshlrev_b32_e32 v4, 5, v4
	s_delay_alu instid0(VALU_DEP_4) | instskip(NEXT) | instid1(VALU_DEP_4)
	v_add_nc_u32_e32 v10, v2, v10
	v_add_nc_u32_e32 v3, v2, v12
	;; [unrolled: 1-line block ×4, first 2 shown]
	v_mov_b32_e32 v48, 0
	v_add_nc_u32_e32 v28, s10, v27
	v_cmp_gt_u32_e32 vcc_lo, 4, v16
	v_add_nc_u32_e32 v29, 0x14a0, v25
	v_add_nc_u32_e32 v30, 0x18c0, v25
	;; [unrolled: 1-line block ×15, first 2 shown]
	v_mul_u32_u24_e32 v60, 0x84, v16
	v_lshrrev_b32_e32 v61, 3, v1
	v_add_co_ci_u32_e64 v1, null, s3, 0, s1
	v_add_nc_u32_e32 v44, s10, v41
	v_ashrrev_i32_e32 v63, 31, v62
	v_add_nc_u32_e32 v64, 0x4e00, v3
	v_add_nc_u32_e32 v65, 0x4a00, v10
	;; [unrolled: 1-line block ×5, first 2 shown]
	v_mad_u32_u24 v68, 0x84, v16, 64
	v_add_nc_u32_e32 v69, 0x4e10, v3
	v_add_nc_u32_e32 v70, 0x4a10, v10
	;; [unrolled: 1-line block ×10, first 2 shown]
	v_mov_b32_e32 v2, 0
	s_mov_b32 s15, 0
	v_add_nc_u32_e32 v50, s10, v47
	s_mov_b32 s14, s15
	s_delay_alu instid0(VALU_DEP_1) | instskip(NEXT) | instid1(VALU_DEP_1)
	v_add_nc_u32_e32 v51, s10, v50
	v_add_nc_u32_e32 v53, s10, v51
	s_and_b32 s10, vcc_lo, s0
	s_branch .LBB177_5
.LBB177_4:                              ;   in Loop: Header=BB177_5 Depth=1
	s_add_co_i32 s14, s14, 8
	s_wait_alu 0xfffe
	s_cmp_ge_i32 s14, s19
	s_cbranch_scc1 .LBB177_21
.LBB177_5:                              ; =>This Loop Header: Depth=1
                                        ;     Child Loop BB177_11 Depth 2
                                        ;     Child Loop BB177_19 Depth 2
	s_mul_u64 s[16:17], s[14:15], 18
	s_wait_alu 0xfffe
	s_add_nc_u64 s[16:17], s[12:13], s[16:17]
	s_wait_alu 0xfffe
	v_mad_co_u64_u32 v[3:4], null, v19, 18, s[16:17]
	s_delay_alu instid0(VALU_DEP_1) | instskip(SKIP_3) | instid1(VALU_DEP_4)
	v_mad_co_u64_u32 v[5:6], null, v18, 18, v[3:4]
	v_mad_co_u64_u32 v[7:8], null, v22, 18, v[3:4]
	;; [unrolled: 1-line block ×4, first 2 shown]
	v_add_co_u32 v5, s1, v5, v24
	v_mad_co_u64_u32 v[13:14], null, v27, 18, v[3:4]
	s_wait_alu 0xf1ff
	v_add_co_ci_u32_e64 v6, null, 0, v6, s1
	v_add_co_u32 v7, s1, v7, v24
	v_mad_co_u64_u32 v[77:78], null, v28, 18, v[3:4]
	s_wait_alu 0xf1ff
	v_add_co_ci_u32_e64 v8, null, 0, v8, s1
	;; [unrolled: 4-line block ×4, first 2 shown]
	v_add_co_u32 v13, s1, v13, v24
	s_wait_alu 0xf1ff
	v_add_co_ci_u32_e64 v14, null, 0, v14, s1
	v_add_co_u32 v77, s1, v77, v24
	s_wait_alu 0xf1ff
	v_add_co_ci_u32_e64 v78, null, 0, v78, s1
	v_add_co_u32 v79, s1, v79, v24
	s_wait_alu 0xf1ff
	v_add_co_ci_u32_e64 v80, null, 0, v80, s1
	v_add_co_u32 v81, s1, v81, v24
	v_mad_co_u64_u32 v[83:84], null, v41, 18, v[3:4]
	s_wait_alu 0xf1ff
	v_add_co_ci_u32_e64 v82, null, 0, v82, s1
	s_clause 0x7
	global_load_b32 v89, v[5:6], off offset:2
	global_load_b32 v90, v[7:8], off offset:2
	;; [unrolled: 1-line block ×8, first 2 shown]
	v_mad_co_u64_u32 v[5:6], null, v44, 18, v[3:4]
	v_mad_co_u64_u32 v[9:10], null, v45, 18, v[3:4]
	;; [unrolled: 1-line block ×4, first 2 shown]
	v_add_co_u32 v7, s1, v83, v24
	v_mad_co_u64_u32 v[13:14], null, v47, 18, v[3:4]
	s_wait_alu 0xf1ff
	v_add_co_ci_u32_e64 v8, null, 0, v84, s1
	v_add_co_u32 v5, s1, v5, v24
	v_mad_co_u64_u32 v[77:78], null, v50, 18, v[3:4]
	s_wait_alu 0xf1ff
	v_add_co_ci_u32_e64 v6, null, 0, v6, s1
	v_add_co_u32 v9, s1, v9, v24
	v_mad_co_u64_u32 v[81:82], null, v43, 18, v[79:80]
	v_mad_co_u64_u32 v[87:88], null, v51, 18, v[3:4]
	;; [unrolled: 1-line block ×3, first 2 shown]
	s_wait_alu 0xf1ff
	v_add_co_ci_u32_e64 v10, null, 0, v10, s1
	v_add_co_u32 v11, s1, v11, v24
	v_mad_co_u64_u32 v[85:86], null, v52, 18, v[79:80]
	v_mad_co_u64_u32 v[3:4], null, v53, 18, v[3:4]
	;; [unrolled: 1-line block ×3, first 2 shown]
	s_wait_alu 0xf1ff
	v_add_co_ci_u32_e64 v12, null, 0, v12, s1
	v_add_co_u32 v13, s1, v13, v24
	s_wait_alu 0xf1ff
	v_add_co_ci_u32_e64 v14, null, 0, v14, s1
	v_add_co_u32 v77, s1, v77, v24
	s_wait_alu 0xf1ff
	v_add_co_ci_u32_e64 v78, null, 0, v78, s1
	s_clause 0x3
	global_load_u16 v81, v[81:82], off
	global_load_u16 v82, v[83:84], off
	;; [unrolled: 1-line block ×4, first 2 shown]
	v_add_co_u32 v79, s1, v87, v24
	s_wait_alu 0xf1ff
	v_add_co_ci_u32_e64 v80, null, 0, v88, s1
	v_add_co_u32 v3, s1, v3, v24
	s_wait_alu 0xf1ff
	v_add_co_ci_u32_e64 v4, null, 0, v4, s1
	s_clause 0x7
	global_load_b32 v7, v[7:8], off offset:2
	global_load_b32 v5, v[5:6], off offset:2
	;; [unrolled: 1-line block ×8, first 2 shown]
	s_lshl_b32 s16, s14, 5
	v_add_nc_u32_e32 v4, 0x420, v25
	v_add_nc_u32_e32 v12, 0x840, v25
	;; [unrolled: 1-line block ×3, first 2 shown]
	s_wait_alu 0xfffe
	s_cmp_lt_i32 s16, s11
	v_add_nc_u32_e32 v14, 0x1080, v25
	s_wait_loadcnt 0xb
	v_cvt_f32_f16_e32 v77, v81
	s_wait_loadcnt 0xa
	v_cvt_f32_f16_e32 v78, v82
	;; [unrolled: 2-line block ×4, first 2 shown]
	ds_store_b32 v25, v89
	ds_store_b32 v4, v90
	;; [unrolled: 1-line block ×8, first 2 shown]
	s_wait_loadcnt 0x7
	ds_store_b32 v32, v7
	s_wait_loadcnt 0x6
	ds_store_b32 v34, v5
	;; [unrolled: 2-line block ×8, first 2 shown]
	ds_store_b32 v73, v77
	ds_store_b32 v74, v78
	;; [unrolled: 1-line block ×4, first 2 shown]
	s_cbranch_scc0 .LBB177_4
; %bb.6:                                ;   in Loop: Header=BB177_5 Depth=1
	v_add_nc_u32_e32 v3, s14, v21
	s_delay_alu instid0(VALU_DEP_1)
	v_cmp_gt_i32_e64 s1, s5, v3
	s_and_b32 s17, s0, s1
	s_wait_alu 0xfffe
	s_and_saveexec_b32 s1, s17
	s_cbranch_execz .LBB177_8
; %bb.7:                                ;   in Loop: Header=BB177_5 Depth=1
	v_add_nc_u32_e32 v3, v62, v3
	s_delay_alu instid0(VALU_DEP_1)
	v_mad_co_i64_i32 v[3:4], null, v3, 36, v[0:1]
	global_load_b32 v3, v[3:4], off offset:4
	s_wait_loadcnt 0x0
	ds_store_b32 v58, v3
.LBB177_8:                              ;   in Loop: Header=BB177_5 Depth=1
	s_wait_alu 0xfffe
	s_or_b32 exec_lo, exec_lo, s1
	v_add_nc_u32_e32 v77, s14, v16
	s_delay_alu instid0(VALU_DEP_1)
	v_cmp_gt_i32_e64 s1, s5, v77
	s_and_b32 s17, s10, s1
	s_wait_alu 0xfffe
	s_and_saveexec_b32 s1, s17
	s_cbranch_execz .LBB177_10
; %bb.9:                                ;   in Loop: Header=BB177_5 Depth=1
	v_add_nc_u32_e32 v3, v62, v77
	s_delay_alu instid0(VALU_DEP_1)
	v_mad_co_i64_i32 v[3:4], null, v3, 36, s[2:3]
	global_load_b32 v3, v[3:4], off
	s_wait_loadcnt 0x0
	ds_store_b32 v59, v3
.LBB177_10:                             ;   in Loop: Header=BB177_5 Depth=1
	s_wait_alu 0xfffe
	s_or_b32 exec_lo, exec_lo, s1
	v_dual_mov_b32 v78, v56 :: v_dual_mov_b32 v79, v57
	v_dual_mov_b32 v80, v67 :: v_dual_mov_b32 v81, v66
	;; [unrolled: 1-line block ×3, first 2 shown]
	v_mov_b32_e32 v84, v60
	s_mov_b32 s1, -4
	s_wait_dscnt 0x0
	s_barrier_signal -1
	s_barrier_wait -1
	global_inv scope:SCOPE_SE
.LBB177_11:                             ;   Parent Loop BB177_5 Depth=1
                                        ; =>  This Inner Loop Header: Depth=2
	v_add_nc_u32_e32 v86, 0x1080, v84
	v_add_nc_u32_e32 v87, 0x1088, v84
	;; [unrolled: 1-line block ×5, first 2 shown]
	ds_load_2addr_b32 v[3:4], v78 offset0:4 offset1:7
	ds_load_2addr_b32 v[11:12], v84 offset1:1
	ds_load_2addr_b32 v[5:6], v78 offset1:3
	ds_load_2addr_b32 v[9:10], v78 offset0:1 offset1:2
	ds_load_2addr_b32 v[7:8], v78 offset0:5 offset1:6
	;; [unrolled: 1-line block ×3, first 2 shown]
	v_add_nc_u32_e32 v90, 0x3180, v84
	ds_load_b32 v85, v83
	ds_load_2addr_b32 v[91:92], v86 offset1:1
	ds_load_2addr_b32 v[86:87], v87 offset1:1
	;; [unrolled: 1-line block ×6, first 2 shown]
	v_add_nc_u32_e32 v84, 16, v84
	v_add_nc_u32_e32 v83, 4, v83
	v_add_nc_u32_e32 v78, 32, v78
	s_wait_alu 0xfffe
	s_add_co_i32 s1, s1, 4
	s_wait_alu 0xfffe
	s_cmp_lt_u32 s1, 12
	s_wait_dscnt 0xc
	v_lshrrev_b16 v90, 8, v3
	v_ashrrev_i32_e32 v130, 24, v3
	v_bfe_i32 v131, v3, 16, 8
	v_bfe_i32 v3, v3, 0, 8
	s_wait_dscnt 0xb
	v_and_b32_e32 v100, 15, v11
	s_wait_dscnt 0xa
	v_lshrrev_b16 v127, 8, v5
	s_wait_dscnt 0x1
	v_bfe_u32 v200, v95, 4, 4
	v_ashrrev_i32_e32 v128, 24, v5
	v_bfe_i32 v129, v5, 16, 8
	v_bfe_i32 v5, v5, 0, 8
	v_and_b32_e32 v151, 15, v91
	v_and_b32_e32 v179, 15, v93
	v_mul_i32_i24_e32 v200, v200, v3
	v_and_b32_e32 v201, 15, v95
	v_mul_i32_i24_e32 v100, v5, v100
	v_mul_i32_i24_e32 v151, v5, v151
	v_bfe_u32 v102, v11, 16, 4
	v_bfe_u32 v153, v91, 16, 4
	v_mad_i32_i24 v200, v201, v5, v200
	v_mul_i32_i24_e32 v5, v5, v179
	v_bfe_u32 v179, v95, 20, 4
	v_bfe_u32 v181, v93, 16, 4
	;; [unrolled: 1-line block ×3, first 2 shown]
	v_mul_i32_i24_e32 v102, v129, v102
	v_mul_i32_i24_e32 v153, v129, v153
	;; [unrolled: 1-line block ×3, first 2 shown]
	v_bfe_u32 v101, v11, 8, 4
	v_bfe_u32 v103, v11, 24, 4
	;; [unrolled: 1-line block ×4, first 2 shown]
	v_mad_i32_i24 v179, v201, v129, v179
	v_mul_i32_i24_e32 v129, v129, v181
	v_lshrrev_b32_e32 v181, 28, v95
	v_bfe_u32 v180, v93, 8, 4
	v_bfe_u32 v182, v93, 24, 4
	v_bfe_i32 v127, v127, 0, 8
	v_bfe_u32 v201, v95, 24, 4
	v_mul_i32_i24_e32 v181, v181, v130
	v_bfe_u32 v104, v11, 4, 4
	v_bfe_u32 v105, v11, 12, 4
	;; [unrolled: 1-line block ×6, first 2 shown]
	v_mul_i32_i24_e32 v103, v128, v103
	v_mad_i32_i24 v100, v127, v101, v100
	v_mad_i32_i24 v151, v127, v152, v151
	v_mul_i32_i24_e32 v154, v128, v154
	v_mad_i32_i24 v181, v201, v128, v181
	v_mul_i32_i24_e32 v128, v128, v182
	v_mad_i32_i24 v5, v127, v180, v5
	v_bfe_i32 v90, v90, 0, 8
	v_bfe_u32 v99, v11, 20, 4
	v_lshrrev_b32_e32 v11, 28, v11
	v_bfe_u32 v150, v91, 20, 4
	v_lshrrev_b32_e32 v91, 28, v91
	;; [unrolled: 2-line block ×3, first 2 shown]
	v_add3_u32 v100, v100, v102, v103
	v_add3_u32 v151, v151, v153, v154
	v_mul_i32_i24_e32 v104, v3, v104
	v_add3_u32 v5, v5, v129, v128
	v_mul_i32_i24_e32 v105, v90, v105
	v_mul_i32_i24_e32 v155, v3, v155
	;; [unrolled: 1-line block ×5, first 2 shown]
	v_and_b32_e32 v107, 15, v12
	v_bfe_u32 v108, v12, 8, 4
	v_ashrrev_i32_e32 v132, 24, v9
	v_bfe_i32 v133, v9, 16, 8
	v_bfe_i32 v134, v9, 8, 8
	;; [unrolled: 1-line block ×3, first 2 shown]
	v_and_b32_e32 v158, 15, v92
	v_bfe_u32 v159, v92, 8, 4
	v_and_b32_e32 v186, 15, v94
	v_bfe_u32 v187, v94, 8, 4
	v_add3_u32 v100, v100, v105, v104
	v_mul_i32_i24_e32 v99, v131, v99
	v_mul_i32_i24_e32 v150, v131, v150
	;; [unrolled: 1-line block ×6, first 2 shown]
	v_add3_u32 v151, v151, v156, v155
	v_add3_u32 v3, v5, v184, v3
	v_bfe_u32 v109, v12, 16, 4
	v_bfe_u32 v110, v12, 24, 4
	;; [unrolled: 1-line block ×7, first 2 shown]
	v_mul_i32_i24_e32 v107, v9, v107
	v_mul_i32_i24_e32 v130, v9, v158
	;; [unrolled: 1-line block ×6, first 2 shown]
	v_add3_u32 v11, v100, v99, v11
	v_add3_u32 v91, v151, v150, v91
	;; [unrolled: 1-line block ×3, first 2 shown]
	v_bfe_u32 v111, v12, 4, 4
	v_bfe_u32 v112, v12, 12, 4
	v_ashrrev_i32_e32 v135, 24, v7
	v_bfe_i32 v136, v7, 16, 8
	v_bfe_i32 v137, v7, 8, 8
	;; [unrolled: 1-line block ×3, first 2 shown]
	v_bfe_u32 v162, v92, 4, 4
	v_bfe_u32 v163, v92, 12, 4
	;; [unrolled: 1-line block ×5, first 2 shown]
	v_mul_i32_i24_e32 v109, v133, v109
	v_mul_i32_i24_e32 v160, v133, v160
	;; [unrolled: 1-line block ×7, first 2 shown]
	v_add3_u32 v11, v11, v108, v107
	v_add3_u32 v91, v91, v159, v130
	v_add3_u32 v3, v3, v187, v158
	v_bfe_u32 v106, v12, 20, 4
	v_lshrrev_b32_e32 v12, 28, v12
	v_bfe_u32 v157, v92, 20, 4
	v_lshrrev_b32_e32 v92, 28, v92
	v_bfe_u32 v185, v94, 20, 4
	v_lshrrev_b32_e32 v94, 28, v94
	v_and_b32_e32 v129, 0xf0f0f0f, v96
	v_lshrrev_b32_e32 v104, 4, v96
	v_lshrrev_b32_e32 v105, 28, v96
	v_and_b32_e32 v201, 15, v96
	v_bfe_u32 v202, v96, 20, 4
	v_bfe_u32 v96, v96, 4, 4
	v_mul_i32_i24_e32 v128, v132, v128
	v_mul_i32_i24_e32 v111, v7, v111
	;; [unrolled: 1-line block ×7, first 2 shown]
	v_add3_u32 v11, v11, v109, v110
	v_add3_u32 v91, v91, v160, v161
	;; [unrolled: 1-line block ×3, first 2 shown]
	v_and_b32_e32 v114, 15, v13
	v_bfe_u32 v115, v13, 8, 4
	v_ashrrev_i32_e32 v138, 24, v10
	v_bfe_i32 v139, v10, 16, 8
	v_bfe_i32 v140, v10, 8, 8
	;; [unrolled: 1-line block ×3, first 2 shown]
	v_and_b32_e32 v165, 15, v86
	v_bfe_u32 v166, v86, 8, 4
	v_and_b32_e32 v193, 15, v88
	v_bfe_u32 v194, v88, 8, 4
	v_and_b32_e32 v182, 0xf0f0f0f, v95
	v_lshrrev_b32_e32 v95, 4, v95
	v_mul_i32_i24_e32 v9, v9, v201
	v_mul_i32_i24_e32 v7, v7, v96
	;; [unrolled: 1-line block ×8, first 2 shown]
	v_add3_u32 v11, v11, v111, v112
	v_add3_u32 v91, v91, v132, v163
	;; [unrolled: 1-line block ×3, first 2 shown]
	v_bfe_u32 v116, v13, 16, 4
	v_bfe_u32 v117, v13, 24, 4
	;; [unrolled: 1-line block ×6, first 2 shown]
	v_mul_i32_i24_e32 v105, v135, v105
	v_mul_i32_i24_e32 v114, v10, v114
	;; [unrolled: 1-line block ×5, first 2 shown]
	v_lshrrev_b16 v95, 8, v95
	v_mul_i32_i24_e32 v166, v140, v166
	v_mul_i32_i24_e32 v194, v140, v194
	v_add3_u32 v7, v200, v9, v7
	v_add3_u32 v9, v11, v96, v12
	;; [unrolled: 1-line block ×4, first 2 shown]
	v_bfe_u32 v118, v13, 4, 4
	v_bfe_u32 v119, v13, 12, 4
	v_ashrrev_i32_e32 v141, 24, v8
	v_bfe_i32 v142, v8, 16, 8
	v_bfe_i32 v143, v8, 8, 8
	;; [unrolled: 1-line block ×3, first 2 shown]
	v_bfe_u32 v169, v86, 4, 4
	v_bfe_u32 v170, v86, 12, 4
	;; [unrolled: 1-line block ×4, first 2 shown]
	s_wait_dscnt 0x0
	v_bfe_u32 v203, v97, 24, 4
	v_and_b32_e32 v204, 0xf0f0f0f, v97
	v_lshrrev_b32_e32 v205, 4, v97
	v_lshrrev_b32_e32 v206, 28, v97
	v_bfe_u32 v207, v97, 16, 4
	v_and_b32_e32 v208, 15, v97
	v_bfe_u32 v209, v97, 20, 4
	v_bfe_u32 v97, v97, 4, 4
	v_mul_i32_i24_e32 v116, v139, v116
	v_mul_i32_i24_e32 v167, v139, v167
	;; [unrolled: 1-line block ×6, first 2 shown]
	v_lshrrev_b16 v182, 8, v182
	v_lshrrev_b16 v129, 8, v129
	;; [unrolled: 1-line block ×3, first 2 shown]
	v_and_b32_e32 v95, 15, v95
	v_add3_u32 v9, v9, v115, v114
	v_add3_u32 v11, v11, v166, v135
	;; [unrolled: 1-line block ×3, first 2 shown]
	v_bfe_u32 v113, v13, 20, 4
	v_lshrrev_b32_e32 v13, 28, v13
	v_bfe_i32 v148, v4, 16, 8
	v_bfe_u32 v164, v86, 20, 4
	v_lshrrev_b32_e32 v86, 28, v86
	v_bfe_u32 v192, v88, 20, 4
	v_lshrrev_b32_e32 v88, 28, v88
	v_bfe_u32 v199, v89, 20, 4
	v_and_b32_e32 v211, 0xf0f0f0f, v98
	v_lshrrev_b32_e32 v212, 4, v98
	v_mul_i32_i24_e32 v10, v10, v208
	v_mul_i32_i24_e32 v118, v8, v118
	;; [unrolled: 1-line block ×6, first 2 shown]
	v_lshrrev_b16 v195, 8, v204
	v_lshrrev_b16 v196, 8, v205
	v_mul_i32_i24_e32 v170, v143, v170
	v_mul_i32_i24_e32 v197, v143, v198
	v_and_b32_e32 v182, 0xffff, v182
	v_and_b32_e32 v104, 15, v104
	;; [unrolled: 1-line block ×4, first 2 shown]
	v_add3_u32 v9, v9, v116, v117
	v_add3_u32 v11, v11, v167, v168
	;; [unrolled: 1-line block ×3, first 2 shown]
	v_and_b32_e32 v121, 15, v14
	v_bfe_u32 v122, v14, 8, 4
	v_ashrrev_i32_e32 v144, 24, v6
	v_bfe_i32 v145, v6, 16, 8
	v_bfe_i32 v146, v6, 8, 8
	;; [unrolled: 1-line block ×3, first 2 shown]
	v_and_b32_e32 v172, 15, v87
	v_bfe_u32 v173, v87, 8, 4
	v_and_b32_e32 v101, 15, v89
	v_bfe_u32 v102, v89, 8, 4
	v_mul_i32_i24_e32 v97, v142, v113
	v_mul_i32_i24_e32 v113, v142, v164
	v_mul_i32_i24_e32 v164, v142, v192
	v_mul_i32_i24_e32 v13, v141, v13
	v_mul_i32_i24_e32 v86, v141, v86
	v_mul_i32_i24_e32 v88, v141, v88
	ds_load_b32 v188, v79
	ds_load_b32 v189, v80
	ds_load_b32 v192, v82
	v_mul_i32_i24_e32 v190, v148, v199
	v_lshrrev_b16 v198, 8, v211
	v_lshrrev_b16 v199, 8, v212
	v_and_b32_e32 v196, 15, v196
	v_and_b32_e32 v195, 0xffff, v195
	v_mul_i32_i24_e32 v127, v182, v127
	v_mul_i32_i24_e32 v95, v134, v129
	v_and_b32_e32 v93, 0xffff, v104
	v_mul_i32_i24_e32 v5, v5, v90
	v_add3_u32 v7, v7, v10, v8
	v_add3_u32 v8, v9, v118, v119
	v_add3_u32 v9, v11, v169, v170
	v_add3_u32 v3, v3, v186, v197
	v_bfe_u32 v120, v14, 20, 4
	v_bfe_u32 v123, v14, 16, 4
	v_bfe_u32 v124, v14, 24, 4
	v_bfe_u32 v125, v14, 4, 4
	v_bfe_u32 v126, v14, 12, 4
	v_lshrrev_b32_e32 v14, 28, v14
	v_ashrrev_i32_e32 v147, 24, v4
	v_bfe_u32 v171, v87, 20, 4
	v_bfe_u32 v174, v87, 16, 4
	;; [unrolled: 1-line block ×5, first 2 shown]
	v_lshrrev_b32_e32 v87, 28, v87
	v_bfe_u32 v103, v89, 16, 4
	v_bfe_u32 v152, v89, 24, 4
	v_bfe_u32 v153, v89, 4, 4
	v_bfe_u32 v154, v89, 12, 4
	v_lshrrev_b32_e32 v89, 28, v89
	v_bfe_u32 v210, v98, 24, 4
	v_lshrrev_b32_e32 v213, 28, v98
	v_mul_i32_i24_e32 v136, v136, v202
	v_mul_i32_i24_e32 v138, v138, v203
	;; [unrolled: 1-line block ×9, first 2 shown]
	v_and_b32_e32 v199, 15, v199
	v_and_b32_e32 v198, 0xffff, v198
	v_mul_i32_i24_e32 v99, v140, v195
	v_and_b32_e32 v100, 0xffff, v196
	v_add3_u32 v105, v181, v128, v105
	v_mul_i32_i24_e32 v12, v137, v93
	v_add3_u32 v5, v127, v5, v95
	v_add3_u32 v8, v8, v97, v13
	;; [unrolled: 1-line block ×4, first 2 shown]
	v_bfe_i32 v149, v4, 8, 8
	v_bfe_i32 v4, v4, 0, 8
	v_bfe_u32 v214, v98, 16, 4
	v_and_b32_e32 v215, 15, v98
	v_bfe_u32 v216, v98, 20, 4
	v_bfe_u32 v98, v98, 4, 4
	v_mul_i32_i24_e32 v139, v139, v207
	v_mul_i32_i24_e32 v142, v142, v209
	;; [unrolled: 1-line block ×14, first 2 shown]
	v_and_b32_e32 v107, 0xffff, v199
	v_add3_u32 v108, v179, v133, v136
	v_mul_i32_i24_e32 v90, v143, v100
	v_add3_u32 v92, v105, v138, v141
	v_add3_u32 v5, v5, v12, v99
	v_add3_u32 v8, v8, v122, v121
	v_add3_u32 v9, v9, v173, v172
	v_add3_u32 v3, v3, v102, v101
	v_mul_i32_i24_e32 v6, v6, v215
	v_mul_i32_i24_e32 v145, v145, v214
	;; [unrolled: 1-line block ×13, first 2 shown]
	v_add3_u32 v10, v108, v139, v142
	v_add3_u32 v11, v92, v144, v147
	;; [unrolled: 1-line block ×6, first 2 shown]
	ds_load_b32 v98, v81
	s_wait_dscnt 0x3
	v_lshrrev_b32_e32 v193, 16, v188
	v_add3_u32 v10, v10, v145, v148
	v_add3_u32 v4, v7, v6, v4
	;; [unrolled: 1-line block ×6, first 2 shown]
	v_cvt_f32_f16_e64 v8, v193
	v_add3_u32 v4, v4, v10, v5
	v_add3_u32 v5, v6, v120, v14
	;; [unrolled: 1-line block ×4, first 2 shown]
	v_mul_f32_e32 v7, 0xc1000000, v8
	v_cvt_f32_i32_e32 v4, v4
	v_cvt_f32_i32_e32 v5, v5
	;; [unrolled: 1-line block ×4, first 2 shown]
	v_add_nc_u32_e32 v82, 4, v82
	v_fma_mix_f32 v4, v188, v4, v7 op_sel_hi:[1,0,0]
	v_fma_mix_f32 v5, v188, v5, v7 op_sel_hi:[1,0,0]
	;; [unrolled: 1-line block ×4, first 2 shown]
	v_add_nc_u32_e32 v81, 4, v81
	v_add_nc_u32_e32 v80, 4, v80
	v_dual_fmac_f32 v2, v85, v4 :: v_dual_add_nc_u32 v79, 4, v79
	s_wait_dscnt 0x2
	v_fmac_f32_e32 v17, v189, v5
	s_wait_dscnt 0x0
	v_dual_fmac_f32 v55, v98, v6 :: v_dual_fmac_f32 v48, v192, v3
	s_cbranch_scc1 .LBB177_11
; %bb.12:                               ;   in Loop: Header=BB177_5 Depth=1
	s_bitset1_b32 s16, 7
	s_wait_loadcnt 0x0
	s_wait_alu 0xfffe
	s_cmp_ge_i32 s16, s11
	s_barrier_signal -1
	s_barrier_wait -1
	global_inv scope:SCOPE_SE
	s_cbranch_scc1 .LBB177_4
; %bb.13:                               ;   in Loop: Header=BB177_5 Depth=1
	v_add_nc_u32_e32 v3, s14, v61
	s_delay_alu instid0(VALU_DEP_1)
	v_cmp_gt_i32_e64 s1, s5, v3
	s_and_b32 s16, s0, s1
	s_wait_alu 0xfffe
	s_and_saveexec_b32 s1, s16
	s_cbranch_execz .LBB177_15
; %bb.14:                               ;   in Loop: Header=BB177_5 Depth=1
	v_add_nc_u32_e32 v3, v62, v3
	s_delay_alu instid0(VALU_DEP_1)
	v_mad_co_i64_i32 v[3:4], null, v3, 36, v[0:1]
	global_load_b32 v3, v[3:4], off offset:4
	s_wait_loadcnt 0x0
	ds_store_b32 v58, v3
.LBB177_15:                             ;   in Loop: Header=BB177_5 Depth=1
	s_wait_alu 0xfffe
	s_or_b32 exec_lo, exec_lo, s1
	s_and_saveexec_b32 s16, vcc_lo
	s_cbranch_execz .LBB177_18
; %bb.16:                               ;   in Loop: Header=BB177_5 Depth=1
	v_or_b32_e32 v3, 4, v77
	s_delay_alu instid0(VALU_DEP_1)
	v_cmp_gt_i32_e64 s1, s5, v3
	s_and_b32 s1, s0, s1
	s_wait_alu 0xfffe
	s_and_b32 exec_lo, exec_lo, s1
	s_cbranch_execz .LBB177_18
; %bb.17:                               ;   in Loop: Header=BB177_5 Depth=1
	v_ashrrev_i32_e32 v3, 31, v77
	v_add_co_u32 v4, s1, v62, v77
	s_wait_alu 0xf1ff
	s_delay_alu instid0(VALU_DEP_2) | instskip(NEXT) | instid1(VALU_DEP_2)
	v_add_co_ci_u32_e64 v5, null, v63, v3, s1
	v_mad_co_u64_u32 v[3:4], null, v4, 36, s[2:3]
	s_delay_alu instid0(VALU_DEP_1)
	v_mad_i32_i24 v4, v5, 36, v4
	global_load_b32 v3, v[3:4], off offset:144
	s_wait_loadcnt 0x0
	ds_store_b32 v59, v3
.LBB177_18:                             ;   in Loop: Header=BB177_5 Depth=1
	s_wait_alu 0xfffe
	s_or_b32 exec_lo, exec_lo, s16
	v_dual_mov_b32 v3, v57 :: v_dual_mov_b32 v4, v56
	v_dual_mov_b32 v5, v72 :: v_dual_mov_b32 v6, v71
	;; [unrolled: 1-line block ×3, first 2 shown]
	v_mov_b32_e32 v9, v68
	s_mov_b32 s1, 12
	s_wait_loadcnt_dscnt 0x0
	s_barrier_signal -1
	s_barrier_wait -1
	global_inv scope:SCOPE_SE
.LBB177_19:                             ;   Parent Loop BB177_5 Depth=1
                                        ; =>  This Inner Loop Header: Depth=2
	ds_load_2addr_b32 v[77:78], v4 offset1:3
	ds_load_2addr_b32 v[79:80], v4 offset0:4 offset1:7
	ds_load_2addr_b32 v[81:82], v4 offset0:1 offset1:2
	ds_load_b32 v10, v3
	ds_load_2addr_b32 v[83:84], v9 offset1:1
	ds_load_2addr_b32 v[85:86], v9 offset0:2 offset1:3
	ds_load_2addr_b32 v[87:88], v4 offset0:5 offset1:6
	ds_load_b32 v11, v5
	ds_load_b32 v12, v6
	;; [unrolled: 1-line block ×4, first 2 shown]
	v_add_nc_u32_e32 v89, 0x1080, v9
	v_add_nc_u32_e32 v91, 0x1088, v9
	v_add_nc_u32_e32 v93, 0x2100, v9
	v_add_nc_u32_e32 v95, 0x2108, v9
	v_add_nc_u32_e32 v97, 0x3180, v9
	v_add_nc_u32_e32 v99, 0x3188, v9
	ds_load_2addr_b32 v[89:90], v89 offset1:1
	ds_load_2addr_b32 v[91:92], v91 offset1:1
	;; [unrolled: 1-line block ×6, first 2 shown]
	v_add_nc_u32_e32 v9, 16, v9
	v_add_nc_u32_e32 v5, 4, v5
	;; [unrolled: 1-line block ×4, first 2 shown]
	s_wait_alu 0xfffe
	s_add_co_i32 s1, s1, 4
	s_wait_alu 0xfffe
	s_cmp_lt_u32 s1, 28
	s_wait_dscnt 0x10
	v_lshrrev_b16 v131, 8, v77
	v_ashrrev_i32_e32 v132, 24, v77
	v_bfe_i32 v133, v77, 16, 8
	s_wait_dscnt 0xc
	v_and_b32_e32 v104, 15, v83
	v_bfe_i32 v77, v77, 0, 8
	v_bfe_u32 v105, v83, 8, 4
	v_bfe_u32 v106, v83, 16, 4
	v_bfe_u32 v107, v83, 24, 4
	s_wait_dscnt 0x5
	v_and_b32_e32 v155, 15, v89
	v_bfe_u32 v157, v89, 16, 4
	v_bfe_u32 v158, v89, 24, 4
	s_wait_dscnt 0x3
	v_and_b32_e32 v183, 15, v93
	v_bfe_i32 v131, v131, 0, 8
	v_mul_i32_i24_e32 v104, v77, v104
	v_lshrrev_b16 v101, 8, v79
	v_bfe_u32 v108, v83, 4, 4
	v_ashrrev_i32_e32 v134, 24, v79
	v_bfe_i32 v135, v79, 16, 8
	v_bfe_i32 v79, v79, 0, 8
	v_bfe_u32 v156, v89, 8, 4
	v_bfe_u32 v159, v89, 4, 4
	;; [unrolled: 1-line block ×6, first 2 shown]
	s_wait_dscnt 0x1
	v_bfe_u32 v210, v97, 24, 4
	v_and_b32_e32 v211, 0xf0f0f0f, v97
	v_lshrrev_b32_e32 v212, 4, v97
	v_lshrrev_b32_e32 v213, 28, v97
	v_mul_i32_i24_e32 v106, v133, v106
	v_mul_i32_i24_e32 v107, v132, v107
	v_bfe_u32 v214, v97, 16, 4
	v_and_b32_e32 v215, 15, v97
	v_bfe_u32 v216, v97, 20, 4
	v_bfe_u32 v97, v97, 4, 4
	v_mad_i32_i24 v104, v131, v105, v104
	v_mul_i32_i24_e32 v105, v77, v155
	v_mul_i32_i24_e32 v155, v133, v157
	;; [unrolled: 1-line block ×4, first 2 shown]
	v_bfe_u32 v109, v83, 12, 4
	v_bfe_u32 v160, v89, 12, 4
	;; [unrolled: 1-line block ×3, first 2 shown]
	v_bfe_i32 v101, v101, 0, 8
	v_mul_i32_i24_e32 v108, v79, v108
	v_mul_i32_i24_e32 v183, v133, v185
	;; [unrolled: 1-line block ×7, first 2 shown]
	v_add3_u32 v104, v104, v106, v107
	v_mad_i32_i24 v105, v131, v156, v105
	v_mad_i32_i24 v106, v131, v184, v158
	v_bfe_u32 v103, v83, 20, 4
	v_lshrrev_b32_e32 v83, 28, v83
	v_bfe_u32 v154, v89, 20, 4
	v_lshrrev_b32_e32 v89, 28, v89
	;; [unrolled: 2-line block ×3, first 2 shown]
	v_mul_i32_i24_e32 v109, v101, v109
	v_mul_i32_i24_e32 v160, v101, v160
	;; [unrolled: 1-line block ×3, first 2 shown]
	v_mad_i32_i24 v77, v215, v77, v79
	v_mad_i32_i24 v79, v214, v133, v97
	v_add3_u32 v97, v105, v155, v157
	v_add3_u32 v105, v106, v183, v185
	v_and_b32_e32 v111, 15, v84
	v_bfe_u32 v112, v84, 8, 4
	v_ashrrev_i32_e32 v136, 24, v81
	v_bfe_i32 v137, v81, 16, 8
	v_bfe_i32 v138, v81, 8, 8
	;; [unrolled: 1-line block ×3, first 2 shown]
	v_and_b32_e32 v162, 15, v90
	v_bfe_u32 v163, v90, 8, 4
	v_and_b32_e32 v190, 15, v94
	v_bfe_u32 v191, v94, 8, 4
	v_mul_i32_i24_e32 v103, v135, v103
	v_mul_i32_i24_e32 v83, v134, v83
	;; [unrolled: 1-line block ×6, first 2 shown]
	v_add3_u32 v104, v104, v109, v108
	v_add3_u32 v97, v97, v160, v159
	;; [unrolled: 1-line block ×3, first 2 shown]
	v_bfe_u32 v113, v84, 16, 4
	v_bfe_u32 v114, v84, 24, 4
	;; [unrolled: 1-line block ×6, first 2 shown]
	v_mul_i32_i24_e32 v111, v81, v111
	v_mul_i32_i24_e32 v112, v138, v112
	v_mul_i32_i24_e32 v162, v81, v162
	v_mul_i32_i24_e32 v163, v138, v163
	v_mul_i32_i24_e32 v190, v81, v190
	v_mul_i32_i24_e32 v191, v138, v191
	v_add3_u32 v83, v104, v103, v83
	v_add3_u32 v89, v97, v154, v89
	;; [unrolled: 1-line block ×3, first 2 shown]
	v_bfe_u32 v115, v84, 4, 4
	v_bfe_u32 v116, v84, 12, 4
	v_ashrrev_i32_e32 v139, 24, v87
	v_bfe_i32 v140, v87, 16, 8
	v_bfe_i32 v141, v87, 8, 8
	;; [unrolled: 1-line block ×3, first 2 shown]
	v_bfe_u32 v166, v90, 4, 4
	v_bfe_u32 v167, v90, 12, 4
	;; [unrolled: 1-line block ×4, first 2 shown]
	v_mul_i32_i24_e32 v113, v137, v113
	v_mul_i32_i24_e32 v114, v136, v114
	;; [unrolled: 1-line block ×6, first 2 shown]
	v_add3_u32 v83, v83, v112, v111
	v_add3_u32 v89, v89, v163, v162
	;; [unrolled: 1-line block ×3, first 2 shown]
	v_bfe_u32 v110, v84, 20, 4
	v_lshrrev_b32_e32 v84, 28, v84
	v_bfe_u32 v161, v90, 20, 4
	v_lshrrev_b32_e32 v90, 28, v90
	;; [unrolled: 2-line block ×3, first 2 shown]
	v_bfe_u32 v217, v98, 24, 4
	v_and_b32_e32 v218, 0xf0f0f0f, v98
	v_lshrrev_b32_e32 v219, 4, v98
	v_lshrrev_b32_e32 v220, 28, v98
	v_bfe_u32 v221, v98, 16, 4
	v_and_b32_e32 v222, 15, v98
	v_mul_i32_i24_e32 v115, v87, v115
	v_mul_i32_i24_e32 v116, v141, v116
	v_bfe_u32 v223, v98, 20, 4
	v_bfe_u32 v98, v98, 4, 4
	v_mul_i32_i24_e32 v166, v87, v166
	v_mul_i32_i24_e32 v167, v141, v167
	;; [unrolled: 1-line block ×4, first 2 shown]
	v_add3_u32 v83, v83, v113, v114
	v_add3_u32 v89, v89, v164, v165
	;; [unrolled: 1-line block ×3, first 2 shown]
	v_and_b32_e32 v118, 15, v85
	v_bfe_u32 v119, v85, 8, 4
	v_ashrrev_i32_e32 v142, 24, v82
	v_bfe_i32 v143, v82, 16, 8
	v_bfe_i32 v144, v82, 8, 8
	;; [unrolled: 1-line block ×3, first 2 shown]
	v_and_b32_e32 v169, 15, v91
	v_bfe_u32 v170, v91, 8, 4
	v_and_b32_e32 v197, 15, v95
	v_bfe_u32 v198, v95, 8, 4
	v_mul_i32_i24_e32 v110, v140, v110
	v_mul_i32_i24_e32 v84, v139, v84
	;; [unrolled: 1-line block ×8, first 2 shown]
	v_add3_u32 v83, v83, v115, v116
	v_add3_u32 v89, v89, v166, v167
	;; [unrolled: 1-line block ×3, first 2 shown]
	v_bfe_u32 v120, v85, 16, 4
	v_bfe_u32 v121, v85, 24, 4
	v_bfe_u32 v124, v86, 20, 4
	v_bfe_u32 v129, v86, 4, 4
	v_ashrrev_i32_e32 v151, 24, v80
	v_bfe_i32 v152, v80, 16, 8
	v_bfe_i32 v153, v80, 8, 8
	;; [unrolled: 1-line block ×3, first 2 shown]
	v_bfe_u32 v171, v91, 16, 4
	v_bfe_u32 v172, v91, 24, 4
	v_bfe_u32 v175, v92, 20, 4
	v_bfe_u32 v180, v92, 4, 4
	v_bfe_u32 v199, v95, 16, 4
	v_bfe_u32 v200, v95, 24, 4
	v_bfe_u32 v203, v96, 20, 4
	v_bfe_u32 v208, v96, 4, 4
	v_mul_i32_i24_e32 v118, v82, v118
	v_mul_i32_i24_e32 v119, v144, v119
	s_wait_dscnt 0x0
	v_bfe_u32 v231, v100, 24, 4
	v_and_b32_e32 v232, 0xf0f0f0f, v100
	v_lshrrev_b32_e32 v233, 4, v100
	v_lshrrev_b32_e32 v234, 28, v100
	v_bfe_u32 v235, v100, 16, 4
	v_and_b32_e32 v236, 15, v100
	v_bfe_u32 v237, v100, 20, 4
	v_bfe_u32 v100, v100, 4, 4
	v_lshrrev_b16 v212, 8, v212
	v_mul_i32_i24_e32 v169, v82, v169
	v_mul_i32_i24_e32 v170, v144, v170
	;; [unrolled: 1-line block ×4, first 2 shown]
	v_add3_u32 v77, v77, v81, v87
	v_add3_u32 v81, v83, v110, v84
	;; [unrolled: 1-line block ×4, first 2 shown]
	v_bfe_u32 v122, v85, 4, 4
	v_bfe_u32 v123, v85, 12, 4
	v_ashrrev_i32_e32 v145, 24, v88
	v_bfe_i32 v146, v88, 16, 8
	v_bfe_i32 v147, v88, 8, 8
	;; [unrolled: 1-line block ×3, first 2 shown]
	v_bfe_u32 v173, v91, 4, 4
	v_bfe_u32 v174, v91, 12, 4
	;; [unrolled: 1-line block ×5, first 2 shown]
	v_and_b32_e32 v225, 0xf0f0f0f, v99
	v_lshrrev_b32_e32 v226, 4, v99
	v_lshrrev_b32_e32 v227, 28, v99
	v_mul_i32_i24_e32 v120, v143, v120
	v_mul_i32_i24_e32 v121, v142, v121
	v_bfe_u32 v228, v99, 16, 4
	v_and_b32_e32 v229, 15, v99
	v_bfe_u32 v230, v99, 20, 4
	v_bfe_u32 v99, v99, 4, 4
	v_mul_i32_i24_e32 v129, v80, v129
	v_mul_i32_i24_e32 v124, v152, v124
	v_lshrrev_b16 v211, 8, v211
	v_lshrrev_b16 v135, 8, v218
	;; [unrolled: 1-line block ×3, first 2 shown]
	v_mul_i32_i24_e32 v171, v143, v171
	v_mul_i32_i24_e32 v172, v142, v172
	;; [unrolled: 1-line block ×10, first 2 shown]
	v_and_b32_e32 v152, 15, v212
	v_add3_u32 v81, v81, v119, v118
	v_add3_u32 v83, v83, v170, v169
	;; [unrolled: 1-line block ×3, first 2 shown]
	v_bfe_u32 v117, v85, 20, 4
	v_lshrrev_b32_e32 v85, 28, v85
	v_bfe_u32 v168, v91, 20, 4
	v_lshrrev_b32_e32 v91, 28, v91
	;; [unrolled: 2-line block ×3, first 2 shown]
	v_mul_i32_i24_e32 v122, v88, v122
	v_mul_i32_i24_e32 v123, v147, v123
	;; [unrolled: 1-line block ×4, first 2 shown]
	v_lshrrev_b16 v140, 8, v225
	v_lshrrev_b16 v213, 8, v226
	v_mul_i32_i24_e32 v82, v82, v229
	v_mul_i32_i24_e32 v173, v88, v173
	;; [unrolled: 1-line block ×6, first 2 shown]
	v_and_b32_e32 v107, 0xffff, v211
	v_and_b32_e32 v156, 15, v188
	;; [unrolled: 1-line block ×4, first 2 shown]
	v_add3_u32 v81, v81, v120, v121
	v_add3_u32 v83, v83, v171, v172
	;; [unrolled: 1-line block ×3, first 2 shown]
	v_and_b32_e32 v125, 15, v86
	v_bfe_u32 v126, v86, 8, 4
	v_ashrrev_i32_e32 v148, 24, v78
	v_bfe_i32 v149, v78, 16, 8
	v_bfe_i32 v150, v78, 8, 8
	;; [unrolled: 1-line block ×3, first 2 shown]
	v_and_b32_e32 v176, 15, v92
	v_bfe_u32 v177, v92, 8, 4
	v_and_b32_e32 v204, 15, v96
	v_bfe_u32 v205, v96, 8, 4
	v_mul_i32_i24_e32 v117, v146, v117
	v_mul_i32_i24_e32 v85, v145, v85
	;; [unrolled: 1-line block ×9, first 2 shown]
	v_lshrrev_b16 v146, 8, v232
	v_lshrrev_b16 v216, 8, v233
	v_and_b32_e32 v158, 15, v213
	v_and_b32_e32 v140, 0xffff, v140
	v_mad_i32_i24 v106, v210, v132, v134
	v_mul_i32_i24_e32 v107, v107, v131
	v_mul_i32_i24_e32 v109, v138, v135
	v_and_b32_e32 v97, 0xffff, v156
	v_mul_i32_i24_e32 v87, v108, v101
	v_add3_u32 v77, v77, v82, v88
	v_add3_u32 v81, v81, v122, v123
	;; [unrolled: 1-line block ×4, first 2 shown]
	v_bfe_u32 v127, v86, 16, 4
	v_bfe_u32 v128, v86, 24, 4
	v_bfe_u32 v130, v86, 12, 4
	v_lshrrev_b32_e32 v86, 28, v86
	v_bfe_u32 v178, v92, 16, 4
	v_bfe_u32 v179, v92, 24, 4
	v_bfe_u32 v181, v92, 12, 4
	v_lshrrev_b32_e32 v92, 28, v92
	;; [unrolled: 4-line block ×3, first 2 shown]
	v_mul_i32_i24_e32 v125, v78, v125
	v_mul_i32_i24_e32 v126, v150, v126
	;; [unrolled: 1-line block ×9, first 2 shown]
	v_and_b32_e32 v184, 15, v216
	v_and_b32_e32 v146, 0xffff, v146
	v_mul_i32_i24_e32 v103, v144, v140
	v_and_b32_e32 v104, 0xffff, v158
	v_add3_u32 v106, v106, v136, v139
	v_mul_i32_i24_e32 v89, v141, v97
	v_add3_u32 v84, v107, v87, v109
	v_add3_u32 v81, v81, v117, v85
	;; [unrolled: 1-line block ×4, first 2 shown]
	v_mul_i32_i24_e32 v127, v149, v127
	v_mul_i32_i24_e32 v128, v148, v128
	;; [unrolled: 1-line block ×13, first 2 shown]
	v_and_b32_e32 v111, 0xffff, v184
	v_add3_u32 v79, v79, v137, v98
	v_mul_i32_i24_e32 v90, v147, v104
	v_add3_u32 v94, v106, v142, v145
	v_add3_u32 v84, v84, v89, v103
	;; [unrolled: 1-line block ×5, first 2 shown]
	v_mul_i32_i24_e32 v130, v153, v130
	v_mul_i32_i24_e32 v78, v78, v236
	;; [unrolled: 1-line block ×6, first 2 shown]
	v_add3_u32 v79, v79, v143, v99
	v_add3_u32 v85, v94, v148, v151
	;; [unrolled: 1-line block ×6, first 2 shown]
	v_lshrrev_b32_e32 v102, 16, v10
	v_add3_u32 v79, v79, v149, v100
	v_add3_u32 v77, v77, v78, v80
	;; [unrolled: 1-line block ×6, first 2 shown]
	v_cvt_f32_f16_e32 v83, v102
	v_add3_u32 v77, v77, v79, v78
	v_add3_u32 v78, v80, v124, v86
	;; [unrolled: 1-line block ×4, first 2 shown]
	v_dual_mul_f32 v81, 0xc1000000, v83 :: v_dual_add_nc_u32 v8, 4, v8
	v_cvt_f32_i32_e32 v77, v77
	v_cvt_f32_i32_e32 v78, v78
	v_cvt_f32_i32_e32 v79, v79
	v_cvt_f32_i32_e32 v80, v80
	s_delay_alu instid0(VALU_DEP_4) | instskip(NEXT) | instid1(VALU_DEP_4)
	v_fma_mix_f32 v77, v10, v77, v81 op_sel_hi:[1,0,0]
	v_fma_mix_f32 v78, v10, v78, v81 op_sel_hi:[1,0,0]
	s_delay_alu instid0(VALU_DEP_4) | instskip(NEXT) | instid1(VALU_DEP_4)
	v_fma_mix_f32 v79, v10, v79, v81 op_sel_hi:[1,0,0]
	v_fma_mix_f32 v10, v10, v80, v81 op_sel_hi:[1,0,0]
	s_delay_alu instid0(VALU_DEP_4) | instskip(NEXT) | instid1(VALU_DEP_3)
	v_dual_fmac_f32 v2, v14, v77 :: v_dual_add_nc_u32 v7, 4, v7
	v_dual_fmac_f32 v55, v12, v79 :: v_dual_add_nc_u32 v6, 4, v6
	v_fmac_f32_e32 v17, v11, v78
	s_delay_alu instid0(VALU_DEP_4)
	v_fmac_f32_e32 v48, v13, v10
	s_cbranch_scc1 .LBB177_19
; %bb.20:                               ;   in Loop: Header=BB177_5 Depth=1
	s_wait_loadcnt 0x0
	s_barrier_signal -1
	s_barrier_wait -1
	global_inv scope:SCOPE_SE
	s_branch .LBB177_4
.LBB177_21:
	s_mul_i32 s0, s7, s4
	s_wait_loadcnt 0x0
	s_wait_alu 0xfffe
	v_cmp_gt_i32_e32 vcc_lo, s0, v15
	s_and_saveexec_b32 s0, vcc_lo
	s_cbranch_execz .LBB177_30
; %bb.22:
	v_mul_lo_u32 v0, v15, s6
	v_add_nc_u32_e32 v1, s18, v16
	s_mov_b32 s0, exec_lo
	s_delay_alu instid0(VALU_DEP_1)
	v_cmpx_gt_u32_e64 s6, v1
	s_cbranch_execz .LBB177_24
; %bb.23:
	s_delay_alu instid0(VALU_DEP_3) | instskip(NEXT) | instid1(VALU_DEP_1)
	v_dual_mov_b32 v4, 0 :: v_dual_add_nc_u32 v3, v0, v1
	v_lshlrev_b64_e32 v[3:4], 2, v[3:4]
	s_delay_alu instid0(VALU_DEP_1) | instskip(SKIP_1) | instid1(VALU_DEP_2)
	v_add_co_u32 v3, vcc_lo, s8, v3
	s_wait_alu 0xfffd
	v_add_co_ci_u32_e64 v4, null, s9, v4, vcc_lo
	global_store_b32 v[3:4], v17, off
.LBB177_24:
	s_wait_alu 0xfffe
	s_or_b32 exec_lo, exec_lo, s0
	v_add_nc_u32_e32 v3, 32, v1
	s_mov_b32 s0, exec_lo
	s_delay_alu instid0(VALU_DEP_1)
	v_cmpx_gt_u32_e64 s6, v3
	s_cbranch_execz .LBB177_26
; %bb.25:
	v_dual_mov_b32 v4, 0 :: v_dual_add_nc_u32 v3, v0, v3
	s_delay_alu instid0(VALU_DEP_1) | instskip(NEXT) | instid1(VALU_DEP_1)
	v_lshlrev_b64_e32 v[3:4], 2, v[3:4]
	v_add_co_u32 v3, vcc_lo, s8, v3
	s_wait_alu 0xfffd
	s_delay_alu instid0(VALU_DEP_2)
	v_add_co_ci_u32_e64 v4, null, s9, v4, vcc_lo
	global_store_b32 v[3:4], v55, off
.LBB177_26:
	s_wait_alu 0xfffe
	s_or_b32 exec_lo, exec_lo, s0
	v_add_nc_u32_e32 v3, 64, v1
	s_mov_b32 s0, exec_lo
	s_delay_alu instid0(VALU_DEP_1)
	v_cmpx_gt_u32_e64 s6, v3
	s_cbranch_execz .LBB177_28
; %bb.27:
	v_dual_mov_b32 v4, 0 :: v_dual_add_nc_u32 v3, v0, v3
	s_delay_alu instid0(VALU_DEP_1) | instskip(NEXT) | instid1(VALU_DEP_1)
	v_lshlrev_b64_e32 v[3:4], 2, v[3:4]
	v_add_co_u32 v3, vcc_lo, s8, v3
	s_wait_alu 0xfffd
	s_delay_alu instid0(VALU_DEP_2)
	v_add_co_ci_u32_e64 v4, null, s9, v4, vcc_lo
	global_store_b32 v[3:4], v48, off
.LBB177_28:
	s_wait_alu 0xfffe
	s_or_b32 exec_lo, exec_lo, s0
	v_add_nc_u32_e32 v1, 0x60, v1
	s_delay_alu instid0(VALU_DEP_1)
	v_cmp_gt_u32_e32 vcc_lo, s6, v1
	s_and_b32 exec_lo, exec_lo, vcc_lo
	s_cbranch_execz .LBB177_30
; %bb.29:
	v_dual_mov_b32 v1, 0 :: v_dual_add_nc_u32 v0, v0, v1
	s_delay_alu instid0(VALU_DEP_1) | instskip(NEXT) | instid1(VALU_DEP_1)
	v_lshlrev_b64_e32 v[0:1], 2, v[0:1]
	v_add_co_u32 v0, vcc_lo, s8, v0
	s_wait_alu 0xfffd
	s_delay_alu instid0(VALU_DEP_2)
	v_add_co_ci_u32_e64 v1, null, s9, v1, vcc_lo
	global_store_b32 v[0:1], v2, off
.LBB177_30:
	s_nop 0
	s_sendmsg sendmsg(MSG_DEALLOC_VGPRS)
	s_endpgm
	.section	.rodata,"a",@progbits
	.p2align	6, 0x0
	.amdhsa_kernel _ZL8moe_q4_0IfLb0EEvPKvS1_PT_PKiS5_S5_iiiiiii
		.amdhsa_group_segment_fixed_size 22272
		.amdhsa_private_segment_fixed_size 0
		.amdhsa_kernarg_size 76
		.amdhsa_user_sgpr_count 2
		.amdhsa_user_sgpr_dispatch_ptr 0
		.amdhsa_user_sgpr_queue_ptr 0
		.amdhsa_user_sgpr_kernarg_segment_ptr 1
		.amdhsa_user_sgpr_dispatch_id 0
		.amdhsa_user_sgpr_private_segment_size 0
		.amdhsa_wavefront_size32 1
		.amdhsa_uses_dynamic_stack 0
		.amdhsa_enable_private_segment 0
		.amdhsa_system_sgpr_workgroup_id_x 1
		.amdhsa_system_sgpr_workgroup_id_y 1
		.amdhsa_system_sgpr_workgroup_id_z 0
		.amdhsa_system_sgpr_workgroup_info 0
		.amdhsa_system_vgpr_workitem_id 1
		.amdhsa_next_free_vgpr 238
		.amdhsa_next_free_sgpr 22
		.amdhsa_reserve_vcc 1
		.amdhsa_float_round_mode_32 0
		.amdhsa_float_round_mode_16_64 0
		.amdhsa_float_denorm_mode_32 3
		.amdhsa_float_denorm_mode_16_64 3
		.amdhsa_fp16_overflow 0
		.amdhsa_workgroup_processor_mode 1
		.amdhsa_memory_ordered 1
		.amdhsa_forward_progress 1
		.amdhsa_inst_pref_size 65
		.amdhsa_round_robin_scheduling 0
		.amdhsa_exception_fp_ieee_invalid_op 0
		.amdhsa_exception_fp_denorm_src 0
		.amdhsa_exception_fp_ieee_div_zero 0
		.amdhsa_exception_fp_ieee_overflow 0
		.amdhsa_exception_fp_ieee_underflow 0
		.amdhsa_exception_fp_ieee_inexact 0
		.amdhsa_exception_int_div_zero 0
	.end_amdhsa_kernel
	.section	.text._ZL8moe_q4_0IfLb0EEvPKvS1_PT_PKiS5_S5_iiiiiii,"axG",@progbits,_ZL8moe_q4_0IfLb0EEvPKvS1_PT_PKiS5_S5_iiiiiii,comdat
.Lfunc_end177:
	.size	_ZL8moe_q4_0IfLb0EEvPKvS1_PT_PKiS5_S5_iiiiiii, .Lfunc_end177-_ZL8moe_q4_0IfLb0EEvPKvS1_PT_PKiS5_S5_iiiiiii
                                        ; -- End function
	.set _ZL8moe_q4_0IfLb0EEvPKvS1_PT_PKiS5_S5_iiiiiii.num_vgpr, 238
	.set _ZL8moe_q4_0IfLb0EEvPKvS1_PT_PKiS5_S5_iiiiiii.num_agpr, 0
	.set _ZL8moe_q4_0IfLb0EEvPKvS1_PT_PKiS5_S5_iiiiiii.numbered_sgpr, 22
	.set _ZL8moe_q4_0IfLb0EEvPKvS1_PT_PKiS5_S5_iiiiiii.num_named_barrier, 0
	.set _ZL8moe_q4_0IfLb0EEvPKvS1_PT_PKiS5_S5_iiiiiii.private_seg_size, 0
	.set _ZL8moe_q4_0IfLb0EEvPKvS1_PT_PKiS5_S5_iiiiiii.uses_vcc, 1
	.set _ZL8moe_q4_0IfLb0EEvPKvS1_PT_PKiS5_S5_iiiiiii.uses_flat_scratch, 0
	.set _ZL8moe_q4_0IfLb0EEvPKvS1_PT_PKiS5_S5_iiiiiii.has_dyn_sized_stack, 0
	.set _ZL8moe_q4_0IfLb0EEvPKvS1_PT_PKiS5_S5_iiiiiii.has_recursion, 0
	.set _ZL8moe_q4_0IfLb0EEvPKvS1_PT_PKiS5_S5_iiiiiii.has_indirect_call, 0
	.section	.AMDGPU.csdata,"",@progbits
; Kernel info:
; codeLenInByte = 8304
; TotalNumSgprs: 24
; NumVgprs: 238
; ScratchSize: 0
; MemoryBound: 0
; FloatMode: 240
; IeeeMode: 1
; LDSByteSize: 22272 bytes/workgroup (compile time only)
; SGPRBlocks: 0
; VGPRBlocks: 29
; NumSGPRsForWavesPerEU: 24
; NumVGPRsForWavesPerEU: 238
; Occupancy: 6
; WaveLimiterHint : 1
; COMPUTE_PGM_RSRC2:SCRATCH_EN: 0
; COMPUTE_PGM_RSRC2:USER_SGPR: 2
; COMPUTE_PGM_RSRC2:TRAP_HANDLER: 0
; COMPUTE_PGM_RSRC2:TGID_X_EN: 1
; COMPUTE_PGM_RSRC2:TGID_Y_EN: 1
; COMPUTE_PGM_RSRC2:TGID_Z_EN: 0
; COMPUTE_PGM_RSRC2:TIDIG_COMP_CNT: 1
	.section	.text._ZL8moe_q4_0IfLb1EEvPKvS1_PT_PKiS5_S5_iiiiiii,"axG",@progbits,_ZL8moe_q4_0IfLb1EEvPKvS1_PT_PKiS5_S5_iiiiiii,comdat
	.globl	_ZL8moe_q4_0IfLb1EEvPKvS1_PT_PKiS5_S5_iiiiiii ; -- Begin function _ZL8moe_q4_0IfLb1EEvPKvS1_PT_PKiS5_S5_iiiiiii
	.p2align	8
	.type	_ZL8moe_q4_0IfLb1EEvPKvS1_PT_PKiS5_S5_iiiiiii,@function
_ZL8moe_q4_0IfLb1EEvPKvS1_PT_PKiS5_S5_iiiiiii: ; @_ZL8moe_q4_0IfLb1EEvPKvS1_PT_PKiS5_S5_iiiiiii
; %bb.0:
	s_load_b128 s[4:7], s[0:1], 0x18
	s_mov_b32 s2, ttmp7
	s_mov_b32 s3, 0
	s_delay_alu instid0(SALU_CYCLE_1)
	s_lshl_b64 s[2:3], s[2:3], 2
	s_wait_kmcnt 0x0
	s_add_nc_u64 s[2:3], s[6:7], s[2:3]
	s_load_b32 s14, s[2:3], 0x0
	s_wait_kmcnt 0x0
	s_cmp_gt_u32 s14, 0xff
	s_cbranch_scc1 .LBB178_30
; %bb.1:
	s_load_b64 s[2:3], s[0:1], 0x28
	s_wait_kmcnt 0x0
	s_load_b32 s3, s[2:3], 0x0
	s_lshl_b32 s2, ttmp7, 3
	s_wait_kmcnt 0x0
	s_cmp_gt_u32 s2, s3
	s_cbranch_scc1 .LBB178_30
; %bb.2:
	v_bfe_u32 v19, v0, 10, 10
	v_mov_b32_e32 v15, 0
	s_lshl_b32 s11, ttmp9, 7
	s_delay_alu instid0(VALU_DEP_2) | instskip(NEXT) | instid1(VALU_DEP_2)
	v_add_nc_u32_e32 v14, s2, v19
	v_dual_mov_b32 v56, v15 :: v_dual_and_b32 v33, 0x3ff, v0
	v_mov_b32_e32 v60, v15
	v_mov_b32_e32 v34, v15
	s_delay_alu instid0(VALU_DEP_4) | instskip(NEXT) | instid1(VALU_DEP_1)
	v_lshlrev_b64_e32 v[1:2], 2, v[14:15]
	v_add_co_u32 v1, vcc_lo, s4, v1
	s_delay_alu instid0(VALU_DEP_1)
	v_add_co_ci_u32_e64 v2, null, s5, v2, vcc_lo
	global_load_b32 v32, v[1:2], off
	s_clause 0x2
	s_load_b128 s[4:7], s[0:1], 0x30
	s_load_b64 s[12:13], s[0:1], 0x10
	s_load_b96 s[8:10], s[0:1], 0x40
	s_wait_kmcnt 0x0
	s_cmp_lt_i32 s5, 32
	s_cbranch_scc1 .LBB178_21
; %bb.3:
	s_load_b128 s[0:3], s[0:1], 0x0
	s_ashr_i32 s15, s5, 31
	s_mul_i32 s14, s14, s4
	s_lshr_b32 s4, s15, 27
	s_ashr_i32 s15, s14, 31
	s_wait_alu 0xfffe
	s_add_co_i32 s4, s5, s4
	s_ashr_i32 s16, s8, 31
	s_wait_alu 0xfffe
	s_ashr_i32 s4, s4, 5
	s_not_b32 s17, s11
	s_wait_alu 0xfffe
	s_mul_i32 s18, s4, s11
	s_lshr_b32 s20, s16, 27
	s_ashr_i32 s19, s18, 31
	s_wait_loadcnt 0x0
	v_sub_nc_u32_e32 v26, 0, v32
	s_mul_u64 s[18:19], s[18:19], 18
	s_add_co_i32 s16, s6, s17
	s_add_co_i32 s6, s8, s20
	v_dual_mov_b32 v34, 0 :: v_dual_add_nc_u32 v1, 8, v19
	v_max_i32_e32 v26, v32, v26
	v_add_nc_u32_e32 v6, 24, v19
	s_wait_kmcnt 0x0
	s_add_nc_u64 s[0:1], s[0:1], s[14:15]
	v_lshlrev_b32_e32 v20, 2, v33
	s_add_nc_u64 s[14:15], s[0:1], s[18:19]
	s_abs_i32 s0, s10
	v_min_i32_e32 v2, s16, v19
	s_cvt_f32_u32 s1, s0
	s_sub_co_i32 s8, 0, s0
	v_add_nc_u32_e32 v8, 40, v19
	v_min_i32_e32 v4, s16, v1
	v_rcp_iflag_f32_e32 v23, s1
	v_add_nc_u32_e32 v10, 56, v19
	v_min_i32_e32 v6, s16, v6
	v_dual_mov_b32 v60, 0 :: v_dual_add_nc_u32 v11, 64, v19
	v_add_nc_u32_e32 v12, 0x48, v19
	v_mul_lo_u32 v37, v2, s4
	v_mad_co_u64_u32 v[1:2], null, 0x84, v2, v[20:21]
	v_min_i32_e32 v8, s16, v8
	s_delay_alu instid0(TRANS32_DEP_1)
	v_readfirstlane_b32 s1, v23
	v_dual_mov_b32 v56, 0 :: v_dual_add_nc_u32 v13, 0x50, v19
	v_add_nc_u32_e32 v14, 0x58, v19
	v_mul_lo_u32 v38, v4, s4
	s_mul_f32 s1, s1, 0x4f7ffffe
	v_min_i32_e32 v10, s16, v10
	v_min_i32_e32 v11, s16, v11
	v_mul_lo_u32 v40, v6, s4
	s_wait_alu 0xfffe
	s_cvt_u32_f32 s1, s1
	v_min_i32_e32 v12, s16, v12
	v_min_i32_e32 v13, s16, v13
	v_mul_lo_u32 v42, v8, s4
	s_wait_alu 0xfffe
	s_mul_i32 s8, s8, s1
	v_min_i32_e32 v14, s16, v14
	s_mul_hi_u32 s8, s1, s8
	v_bfe_u32 v49, v0, 3, 7
	s_add_co_i32 s1, s1, s8
	v_mul_lo_u32 v44, v10, s4
	s_wait_alu 0xfffe
	v_mul_hi_u32 v28, v26, s1
	v_mul_lo_u32 v45, v11, s4
	v_add_nc_u32_e32 v15, 0x60, v19
	v_mul_lo_u32 v46, v12, s4
	v_add_nc_u32_e32 v16, 0x68, v19
	v_mul_lo_u32 v47, v13, s4
	v_mul_lo_u32 v48, v14, s4
	v_min_i32_e32 v15, s16, v15
	v_mul_lo_u32 v29, v28, s0
	v_min_i32_e32 v16, s16, v16
	v_and_b32_e32 v54, 7, v0
	v_add_nc_u32_e32 v17, 0x70, v19
	v_mul_lo_u32 v50, v15, s4
	v_add_nc_u32_e32 v18, 0x78, v19
	v_mul_lo_u32 v51, v16, s4
	v_lshlrev_b32_e32 v24, 2, v54
	v_sub_nc_u32_e32 v26, v26, v29
	v_add_nc_u32_e32 v29, 1, v28
	v_min_i32_e32 v17, s16, v17
	v_min_i32_e32 v18, s16, v18
	v_lshl_add_u32 v61, v19, 7, 0x5280
	v_cmp_le_u32_e32 vcc_lo, s0, v26
	v_add_nc_u32_e32 v3, 16, v19
	v_add_nc_u32_e32 v7, 32, v19
	v_mul_lo_u32 v52, v17, s4
	v_mul_lo_u32 v53, v18, s4
	s_wait_alu 0xfffd
	v_dual_cndmask_b32 v28, v28, v29 :: v_dual_add_nc_u32 v9, 48, v19
	v_min_i32_e32 v5, s16, v3
	v_min_i32_e32 v7, s16, v7
	v_mad_co_u64_u32 v[2:3], null, 0x84, v4, v[20:21]
	s_delay_alu instid0(VALU_DEP_4) | instskip(NEXT) | instid1(VALU_DEP_4)
	v_min_i32_e32 v9, s16, v9
	v_mad_co_u64_u32 v[3:4], null, 0x84, v5, v[20:21]
	v_mul_lo_u32 v39, v5, s4
	v_mad_co_u64_u32 v[4:5], null, 0x84, v6, v[20:21]
	v_mad_co_u64_u32 v[5:6], null, 0x84, v7, v[20:21]
	v_mul_lo_u32 v41, v7, s4
	v_mad_co_u64_u32 v[6:7], null, 0x84, v8, v[20:21]
	;; [unrolled: 3-line block ×3, first 2 shown]
	v_mad_co_u64_u32 v[9:10], null, 0x84, v11, v[20:21]
	v_mad_co_u64_u32 v[10:11], null, 0x84, v12, v[20:21]
	;; [unrolled: 1-line block ×4, first 2 shown]
	v_lshl_add_u32 v21, v19, 2, v49
	v_xor_b32_e32 v29, s10, v32
	v_lshl_add_u32 v62, v19, 4, 0x5680
	s_ashr_i32 s6, s6, 5
	v_bfe_u32 v35, v0, 2, 8
	v_min_i32_e32 v22, s16, v21
	v_mad_co_u64_u32 v[13:14], null, 0x84, v15, v[20:21]
	v_mad_co_u64_u32 v[14:15], null, 0x84, v16, v[20:21]
	s_delay_alu instid0(VALU_DEP_3)
	v_ashrrev_i32_e32 v15, 31, v22
	v_mul_lo_u32 v55, v22, s4
	v_add_nc_u32_e32 v23, 64, v21
	v_ashrrev_i32_e32 v29, 31, v29
	v_mul_u32_u24_e32 v65, 0x84, v33
	v_lshrrev_b32_e32 v15, 30, v15
	v_mad_u32_u24 v72, 0x84, v33, 64
	v_min_i32_e32 v23, s16, v23
	s_mov_b32 s17, 0
	s_delay_alu instid0(VALU_DEP_3) | instskip(SKIP_1) | instid1(VALU_DEP_3)
	v_add_nc_u32_e32 v15, v22, v15
	v_lshlrev_b32_e32 v22, 5, v22
	v_ashrrev_i32_e32 v27, 31, v23
	v_mul_lo_u32 v58, v23, s4
	s_delay_alu instid0(VALU_DEP_4) | instskip(NEXT) | instid1(VALU_DEP_3)
	v_and_b32_e32 v15, -4, v15
	v_lshrrev_b32_e32 v27, 30, v27
	s_delay_alu instid0(VALU_DEP_2) | instskip(NEXT) | instid1(VALU_DEP_2)
	v_add3_u32 v15, v15, v24, 0x4200
	v_add_nc_u32_e32 v27, v23, v27
	v_lshlrev_b32_e32 v23, 5, v23
	s_delay_alu instid0(VALU_DEP_3)
	v_add_nc_u32_e32 v77, v15, v22
	v_mov_b32_e32 v15, 0
	v_mad_co_u64_u32 v[16:17], null, 0x84, v17, v[20:21]
	v_mad_co_u64_u32 v[17:18], null, 0x84, v18, v[20:21]
	v_add_nc_u32_e32 v18, 32, v21
	v_add_nc_u32_e32 v21, 0x60, v21
	v_and_b32_e32 v27, -4, v27
	v_and_b32_e32 v36, 12, v20
	v_and_b32_e32 v19, 28, v20
	v_min_i32_e32 v18, s16, v18
	v_min_i32_e32 v21, s16, v21
	v_add3_u32 v27, v27, v24, 0x4200
	v_add_nc_u32_e32 v64, v62, v20
	s_wait_alu 0xfffe
	s_mov_b32 s16, s17
	v_ashrrev_i32_e32 v25, 31, v18
	v_ashrrev_i32_e32 v30, 31, v21
	v_mul_lo_u32 v57, v18, s4
	v_lshlrev_b32_e32 v31, 5, v18
	v_mul_lo_u32 v59, v21, s4
	v_lshrrev_b32_e32 v25, 30, v25
	v_add_nc_u32_e32 v79, v27, v23
	s_delay_alu instid0(VALU_DEP_2) | instskip(SKIP_2) | instid1(VALU_DEP_3)
	v_add_nc_u32_e32 v25, v18, v25
	v_lshrrev_b32_e32 v18, 30, v30
	v_subrev_nc_u32_e32 v30, s0, v26
	v_and_b32_e32 v25, -4, v25
	s_delay_alu instid0(VALU_DEP_3) | instskip(NEXT) | instid1(VALU_DEP_3)
	v_add_nc_u32_e32 v18, v21, v18
	v_cndmask_b32_e32 v26, v26, v30, vcc_lo
	v_add_nc_u32_e32 v30, 1, v28
	v_lshlrev_b32_e32 v21, 5, v21
	v_add3_u32 v25, v25, v24, 0x4200
	v_and_b32_e32 v18, -4, v18
	v_cmp_le_u32_e32 vcc_lo, s0, v26
	s_delay_alu instid0(VALU_DEP_3) | instskip(NEXT) | instid1(VALU_DEP_3)
	v_add_nc_u32_e32 v78, v25, v31
	v_add3_u32 v24, v18, v24, 0x4200
	s_wait_alu 0xfffd
	v_cndmask_b32_e32 v26, v28, v30, vcc_lo
	v_and_b32_e32 v18, 31, v0
	v_add_nc_u32_e32 v28, 0x60, v33
	v_and_b32_e32 v0, 0xfc, v0
	v_cmp_gt_u32_e32 vcc_lo, 4, v33
	v_xor_b32_e32 v26, v26, v29
	v_lshl_or_b32 v63, v18, 2, v61
	v_add_nc_u32_e32 v18, 32, v33
	v_and_b32_e32 v28, 0x1fc, v28
	v_add_nc_u32_e32 v80, v24, v21
	v_sub_nc_u32_e32 v20, v26, v29
	v_add_nc_u32_e32 v26, 64, v33
	v_and_b32_e32 v29, 0x1fc, v18
	v_lshrrev_b32_e32 v66, 3, v18
	v_add_co_u32 v18, s1, s2, v19
	v_cmp_gt_i32_e64 s0, s7, v20
	v_mul_lo_u32 v67, v20, s6
	v_lshlrev_b32_e32 v20, 5, v33
	v_and_b32_e32 v26, 0x1fc, v26
	s_wait_alu 0xf1ff
	v_add_co_ci_u32_e64 v19, null, s3, 0, s1
	s_and_b32 s8, vcc_lo, s0
	v_add_nc_u32_e32 v28, v20, v28
	v_add_nc_u32_e32 v26, v20, v26
	;; [unrolled: 1-line block ×4, first 2 shown]
	v_ashrrev_i32_e32 v0, 31, v67
	v_add_nc_u32_e32 v68, 0x4e00, v28
	v_add_nc_u32_e32 v69, 0x4a00, v26
	;; [unrolled: 1-line block ×8, first 2 shown]
	s_branch .LBB178_5
.LBB178_4:                              ;   in Loop: Header=BB178_5 Depth=1
	s_add_co_i32 s16, s16, 8
	s_wait_alu 0xfffe
	s_cmp_ge_i32 s16, s4
	s_cbranch_scc1 .LBB178_21
.LBB178_5:                              ; =>This Loop Header: Depth=1
                                        ;     Child Loop BB178_11 Depth 2
                                        ;     Child Loop BB178_19 Depth 2
	s_wait_alu 0xfffe
	s_mul_u64 s[18:19], s[16:17], 18
	s_wait_alu 0xfffe
	s_add_nc_u64 s[18:19], s[14:15], s[18:19]
	s_wait_alu 0xfffe
	v_mad_co_u64_u32 v[20:21], null, v35, 18, s[18:19]
	s_delay_alu instid0(VALU_DEP_1) | instskip(SKIP_3) | instid1(VALU_DEP_4)
	v_mad_co_i64_i32 v[22:23], null, v37, 18, v[20:21]
	v_mad_co_i64_i32 v[24:25], null, v38, 18, v[20:21]
	;; [unrolled: 1-line block ×4, first 2 shown]
	v_add_co_u32 v22, s1, v22, v36
	v_mad_co_i64_i32 v[30:31], null, v41, 18, v[20:21]
	s_wait_alu 0xf1ff
	v_add_co_ci_u32_e64 v23, null, 0, v23, s1
	v_add_co_u32 v24, s1, v24, v36
	v_mad_co_i64_i32 v[81:82], null, v42, 18, v[20:21]
	s_wait_alu 0xf1ff
	v_add_co_ci_u32_e64 v25, null, 0, v25, s1
	;; [unrolled: 4-line block ×4, first 2 shown]
	v_add_co_u32 v30, s1, v30, v36
	s_wait_alu 0xf1ff
	v_add_co_ci_u32_e64 v31, null, 0, v31, s1
	v_add_co_u32 v81, s1, v81, v36
	s_wait_alu 0xf1ff
	v_add_co_ci_u32_e64 v82, null, 0, v82, s1
	;; [unrolled: 3-line block ×3, first 2 shown]
	v_add_co_u32 v85, s1, v85, v36
	v_mad_co_i64_i32 v[87:88], null, v45, 18, v[20:21]
	s_wait_alu 0xf1ff
	v_add_co_ci_u32_e64 v86, null, 0, v86, s1
	s_clause 0x7
	global_load_b32 v93, v[22:23], off offset:2
	global_load_b32 v94, v[24:25], off offset:2
	;; [unrolled: 1-line block ×8, first 2 shown]
	v_mad_co_i64_i32 v[22:23], null, v46, 18, v[20:21]
	v_mad_co_u64_u32 v[81:82], null, v54, 18, s[18:19]
	v_mad_co_i64_i32 v[26:27], null, v47, 18, v[20:21]
	v_mad_co_i64_i32 v[28:29], null, v48, 18, v[20:21]
	v_add_co_u32 v24, s1, v87, v36
	v_mad_co_i64_i32 v[30:31], null, v50, 18, v[20:21]
	s_wait_alu 0xf1ff
	v_add_co_ci_u32_e64 v25, null, 0, v88, s1
	v_add_co_u32 v22, s1, v22, v36
	v_mad_co_i64_i32 v[83:84], null, v51, 18, v[20:21]
	v_mad_co_i64_i32 v[85:86], null, v55, 18, v[81:82]
	;; [unrolled: 1-line block ×3, first 2 shown]
	s_wait_alu 0xf1ff
	v_add_co_ci_u32_e64 v23, null, 0, v23, s1
	v_add_co_u32 v26, s1, v26, v36
	v_mad_co_i64_i32 v[89:90], null, v58, 18, v[81:82]
	v_mad_co_i64_i32 v[91:92], null, v52, 18, v[20:21]
	;; [unrolled: 1-line block ×3, first 2 shown]
	s_wait_alu 0xf1ff
	v_add_co_ci_u32_e64 v27, null, 0, v27, s1
	v_add_co_u32 v28, s1, v28, v36
	v_mad_co_i64_i32 v[20:21], null, v53, 18, v[20:21]
	s_wait_alu 0xf1ff
	v_add_co_ci_u32_e64 v29, null, 0, v29, s1
	v_add_co_u32 v30, s1, v30, v36
	s_wait_alu 0xf1ff
	v_add_co_ci_u32_e64 v31, null, 0, v31, s1
	s_clause 0x3
	global_load_u16 v85, v[85:86], off
	global_load_u16 v86, v[87:88], off
	;; [unrolled: 1-line block ×4, first 2 shown]
	v_add_co_u32 v81, s1, v83, v36
	s_wait_alu 0xf1ff
	v_add_co_ci_u32_e64 v82, null, 0, v84, s1
	v_add_co_u32 v83, s1, v91, v36
	s_wait_alu 0xf1ff
	v_add_co_ci_u32_e64 v84, null, 0, v92, s1
	;; [unrolled: 3-line block ×3, first 2 shown]
	s_clause 0x7
	global_load_b32 v24, v[24:25], off offset:2
	global_load_b32 v22, v[22:23], off offset:2
	;; [unrolled: 1-line block ×8, first 2 shown]
	s_lshl_b32 s18, s16, 5
	s_wait_alu 0xfffe
	s_cmp_lt_i32 s18, s5
	s_wait_loadcnt 0xb
	v_cvt_f32_f16_e32 v21, v85
	s_wait_loadcnt 0xa
	v_cvt_f32_f16_e32 v29, v86
	;; [unrolled: 2-line block ×4, first 2 shown]
	ds_store_b32 v1, v93
	ds_store_b32 v77, v21
	;; [unrolled: 1-line block ×11, first 2 shown]
	s_wait_loadcnt 0x7
	ds_store_b32 v9, v24
	s_wait_loadcnt 0x6
	ds_store_b32 v10, v22
	;; [unrolled: 2-line block ×8, first 2 shown]
	ds_store_b32 v80, v31
	s_cbranch_scc0 .LBB178_4
; %bb.6:                                ;   in Loop: Header=BB178_5 Depth=1
	v_add_nc_u32_e32 v20, s16, v49
	s_delay_alu instid0(VALU_DEP_1)
	v_cmp_gt_i32_e64 s1, s6, v20
	s_and_b32 s19, s0, s1
	s_wait_alu 0xfffe
	s_and_saveexec_b32 s1, s19
	s_cbranch_execz .LBB178_8
; %bb.7:                                ;   in Loop: Header=BB178_5 Depth=1
	v_add_nc_u32_e32 v20, v67, v20
	s_delay_alu instid0(VALU_DEP_1)
	v_mad_co_i64_i32 v[20:21], null, v20, 36, v[18:19]
	global_load_b32 v20, v[20:21], off offset:4
	s_wait_loadcnt 0x0
	ds_store_b32 v63, v20
.LBB178_8:                              ;   in Loop: Header=BB178_5 Depth=1
	s_wait_alu 0xfffe
	s_or_b32 exec_lo, exec_lo, s1
	v_add_nc_u32_e32 v81, s16, v33
	s_delay_alu instid0(VALU_DEP_1)
	v_cmp_gt_i32_e64 s1, s6, v81
	s_and_b32 s19, s8, s1
	s_wait_alu 0xfffe
	s_and_saveexec_b32 s1, s19
	s_cbranch_execz .LBB178_10
; %bb.9:                                ;   in Loop: Header=BB178_5 Depth=1
	v_add_nc_u32_e32 v20, v67, v81
	s_delay_alu instid0(VALU_DEP_1)
	v_mad_co_i64_i32 v[20:21], null, v20, 36, s[2:3]
	global_load_b32 v20, v[20:21], off
	s_wait_loadcnt 0x0
	ds_store_b32 v64, v20
.LBB178_10:                             ;   in Loop: Header=BB178_5 Depth=1
	s_wait_alu 0xfffe
	s_or_b32 exec_lo, exec_lo, s1
	v_dual_mov_b32 v82, v61 :: v_dual_mov_b32 v83, v62
	v_dual_mov_b32 v84, v71 :: v_dual_mov_b32 v85, v70
	;; [unrolled: 1-line block ×3, first 2 shown]
	v_mov_b32_e32 v88, v65
	s_mov_b32 s1, -4
	s_wait_dscnt 0x0
	s_barrier_signal -1
	s_barrier_wait -1
	global_inv scope:SCOPE_SE
.LBB178_11:                             ;   Parent Loop BB178_5 Depth=1
                                        ; =>  This Inner Loop Header: Depth=2
	ds_load_2addr_b32 v[20:21], v82 offset0:4 offset1:7
	ds_load_2addr_b32 v[28:29], v88 offset1:1
	ds_load_2addr_b32 v[22:23], v82 offset1:3
	ds_load_2addr_b32 v[26:27], v82 offset0:1 offset1:2
	ds_load_2addr_b32 v[24:25], v82 offset0:5 offset1:6
	;; [unrolled: 1-line block ×3, first 2 shown]
	ds_load_b32 v89, v87
	ds_load_b32 v103, v83
	;; [unrolled: 1-line block ×5, first 2 shown]
	v_add_nc_u32_e32 v90, 0x1080, v88
	v_add_nc_u32_e32 v91, 0x1088, v88
	;; [unrolled: 1-line block ×6, first 2 shown]
	ds_load_2addr_b32 v[95:96], v90 offset1:1
	ds_load_2addr_b32 v[90:91], v91 offset1:1
	;; [unrolled: 1-line block ×6, first 2 shown]
	v_add_nc_u32_e32 v88, 16, v88
	v_add_nc_u32_e32 v86, 4, v86
	v_add_nc_u32_e32 v84, 4, v84
	v_add_nc_u32_e32 v83, 4, v83
	v_add_nc_u32_e32 v82, 32, v82
	s_wait_alu 0xfffe
	s_add_co_i32 s1, s1, 4
	s_wait_dscnt 0x10
	v_lshrrev_b16 v94, 8, v20
	s_wait_dscnt 0xf
	v_and_b32_e32 v108, 15, v28
	s_wait_dscnt 0xe
	v_lshrrev_b16 v135, 8, v22
	v_ashrrev_i32_e32 v136, 24, v22
	v_bfe_i32 v137, v22, 16, 8
	v_bfe_i32 v22, v22, 0, 8
	v_bfe_u32 v109, v28, 8, 4
	v_bfe_u32 v110, v28, 16, 4
	;; [unrolled: 1-line block ×3, first 2 shown]
	v_ashrrev_i32_e32 v138, 24, v20
	v_bfe_i32 v139, v20, 16, 8
	v_bfe_i32 v20, v20, 0, 8
	s_wait_dscnt 0x5
	v_and_b32_e32 v160, 15, v95
	v_bfe_u32 v162, v95, 16, 4
	v_bfe_u32 v163, v95, 24, 4
	s_wait_dscnt 0x3
	v_and_b32_e32 v188, 15, v97
	v_bfe_i32 v135, v135, 0, 8
	v_mul_i32_i24_e32 v108, v22, v108
	s_wait_dscnt 0x1
	v_bfe_u32 v215, v99, 4, 4
	v_bfe_u32 v217, v99, 20, 4
	v_lshrrev_b32_e32 v219, 28, v99
	v_bfe_u32 v161, v95, 8, 4
	v_bfe_u32 v189, v97, 8, 4
	;; [unrolled: 1-line block ×4, first 2 shown]
	v_mul_i32_i24_e32 v110, v137, v110
	v_mul_i32_i24_e32 v111, v136, v111
	v_bfe_u32 v220, v99, 24, 4
	v_mad_i32_i24 v108, v135, v109, v108
	v_mul_i32_i24_e32 v109, v22, v160
	v_mul_i32_i24_e32 v160, v137, v162
	;; [unrolled: 1-line block ×7, first 2 shown]
	v_bfe_u32 v112, v28, 4, 4
	v_bfe_u32 v113, v28, 12, 4
	;; [unrolled: 1-line block ×6, first 2 shown]
	v_bfe_i32 v94, v94, 0, 8
	v_mul_i32_i24_e32 v190, v137, v190
	v_mul_i32_i24_e32 v191, v136, v191
	v_add3_u32 v108, v108, v110, v111
	v_mad_i32_i24 v109, v135, v161, v109
	v_mad_i32_i24 v111, v220, v136, v217
	;; [unrolled: 1-line block ×3, first 2 shown]
	v_bfe_u32 v107, v28, 20, 4
	v_lshrrev_b32_e32 v28, 28, v28
	v_bfe_u32 v159, v95, 20, 4
	v_lshrrev_b32_e32 v95, 28, v95
	;; [unrolled: 2-line block ×3, first 2 shown]
	v_mul_i32_i24_e32 v112, v20, v112
	v_mul_i32_i24_e32 v113, v94, v113
	;; [unrolled: 1-line block ×6, first 2 shown]
	v_add3_u32 v109, v109, v160, v162
	v_add3_u32 v136, v136, v190, v191
	v_and_b32_e32 v115, 15, v29
	v_bfe_u32 v116, v29, 8, 4
	v_ashrrev_i32_e32 v140, 24, v26
	v_bfe_i32 v141, v26, 16, 8
	v_bfe_i32 v142, v26, 8, 8
	;; [unrolled: 1-line block ×3, first 2 shown]
	v_and_b32_e32 v167, 15, v96
	v_bfe_u32 v168, v96, 8, 4
	v_and_b32_e32 v195, 15, v98
	v_bfe_u32 v196, v98, 8, 4
	v_mul_i32_i24_e32 v107, v139, v107
	v_mul_i32_i24_e32 v28, v138, v28
	;; [unrolled: 1-line block ×6, first 2 shown]
	v_add3_u32 v108, v108, v113, v112
	v_add3_u32 v109, v109, v165, v164
	;; [unrolled: 1-line block ×3, first 2 shown]
	v_bfe_u32 v117, v29, 16, 4
	v_bfe_u32 v118, v29, 24, 4
	;; [unrolled: 1-line block ×6, first 2 shown]
	v_mul_i32_i24_e32 v115, v26, v115
	v_mul_i32_i24_e32 v116, v142, v116
	;; [unrolled: 1-line block ×6, first 2 shown]
	v_add3_u32 v28, v108, v107, v28
	v_add3_u32 v95, v109, v159, v95
	;; [unrolled: 1-line block ×3, first 2 shown]
	v_bfe_u32 v119, v29, 4, 4
	v_bfe_u32 v120, v29, 12, 4
	v_ashrrev_i32_e32 v143, 24, v24
	v_bfe_i32 v144, v24, 16, 8
	v_bfe_i32 v145, v24, 8, 8
	;; [unrolled: 1-line block ×3, first 2 shown]
	v_bfe_u32 v171, v96, 4, 4
	v_bfe_u32 v172, v96, 12, 4
	;; [unrolled: 1-line block ×4, first 2 shown]
	v_mul_i32_i24_e32 v117, v141, v117
	v_mul_i32_i24_e32 v118, v140, v118
	;; [unrolled: 1-line block ×6, first 2 shown]
	v_add3_u32 v28, v28, v116, v115
	v_add3_u32 v95, v95, v168, v138
	;; [unrolled: 1-line block ×3, first 2 shown]
	v_bfe_u32 v114, v29, 20, 4
	v_lshrrev_b32_e32 v29, 28, v29
	v_bfe_u32 v166, v96, 20, 4
	v_lshrrev_b32_e32 v96, 28, v96
	;; [unrolled: 2-line block ×3, first 2 shown]
	v_and_b32_e32 v216, 15, v99
	v_bfe_u32 v222, v100, 24, 4
	v_and_b32_e32 v223, 0xf0f0f0f, v100
	v_lshrrev_b32_e32 v224, 4, v100
	v_lshrrev_b32_e32 v225, 28, v100
	v_bfe_u32 v226, v100, 16, 4
	v_and_b32_e32 v227, 15, v100
	v_bfe_u32 v228, v100, 20, 4
	v_bfe_u32 v100, v100, 4, 4
	v_mul_i32_i24_e32 v119, v24, v119
	v_mul_i32_i24_e32 v120, v145, v120
	;; [unrolled: 1-line block ×6, first 2 shown]
	v_add3_u32 v28, v28, v117, v118
	v_add3_u32 v95, v95, v169, v170
	;; [unrolled: 1-line block ×3, first 2 shown]
	v_and_b32_e32 v122, 15, v30
	v_bfe_u32 v123, v30, 8, 4
	v_ashrrev_i32_e32 v146, 24, v27
	v_bfe_i32 v147, v27, 16, 8
	v_bfe_i32 v148, v27, 8, 8
	;; [unrolled: 1-line block ×3, first 2 shown]
	v_and_b32_e32 v174, 15, v90
	v_bfe_u32 v175, v90, 8, 4
	v_and_b32_e32 v202, 15, v92
	v_bfe_u32 v203, v92, 8, 4
	v_bfe_u32 v218, v99, 16, 4
	v_and_b32_e32 v221, 0xf0f0f0f, v99
	v_lshrrev_b32_e32 v99, 4, v99
	v_mul_i32_i24_e32 v114, v144, v114
	v_mul_i32_i24_e32 v29, v143, v29
	;; [unrolled: 1-line block ×8, first 2 shown]
	v_mad_i32_i24 v22, v216, v22, v163
	v_add3_u32 v28, v28, v119, v120
	v_add3_u32 v95, v95, v171, v172
	v_add3_u32 v20, v20, v195, v200
	v_bfe_u32 v124, v30, 16, 4
	v_bfe_u32 v125, v30, 24, 4
	;; [unrolled: 1-line block ×4, first 2 shown]
	v_ashrrev_i32_e32 v149, 24, v25
	v_bfe_i32 v150, v25, 16, 8
	v_bfe_i32 v151, v25, 8, 8
	v_bfe_i32 v25, v25, 0, 8
	v_ashrrev_i32_e32 v152, 24, v23
	v_bfe_i32 v153, v23, 16, 8
	v_bfe_i32 v154, v23, 8, 8
	v_bfe_i32 v23, v23, 0, 8
	;; [unrolled: 4-line block ×3, first 2 shown]
	v_bfe_u32 v173, v90, 20, 4
	v_bfe_u32 v176, v90, 16, 4
	;; [unrolled: 1-line block ×11, first 2 shown]
	v_and_b32_e32 v209, 15, v93
	v_bfe_u32 v213, v93, 4, 4
	s_wait_dscnt 0x0
	v_bfe_u32 v229, v101, 24, 4
	v_and_b32_e32 v230, 0xf0f0f0f, v101
	v_lshrrev_b32_e32 v231, 4, v101
	v_lshrrev_b32_e32 v232, 28, v101
	v_bfe_u32 v233, v101, 16, 4
	v_and_b32_e32 v234, 15, v101
	v_bfe_u32 v235, v101, 20, 4
	v_bfe_u32 v101, v101, 4, 4
	;; [unrolled: 1-line block ×3, first 2 shown]
	v_and_b32_e32 v237, 0xf0f0f0f, v102
	v_lshrrev_b32_e32 v238, 4, v102
	v_lshrrev_b32_e32 v239, 28, v102
	v_bfe_u32 v240, v102, 16, 4
	v_and_b32_e32 v241, 15, v102
	v_bfe_u32 v242, v102, 20, 4
	v_bfe_u32 v102, v102, 4, 4
	v_mul_i32_i24_e32 v122, v27, v122
	v_mul_i32_i24_e32 v123, v148, v123
	;; [unrolled: 1-line block ×4, first 2 shown]
	v_lshrrev_b16 v99, 8, v99
	v_mul_i32_i24_e32 v175, v148, v175
	v_mul_i32_i24_e32 v203, v148, v203
	v_add3_u32 v22, v22, v26, v24
	v_add3_u32 v24, v28, v114, v29
	;; [unrolled: 1-line block ×4, first 2 shown]
	v_bfe_u32 v127, v30, 12, 4
	v_bfe_u32 v179, v90, 12, 4
	v_bfe_u32 v207, v92, 12, 4
	v_bfe_u32 v211, v93, 16, 4
	v_bfe_u32 v212, v93, 24, 4
	v_mul_i32_i24_e32 v124, v147, v124
	v_mul_i32_i24_e32 v125, v146, v125
	;; [unrolled: 1-line block ×19, first 2 shown]
	v_lshrrev_b16 v206, 8, v221
	v_lshrrev_b16 v208, 8, v223
	;; [unrolled: 1-line block ×3, first 2 shown]
	v_and_b32_e32 v99, 15, v99
	v_add3_u32 v24, v24, v123, v122
	v_add3_u32 v26, v26, v175, v174
	;; [unrolled: 1-line block ×3, first 2 shown]
	v_bfe_u32 v121, v30, 20, 4
	v_lshrrev_b32_e32 v30, 28, v30
	v_lshrrev_b32_e32 v90, 28, v90
	;; [unrolled: 1-line block ×3, first 2 shown]
	v_mul_i32_i24_e32 v127, v151, v127
	v_mul_i32_i24_e32 v27, v27, v234
	;; [unrolled: 1-line block ×4, first 2 shown]
	v_lshrrev_b16 v211, 8, v230
	v_lshrrev_b16 v212, 8, v231
	v_mul_i32_i24_e32 v179, v151, v179
	v_mul_i32_i24_e32 v207, v151, v207
	v_mad_i32_i24 v110, v218, v137, v215
	v_and_b32_e32 v137, 0xffff, v206
	v_and_b32_e32 v161, 15, v209
	;; [unrolled: 1-line block ×4, first 2 shown]
	v_add3_u32 v24, v24, v124, v125
	v_add3_u32 v26, v26, v176, v177
	;; [unrolled: 1-line block ×3, first 2 shown]
	v_and_b32_e32 v129, 15, v31
	v_bfe_u32 v130, v31, 8, 4
	v_and_b32_e32 v181, 15, v91
	v_bfe_u32 v182, v91, 8, 4
	v_bfe_u32 v210, v93, 8, 4
	v_mul_i32_i24_e32 v121, v150, v121
	v_mul_i32_i24_e32 v30, v149, v30
	;; [unrolled: 1-line block ×6, first 2 shown]
	v_lshrrev_b16 v213, 8, v237
	v_lshrrev_b16 v219, 8, v238
	v_and_b32_e32 v188, 15, v212
	v_and_b32_e32 v189, 0xffff, v211
	v_mul_i32_i24_e32 v112, v137, v135
	v_mul_i32_i24_e32 v113, v142, v163
	v_and_b32_e32 v97, 0xffff, v161
	v_mul_i32_i24_e32 v28, v99, v94
	v_add3_u32 v22, v22, v27, v25
	v_add3_u32 v24, v24, v126, v127
	;; [unrolled: 1-line block ×4, first 2 shown]
	v_bfe_u32 v128, v31, 20, 4
	v_bfe_u32 v131, v31, 16, 4
	;; [unrolled: 1-line block ×4, first 2 shown]
	v_lshrrev_b32_e32 v31, 28, v31
	v_bfe_u32 v183, v91, 16, 4
	v_bfe_u32 v184, v91, 24, 4
	;; [unrolled: 1-line block ×3, first 2 shown]
	v_lshrrev_b32_e32 v91, 28, v91
	v_bfe_u32 v214, v93, 12, 4
	v_lshrrev_b32_e32 v93, 28, v93
	v_mul_i32_i24_e32 v129, v23, v129
	v_mul_i32_i24_e32 v130, v154, v130
	;; [unrolled: 1-line block ×9, first 2 shown]
	v_and_b32_e32 v206, 15, v219
	v_and_b32_e32 v160, 0xffff, v213
	v_mul_i32_i24_e32 v107, v148, v189
	v_and_b32_e32 v108, 0xffff, v188
	v_add3_u32 v111, v111, v140, v143
	v_mul_i32_i24_e32 v29, v145, v97
	v_add3_u32 v27, v112, v28, v113
	v_add3_u32 v24, v24, v121, v30
	;; [unrolled: 1-line block ×4, first 2 shown]
	v_mul_i32_i24_e32 v131, v153, v131
	v_mul_i32_i24_e32 v132, v152, v132
	;; [unrolled: 1-line block ×12, first 2 shown]
	v_and_b32_e32 v115, 0xffff, v206
	v_add3_u32 v110, v110, v141, v144
	v_mul_i32_i24_e32 v94, v151, v108
	v_add3_u32 v96, v111, v146, v149
	v_add3_u32 v27, v27, v29, v107
	;; [unrolled: 1-line block ×5, first 2 shown]
	v_mul_i32_i24_e32 v128, v156, v128
	v_mul_i32_i24_e32 v134, v157, v134
	;; [unrolled: 1-line block ×8, first 2 shown]
	v_add3_u32 v26, v110, v147, v150
	v_add3_u32 v28, v96, v152, v155
	;; [unrolled: 1-line block ×6, first 2 shown]
	v_lshrrev_b32_e32 v158, 16, v103
	v_add3_u32 v26, v26, v153, v156
	v_add3_u32 v21, v22, v23, v21
	;; [unrolled: 1-line block ×6, first 2 shown]
	v_cvt_f32_f16_e64 v25, v158
	v_add3_u32 v21, v21, v26, v22
	v_add3_u32 v22, v23, v128, v31
	;; [unrolled: 1-line block ×4, first 2 shown]
	v_dual_mul_f32 v24, 0xc1000000, v25 :: v_dual_add_nc_u32 v87, 4, v87
	v_cvt_f32_i32_e32 v21, v21
	v_cvt_f32_i32_e32 v22, v22
	;; [unrolled: 1-line block ×4, first 2 shown]
	s_wait_alu 0xfffe
	s_cmp_lt_u32 s1, 12
	v_fma_mix_f32 v21, v103, v21, v24 op_sel_hi:[1,0,0]
	v_fma_mix_f32 v22, v103, v22, v24 op_sel_hi:[1,0,0]
	;; [unrolled: 1-line block ×4, first 2 shown]
	v_add_nc_u32_e32 v85, 4, v85
	s_delay_alu instid0(VALU_DEP_4) | instskip(NEXT) | instid1(VALU_DEP_4)
	v_dual_fmac_f32 v15, v89, v21 :: v_dual_fmac_f32 v34, v104, v22
	v_fmac_f32_e32 v60, v105, v23
	s_delay_alu instid0(VALU_DEP_4)
	v_fmac_f32_e32 v56, v106, v20
	s_cbranch_scc1 .LBB178_11
; %bb.12:                               ;   in Loop: Header=BB178_5 Depth=1
	s_bitset1_b32 s18, 7
	s_wait_loadcnt 0x0
	s_wait_alu 0xfffe
	s_cmp_ge_i32 s18, s5
	s_barrier_signal -1
	s_barrier_wait -1
	global_inv scope:SCOPE_SE
	s_cbranch_scc1 .LBB178_4
; %bb.13:                               ;   in Loop: Header=BB178_5 Depth=1
	v_add_nc_u32_e32 v20, s16, v66
	s_delay_alu instid0(VALU_DEP_1)
	v_cmp_gt_i32_e64 s1, s6, v20
	s_and_b32 s18, s0, s1
	s_wait_alu 0xfffe
	s_and_saveexec_b32 s1, s18
	s_cbranch_execz .LBB178_15
; %bb.14:                               ;   in Loop: Header=BB178_5 Depth=1
	v_add_nc_u32_e32 v20, v67, v20
	s_delay_alu instid0(VALU_DEP_1)
	v_mad_co_i64_i32 v[20:21], null, v20, 36, v[18:19]
	global_load_b32 v20, v[20:21], off offset:4
	s_wait_loadcnt 0x0
	ds_store_b32 v63, v20
.LBB178_15:                             ;   in Loop: Header=BB178_5 Depth=1
	s_wait_alu 0xfffe
	s_or_b32 exec_lo, exec_lo, s1
	s_and_saveexec_b32 s18, vcc_lo
	s_cbranch_execz .LBB178_18
; %bb.16:                               ;   in Loop: Header=BB178_5 Depth=1
	v_or_b32_e32 v20, 4, v81
	s_delay_alu instid0(VALU_DEP_1)
	v_cmp_gt_i32_e64 s1, s6, v20
	s_and_b32 s1, s0, s1
	s_wait_alu 0xfffe
	s_and_b32 exec_lo, exec_lo, s1
	s_cbranch_execz .LBB178_18
; %bb.17:                               ;   in Loop: Header=BB178_5 Depth=1
	v_ashrrev_i32_e32 v20, 31, v81
	v_add_co_u32 v21, s1, v67, v81
	s_wait_alu 0xf1ff
	s_delay_alu instid0(VALU_DEP_2) | instskip(NEXT) | instid1(VALU_DEP_2)
	v_add_co_ci_u32_e64 v22, null, v0, v20, s1
	v_mad_co_u64_u32 v[20:21], null, v21, 36, s[2:3]
	s_delay_alu instid0(VALU_DEP_1)
	v_mad_i32_i24 v21, v22, 36, v21
	global_load_b32 v20, v[20:21], off offset:144
	s_wait_loadcnt 0x0
	ds_store_b32 v64, v20
.LBB178_18:                             ;   in Loop: Header=BB178_5 Depth=1
	s_wait_alu 0xfffe
	s_or_b32 exec_lo, exec_lo, s18
	v_dual_mov_b32 v20, v62 :: v_dual_mov_b32 v21, v61
	v_dual_mov_b32 v22, v76 :: v_dual_mov_b32 v23, v75
	;; [unrolled: 1-line block ×3, first 2 shown]
	v_mov_b32_e32 v26, v72
	s_mov_b32 s1, 12
	s_wait_loadcnt_dscnt 0x0
	s_barrier_signal -1
	s_barrier_wait -1
	global_inv scope:SCOPE_SE
.LBB178_19:                             ;   Parent Loop BB178_5 Depth=1
                                        ; =>  This Inner Loop Header: Depth=2
	ds_load_2addr_b32 v[81:82], v21 offset1:3
	ds_load_2addr_b32 v[83:84], v21 offset0:4 offset1:7
	ds_load_2addr_b32 v[85:86], v21 offset0:1 offset1:2
	ds_load_b32 v27, v20
	ds_load_2addr_b32 v[87:88], v26 offset1:1
	ds_load_2addr_b32 v[89:90], v26 offset0:2 offset1:3
	ds_load_2addr_b32 v[91:92], v21 offset0:5 offset1:6
	ds_load_b32 v28, v22
	ds_load_b32 v29, v23
	;; [unrolled: 1-line block ×4, first 2 shown]
	v_add_nc_u32_e32 v93, 0x1080, v26
	v_add_nc_u32_e32 v95, 0x1088, v26
	;; [unrolled: 1-line block ×6, first 2 shown]
	ds_load_2addr_b32 v[93:94], v93 offset1:1
	ds_load_2addr_b32 v[95:96], v95 offset1:1
	;; [unrolled: 1-line block ×6, first 2 shown]
	v_add_nc_u32_e32 v23, 4, v23
	v_add_nc_u32_e32 v22, 4, v22
	;; [unrolled: 1-line block ×4, first 2 shown]
	s_wait_alu 0xfffe
	s_add_co_i32 s1, s1, 4
	s_wait_alu 0xfffe
	s_cmp_lt_u32 s1, 28
	s_wait_dscnt 0x10
	v_lshrrev_b16 v135, 8, v81
	v_ashrrev_i32_e32 v136, 24, v81
	v_bfe_i32 v137, v81, 16, 8
	s_wait_dscnt 0xc
	v_and_b32_e32 v108, 15, v87
	v_bfe_i32 v81, v81, 0, 8
	v_bfe_u32 v109, v87, 8, 4
	v_bfe_u32 v110, v87, 16, 4
	;; [unrolled: 1-line block ×3, first 2 shown]
	s_wait_dscnt 0x5
	v_and_b32_e32 v159, 15, v93
	v_bfe_u32 v161, v93, 16, 4
	v_bfe_u32 v162, v93, 24, 4
	s_wait_dscnt 0x3
	v_and_b32_e32 v187, 15, v97
	v_bfe_i32 v135, v135, 0, 8
	v_mul_i32_i24_e32 v108, v81, v108
	v_lshrrev_b16 v105, 8, v83
	v_bfe_u32 v112, v87, 4, 4
	v_ashrrev_i32_e32 v138, 24, v83
	v_bfe_i32 v139, v83, 16, 8
	v_bfe_i32 v83, v83, 0, 8
	v_bfe_u32 v160, v93, 8, 4
	v_bfe_u32 v163, v93, 4, 4
	v_bfe_u32 v188, v97, 8, 4
	v_bfe_u32 v189, v97, 16, 4
	v_bfe_u32 v190, v97, 24, 4
	v_bfe_u32 v191, v97, 4, 4
	s_wait_dscnt 0x1
	v_bfe_u32 v214, v101, 24, 4
	v_and_b32_e32 v215, 0xf0f0f0f, v101
	v_lshrrev_b32_e32 v216, 4, v101
	v_lshrrev_b32_e32 v217, 28, v101
	v_mul_i32_i24_e32 v110, v137, v110
	v_mul_i32_i24_e32 v111, v136, v111
	v_bfe_u32 v218, v101, 16, 4
	v_and_b32_e32 v219, 15, v101
	v_bfe_u32 v220, v101, 20, 4
	v_bfe_u32 v101, v101, 4, 4
	v_mad_i32_i24 v108, v135, v109, v108
	v_mul_i32_i24_e32 v109, v81, v159
	v_mul_i32_i24_e32 v159, v137, v161
	;; [unrolled: 1-line block ×4, first 2 shown]
	v_bfe_u32 v113, v87, 12, 4
	v_bfe_u32 v164, v93, 12, 4
	;; [unrolled: 1-line block ×3, first 2 shown]
	v_bfe_i32 v105, v105, 0, 8
	v_mul_i32_i24_e32 v112, v83, v112
	v_mul_i32_i24_e32 v187, v137, v189
	;; [unrolled: 1-line block ×7, first 2 shown]
	v_add3_u32 v108, v108, v110, v111
	v_mad_i32_i24 v109, v135, v160, v109
	v_mad_i32_i24 v110, v135, v188, v162
	v_bfe_u32 v107, v87, 20, 4
	v_lshrrev_b32_e32 v87, 28, v87
	v_bfe_u32 v158, v93, 20, 4
	v_lshrrev_b32_e32 v93, 28, v93
	;; [unrolled: 2-line block ×3, first 2 shown]
	v_mul_i32_i24_e32 v113, v105, v113
	v_mul_i32_i24_e32 v164, v105, v164
	;; [unrolled: 1-line block ×3, first 2 shown]
	v_mad_i32_i24 v81, v219, v81, v83
	v_mad_i32_i24 v83, v218, v137, v101
	v_add3_u32 v101, v109, v159, v161
	v_add3_u32 v109, v110, v187, v189
	v_and_b32_e32 v115, 15, v88
	v_bfe_u32 v116, v88, 8, 4
	v_ashrrev_i32_e32 v140, 24, v85
	v_bfe_i32 v141, v85, 16, 8
	v_bfe_i32 v142, v85, 8, 8
	;; [unrolled: 1-line block ×3, first 2 shown]
	v_and_b32_e32 v166, 15, v94
	v_bfe_u32 v167, v94, 8, 4
	v_and_b32_e32 v194, 15, v98
	v_bfe_u32 v195, v98, 8, 4
	v_mul_i32_i24_e32 v107, v139, v107
	v_mul_i32_i24_e32 v87, v138, v87
	;; [unrolled: 1-line block ×6, first 2 shown]
	v_add3_u32 v108, v108, v113, v112
	v_add3_u32 v101, v101, v164, v163
	;; [unrolled: 1-line block ×3, first 2 shown]
	v_bfe_u32 v117, v88, 16, 4
	v_bfe_u32 v118, v88, 24, 4
	;; [unrolled: 1-line block ×6, first 2 shown]
	v_mul_i32_i24_e32 v115, v85, v115
	v_mul_i32_i24_e32 v116, v142, v116
	;; [unrolled: 1-line block ×6, first 2 shown]
	v_add3_u32 v87, v108, v107, v87
	v_add3_u32 v93, v101, v158, v93
	;; [unrolled: 1-line block ×3, first 2 shown]
	v_bfe_u32 v119, v88, 4, 4
	v_bfe_u32 v120, v88, 12, 4
	v_ashrrev_i32_e32 v143, 24, v91
	v_bfe_i32 v144, v91, 16, 8
	v_bfe_i32 v145, v91, 8, 8
	;; [unrolled: 1-line block ×3, first 2 shown]
	v_bfe_u32 v170, v94, 4, 4
	v_bfe_u32 v171, v94, 12, 4
	;; [unrolled: 1-line block ×4, first 2 shown]
	v_mul_i32_i24_e32 v117, v141, v117
	v_mul_i32_i24_e32 v118, v140, v118
	v_mul_i32_i24_e32 v168, v141, v168
	v_mul_i32_i24_e32 v169, v140, v169
	v_mul_i32_i24_e32 v196, v141, v196
	v_mul_i32_i24_e32 v197, v140, v197
	v_add3_u32 v87, v87, v116, v115
	v_add3_u32 v93, v93, v167, v166
	;; [unrolled: 1-line block ×3, first 2 shown]
	v_bfe_u32 v114, v88, 20, 4
	v_lshrrev_b32_e32 v88, 28, v88
	v_bfe_u32 v165, v94, 20, 4
	v_lshrrev_b32_e32 v94, 28, v94
	;; [unrolled: 2-line block ×3, first 2 shown]
	v_bfe_u32 v221, v102, 24, 4
	v_and_b32_e32 v222, 0xf0f0f0f, v102
	v_lshrrev_b32_e32 v223, 4, v102
	v_lshrrev_b32_e32 v224, 28, v102
	v_bfe_u32 v225, v102, 16, 4
	v_and_b32_e32 v226, 15, v102
	v_mul_i32_i24_e32 v119, v91, v119
	v_mul_i32_i24_e32 v120, v145, v120
	v_bfe_u32 v227, v102, 20, 4
	v_bfe_u32 v102, v102, 4, 4
	v_mul_i32_i24_e32 v170, v91, v170
	v_mul_i32_i24_e32 v171, v145, v171
	;; [unrolled: 1-line block ×4, first 2 shown]
	v_add3_u32 v87, v87, v117, v118
	v_add3_u32 v93, v93, v168, v169
	;; [unrolled: 1-line block ×3, first 2 shown]
	v_and_b32_e32 v122, 15, v89
	v_bfe_u32 v123, v89, 8, 4
	v_ashrrev_i32_e32 v146, 24, v86
	v_bfe_i32 v147, v86, 16, 8
	v_bfe_i32 v148, v86, 8, 8
	;; [unrolled: 1-line block ×3, first 2 shown]
	v_and_b32_e32 v173, 15, v95
	v_bfe_u32 v174, v95, 8, 4
	v_and_b32_e32 v201, 15, v99
	v_bfe_u32 v202, v99, 8, 4
	v_mul_i32_i24_e32 v114, v144, v114
	v_mul_i32_i24_e32 v88, v143, v88
	;; [unrolled: 1-line block ×8, first 2 shown]
	v_add3_u32 v87, v87, v119, v120
	v_add3_u32 v93, v93, v170, v171
	;; [unrolled: 1-line block ×3, first 2 shown]
	v_bfe_u32 v124, v89, 16, 4
	v_bfe_u32 v125, v89, 24, 4
	;; [unrolled: 1-line block ×4, first 2 shown]
	v_ashrrev_i32_e32 v155, 24, v84
	v_bfe_i32 v156, v84, 16, 8
	v_bfe_i32 v157, v84, 8, 8
	v_bfe_i32 v84, v84, 0, 8
	v_bfe_u32 v175, v95, 16, 4
	v_bfe_u32 v176, v95, 24, 4
	;; [unrolled: 1-line block ×8, first 2 shown]
	v_mul_i32_i24_e32 v122, v86, v122
	v_mul_i32_i24_e32 v123, v148, v123
	s_wait_dscnt 0x0
	v_bfe_u32 v235, v104, 24, 4
	v_and_b32_e32 v236, 0xf0f0f0f, v104
	v_lshrrev_b32_e32 v237, 4, v104
	v_lshrrev_b32_e32 v238, 28, v104
	v_bfe_u32 v239, v104, 16, 4
	v_and_b32_e32 v240, 15, v104
	v_bfe_u32 v241, v104, 20, 4
	v_bfe_u32 v104, v104, 4, 4
	v_lshrrev_b16 v216, 8, v216
	v_mul_i32_i24_e32 v173, v86, v173
	v_mul_i32_i24_e32 v174, v148, v174
	v_mul_i32_i24_e32 v201, v86, v201
	v_mul_i32_i24_e32 v202, v148, v202
	v_add3_u32 v81, v81, v85, v91
	v_add3_u32 v85, v87, v114, v88
	;; [unrolled: 1-line block ×4, first 2 shown]
	v_bfe_u32 v126, v89, 4, 4
	v_bfe_u32 v127, v89, 12, 4
	v_ashrrev_i32_e32 v149, 24, v92
	v_bfe_i32 v150, v92, 16, 8
	v_bfe_i32 v151, v92, 8, 8
	;; [unrolled: 1-line block ×3, first 2 shown]
	v_bfe_u32 v177, v95, 4, 4
	v_bfe_u32 v178, v95, 12, 4
	v_bfe_u32 v205, v99, 4, 4
	v_bfe_u32 v206, v99, 12, 4
	v_bfe_u32 v228, v103, 24, 4
	v_and_b32_e32 v229, 0xf0f0f0f, v103
	v_lshrrev_b32_e32 v230, 4, v103
	v_lshrrev_b32_e32 v231, 28, v103
	v_mul_i32_i24_e32 v124, v147, v124
	v_mul_i32_i24_e32 v125, v146, v125
	v_bfe_u32 v232, v103, 16, 4
	v_and_b32_e32 v233, 15, v103
	v_bfe_u32 v234, v103, 20, 4
	v_bfe_u32 v103, v103, 4, 4
	v_mul_i32_i24_e32 v133, v84, v133
	v_mul_i32_i24_e32 v128, v156, v128
	v_lshrrev_b16 v215, 8, v215
	v_lshrrev_b16 v139, 8, v222
	;; [unrolled: 1-line block ×3, first 2 shown]
	v_mul_i32_i24_e32 v175, v147, v175
	v_mul_i32_i24_e32 v176, v146, v176
	;; [unrolled: 1-line block ×10, first 2 shown]
	v_and_b32_e32 v156, 15, v216
	v_add3_u32 v85, v85, v123, v122
	v_add3_u32 v87, v87, v174, v173
	;; [unrolled: 1-line block ×3, first 2 shown]
	v_bfe_u32 v121, v89, 20, 4
	v_lshrrev_b32_e32 v89, 28, v89
	v_bfe_u32 v172, v95, 20, 4
	v_lshrrev_b32_e32 v95, 28, v95
	;; [unrolled: 2-line block ×3, first 2 shown]
	v_mul_i32_i24_e32 v126, v92, v126
	v_mul_i32_i24_e32 v127, v151, v127
	;; [unrolled: 1-line block ×4, first 2 shown]
	v_lshrrev_b16 v144, 8, v229
	v_lshrrev_b16 v217, 8, v230
	v_mul_i32_i24_e32 v86, v86, v233
	v_mul_i32_i24_e32 v177, v92, v177
	;; [unrolled: 1-line block ×6, first 2 shown]
	v_and_b32_e32 v111, 0xffff, v215
	v_and_b32_e32 v160, 15, v192
	;; [unrolled: 1-line block ×4, first 2 shown]
	v_add3_u32 v85, v85, v124, v125
	v_add3_u32 v87, v87, v175, v176
	;; [unrolled: 1-line block ×3, first 2 shown]
	v_and_b32_e32 v129, 15, v90
	v_bfe_u32 v130, v90, 8, 4
	v_ashrrev_i32_e32 v152, 24, v82
	v_bfe_i32 v153, v82, 16, 8
	v_bfe_i32 v154, v82, 8, 8
	;; [unrolled: 1-line block ×3, first 2 shown]
	v_and_b32_e32 v180, 15, v96
	v_bfe_u32 v181, v96, 8, 4
	v_and_b32_e32 v208, 15, v100
	v_bfe_u32 v209, v100, 8, 4
	v_mul_i32_i24_e32 v121, v150, v121
	v_mul_i32_i24_e32 v89, v149, v89
	;; [unrolled: 1-line block ×9, first 2 shown]
	v_lshrrev_b16 v150, 8, v236
	v_lshrrev_b16 v220, 8, v237
	v_and_b32_e32 v162, 15, v217
	v_and_b32_e32 v144, 0xffff, v144
	v_mad_i32_i24 v110, v214, v136, v138
	v_mul_i32_i24_e32 v111, v111, v135
	v_mul_i32_i24_e32 v113, v142, v139
	v_and_b32_e32 v101, 0xffff, v160
	v_mul_i32_i24_e32 v91, v112, v105
	v_add3_u32 v81, v81, v86, v92
	v_add3_u32 v85, v85, v126, v127
	;; [unrolled: 1-line block ×4, first 2 shown]
	v_bfe_u32 v131, v90, 16, 4
	v_bfe_u32 v132, v90, 24, 4
	v_bfe_u32 v134, v90, 12, 4
	v_lshrrev_b32_e32 v90, 28, v90
	v_bfe_u32 v182, v96, 16, 4
	v_bfe_u32 v183, v96, 24, 4
	v_bfe_u32 v185, v96, 12, 4
	v_lshrrev_b32_e32 v96, 28, v96
	;; [unrolled: 4-line block ×3, first 2 shown]
	v_mul_i32_i24_e32 v129, v82, v129
	v_mul_i32_i24_e32 v130, v154, v130
	;; [unrolled: 1-line block ×9, first 2 shown]
	v_and_b32_e32 v188, 15, v220
	v_and_b32_e32 v150, 0xffff, v150
	v_mul_i32_i24_e32 v107, v148, v144
	v_and_b32_e32 v108, 0xffff, v162
	v_add3_u32 v110, v110, v140, v143
	v_mul_i32_i24_e32 v93, v145, v101
	v_add3_u32 v88, v111, v91, v113
	v_add3_u32 v85, v85, v121, v89
	;; [unrolled: 1-line block ×4, first 2 shown]
	v_mul_i32_i24_e32 v131, v153, v131
	v_mul_i32_i24_e32 v132, v152, v132
	;; [unrolled: 1-line block ×13, first 2 shown]
	v_and_b32_e32 v115, 0xffff, v188
	v_add3_u32 v83, v83, v141, v102
	v_mul_i32_i24_e32 v94, v151, v108
	v_add3_u32 v98, v110, v146, v149
	v_add3_u32 v88, v88, v93, v107
	;; [unrolled: 1-line block ×5, first 2 shown]
	v_mul_i32_i24_e32 v134, v157, v134
	v_mul_i32_i24_e32 v82, v82, v240
	v_mul_i32_i24_e32 v153, v153, v239
	v_mul_i32_i24_e32 v185, v157, v185
	v_mul_i32_i24_e32 v213, v157, v213
	v_mul_i32_i24_e32 v97, v157, v115
	v_add3_u32 v83, v83, v147, v103
	v_add3_u32 v89, v98, v152, v155
	;; [unrolled: 1-line block ×6, first 2 shown]
	v_lshrrev_b32_e32 v106, 16, v27
	v_add3_u32 v83, v83, v153, v104
	v_add3_u32 v81, v81, v82, v84
	;; [unrolled: 1-line block ×6, first 2 shown]
	v_cvt_f32_f16_e32 v87, v106
	v_add3_u32 v81, v81, v83, v82
	v_add3_u32 v82, v84, v128, v90
	;; [unrolled: 1-line block ×4, first 2 shown]
	v_dual_mul_f32 v85, 0xc1000000, v87 :: v_dual_add_nc_u32 v26, 16, v26
	v_cvt_f32_i32_e32 v81, v81
	v_cvt_f32_i32_e32 v82, v82
	;; [unrolled: 1-line block ×4, first 2 shown]
	s_delay_alu instid0(VALU_DEP_4) | instskip(NEXT) | instid1(VALU_DEP_4)
	v_fma_mix_f32 v81, v27, v81, v85 op_sel_hi:[1,0,0]
	v_fma_mix_f32 v82, v27, v82, v85 op_sel_hi:[1,0,0]
	s_delay_alu instid0(VALU_DEP_4) | instskip(NEXT) | instid1(VALU_DEP_4)
	v_fma_mix_f32 v83, v27, v83, v85 op_sel_hi:[1,0,0]
	v_fma_mix_f32 v27, v27, v84, v85 op_sel_hi:[1,0,0]
	v_add_nc_u32_e32 v25, 4, v25
	v_dual_fmac_f32 v15, v31, v81 :: v_dual_add_nc_u32 v24, 4, v24
	v_fmac_f32_e32 v34, v28, v82
	v_fmac_f32_e32 v60, v29, v83
	;; [unrolled: 1-line block ×3, first 2 shown]
	s_cbranch_scc1 .LBB178_19
; %bb.20:                               ;   in Loop: Header=BB178_5 Depth=1
	s_wait_loadcnt 0x0
	s_barrier_signal -1
	s_barrier_wait -1
	global_inv scope:SCOPE_SE
	s_branch .LBB178_4
.LBB178_21:
	s_mul_i32 s0, s10, s7
	s_wait_loadcnt 0x0
	s_wait_alu 0xfffe
	v_cmp_gt_i32_e32 vcc_lo, s0, v32
	s_and_saveexec_b32 s0, vcc_lo
	s_cbranch_execz .LBB178_30
; %bb.22:
	v_mul_lo_u32 v0, v32, s9
	v_add_nc_u32_e32 v1, s11, v33
	s_mov_b32 s0, exec_lo
	s_delay_alu instid0(VALU_DEP_1)
	v_cmpx_gt_u32_e64 s9, v1
	s_cbranch_execz .LBB178_24
; %bb.23:
	s_delay_alu instid0(VALU_DEP_3) | instskip(NEXT) | instid1(VALU_DEP_1)
	v_dual_mov_b32 v3, 0 :: v_dual_add_nc_u32 v2, v0, v1
	v_lshlrev_b64_e32 v[2:3], 2, v[2:3]
	s_delay_alu instid0(VALU_DEP_1) | instskip(SKIP_1) | instid1(VALU_DEP_2)
	v_add_co_u32 v2, vcc_lo, s12, v2
	s_wait_alu 0xfffd
	v_add_co_ci_u32_e64 v3, null, s13, v3, vcc_lo
	global_store_b32 v[2:3], v34, off
.LBB178_24:
	s_wait_alu 0xfffe
	s_or_b32 exec_lo, exec_lo, s0
	v_add_nc_u32_e32 v2, 32, v1
	s_mov_b32 s0, exec_lo
	s_delay_alu instid0(VALU_DEP_1)
	v_cmpx_gt_u32_e64 s9, v2
	s_cbranch_execz .LBB178_26
; %bb.25:
	v_dual_mov_b32 v3, 0 :: v_dual_add_nc_u32 v2, v0, v2
	s_delay_alu instid0(VALU_DEP_1) | instskip(NEXT) | instid1(VALU_DEP_1)
	v_lshlrev_b64_e32 v[2:3], 2, v[2:3]
	v_add_co_u32 v2, vcc_lo, s12, v2
	s_wait_alu 0xfffd
	s_delay_alu instid0(VALU_DEP_2)
	v_add_co_ci_u32_e64 v3, null, s13, v3, vcc_lo
	global_store_b32 v[2:3], v60, off
.LBB178_26:
	s_wait_alu 0xfffe
	s_or_b32 exec_lo, exec_lo, s0
	v_add_nc_u32_e32 v2, 64, v1
	s_mov_b32 s0, exec_lo
	s_delay_alu instid0(VALU_DEP_1)
	v_cmpx_gt_u32_e64 s9, v2
	s_cbranch_execz .LBB178_28
; %bb.27:
	v_dual_mov_b32 v3, 0 :: v_dual_add_nc_u32 v2, v0, v2
	s_delay_alu instid0(VALU_DEP_1) | instskip(NEXT) | instid1(VALU_DEP_1)
	v_lshlrev_b64_e32 v[2:3], 2, v[2:3]
	v_add_co_u32 v2, vcc_lo, s12, v2
	s_wait_alu 0xfffd
	s_delay_alu instid0(VALU_DEP_2)
	v_add_co_ci_u32_e64 v3, null, s13, v3, vcc_lo
	global_store_b32 v[2:3], v56, off
.LBB178_28:
	s_wait_alu 0xfffe
	s_or_b32 exec_lo, exec_lo, s0
	v_add_nc_u32_e32 v1, 0x60, v1
	s_delay_alu instid0(VALU_DEP_1)
	v_cmp_gt_u32_e32 vcc_lo, s9, v1
	s_and_b32 exec_lo, exec_lo, vcc_lo
	s_cbranch_execz .LBB178_30
; %bb.29:
	v_dual_mov_b32 v1, 0 :: v_dual_add_nc_u32 v0, v0, v1
	s_delay_alu instid0(VALU_DEP_1) | instskip(NEXT) | instid1(VALU_DEP_1)
	v_lshlrev_b64_e32 v[0:1], 2, v[0:1]
	v_add_co_u32 v0, vcc_lo, s12, v0
	s_wait_alu 0xfffd
	s_delay_alu instid0(VALU_DEP_2)
	v_add_co_ci_u32_e64 v1, null, s13, v1, vcc_lo
	global_store_b32 v[0:1], v15, off
.LBB178_30:
	s_nop 0
	s_sendmsg sendmsg(MSG_DEALLOC_VGPRS)
	s_endpgm
	.section	.rodata,"a",@progbits
	.p2align	6, 0x0
	.amdhsa_kernel _ZL8moe_q4_0IfLb1EEvPKvS1_PT_PKiS5_S5_iiiiiii
		.amdhsa_group_segment_fixed_size 22272
		.amdhsa_private_segment_fixed_size 0
		.amdhsa_kernarg_size 76
		.amdhsa_user_sgpr_count 2
		.amdhsa_user_sgpr_dispatch_ptr 0
		.amdhsa_user_sgpr_queue_ptr 0
		.amdhsa_user_sgpr_kernarg_segment_ptr 1
		.amdhsa_user_sgpr_dispatch_id 0
		.amdhsa_user_sgpr_private_segment_size 0
		.amdhsa_wavefront_size32 1
		.amdhsa_uses_dynamic_stack 0
		.amdhsa_enable_private_segment 0
		.amdhsa_system_sgpr_workgroup_id_x 1
		.amdhsa_system_sgpr_workgroup_id_y 1
		.amdhsa_system_sgpr_workgroup_id_z 0
		.amdhsa_system_sgpr_workgroup_info 0
		.amdhsa_system_vgpr_workitem_id 1
		.amdhsa_next_free_vgpr 243
		.amdhsa_next_free_sgpr 21
		.amdhsa_reserve_vcc 1
		.amdhsa_float_round_mode_32 0
		.amdhsa_float_round_mode_16_64 0
		.amdhsa_float_denorm_mode_32 3
		.amdhsa_float_denorm_mode_16_64 3
		.amdhsa_fp16_overflow 0
		.amdhsa_workgroup_processor_mode 1
		.amdhsa_memory_ordered 1
		.amdhsa_forward_progress 1
		.amdhsa_inst_pref_size 68
		.amdhsa_round_robin_scheduling 0
		.amdhsa_exception_fp_ieee_invalid_op 0
		.amdhsa_exception_fp_denorm_src 0
		.amdhsa_exception_fp_ieee_div_zero 0
		.amdhsa_exception_fp_ieee_overflow 0
		.amdhsa_exception_fp_ieee_underflow 0
		.amdhsa_exception_fp_ieee_inexact 0
		.amdhsa_exception_int_div_zero 0
	.end_amdhsa_kernel
	.section	.text._ZL8moe_q4_0IfLb1EEvPKvS1_PT_PKiS5_S5_iiiiiii,"axG",@progbits,_ZL8moe_q4_0IfLb1EEvPKvS1_PT_PKiS5_S5_iiiiiii,comdat
.Lfunc_end178:
	.size	_ZL8moe_q4_0IfLb1EEvPKvS1_PT_PKiS5_S5_iiiiiii, .Lfunc_end178-_ZL8moe_q4_0IfLb1EEvPKvS1_PT_PKiS5_S5_iiiiiii
                                        ; -- End function
	.set _ZL8moe_q4_0IfLb1EEvPKvS1_PT_PKiS5_S5_iiiiiii.num_vgpr, 243
	.set _ZL8moe_q4_0IfLb1EEvPKvS1_PT_PKiS5_S5_iiiiiii.num_agpr, 0
	.set _ZL8moe_q4_0IfLb1EEvPKvS1_PT_PKiS5_S5_iiiiiii.numbered_sgpr, 21
	.set _ZL8moe_q4_0IfLb1EEvPKvS1_PT_PKiS5_S5_iiiiiii.num_named_barrier, 0
	.set _ZL8moe_q4_0IfLb1EEvPKvS1_PT_PKiS5_S5_iiiiiii.private_seg_size, 0
	.set _ZL8moe_q4_0IfLb1EEvPKvS1_PT_PKiS5_S5_iiiiiii.uses_vcc, 1
	.set _ZL8moe_q4_0IfLb1EEvPKvS1_PT_PKiS5_S5_iiiiiii.uses_flat_scratch, 0
	.set _ZL8moe_q4_0IfLb1EEvPKvS1_PT_PKiS5_S5_iiiiiii.has_dyn_sized_stack, 0
	.set _ZL8moe_q4_0IfLb1EEvPKvS1_PT_PKiS5_S5_iiiiiii.has_recursion, 0
	.set _ZL8moe_q4_0IfLb1EEvPKvS1_PT_PKiS5_S5_iiiiiii.has_indirect_call, 0
	.section	.AMDGPU.csdata,"",@progbits
; Kernel info:
; codeLenInByte = 8672
; TotalNumSgprs: 23
; NumVgprs: 243
; ScratchSize: 0
; MemoryBound: 0
; FloatMode: 240
; IeeeMode: 1
; LDSByteSize: 22272 bytes/workgroup (compile time only)
; SGPRBlocks: 0
; VGPRBlocks: 30
; NumSGPRsForWavesPerEU: 23
; NumVGPRsForWavesPerEU: 243
; Occupancy: 5
; WaveLimiterHint : 1
; COMPUTE_PGM_RSRC2:SCRATCH_EN: 0
; COMPUTE_PGM_RSRC2:USER_SGPR: 2
; COMPUTE_PGM_RSRC2:TRAP_HANDLER: 0
; COMPUTE_PGM_RSRC2:TGID_X_EN: 1
; COMPUTE_PGM_RSRC2:TGID_Y_EN: 1
; COMPUTE_PGM_RSRC2:TGID_Z_EN: 0
; COMPUTE_PGM_RSRC2:TIDIG_COMP_CNT: 1
	.section	.text._ZL8moe_q4_1IfLb0EEvPKvS1_PT_PKiS5_S5_iiiiiii,"axG",@progbits,_ZL8moe_q4_1IfLb0EEvPKvS1_PT_PKiS5_S5_iiiiiii,comdat
	.globl	_ZL8moe_q4_1IfLb0EEvPKvS1_PT_PKiS5_S5_iiiiiii ; -- Begin function _ZL8moe_q4_1IfLb0EEvPKvS1_PT_PKiS5_S5_iiiiiii
	.p2align	8
	.type	_ZL8moe_q4_1IfLb0EEvPKvS1_PT_PKiS5_S5_iiiiiii,@function
_ZL8moe_q4_1IfLb0EEvPKvS1_PT_PKiS5_S5_iiiiiii: ; @_ZL8moe_q4_1IfLb0EEvPKvS1_PT_PKiS5_S5_iiiiiii
; %bb.0:
	s_load_b128 s[4:7], s[0:1], 0x18
	s_mov_b32 s2, ttmp7
	s_mov_b32 s3, 0
	s_delay_alu instid0(SALU_CYCLE_1)
	s_lshl_b64 s[2:3], s[2:3], 2
	s_wait_kmcnt 0x0
	s_add_nc_u64 s[2:3], s[6:7], s[2:3]
	s_load_b32 s12, s[2:3], 0x0
	s_wait_kmcnt 0x0
	s_cmp_gt_u32 s12, 0xff
	s_cbranch_scc1 .LBB179_30
; %bb.1:
	s_load_b64 s[2:3], s[0:1], 0x28
	s_wait_kmcnt 0x0
	s_load_b32 s3, s[2:3], 0x0
	s_lshl_b32 s2, ttmp7, 3
	s_wait_kmcnt 0x0
	s_cmp_gt_u32 s2, s3
	s_cbranch_scc1 .LBB179_30
; %bb.2:
	v_bfe_u32 v3, v0, 10, 10
	v_mov_b32_e32 v2, 0
	s_lshl_b32 s18, ttmp9, 7
	s_delay_alu instid0(VALU_DEP_2) | instskip(NEXT) | instid1(VALU_DEP_2)
	v_add_nc_u32_e32 v1, s2, v3
	v_dual_mov_b32 v49, v2 :: v_dual_and_b32 v16, 0x3ff, v0
	v_dual_mov_b32 v56, v2 :: v_dual_mov_b32 v17, v2
	s_delay_alu instid0(VALU_DEP_3) | instskip(NEXT) | instid1(VALU_DEP_1)
	v_lshlrev_b64_e32 v[4:5], 2, v[1:2]
	v_add_co_u32 v4, vcc_lo, s4, v4
	s_delay_alu instid0(VALU_DEP_1)
	v_add_co_ci_u32_e64 v5, null, s5, v5, vcc_lo
	global_load_b32 v15, v[4:5], off
	s_clause 0x2
	s_load_b64 s[10:11], s[0:1], 0x30
	s_load_b64 s[8:9], s[0:1], 0x10
	s_load_b128 s[4:7], s[0:1], 0x3c
	s_wait_kmcnt 0x0
	s_cmp_lt_i32 s11, 32
	s_cbranch_scc1 .LBB179_21
; %bb.3:
	s_abs_i32 s17, s7
	s_wait_loadcnt 0x0
	v_sub_nc_u32_e32 v2, 0, v15
	s_cvt_f32_u32 s19, s17
	s_sub_co_i32 s20, 0, s17
	v_bfe_u32 v21, v0, 3, 7
	s_ashr_i32 s13, s11, 31
	v_rcp_iflag_f32_e32 v6, s19
	v_max_i32_e32 v2, v15, v2
	s_lshr_b32 s13, s13, 27
	v_lshl_add_u32 v4, v3, 2, v21
	s_add_co_i32 s15, s11, s13
	s_load_b128 s[0:3], s[0:1], 0x0
	s_mul_i32 s12, s12, s10
	s_ashr_i32 s10, s15, 5
	v_dual_mov_b32 v17, 0 :: v_dual_and_b32 v20, 7, v0
	s_delay_alu instid0(TRANS32_DEP_1)
	v_readfirstlane_b32 s19, v6
	v_mul_lo_u32 v44, s10, v4
	v_and_b32_e32 v6, 0x1ffc, v4
	v_lshlrev_b32_e32 v7, 5, v4
	v_add_nc_u32_e32 v8, 32, v4
	s_mul_f32 s19, s19, 0x4f7ffffe
	v_add_nc_u32_e32 v9, 64, v4
	v_add_nc_u32_e32 v4, 0x60, v4
	v_xor_b32_e32 v49, s7, v15
	s_wait_alu 0xfffe
	s_cvt_u32_f32 s19, s19
	v_and_b32_e32 v11, 0x3ffc, v8
	v_and_b32_e32 v13, 0x3ffc, v9
	s_ashr_i32 s14, s5, 31
	s_wait_alu 0xfffe
	s_mul_i32 s20, s20, s19
	v_ashrrev_i32_e32 v49, 31, v49
	s_mul_hi_u32 s20, s19, s20
	v_lshl_add_u32 v57, v3, 7, 0x5280
	s_add_co_i32 s19, s19, s20
	v_lshl_add_u32 v58, v3, 4, 0x5680
	s_wait_alu 0xfffe
	v_mul_hi_u32 v10, v2, s19
	v_mul_lo_u32 v19, s10, v3
	s_lshr_b32 s14, s14, 27
	s_ashr_i32 s13, s12, 31
	s_add_co_i32 s5, s5, s14
	s_mul_i32 s14, s10, s18
	s_and_b32 s21, s15, 0xffffffe0
	s_ashr_i32 s15, s14, 31
	v_mul_lo_u32 v12, v10, s17
	s_lshl_b32 s16, s10, 3
	s_wait_alu 0xfffe
	s_ashr_i32 s5, s5, 5
	s_mul_u64 s[14:15], s[14:15], 20
	s_wait_kmcnt 0x0
	s_add_nc_u64 s[0:1], s[0:1], s[12:13]
	v_add_nc_u32_e32 v22, s16, v19
	s_add_nc_u64 s[12:13], s[0:1], s[14:15]
	v_bfe_u32 v18, v0, 2, 8
	v_sub_nc_u32_e32 v2, v2, v12
	v_add_nc_u32_e32 v12, 1, v10
	v_add_nc_u32_e32 v50, s21, v44
	v_lshlrev_b32_e32 v8, 5, v8
	v_lshlrev_b32_e32 v9, 5, v9
	v_subrev_nc_u32_e32 v14, s17, v2
	v_cmp_le_u32_e32 vcc_lo, s17, v2
	v_lshlrev_b32_e32 v1, 2, v16
	v_add_nc_u32_e32 v53, s21, v50
	v_mul_u32_u24_e32 v61, 0x84, v16
	v_mad_u32_u24 v69, 0x84, v16, 64
	s_wait_alu 0xfffd
	v_cndmask_b32_e32 v2, v2, v14, vcc_lo
	v_mad_u32_u24 v25, 0x84, v3, v1
	v_and_b32_e32 v24, 12, v1
	v_dual_cndmask_b32 v10, v10, v12 :: v_dual_and_b32 v3, 28, v1
	s_delay_alu instid0(VALU_DEP_4) | instskip(NEXT) | instid1(VALU_DEP_4)
	v_cmp_le_u32_e32 vcc_lo, s17, v2
	v_add_nc_u32_e32 v31, 0x18c0, v25
	v_and_b32_e32 v12, 0x3ffc, v4
	v_add_nc_u32_e32 v60, v58, v1
	v_add_nc_u32_e32 v14, 1, v10
	v_lshlrev_b32_e32 v5, 2, v20
	v_add_nc_u32_e32 v1, 32, v16
	v_lshlrev_b32_e32 v4, 5, v4
	v_add_nc_u32_e32 v28, 0x1080, v25
	s_wait_alu 0xfffd
	v_cndmask_b32_e32 v2, v10, v14, vcc_lo
	v_add3_u32 v6, v6, v5, 0x4200
	v_add3_u32 v11, v11, v5, 0x4200
	;; [unrolled: 1-line block ×4, first 2 shown]
	v_and_b32_e32 v12, 31, v0
	v_xor_b32_e32 v2, v2, v49
	v_add_nc_u32_e32 v10, 64, v16
	v_and_b32_e32 v14, 0x1fc, v1
	v_cmp_gt_u32_e32 vcc_lo, 4, v16
	v_lshl_or_b32 v59, v12, 2, v57
	v_sub_nc_u32_e32 v2, v2, v49
	v_add_nc_u32_e32 v12, 0x60, v16
	v_and_b32_e32 v10, 0x1fc, v10
	v_and_b32_e32 v49, 0xfc, v0
	v_add_co_u32 v0, s1, s2, v3
	v_cmp_gt_i32_e64 s0, s4, v2
	s_wait_alu 0xfffe
	v_mul_lo_u32 v63, v2, s5
	v_lshlrev_b32_e32 v2, 5, v16
	v_and_b32_e32 v12, 0x1fc, v12
	v_mov_b32_e32 v56, 0
	v_add_nc_u32_e32 v30, 0x14a0, v25
	v_add_nc_u32_e32 v32, 0x1ce0, v25
	;; [unrolled: 1-line block ×5, first 2 shown]
	v_dual_mov_b32 v49, 0 :: v_dual_add_nc_u32 v2, v2, v49
	v_add_nc_u32_e32 v23, s16, v22
	v_add_nc_u32_e32 v33, 0x2100, v25
	;; [unrolled: 1-line block ×3, first 2 shown]
	s_delay_alu instid0(VALU_DEP_4)
	v_add_nc_u32_e32 v68, 0x4200, v2
	v_add_nc_u32_e32 v73, 0x4210, v2
	;; [unrolled: 1-line block ×3, first 2 shown]
	v_mov_b32_e32 v2, 0
	v_add_nc_u32_e32 v36, 0x2940, v25
	v_add_nc_u32_e32 v37, 0x2d60, v25
	;; [unrolled: 1-line block ×9, first 2 shown]
	v_lshrrev_b32_e32 v62, 3, v1
	v_add_co_ci_u32_e64 v1, null, s3, 0, s1
	v_ashrrev_i32_e32 v64, 31, v63
	s_delay_alu instid0(VALU_DEP_4)
	v_add_nc_u32_e32 v34, s16, v29
	v_add_nc_u32_e32 v65, 0x4e00, v3
	v_add_nc_u32_e32 v66, 0x4a00, v10
	v_add_nc_u32_e32 v67, 0x4600, v12
	v_add_nc_u32_e32 v70, 0x4e10, v3
	v_add_nc_u32_e32 v38, s16, v34
	v_add_nc_u32_e32 v71, 0x4a10, v10
	v_add_nc_u32_e32 v72, 0x4610, v12
	v_add_nc_u32_e32 v74, v6, v7
	v_add_nc_u32_e32 v75, v11, v8
	v_add_nc_u32_e32 v42, s16, v38
	v_add_nc_u32_e32 v76, v13, v9
	v_add_nc_u32_e32 v77, v5, v4
	s_mov_b32 s15, 0
	s_and_b32 s19, vcc_lo, s0
	v_add_nc_u32_e32 v45, s16, v42
	s_mov_b32 s14, s15
	s_delay_alu instid0(VALU_DEP_1) | instskip(NEXT) | instid1(VALU_DEP_1)
	v_add_nc_u32_e32 v46, s16, v45
	v_add_nc_u32_e32 v47, s16, v46
	s_delay_alu instid0(VALU_DEP_1) | instskip(NEXT) | instid1(VALU_DEP_1)
	v_add_nc_u32_e32 v48, s16, v47
	v_add_nc_u32_e32 v51, s16, v48
	;; [unrolled: 3-line block ×3, first 2 shown]
	s_branch .LBB179_5
.LBB179_4:                              ;   in Loop: Header=BB179_5 Depth=1
	s_add_co_i32 s14, s14, 8
	s_wait_alu 0xfffe
	s_cmp_ge_i32 s14, s10
	s_cbranch_scc1 .LBB179_21
.LBB179_5:                              ; =>This Loop Header: Depth=1
                                        ;     Child Loop BB179_11 Depth 2
                                        ;     Child Loop BB179_19 Depth 2
	s_mul_u64 s[16:17], s[14:15], 20
	s_wait_alu 0xfffe
	s_add_nc_u64 s[16:17], s[12:13], s[16:17]
	s_wait_alu 0xfffe
	v_mad_co_u64_u32 v[3:4], null, v18, 20, s[16:17]
	s_delay_alu instid0(VALU_DEP_1) | instskip(SKIP_3) | instid1(VALU_DEP_4)
	v_mad_co_u64_u32 v[5:6], null, v19, 20, v[3:4]
	v_mad_co_u64_u32 v[7:8], null, v22, 20, v[3:4]
	;; [unrolled: 1-line block ×4, first 2 shown]
	v_add_co_u32 v5, s1, v5, v24
	v_mad_co_u64_u32 v[13:14], null, v27, 20, v[3:4]
	s_wait_alu 0xf1ff
	v_add_co_ci_u32_e64 v6, null, 0, v6, s1
	v_add_co_u32 v7, s1, v7, v24
	v_mad_co_u64_u32 v[78:79], null, v29, 20, v[3:4]
	s_wait_alu 0xf1ff
	v_add_co_ci_u32_e64 v8, null, 0, v8, s1
	v_add_co_u32 v9, s1, v9, v24
	v_mad_co_u64_u32 v[80:81], null, v34, 20, v[3:4]
	s_wait_alu 0xf1ff
	v_add_co_ci_u32_e64 v10, null, 0, v10, s1
	v_add_co_u32 v11, s1, v11, v24
	v_mad_co_u64_u32 v[82:83], null, v38, 20, v[3:4]
	s_wait_alu 0xf1ff
	v_add_co_ci_u32_e64 v12, null, 0, v12, s1
	v_add_co_u32 v13, s1, v13, v24
	s_wait_alu 0xf1ff
	v_add_co_ci_u32_e64 v14, null, 0, v14, s1
	v_add_co_u32 v78, s1, v78, v24
	s_wait_alu 0xf1ff
	v_add_co_ci_u32_e64 v79, null, 0, v79, s1
	;; [unrolled: 3-line block ×3, first 2 shown]
	v_add_co_u32 v82, s1, v82, v24
	v_mad_co_u64_u32 v[84:85], null, v42, 20, v[3:4]
	s_wait_alu 0xf1ff
	v_add_co_ci_u32_e64 v83, null, 0, v83, s1
	s_clause 0x7
	global_load_b32 v90, v[5:6], off offset:4
	global_load_b32 v91, v[7:8], off offset:4
	;; [unrolled: 1-line block ×8, first 2 shown]
	v_mad_co_u64_u32 v[5:6], null, v45, 20, v[3:4]
	v_mad_co_u64_u32 v[9:10], null, v46, 20, v[3:4]
	;; [unrolled: 1-line block ×3, first 2 shown]
	v_add_co_u32 v7, s1, v84, v24
	v_mad_co_u64_u32 v[13:14], null, v48, 20, v[3:4]
	s_wait_alu 0xf1ff
	v_add_co_ci_u32_e64 v8, null, 0, v85, s1
	v_add_co_u32 v5, s1, v5, v24
	v_mad_co_u64_u32 v[78:79], null, v51, 20, v[3:4]
	s_wait_alu 0xf1ff
	v_add_co_ci_u32_e64 v6, null, 0, v6, s1
	;; [unrolled: 4-line block ×5, first 2 shown]
	v_add_co_u32 v78, s1, v78, v24
	s_wait_alu 0xf1ff
	v_add_co_ci_u32_e64 v79, null, 0, v79, s1
	v_add_co_u32 v80, s1, v80, v24
	s_wait_alu 0xf1ff
	v_add_co_ci_u32_e64 v81, null, 0, v81, s1
	;; [unrolled: 3-line block ×3, first 2 shown]
	v_mad_co_u64_u32 v[84:85], null, v44, 20, v[82:83]
	v_mad_co_u64_u32 v[86:87], null, v50, 20, v[82:83]
	;; [unrolled: 1-line block ×4, first 2 shown]
	s_clause 0xb
	global_load_b32 v7, v[7:8], off offset:4
	global_load_b32 v5, v[5:6], off offset:4
	;; [unrolled: 1-line block ×8, first 2 shown]
	global_load_b32 v4, v[84:85], off
	global_load_b32 v12, v[86:87], off
	global_load_b32 v13, v[88:89], off
	global_load_b32 v14, v[82:83], off
	s_lshl_b32 s16, s14, 5
	v_add_nc_u32_e32 v78, 0x420, v25
	v_add_nc_u32_e32 v79, 0x840, v25
	;; [unrolled: 1-line block ×3, first 2 shown]
	s_wait_alu 0xfffe
	s_cmp_lt_i32 s16, s11
	s_wait_loadcnt 0x13
	ds_store_b32 v25, v90
	s_wait_loadcnt 0x12
	ds_store_b32 v78, v91
	;; [unrolled: 2-line block ×20, first 2 shown]
	s_cbranch_scc0 .LBB179_4
; %bb.6:                                ;   in Loop: Header=BB179_5 Depth=1
	v_add_nc_u32_e32 v3, s14, v21
	s_delay_alu instid0(VALU_DEP_1)
	v_cmp_gt_i32_e64 s1, s5, v3
	s_and_b32 s17, s0, s1
	s_wait_alu 0xfffe
	s_and_saveexec_b32 s1, s17
	s_cbranch_execz .LBB179_8
; %bb.7:                                ;   in Loop: Header=BB179_5 Depth=1
	v_add_nc_u32_e32 v3, v63, v3
	s_delay_alu instid0(VALU_DEP_1)
	v_mad_co_i64_i32 v[3:4], null, v3, 36, v[0:1]
	global_load_b32 v3, v[3:4], off offset:4
	s_wait_loadcnt 0x0
	ds_store_b32 v59, v3
.LBB179_8:                              ;   in Loop: Header=BB179_5 Depth=1
	s_wait_alu 0xfffe
	s_or_b32 exec_lo, exec_lo, s1
	v_add_nc_u32_e32 v78, s14, v16
	s_delay_alu instid0(VALU_DEP_1)
	v_cmp_gt_i32_e64 s1, s5, v78
	s_and_b32 s17, s19, s1
	s_wait_alu 0xfffe
	s_and_saveexec_b32 s1, s17
	s_cbranch_execz .LBB179_10
; %bb.9:                                ;   in Loop: Header=BB179_5 Depth=1
	v_add_nc_u32_e32 v3, v63, v78
	s_delay_alu instid0(VALU_DEP_1)
	v_mad_co_i64_i32 v[3:4], null, v3, 36, s[2:3]
	global_load_b32 v3, v[3:4], off
	s_wait_loadcnt 0x0
	ds_store_b32 v60, v3
.LBB179_10:                             ;   in Loop: Header=BB179_5 Depth=1
	s_wait_alu 0xfffe
	s_or_b32 exec_lo, exec_lo, s1
	v_dual_mov_b32 v79, v57 :: v_dual_mov_b32 v80, v58
	v_dual_mov_b32 v81, v68 :: v_dual_mov_b32 v82, v67
	;; [unrolled: 1-line block ×3, first 2 shown]
	v_mov_b32_e32 v85, v61
	s_mov_b32 s1, -4
	s_wait_dscnt 0x0
	s_barrier_signal -1
	s_barrier_wait -1
	global_inv scope:SCOPE_SE
.LBB179_11:                             ;   Parent Loop BB179_5 Depth=1
                                        ; =>  This Inner Loop Header: Depth=2
	v_add_nc_u32_e32 v87, 0x1080, v85
	v_add_nc_u32_e32 v88, 0x1088, v85
	;; [unrolled: 1-line block ×5, first 2 shown]
	ds_load_2addr_b32 v[3:4], v79 offset0:4 offset1:7
	ds_load_2addr_b32 v[11:12], v85 offset1:1
	ds_load_2addr_b32 v[5:6], v79 offset1:3
	ds_load_2addr_b32 v[9:10], v79 offset0:1 offset1:2
	ds_load_2addr_b32 v[7:8], v79 offset0:5 offset1:6
	;; [unrolled: 1-line block ×3, first 2 shown]
	v_add_nc_u32_e32 v91, 0x3180, v85
	ds_load_b32 v86, v84
	ds_load_2addr_b32 v[92:93], v87 offset1:1
	ds_load_2addr_b32 v[87:88], v88 offset1:1
	;; [unrolled: 1-line block ×6, first 2 shown]
	v_add_nc_u32_e32 v85, 16, v85
	v_add_nc_u32_e32 v84, 4, v84
	;; [unrolled: 1-line block ×3, first 2 shown]
	s_wait_alu 0xfffe
	s_add_co_i32 s1, s1, 4
	s_wait_alu 0xfffe
	s_cmp_lt_u32 s1, 12
	s_wait_dscnt 0xc
	v_lshrrev_b16 v91, 8, v3
	v_ashrrev_i32_e32 v131, 24, v3
	v_bfe_i32 v132, v3, 16, 8
	v_bfe_i32 v3, v3, 0, 8
	s_wait_dscnt 0xb
	v_and_b32_e32 v101, 15, v11
	s_wait_dscnt 0xa
	v_lshrrev_b16 v128, 8, v5
	s_wait_dscnt 0x1
	v_bfe_u32 v201, v96, 4, 4
	v_ashrrev_i32_e32 v129, 24, v5
	v_bfe_i32 v130, v5, 16, 8
	v_bfe_i32 v5, v5, 0, 8
	v_and_b32_e32 v152, 15, v92
	v_and_b32_e32 v180, 15, v94
	v_mul_i32_i24_e32 v201, v201, v3
	v_and_b32_e32 v202, 15, v96
	v_mul_i32_i24_e32 v101, v5, v101
	v_mul_i32_i24_e32 v152, v5, v152
	v_bfe_u32 v103, v11, 16, 4
	v_bfe_u32 v154, v92, 16, 4
	v_mad_i32_i24 v201, v202, v5, v201
	v_mul_i32_i24_e32 v5, v5, v180
	v_bfe_u32 v180, v96, 20, 4
	v_bfe_u32 v182, v94, 16, 4
	;; [unrolled: 1-line block ×3, first 2 shown]
	v_mul_i32_i24_e32 v103, v130, v103
	v_mul_i32_i24_e32 v154, v130, v154
	;; [unrolled: 1-line block ×3, first 2 shown]
	v_bfe_u32 v102, v11, 8, 4
	v_bfe_u32 v104, v11, 24, 4
	;; [unrolled: 1-line block ×4, first 2 shown]
	v_mad_i32_i24 v180, v202, v130, v180
	v_mul_i32_i24_e32 v130, v130, v182
	v_lshrrev_b32_e32 v182, 28, v96
	v_bfe_u32 v181, v94, 8, 4
	v_bfe_u32 v183, v94, 24, 4
	v_bfe_i32 v128, v128, 0, 8
	v_bfe_u32 v202, v96, 24, 4
	v_mul_i32_i24_e32 v182, v182, v131
	v_bfe_u32 v105, v11, 4, 4
	v_bfe_u32 v106, v11, 12, 4
	;; [unrolled: 1-line block ×6, first 2 shown]
	v_mul_i32_i24_e32 v104, v129, v104
	v_mad_i32_i24 v101, v128, v102, v101
	v_mad_i32_i24 v152, v128, v153, v152
	v_mul_i32_i24_e32 v155, v129, v155
	v_mad_i32_i24 v182, v202, v129, v182
	v_mul_i32_i24_e32 v129, v129, v183
	v_mad_i32_i24 v5, v128, v181, v5
	v_bfe_i32 v91, v91, 0, 8
	v_bfe_u32 v100, v11, 20, 4
	v_lshrrev_b32_e32 v11, 28, v11
	v_bfe_u32 v151, v92, 20, 4
	v_lshrrev_b32_e32 v92, 28, v92
	;; [unrolled: 2-line block ×3, first 2 shown]
	v_add3_u32 v101, v101, v103, v104
	v_add3_u32 v152, v152, v154, v155
	;; [unrolled: 1-line block ×3, first 2 shown]
	v_mul_i32_i24_e32 v105, v3, v105
	v_mul_i32_i24_e32 v156, v3, v156
	v_mul_i32_i24_e32 v3, v3, v184
	v_mul_i32_i24_e32 v106, v91, v106
	v_mul_i32_i24_e32 v157, v91, v157
	v_mul_i32_i24_e32 v185, v91, v185
	v_and_b32_e32 v108, 15, v12
	v_bfe_u32 v109, v12, 8, 4
	v_ashrrev_i32_e32 v133, 24, v9
	v_bfe_i32 v134, v9, 16, 8
	v_bfe_i32 v135, v9, 8, 8
	v_bfe_i32 v9, v9, 0, 8
	v_and_b32_e32 v159, 15, v93
	v_bfe_u32 v160, v93, 8, 4
	v_and_b32_e32 v187, 15, v95
	v_bfe_u32 v188, v95, 8, 4
	v_mul_i32_i24_e32 v100, v132, v100
	v_mul_i32_i24_e32 v151, v132, v151
	;; [unrolled: 1-line block ×6, first 2 shown]
	v_add3_u32 v101, v101, v106, v105
	v_add3_u32 v105, v152, v157, v156
	;; [unrolled: 1-line block ×3, first 2 shown]
	v_bfe_u32 v110, v12, 16, 4
	v_bfe_u32 v111, v12, 24, 4
	v_bfe_u32 v161, v93, 16, 4
	v_bfe_u32 v162, v93, 24, 4
	v_bfe_u32 v189, v95, 16, 4
	v_bfe_u32 v190, v95, 24, 4
	v_mul_i32_i24_e32 v108, v9, v108
	v_mul_i32_i24_e32 v131, v9, v159
	;; [unrolled: 1-line block ×6, first 2 shown]
	v_add3_u32 v11, v101, v100, v11
	v_add3_u32 v92, v105, v151, v92
	;; [unrolled: 1-line block ×3, first 2 shown]
	v_bfe_u32 v112, v12, 4, 4
	v_bfe_u32 v113, v12, 12, 4
	v_ashrrev_i32_e32 v136, 24, v7
	v_bfe_i32 v137, v7, 16, 8
	v_bfe_i32 v138, v7, 8, 8
	;; [unrolled: 1-line block ×3, first 2 shown]
	v_bfe_u32 v163, v93, 4, 4
	v_bfe_u32 v164, v93, 12, 4
	;; [unrolled: 1-line block ×5, first 2 shown]
	v_mul_i32_i24_e32 v110, v134, v110
	v_mul_i32_i24_e32 v161, v134, v161
	;; [unrolled: 1-line block ×6, first 2 shown]
	v_add3_u32 v11, v11, v109, v108
	v_add3_u32 v92, v92, v160, v131
	;; [unrolled: 1-line block ×3, first 2 shown]
	v_bfe_u32 v107, v12, 20, 4
	v_lshrrev_b32_e32 v12, 28, v12
	v_bfe_u32 v158, v93, 20, 4
	v_lshrrev_b32_e32 v93, 28, v93
	;; [unrolled: 2-line block ×3, first 2 shown]
	v_and_b32_e32 v130, 0xf0f0f0f, v97
	v_lshrrev_b32_e32 v181, 4, v97
	v_lshrrev_b32_e32 v202, 28, v97
	v_bfe_u32 v203, v97, 16, 4
	v_and_b32_e32 v204, 15, v97
	v_bfe_u32 v205, v97, 20, 4
	v_bfe_u32 v97, v97, 4, 4
	v_mul_i32_i24_e32 v129, v133, v129
	v_mul_i32_i24_e32 v112, v7, v112
	;; [unrolled: 1-line block ×7, first 2 shown]
	v_add3_u32 v11, v11, v110, v111
	v_add3_u32 v92, v92, v161, v162
	;; [unrolled: 1-line block ×3, first 2 shown]
	v_and_b32_e32 v115, 15, v13
	v_bfe_u32 v116, v13, 8, 4
	v_ashrrev_i32_e32 v139, 24, v10
	v_bfe_i32 v140, v10, 16, 8
	v_bfe_i32 v141, v10, 8, 8
	;; [unrolled: 1-line block ×3, first 2 shown]
	v_and_b32_e32 v166, 15, v87
	v_bfe_u32 v167, v87, 8, 4
	v_and_b32_e32 v194, 15, v89
	v_bfe_u32 v195, v89, 8, 4
	v_and_b32_e32 v183, 0xf0f0f0f, v96
	v_lshrrev_b32_e32 v96, 4, v96
	v_mul_i32_i24_e32 v9, v9, v204
	v_mul_i32_i24_e32 v7, v7, v97
	;; [unrolled: 1-line block ×8, first 2 shown]
	v_add3_u32 v11, v11, v112, v113
	v_add3_u32 v92, v92, v133, v164
	;; [unrolled: 1-line block ×3, first 2 shown]
	v_bfe_u32 v117, v13, 16, 4
	v_bfe_u32 v118, v13, 24, 4
	;; [unrolled: 1-line block ×6, first 2 shown]
	v_mul_i32_i24_e32 v115, v10, v115
	v_mul_i32_i24_e32 v166, v10, v166
	;; [unrolled: 1-line block ×4, first 2 shown]
	v_lshrrev_b16 v96, 8, v96
	v_mul_i32_i24_e32 v167, v141, v167
	v_mul_i32_i24_e32 v195, v141, v195
	v_add3_u32 v7, v201, v9, v7
	v_add3_u32 v9, v11, v97, v12
	;; [unrolled: 1-line block ×4, first 2 shown]
	v_bfe_u32 v119, v13, 4, 4
	v_bfe_u32 v120, v13, 12, 4
	v_ashrrev_i32_e32 v142, 24, v8
	v_bfe_i32 v143, v8, 16, 8
	v_bfe_i32 v144, v8, 8, 8
	;; [unrolled: 1-line block ×3, first 2 shown]
	v_bfe_u32 v170, v87, 4, 4
	v_bfe_u32 v171, v87, 12, 4
	;; [unrolled: 1-line block ×4, first 2 shown]
	s_wait_dscnt 0x0
	v_bfe_u32 v206, v98, 24, 4
	v_and_b32_e32 v207, 0xf0f0f0f, v98
	v_lshrrev_b32_e32 v208, 4, v98
	v_lshrrev_b32_e32 v209, 28, v98
	v_bfe_u32 v210, v98, 16, 4
	v_and_b32_e32 v211, 15, v98
	v_bfe_u32 v212, v98, 20, 4
	v_bfe_u32 v98, v98, 4, 4
	v_mul_i32_i24_e32 v117, v140, v117
	v_mul_i32_i24_e32 v168, v140, v168
	;; [unrolled: 1-line block ×6, first 2 shown]
	v_lshrrev_b16 v183, 8, v183
	v_lshrrev_b16 v130, 8, v130
	;; [unrolled: 1-line block ×3, first 2 shown]
	v_and_b32_e32 v96, 15, v96
	v_add3_u32 v9, v9, v116, v115
	v_add3_u32 v11, v11, v167, v166
	;; [unrolled: 1-line block ×3, first 2 shown]
	v_bfe_u32 v114, v13, 20, 4
	v_lshrrev_b32_e32 v13, 28, v13
	v_bfe_i32 v149, v4, 16, 8
	v_bfe_u32 v165, v87, 20, 4
	v_lshrrev_b32_e32 v87, 28, v87
	v_bfe_u32 v193, v89, 20, 4
	v_lshrrev_b32_e32 v89, 28, v89
	v_bfe_u32 v200, v90, 20, 4
	v_and_b32_e32 v214, 0xf0f0f0f, v99
	v_lshrrev_b32_e32 v215, 4, v99
	v_mul_i32_i24_e32 v10, v10, v211
	v_mul_i32_i24_e32 v119, v8, v119
	v_mul_i32_i24_e32 v170, v8, v170
	v_mul_i32_i24_e32 v190, v8, v198
	v_mul_i32_i24_e32 v8, v8, v98
	v_and_b32_e32 v183, 0xffff, v183
	v_mul_i32_i24_e32 v120, v144, v120
	v_lshrrev_b16 v196, 8, v207
	v_lshrrev_b16 v197, 8, v208
	v_mul_i32_i24_e32 v171, v144, v171
	v_mul_i32_i24_e32 v198, v144, v199
	v_and_b32_e32 v181, 15, v181
	v_and_b32_e32 v130, 0xffff, v130
	;; [unrolled: 1-line block ×3, first 2 shown]
	v_add3_u32 v9, v9, v117, v118
	v_add3_u32 v11, v11, v168, v169
	;; [unrolled: 1-line block ×3, first 2 shown]
	v_and_b32_e32 v122, 15, v14
	v_bfe_u32 v123, v14, 8, 4
	v_ashrrev_i32_e32 v145, 24, v6
	v_bfe_i32 v146, v6, 16, 8
	v_bfe_i32 v147, v6, 8, 8
	;; [unrolled: 1-line block ×3, first 2 shown]
	v_and_b32_e32 v173, 15, v88
	v_bfe_u32 v174, v88, 8, 4
	v_and_b32_e32 v102, 15, v90
	v_bfe_u32 v103, v90, 8, 4
	v_mul_i32_i24_e32 v136, v136, v202
	v_mul_i32_i24_e32 v98, v143, v114
	v_mul_i32_i24_e32 v114, v143, v165
	v_mul_i32_i24_e32 v165, v143, v193
	v_mul_i32_i24_e32 v13, v142, v13
	v_mul_i32_i24_e32 v87, v142, v87
	v_mul_i32_i24_e32 v89, v142, v89
	v_mul_i32_i24_e32 v191, v149, v200
	v_mul_i32_i24_e32 v128, v183, v128
	v_lshrrev_b16 v199, 8, v214
	v_lshrrev_b16 v200, 8, v215
	v_and_b32_e32 v197, 15, v197
	v_and_b32_e32 v196, 0xffff, v196
	v_mul_i32_i24_e32 v96, v135, v130
	v_and_b32_e32 v94, 0xffff, v181
	v_mul_i32_i24_e32 v5, v5, v91
	v_add3_u32 v7, v7, v10, v8
	v_add3_u32 v8, v9, v119, v120
	;; [unrolled: 1-line block ×4, first 2 shown]
	v_bfe_u32 v121, v14, 20, 4
	v_bfe_u32 v124, v14, 16, 4
	;; [unrolled: 1-line block ×5, first 2 shown]
	v_lshrrev_b32_e32 v14, 28, v14
	v_ashrrev_i32_e32 v148, 24, v4
	v_bfe_i32 v150, v4, 8, 8
	v_bfe_i32 v4, v4, 0, 8
	v_bfe_u32 v172, v88, 20, 4
	v_bfe_u32 v175, v88, 16, 4
	;; [unrolled: 1-line block ×5, first 2 shown]
	v_lshrrev_b32_e32 v88, 28, v88
	v_bfe_u32 v104, v90, 16, 4
	v_bfe_u32 v153, v90, 24, 4
	;; [unrolled: 1-line block ×4, first 2 shown]
	v_lshrrev_b32_e32 v90, 28, v90
	v_bfe_u32 v213, v99, 24, 4
	v_lshrrev_b32_e32 v216, 28, v99
	v_bfe_u32 v217, v99, 16, 4
	v_and_b32_e32 v218, 15, v99
	v_bfe_u32 v219, v99, 20, 4
	v_bfe_u32 v99, v99, 4, 4
	v_mul_i32_i24_e32 v134, v134, v203
	v_mul_i32_i24_e32 v137, v137, v205
	;; [unrolled: 1-line block ×10, first 2 shown]
	v_and_b32_e32 v200, 15, v200
	v_and_b32_e32 v199, 0xffff, v199
	v_mul_i32_i24_e32 v100, v141, v196
	v_and_b32_e32 v101, 0xffff, v197
	v_add3_u32 v108, v182, v129, v136
	v_mul_i32_i24_e32 v12, v138, v94
	v_add3_u32 v5, v128, v5, v96
	v_add3_u32 v8, v8, v98, v13
	;; [unrolled: 1-line block ×4, first 2 shown]
	v_mul_i32_i24_e32 v140, v140, v210
	v_mul_i32_i24_e32 v143, v143, v212
	;; [unrolled: 1-line block ×13, first 2 shown]
	ds_load_b32 v99, v80
	ds_load_b32 v193, v81
	;; [unrolled: 1-line block ×4, first 2 shown]
	v_mul_i32_i24_e32 v14, v148, v14
	v_mul_i32_i24_e32 v88, v148, v88
	;; [unrolled: 1-line block ×5, first 2 shown]
	v_and_b32_e32 v106, 0xffff, v200
	v_add3_u32 v109, v180, v134, v137
	v_mul_i32_i24_e32 v91, v144, v101
	v_add3_u32 v93, v108, v139, v142
	v_add3_u32 v5, v5, v12, v100
	;; [unrolled: 1-line block ×5, first 2 shown]
	v_mul_i32_i24_e32 v6, v6, v218
	v_mul_i32_i24_e32 v146, v146, v217
	v_mul_i32_i24_e32 v121, v149, v121
	v_mul_i32_i24_e32 v172, v149, v172
	v_mul_i32_i24_e32 v149, v149, v219
	v_mul_i32_i24_e32 v127, v150, v127
	v_mul_i32_i24_e32 v178, v150, v178
	v_mul_i32_i24_e32 v155, v150, v155
	v_mul_i32_i24_e32 v92, v150, v106
	v_add3_u32 v10, v109, v140, v143
	v_add3_u32 v11, v93, v145, v148
	;; [unrolled: 1-line block ×12, first 2 shown]
	s_wait_dscnt 0x2
	v_pk_mul_f16 v193, v99, v193
	v_add3_u32 v4, v4, v10, v5
	v_add3_u32 v5, v6, v121, v14
	;; [unrolled: 1-line block ×4, first 2 shown]
	s_wait_dscnt 0x1
	v_pk_mul_f16 v194, v99, v194
	s_wait_dscnt 0x0
	v_pk_mul_f16 v8, v99, v183
	v_pk_mul_f16 v7, v99, v86
	v_cvt_f32_i32_e32 v4, v4
	v_cvt_f32_i32_e32 v5, v5
	;; [unrolled: 1-line block ×4, first 2 shown]
	v_add_nc_u32_e32 v83, 4, v83
	v_fma_mix_f32 v4, v7, v4, v7 op_sel:[0,0,1] op_sel_hi:[1,0,1]
	v_fma_mix_f32 v5, v193, v5, v193 op_sel:[0,0,1] op_sel_hi:[1,0,1]
	;; [unrolled: 1-line block ×4, first 2 shown]
	v_add_nc_u32_e32 v82, 4, v82
	v_add_nc_u32_e32 v81, 4, v81
	;; [unrolled: 1-line block ×3, first 2 shown]
	v_dual_add_f32 v2, v2, v4 :: v_dual_add_f32 v17, v17, v5
	v_dual_add_f32 v56, v56, v6 :: v_dual_add_f32 v49, v49, v3
	s_cbranch_scc1 .LBB179_11
; %bb.12:                               ;   in Loop: Header=BB179_5 Depth=1
	s_bitset1_b32 s16, 7
	s_wait_loadcnt 0x0
	s_wait_alu 0xfffe
	s_cmp_ge_i32 s16, s11
	s_barrier_signal -1
	s_barrier_wait -1
	global_inv scope:SCOPE_SE
	s_cbranch_scc1 .LBB179_4
; %bb.13:                               ;   in Loop: Header=BB179_5 Depth=1
	v_add_nc_u32_e32 v3, s14, v62
	s_delay_alu instid0(VALU_DEP_1)
	v_cmp_gt_i32_e64 s1, s5, v3
	s_and_b32 s16, s0, s1
	s_wait_alu 0xfffe
	s_and_saveexec_b32 s1, s16
	s_cbranch_execz .LBB179_15
; %bb.14:                               ;   in Loop: Header=BB179_5 Depth=1
	v_add_nc_u32_e32 v3, v63, v3
	s_delay_alu instid0(VALU_DEP_1)
	v_mad_co_i64_i32 v[3:4], null, v3, 36, v[0:1]
	global_load_b32 v3, v[3:4], off offset:4
	s_wait_loadcnt 0x0
	ds_store_b32 v59, v3
.LBB179_15:                             ;   in Loop: Header=BB179_5 Depth=1
	s_wait_alu 0xfffe
	s_or_b32 exec_lo, exec_lo, s1
	s_and_saveexec_b32 s16, vcc_lo
	s_cbranch_execz .LBB179_18
; %bb.16:                               ;   in Loop: Header=BB179_5 Depth=1
	v_or_b32_e32 v3, 4, v78
	s_delay_alu instid0(VALU_DEP_1)
	v_cmp_gt_i32_e64 s1, s5, v3
	s_and_b32 s1, s0, s1
	s_wait_alu 0xfffe
	s_and_b32 exec_lo, exec_lo, s1
	s_cbranch_execz .LBB179_18
; %bb.17:                               ;   in Loop: Header=BB179_5 Depth=1
	v_ashrrev_i32_e32 v3, 31, v78
	v_add_co_u32 v4, s1, v63, v78
	s_wait_alu 0xf1ff
	s_delay_alu instid0(VALU_DEP_2) | instskip(NEXT) | instid1(VALU_DEP_2)
	v_add_co_ci_u32_e64 v5, null, v64, v3, s1
	v_mad_co_u64_u32 v[3:4], null, v4, 36, s[2:3]
	s_delay_alu instid0(VALU_DEP_1)
	v_mad_i32_i24 v4, v5, 36, v4
	global_load_b32 v3, v[3:4], off offset:144
	s_wait_loadcnt 0x0
	ds_store_b32 v60, v3
.LBB179_18:                             ;   in Loop: Header=BB179_5 Depth=1
	s_wait_alu 0xfffe
	s_or_b32 exec_lo, exec_lo, s16
	v_dual_mov_b32 v3, v58 :: v_dual_mov_b32 v4, v57
	v_dual_mov_b32 v5, v73 :: v_dual_mov_b32 v6, v72
	;; [unrolled: 1-line block ×3, first 2 shown]
	v_mov_b32_e32 v9, v69
	s_mov_b32 s1, 12
	s_wait_loadcnt_dscnt 0x0
	s_barrier_signal -1
	s_barrier_wait -1
	global_inv scope:SCOPE_SE
.LBB179_19:                             ;   Parent Loop BB179_5 Depth=1
                                        ; =>  This Inner Loop Header: Depth=2
	ds_load_2addr_b32 v[13:14], v4 offset1:3
	ds_load_2addr_b32 v[78:79], v4 offset0:4 offset1:7
	ds_load_2addr_b32 v[80:81], v4 offset0:1 offset1:2
	ds_load_b32 v10, v3
	ds_load_2addr_b32 v[82:83], v9 offset1:1
	ds_load_2addr_b32 v[84:85], v9 offset0:2 offset1:3
	v_add_nc_u32_e32 v88, 0x1080, v9
	v_add_nc_u32_e32 v90, 0x1088, v9
	v_add_nc_u32_e32 v92, 0x2100, v9
	v_add_nc_u32_e32 v94, 0x2108, v9
	v_add_nc_u32_e32 v96, 0x3180, v9
	v_add_nc_u32_e32 v98, 0x3188, v9
	ds_load_2addr_b32 v[86:87], v4 offset0:5 offset1:6
	ds_load_b32 v100, v5
	ds_load_b32 v101, v6
	;; [unrolled: 1-line block ×4, first 2 shown]
	ds_load_2addr_b32 v[88:89], v88 offset1:1
	ds_load_2addr_b32 v[90:91], v90 offset1:1
	;; [unrolled: 1-line block ×6, first 2 shown]
	v_add_nc_u32_e32 v8, 4, v8
	v_add_nc_u32_e32 v6, 4, v6
	;; [unrolled: 1-line block ×5, first 2 shown]
	s_wait_alu 0xfffe
	s_add_co_i32 s1, s1, 4
	s_wait_dscnt 0x10
	v_lshrrev_b16 v131, 8, v13
	v_ashrrev_i32_e32 v132, 24, v13
	v_bfe_i32 v133, v13, 16, 8
	v_bfe_i32 v13, v13, 0, 8
	s_wait_dscnt 0xc
	v_and_b32_e32 v104, 15, v82
	v_bfe_u32 v105, v82, 8, 4
	v_bfe_u32 v106, v82, 16, 4
	;; [unrolled: 1-line block ×3, first 2 shown]
	s_wait_dscnt 0x5
	v_and_b32_e32 v155, 15, v88
	v_bfe_u32 v157, v88, 16, 4
	v_bfe_u32 v158, v88, 24, 4
	s_wait_dscnt 0x3
	v_and_b32_e32 v183, 15, v92
	v_bfe_i32 v131, v131, 0, 8
	v_mul_i32_i24_e32 v104, v13, v104
	v_lshrrev_b16 v102, 8, v78
	v_bfe_u32 v108, v82, 4, 4
	v_ashrrev_i32_e32 v134, 24, v78
	v_bfe_i32 v135, v78, 16, 8
	v_bfe_i32 v78, v78, 0, 8
	v_bfe_u32 v156, v88, 8, 4
	v_bfe_u32 v159, v88, 4, 4
	;; [unrolled: 1-line block ×6, first 2 shown]
	s_wait_dscnt 0x1
	v_bfe_u32 v210, v96, 24, 4
	v_and_b32_e32 v211, 0xf0f0f0f, v96
	v_lshrrev_b32_e32 v212, 4, v96
	v_lshrrev_b32_e32 v213, 28, v96
	v_mul_i32_i24_e32 v106, v133, v106
	v_mul_i32_i24_e32 v107, v132, v107
	v_bfe_u32 v214, v96, 16, 4
	v_and_b32_e32 v215, 15, v96
	v_bfe_u32 v216, v96, 20, 4
	v_bfe_u32 v96, v96, 4, 4
	v_mad_i32_i24 v104, v131, v105, v104
	v_mul_i32_i24_e32 v105, v13, v155
	v_mul_i32_i24_e32 v155, v133, v157
	;; [unrolled: 1-line block ×4, first 2 shown]
	v_bfe_u32 v109, v82, 12, 4
	v_bfe_u32 v160, v88, 12, 4
	;; [unrolled: 1-line block ×3, first 2 shown]
	v_bfe_i32 v102, v102, 0, 8
	v_mul_i32_i24_e32 v108, v78, v108
	v_mul_i32_i24_e32 v183, v133, v185
	;; [unrolled: 1-line block ×7, first 2 shown]
	v_add3_u32 v104, v104, v106, v107
	v_mad_i32_i24 v105, v131, v156, v105
	v_mad_i32_i24 v106, v131, v184, v158
	v_bfe_u32 v103, v82, 20, 4
	v_lshrrev_b32_e32 v82, 28, v82
	v_bfe_u32 v154, v88, 20, 4
	v_lshrrev_b32_e32 v88, 28, v88
	;; [unrolled: 2-line block ×3, first 2 shown]
	v_mul_i32_i24_e32 v109, v102, v109
	v_mul_i32_i24_e32 v160, v102, v160
	;; [unrolled: 1-line block ×3, first 2 shown]
	v_mad_i32_i24 v13, v215, v13, v78
	v_mad_i32_i24 v78, v214, v133, v96
	v_add3_u32 v96, v105, v155, v157
	v_add3_u32 v105, v106, v183, v185
	v_and_b32_e32 v111, 15, v83
	v_bfe_u32 v112, v83, 8, 4
	v_ashrrev_i32_e32 v136, 24, v80
	v_bfe_i32 v137, v80, 16, 8
	v_bfe_i32 v138, v80, 8, 8
	;; [unrolled: 1-line block ×3, first 2 shown]
	v_and_b32_e32 v162, 15, v89
	v_bfe_u32 v163, v89, 8, 4
	v_and_b32_e32 v190, 15, v93
	v_bfe_u32 v191, v93, 8, 4
	v_mul_i32_i24_e32 v103, v135, v103
	v_mul_i32_i24_e32 v82, v134, v82
	;; [unrolled: 1-line block ×6, first 2 shown]
	v_add3_u32 v104, v104, v109, v108
	v_add3_u32 v96, v96, v160, v159
	;; [unrolled: 1-line block ×3, first 2 shown]
	v_bfe_u32 v113, v83, 16, 4
	v_bfe_u32 v114, v83, 24, 4
	;; [unrolled: 1-line block ×6, first 2 shown]
	v_mul_i32_i24_e32 v111, v80, v111
	v_mul_i32_i24_e32 v112, v138, v112
	;; [unrolled: 1-line block ×6, first 2 shown]
	v_add3_u32 v82, v104, v103, v82
	v_add3_u32 v88, v96, v154, v88
	;; [unrolled: 1-line block ×3, first 2 shown]
	v_bfe_u32 v115, v83, 4, 4
	v_bfe_u32 v116, v83, 12, 4
	v_ashrrev_i32_e32 v139, 24, v86
	v_bfe_i32 v140, v86, 16, 8
	v_bfe_i32 v141, v86, 8, 8
	;; [unrolled: 1-line block ×3, first 2 shown]
	v_bfe_u32 v166, v89, 4, 4
	v_bfe_u32 v167, v89, 12, 4
	;; [unrolled: 1-line block ×4, first 2 shown]
	v_mul_i32_i24_e32 v113, v137, v113
	v_mul_i32_i24_e32 v114, v136, v114
	;; [unrolled: 1-line block ×6, first 2 shown]
	v_add3_u32 v82, v82, v112, v111
	v_add3_u32 v88, v88, v163, v162
	;; [unrolled: 1-line block ×3, first 2 shown]
	v_bfe_u32 v110, v83, 20, 4
	v_lshrrev_b32_e32 v83, 28, v83
	v_bfe_u32 v161, v89, 20, 4
	v_lshrrev_b32_e32 v89, 28, v89
	;; [unrolled: 2-line block ×3, first 2 shown]
	v_bfe_u32 v217, v97, 24, 4
	v_and_b32_e32 v218, 0xf0f0f0f, v97
	v_lshrrev_b32_e32 v219, 4, v97
	v_lshrrev_b32_e32 v220, 28, v97
	v_bfe_u32 v221, v97, 16, 4
	v_and_b32_e32 v222, 15, v97
	v_mul_i32_i24_e32 v115, v86, v115
	v_mul_i32_i24_e32 v116, v141, v116
	v_bfe_u32 v223, v97, 20, 4
	v_bfe_u32 v97, v97, 4, 4
	v_mul_i32_i24_e32 v166, v86, v166
	v_mul_i32_i24_e32 v167, v141, v167
	;; [unrolled: 1-line block ×4, first 2 shown]
	v_add3_u32 v82, v82, v113, v114
	v_add3_u32 v88, v88, v164, v165
	;; [unrolled: 1-line block ×3, first 2 shown]
	v_and_b32_e32 v118, 15, v84
	v_bfe_u32 v119, v84, 8, 4
	v_ashrrev_i32_e32 v142, 24, v81
	v_bfe_i32 v143, v81, 16, 8
	v_bfe_i32 v144, v81, 8, 8
	;; [unrolled: 1-line block ×3, first 2 shown]
	v_and_b32_e32 v169, 15, v90
	v_bfe_u32 v170, v90, 8, 4
	v_and_b32_e32 v197, 15, v94
	v_bfe_u32 v198, v94, 8, 4
	v_mul_i32_i24_e32 v110, v140, v110
	v_mul_i32_i24_e32 v83, v139, v83
	v_mul_i32_i24_e32 v80, v80, v222
	v_mul_i32_i24_e32 v161, v140, v161
	v_mul_i32_i24_e32 v89, v139, v89
	v_mul_i32_i24_e32 v189, v140, v189
	v_mul_i32_i24_e32 v93, v139, v93
	v_mul_i32_i24_e32 v86, v86, v97
	v_add3_u32 v82, v82, v115, v116
	v_add3_u32 v88, v88, v166, v167
	;; [unrolled: 1-line block ×3, first 2 shown]
	v_bfe_u32 v120, v84, 16, 4
	v_bfe_u32 v121, v84, 24, 4
	;; [unrolled: 1-line block ×4, first 2 shown]
	v_ashrrev_i32_e32 v151, 24, v79
	v_bfe_i32 v152, v79, 16, 8
	v_bfe_i32 v153, v79, 8, 8
	;; [unrolled: 1-line block ×3, first 2 shown]
	v_bfe_u32 v171, v90, 16, 4
	v_bfe_u32 v172, v90, 24, 4
	;; [unrolled: 1-line block ×8, first 2 shown]
	v_mul_i32_i24_e32 v118, v81, v118
	v_mul_i32_i24_e32 v119, v144, v119
	s_wait_dscnt 0x0
	v_bfe_u32 v231, v99, 24, 4
	v_and_b32_e32 v232, 0xf0f0f0f, v99
	v_lshrrev_b32_e32 v233, 4, v99
	v_lshrrev_b32_e32 v234, 28, v99
	v_bfe_u32 v235, v99, 16, 4
	v_and_b32_e32 v236, 15, v99
	v_bfe_u32 v237, v99, 20, 4
	v_bfe_u32 v99, v99, 4, 4
	v_lshrrev_b16 v212, 8, v212
	v_mul_i32_i24_e32 v169, v81, v169
	v_mul_i32_i24_e32 v170, v144, v170
	;; [unrolled: 1-line block ×4, first 2 shown]
	v_add3_u32 v13, v13, v80, v86
	v_add3_u32 v80, v82, v110, v83
	;; [unrolled: 1-line block ×4, first 2 shown]
	v_bfe_u32 v122, v84, 4, 4
	v_bfe_u32 v123, v84, 12, 4
	v_ashrrev_i32_e32 v145, 24, v87
	v_bfe_i32 v146, v87, 16, 8
	v_bfe_i32 v147, v87, 8, 8
	;; [unrolled: 1-line block ×3, first 2 shown]
	v_bfe_u32 v173, v90, 4, 4
	v_bfe_u32 v174, v90, 12, 4
	;; [unrolled: 1-line block ×5, first 2 shown]
	v_and_b32_e32 v225, 0xf0f0f0f, v98
	v_lshrrev_b32_e32 v226, 4, v98
	v_lshrrev_b32_e32 v227, 28, v98
	v_mul_i32_i24_e32 v120, v143, v120
	v_mul_i32_i24_e32 v121, v142, v121
	v_bfe_u32 v228, v98, 16, 4
	v_and_b32_e32 v229, 15, v98
	v_bfe_u32 v230, v98, 20, 4
	v_bfe_u32 v98, v98, 4, 4
	v_mul_i32_i24_e32 v129, v79, v129
	v_mul_i32_i24_e32 v124, v152, v124
	v_lshrrev_b16 v211, 8, v211
	v_lshrrev_b16 v135, 8, v218
	;; [unrolled: 1-line block ×3, first 2 shown]
	v_mul_i32_i24_e32 v171, v143, v171
	v_mul_i32_i24_e32 v172, v142, v172
	;; [unrolled: 1-line block ×10, first 2 shown]
	v_and_b32_e32 v152, 15, v212
	v_add3_u32 v80, v80, v119, v118
	v_add3_u32 v82, v82, v170, v169
	;; [unrolled: 1-line block ×3, first 2 shown]
	v_bfe_u32 v117, v84, 20, 4
	v_lshrrev_b32_e32 v84, 28, v84
	v_bfe_u32 v168, v90, 20, 4
	v_lshrrev_b32_e32 v90, 28, v90
	;; [unrolled: 2-line block ×3, first 2 shown]
	v_mul_i32_i24_e32 v122, v87, v122
	v_mul_i32_i24_e32 v123, v147, v123
	;; [unrolled: 1-line block ×4, first 2 shown]
	v_lshrrev_b16 v140, 8, v225
	v_lshrrev_b16 v213, 8, v226
	v_mul_i32_i24_e32 v81, v81, v229
	v_mul_i32_i24_e32 v173, v87, v173
	v_mul_i32_i24_e32 v174, v147, v174
	v_mul_i32_i24_e32 v201, v87, v201
	v_mul_i32_i24_e32 v202, v147, v202
	v_mul_i32_i24_e32 v87, v87, v98
	v_and_b32_e32 v107, 0xffff, v211
	v_and_b32_e32 v156, 15, v188
	;; [unrolled: 1-line block ×4, first 2 shown]
	v_add3_u32 v80, v80, v120, v121
	v_add3_u32 v82, v82, v171, v172
	v_add3_u32 v83, v83, v199, v200
	v_and_b32_e32 v125, 15, v85
	v_bfe_u32 v126, v85, 8, 4
	v_ashrrev_i32_e32 v148, 24, v14
	v_bfe_i32 v149, v14, 16, 8
	v_bfe_i32 v150, v14, 8, 8
	;; [unrolled: 1-line block ×3, first 2 shown]
	v_and_b32_e32 v176, 15, v91
	v_bfe_u32 v177, v91, 8, 4
	v_and_b32_e32 v204, 15, v95
	v_bfe_u32 v205, v95, 8, 4
	v_mul_i32_i24_e32 v117, v146, v117
	v_mul_i32_i24_e32 v84, v145, v84
	;; [unrolled: 1-line block ×9, first 2 shown]
	v_lshrrev_b16 v146, 8, v232
	v_lshrrev_b16 v216, 8, v233
	v_and_b32_e32 v158, 15, v213
	v_and_b32_e32 v140, 0xffff, v140
	v_mad_i32_i24 v106, v210, v132, v134
	v_mul_i32_i24_e32 v107, v107, v131
	v_mul_i32_i24_e32 v109, v138, v135
	v_and_b32_e32 v96, 0xffff, v156
	v_mul_i32_i24_e32 v86, v108, v102
	v_add3_u32 v13, v13, v81, v87
	v_add3_u32 v80, v80, v122, v123
	;; [unrolled: 1-line block ×4, first 2 shown]
	v_bfe_u32 v127, v85, 16, 4
	v_bfe_u32 v128, v85, 24, 4
	v_bfe_u32 v130, v85, 12, 4
	v_lshrrev_b32_e32 v85, 28, v85
	v_bfe_u32 v178, v91, 16, 4
	v_bfe_u32 v179, v91, 24, 4
	v_bfe_u32 v181, v91, 12, 4
	v_lshrrev_b32_e32 v91, 28, v91
	;; [unrolled: 4-line block ×3, first 2 shown]
	v_mul_i32_i24_e32 v125, v14, v125
	v_mul_i32_i24_e32 v126, v150, v126
	;; [unrolled: 1-line block ×9, first 2 shown]
	v_and_b32_e32 v184, 15, v216
	v_and_b32_e32 v146, 0xffff, v146
	v_mul_i32_i24_e32 v103, v144, v140
	v_and_b32_e32 v104, 0xffff, v158
	v_add3_u32 v106, v106, v136, v139
	v_mul_i32_i24_e32 v88, v141, v96
	v_add3_u32 v83, v107, v86, v109
	v_add3_u32 v80, v80, v117, v84
	;; [unrolled: 1-line block ×4, first 2 shown]
	v_mul_i32_i24_e32 v127, v149, v127
	v_mul_i32_i24_e32 v128, v148, v128
	;; [unrolled: 1-line block ×13, first 2 shown]
	v_and_b32_e32 v111, 0xffff, v184
	v_add3_u32 v78, v78, v137, v97
	v_mul_i32_i24_e32 v89, v147, v104
	v_add3_u32 v93, v106, v142, v145
	v_add3_u32 v83, v83, v88, v103
	;; [unrolled: 1-line block ×5, first 2 shown]
	v_mul_i32_i24_e32 v130, v153, v130
	v_mul_i32_i24_e32 v14, v14, v236
	;; [unrolled: 1-line block ×6, first 2 shown]
	v_add3_u32 v78, v78, v143, v98
	v_add3_u32 v84, v93, v148, v151
	;; [unrolled: 1-line block ×12, first 2 shown]
	v_pk_mul_f16 v100, v10, v100
	v_add3_u32 v13, v13, v78, v14
	v_add3_u32 v14, v79, v124, v85
	;; [unrolled: 1-line block ×4, first 2 shown]
	v_pk_mul_f16 v101, v10, v101
	v_pk_mul_f16 v12, v10, v12
	;; [unrolled: 1-line block ×3, first 2 shown]
	v_cvt_f32_i32_e32 v11, v13
	v_cvt_f32_i32_e32 v13, v14
	;; [unrolled: 1-line block ×4, first 2 shown]
	s_wait_alu 0xfffe
	s_cmp_lt_u32 s1, 28
	v_fma_mix_f32 v10, v10, v11, v10 op_sel:[0,0,1] op_sel_hi:[1,0,1]
	v_fma_mix_f32 v11, v100, v13, v100 op_sel:[0,0,1] op_sel_hi:[1,0,1]
	;; [unrolled: 1-line block ×4, first 2 shown]
	s_delay_alu instid0(VALU_DEP_4) | instskip(NEXT) | instid1(VALU_DEP_3)
	v_dual_add_f32 v2, v2, v10 :: v_dual_add_nc_u32 v9, 16, v9
	v_dual_add_f32 v56, v56, v13 :: v_dual_add_nc_u32 v7, 4, v7
	v_add_f32_e32 v17, v17, v11
	s_delay_alu instid0(VALU_DEP_4)
	v_add_f32_e32 v49, v49, v12
	s_cbranch_scc1 .LBB179_19
; %bb.20:                               ;   in Loop: Header=BB179_5 Depth=1
	s_wait_loadcnt 0x0
	s_barrier_signal -1
	s_barrier_wait -1
	global_inv scope:SCOPE_SE
	s_branch .LBB179_4
.LBB179_21:
	s_mul_i32 s0, s7, s4
	s_wait_loadcnt 0x0
	s_wait_alu 0xfffe
	v_cmp_gt_i32_e32 vcc_lo, s0, v15
	s_and_saveexec_b32 s0, vcc_lo
	s_cbranch_execz .LBB179_30
; %bb.22:
	v_mul_lo_u32 v0, v15, s6
	v_add_nc_u32_e32 v1, s18, v16
	s_mov_b32 s0, exec_lo
	s_delay_alu instid0(VALU_DEP_1)
	v_cmpx_gt_u32_e64 s6, v1
	s_cbranch_execz .LBB179_24
; %bb.23:
	s_delay_alu instid0(VALU_DEP_3) | instskip(NEXT) | instid1(VALU_DEP_1)
	v_dual_mov_b32 v4, 0 :: v_dual_add_nc_u32 v3, v0, v1
	v_lshlrev_b64_e32 v[3:4], 2, v[3:4]
	s_delay_alu instid0(VALU_DEP_1) | instskip(SKIP_1) | instid1(VALU_DEP_2)
	v_add_co_u32 v3, vcc_lo, s8, v3
	s_wait_alu 0xfffd
	v_add_co_ci_u32_e64 v4, null, s9, v4, vcc_lo
	global_store_b32 v[3:4], v17, off
.LBB179_24:
	s_wait_alu 0xfffe
	s_or_b32 exec_lo, exec_lo, s0
	v_add_nc_u32_e32 v3, 32, v1
	s_mov_b32 s0, exec_lo
	s_delay_alu instid0(VALU_DEP_1)
	v_cmpx_gt_u32_e64 s6, v3
	s_cbranch_execz .LBB179_26
; %bb.25:
	v_dual_mov_b32 v4, 0 :: v_dual_add_nc_u32 v3, v0, v3
	s_delay_alu instid0(VALU_DEP_1) | instskip(NEXT) | instid1(VALU_DEP_1)
	v_lshlrev_b64_e32 v[3:4], 2, v[3:4]
	v_add_co_u32 v3, vcc_lo, s8, v3
	s_wait_alu 0xfffd
	s_delay_alu instid0(VALU_DEP_2)
	v_add_co_ci_u32_e64 v4, null, s9, v4, vcc_lo
	global_store_b32 v[3:4], v56, off
.LBB179_26:
	s_wait_alu 0xfffe
	s_or_b32 exec_lo, exec_lo, s0
	v_add_nc_u32_e32 v3, 64, v1
	s_mov_b32 s0, exec_lo
	s_delay_alu instid0(VALU_DEP_1)
	v_cmpx_gt_u32_e64 s6, v3
	s_cbranch_execz .LBB179_28
; %bb.27:
	v_dual_mov_b32 v4, 0 :: v_dual_add_nc_u32 v3, v0, v3
	s_delay_alu instid0(VALU_DEP_1) | instskip(NEXT) | instid1(VALU_DEP_1)
	v_lshlrev_b64_e32 v[3:4], 2, v[3:4]
	v_add_co_u32 v3, vcc_lo, s8, v3
	s_wait_alu 0xfffd
	s_delay_alu instid0(VALU_DEP_2)
	v_add_co_ci_u32_e64 v4, null, s9, v4, vcc_lo
	global_store_b32 v[3:4], v49, off
.LBB179_28:
	s_wait_alu 0xfffe
	s_or_b32 exec_lo, exec_lo, s0
	v_add_nc_u32_e32 v1, 0x60, v1
	s_delay_alu instid0(VALU_DEP_1)
	v_cmp_gt_u32_e32 vcc_lo, s6, v1
	s_and_b32 exec_lo, exec_lo, vcc_lo
	s_cbranch_execz .LBB179_30
; %bb.29:
	v_dual_mov_b32 v1, 0 :: v_dual_add_nc_u32 v0, v0, v1
	s_delay_alu instid0(VALU_DEP_1) | instskip(NEXT) | instid1(VALU_DEP_1)
	v_lshlrev_b64_e32 v[0:1], 2, v[0:1]
	v_add_co_u32 v0, vcc_lo, s8, v0
	s_wait_alu 0xfffd
	s_delay_alu instid0(VALU_DEP_2)
	v_add_co_ci_u32_e64 v1, null, s9, v1, vcc_lo
	global_store_b32 v[0:1], v2, off
.LBB179_30:
	s_nop 0
	s_sendmsg sendmsg(MSG_DEALLOC_VGPRS)
	s_endpgm
	.section	.rodata,"a",@progbits
	.p2align	6, 0x0
	.amdhsa_kernel _ZL8moe_q4_1IfLb0EEvPKvS1_PT_PKiS5_S5_iiiiiii
		.amdhsa_group_segment_fixed_size 22272
		.amdhsa_private_segment_fixed_size 0
		.amdhsa_kernarg_size 76
		.amdhsa_user_sgpr_count 2
		.amdhsa_user_sgpr_dispatch_ptr 0
		.amdhsa_user_sgpr_queue_ptr 0
		.amdhsa_user_sgpr_kernarg_segment_ptr 1
		.amdhsa_user_sgpr_dispatch_id 0
		.amdhsa_user_sgpr_private_segment_size 0
		.amdhsa_wavefront_size32 1
		.amdhsa_uses_dynamic_stack 0
		.amdhsa_enable_private_segment 0
		.amdhsa_system_sgpr_workgroup_id_x 1
		.amdhsa_system_sgpr_workgroup_id_y 1
		.amdhsa_system_sgpr_workgroup_id_z 0
		.amdhsa_system_sgpr_workgroup_info 0
		.amdhsa_system_vgpr_workitem_id 1
		.amdhsa_next_free_vgpr 238
		.amdhsa_next_free_sgpr 22
		.amdhsa_reserve_vcc 1
		.amdhsa_float_round_mode_32 0
		.amdhsa_float_round_mode_16_64 0
		.amdhsa_float_denorm_mode_32 3
		.amdhsa_float_denorm_mode_16_64 3
		.amdhsa_fp16_overflow 0
		.amdhsa_workgroup_processor_mode 1
		.amdhsa_memory_ordered 1
		.amdhsa_forward_progress 1
		.amdhsa_inst_pref_size 66
		.amdhsa_round_robin_scheduling 0
		.amdhsa_exception_fp_ieee_invalid_op 0
		.amdhsa_exception_fp_denorm_src 0
		.amdhsa_exception_fp_ieee_div_zero 0
		.amdhsa_exception_fp_ieee_overflow 0
		.amdhsa_exception_fp_ieee_underflow 0
		.amdhsa_exception_fp_ieee_inexact 0
		.amdhsa_exception_int_div_zero 0
	.end_amdhsa_kernel
	.section	.text._ZL8moe_q4_1IfLb0EEvPKvS1_PT_PKiS5_S5_iiiiiii,"axG",@progbits,_ZL8moe_q4_1IfLb0EEvPKvS1_PT_PKiS5_S5_iiiiiii,comdat
.Lfunc_end179:
	.size	_ZL8moe_q4_1IfLb0EEvPKvS1_PT_PKiS5_S5_iiiiiii, .Lfunc_end179-_ZL8moe_q4_1IfLb0EEvPKvS1_PT_PKiS5_S5_iiiiiii
                                        ; -- End function
	.set _ZL8moe_q4_1IfLb0EEvPKvS1_PT_PKiS5_S5_iiiiiii.num_vgpr, 238
	.set _ZL8moe_q4_1IfLb0EEvPKvS1_PT_PKiS5_S5_iiiiiii.num_agpr, 0
	.set _ZL8moe_q4_1IfLb0EEvPKvS1_PT_PKiS5_S5_iiiiiii.numbered_sgpr, 22
	.set _ZL8moe_q4_1IfLb0EEvPKvS1_PT_PKiS5_S5_iiiiiii.num_named_barrier, 0
	.set _ZL8moe_q4_1IfLb0EEvPKvS1_PT_PKiS5_S5_iiiiiii.private_seg_size, 0
	.set _ZL8moe_q4_1IfLb0EEvPKvS1_PT_PKiS5_S5_iiiiiii.uses_vcc, 1
	.set _ZL8moe_q4_1IfLb0EEvPKvS1_PT_PKiS5_S5_iiiiiii.uses_flat_scratch, 0
	.set _ZL8moe_q4_1IfLb0EEvPKvS1_PT_PKiS5_S5_iiiiiii.has_dyn_sized_stack, 0
	.set _ZL8moe_q4_1IfLb0EEvPKvS1_PT_PKiS5_S5_iiiiiii.has_recursion, 0
	.set _ZL8moe_q4_1IfLb0EEvPKvS1_PT_PKiS5_S5_iiiiiii.has_indirect_call, 0
	.section	.AMDGPU.csdata,"",@progbits
; Kernel info:
; codeLenInByte = 8352
; TotalNumSgprs: 24
; NumVgprs: 238
; ScratchSize: 0
; MemoryBound: 0
; FloatMode: 240
; IeeeMode: 1
; LDSByteSize: 22272 bytes/workgroup (compile time only)
; SGPRBlocks: 0
; VGPRBlocks: 29
; NumSGPRsForWavesPerEU: 24
; NumVGPRsForWavesPerEU: 238
; Occupancy: 6
; WaveLimiterHint : 1
; COMPUTE_PGM_RSRC2:SCRATCH_EN: 0
; COMPUTE_PGM_RSRC2:USER_SGPR: 2
; COMPUTE_PGM_RSRC2:TRAP_HANDLER: 0
; COMPUTE_PGM_RSRC2:TGID_X_EN: 1
; COMPUTE_PGM_RSRC2:TGID_Y_EN: 1
; COMPUTE_PGM_RSRC2:TGID_Z_EN: 0
; COMPUTE_PGM_RSRC2:TIDIG_COMP_CNT: 1
	.section	.text._ZL8moe_q4_1IfLb1EEvPKvS1_PT_PKiS5_S5_iiiiiii,"axG",@progbits,_ZL8moe_q4_1IfLb1EEvPKvS1_PT_PKiS5_S5_iiiiiii,comdat
	.globl	_ZL8moe_q4_1IfLb1EEvPKvS1_PT_PKiS5_S5_iiiiiii ; -- Begin function _ZL8moe_q4_1IfLb1EEvPKvS1_PT_PKiS5_S5_iiiiiii
	.p2align	8
	.type	_ZL8moe_q4_1IfLb1EEvPKvS1_PT_PKiS5_S5_iiiiiii,@function
_ZL8moe_q4_1IfLb1EEvPKvS1_PT_PKiS5_S5_iiiiiii: ; @_ZL8moe_q4_1IfLb1EEvPKvS1_PT_PKiS5_S5_iiiiiii
; %bb.0:
	s_load_b128 s[4:7], s[0:1], 0x18
	s_mov_b32 s2, ttmp7
	s_mov_b32 s3, 0
	s_delay_alu instid0(SALU_CYCLE_1)
	s_lshl_b64 s[2:3], s[2:3], 2
	s_wait_kmcnt 0x0
	s_add_nc_u64 s[2:3], s[6:7], s[2:3]
	s_load_b32 s14, s[2:3], 0x0
	s_wait_kmcnt 0x0
	s_cmp_gt_u32 s14, 0xff
	s_cbranch_scc1 .LBB180_30
; %bb.1:
	s_load_b64 s[2:3], s[0:1], 0x28
	s_wait_kmcnt 0x0
	s_load_b32 s3, s[2:3], 0x0
	s_lshl_b32 s2, ttmp7, 3
	s_wait_kmcnt 0x0
	s_cmp_gt_u32 s2, s3
	s_cbranch_scc1 .LBB180_30
; %bb.2:
	v_bfe_u32 v18, v0, 10, 10
	v_mov_b32_e32 v17, 0
	s_lshl_b32 s11, ttmp9, 7
	s_delay_alu instid0(VALU_DEP_2) | instskip(NEXT) | instid1(VALU_DEP_2)
	v_add_nc_u32_e32 v16, s2, v18
	v_dual_mov_b32 v58, v17 :: v_dual_and_b32 v33, 0x3ff, v0
	v_mov_b32_e32 v60, v17
	v_mov_b32_e32 v34, v17
	s_delay_alu instid0(VALU_DEP_4) | instskip(NEXT) | instid1(VALU_DEP_1)
	v_lshlrev_b64_e32 v[1:2], 2, v[16:17]
	v_add_co_u32 v1, vcc_lo, s4, v1
	s_delay_alu instid0(VALU_DEP_1)
	v_add_co_ci_u32_e64 v2, null, s5, v2, vcc_lo
	global_load_b32 v32, v[1:2], off
	s_clause 0x2
	s_load_b128 s[4:7], s[0:1], 0x30
	s_load_b64 s[12:13], s[0:1], 0x10
	s_load_b96 s[8:10], s[0:1], 0x40
	s_wait_kmcnt 0x0
	s_cmp_lt_i32 s5, 32
	s_cbranch_scc1 .LBB180_21
; %bb.3:
	s_load_b128 s[0:3], s[0:1], 0x0
	s_ashr_i32 s15, s5, 31
	s_mul_i32 s14, s14, s4
	s_lshr_b32 s4, s15, 27
	s_ashr_i32 s15, s14, 31
	s_wait_alu 0xfffe
	s_add_co_i32 s4, s5, s4
	s_ashr_i32 s16, s8, 31
	s_wait_alu 0xfffe
	s_ashr_i32 s4, s4, 5
	s_not_b32 s17, s11
	s_wait_alu 0xfffe
	s_mul_i32 s18, s4, s11
	s_lshr_b32 s20, s16, 27
	s_ashr_i32 s19, s18, 31
	s_wait_loadcnt 0x0
	v_sub_nc_u32_e32 v26, 0, v32
	s_mul_u64 s[18:19], s[18:19], 20
	s_add_co_i32 s16, s6, s17
	s_add_co_i32 s6, s8, s20
	v_add_nc_u32_e32 v6, 24, v18
	v_max_i32_e32 v26, v32, v26
	v_dual_mov_b32 v34, 0 :: v_dual_lshlrev_b32 v19, 2, v33
	s_wait_kmcnt 0x0
	s_add_nc_u64 s[0:1], s[0:1], s[14:15]
	v_min_i32_e32 v2, s16, v18
	s_add_nc_u64 s[14:15], s[0:1], s[18:19]
	s_abs_i32 s0, s10
	v_add_nc_u32_e32 v8, 40, v18
	s_cvt_f32_u32 s1, s0
	s_sub_co_i32 s8, 0, s0
	v_dual_mov_b32 v60, 0 :: v_dual_add_nc_u32 v9, 48, v18
	s_delay_alu instid0(SALU_CYCLE_1)
	v_rcp_iflag_f32_e32 v24, s1
	v_add_nc_u32_e32 v10, 56, v18
	v_min_i32_e32 v6, s16, v6
	v_add_nc_u32_e32 v11, 64, v18
	v_add_nc_u32_e32 v12, 0x48, v18
	v_mul_lo_u32 v37, v2, s4
	v_min_i32_e32 v8, s16, v8
	v_add_nc_u32_e32 v13, 0x50, v18
	v_min_i32_e32 v9, s16, v9
	v_add_nc_u32_e32 v14, 0x58, v18
	v_readfirstlane_b32 s1, v24
	v_min_i32_e32 v10, s16, v10
	v_min_i32_e32 v11, s16, v11
	v_mul_lo_u32 v40, v6, s4
	v_min_i32_e32 v12, s16, v12
	s_mul_f32 s1, s1, 0x4f7ffffe
	v_min_i32_e32 v13, s16, v13
	v_mul_lo_u32 v42, v8, s4
	v_min_i32_e32 v14, s16, v14
	s_wait_alu 0xfffe
	s_cvt_u32_f32 s1, s1
	v_bfe_u32 v49, v0, 3, 7
	v_mul_lo_u32 v43, v9, s4
	v_mul_lo_u32 v44, v10, s4
	s_wait_alu 0xfffe
	s_mul_i32 s8, s8, s1
	v_mul_lo_u32 v45, v11, s4
	s_mul_hi_u32 s8, s1, s8
	v_mul_lo_u32 v46, v12, s4
	s_add_co_i32 s1, s1, s8
	v_mul_lo_u32 v47, v13, s4
	s_wait_alu 0xfffe
	v_mul_hi_u32 v28, v26, s1
	v_add_nc_u32_e32 v15, 0x60, v18
	v_add_nc_u32_e32 v16, 0x68, v18
	;; [unrolled: 1-line block ×4, first 2 shown]
	v_mul_lo_u32 v48, v14, s4
	v_min_i32_e32 v15, s16, v15
	v_min_i32_e32 v16, s16, v16
	v_mul_lo_u32 v29, v28, s0
	v_min_i32_e32 v17, s16, v17
	v_min_i32_e32 v22, s16, v22
	v_mul_lo_u32 v50, v15, s4
	v_mul_lo_u32 v51, v16, s4
	v_and_b32_e32 v54, 7, v0
	v_mul_lo_u32 v52, v17, s4
	v_mul_lo_u32 v53, v22, s4
	v_sub_nc_u32_e32 v26, v26, v29
	v_add_nc_u32_e32 v29, 1, v28
	v_lshlrev_b32_e32 v24, 2, v54
	v_lshl_add_u32 v61, v18, 7, 0x5280
	v_lshl_add_u32 v62, v18, 4, 0x5680
	v_subrev_nc_u32_e32 v31, s0, v26
	v_cmp_le_u32_e32 vcc_lo, s0, v26
	v_add_nc_u32_e32 v1, 8, v18
	v_add_nc_u32_e32 v3, 16, v18
	v_and_b32_e32 v36, 12, v19
	v_add_nc_u32_e32 v64, v62, v19
	s_wait_alu 0xfffd
	v_cndmask_b32_e32 v28, v28, v29, vcc_lo
	v_cndmask_b32_e32 v26, v26, v31, vcc_lo
	v_min_i32_e32 v4, s16, v1
	v_min_i32_e32 v5, s16, v3
	v_mad_co_u64_u32 v[1:2], null, 0x84, v2, v[19:20]
	v_add_nc_u32_e32 v31, 1, v28
	v_cmp_le_u32_e32 vcc_lo, s0, v26
	v_add_nc_u32_e32 v7, 32, v18
	v_mad_co_u64_u32 v[2:3], null, 0x84, v4, v[19:20]
	v_mul_lo_u32 v38, v4, s4
	s_wait_alu 0xfffd
	v_cndmask_b32_e32 v26, v28, v31, vcc_lo
	v_min_i32_e32 v7, s16, v7
	v_mad_co_u64_u32 v[3:4], null, 0x84, v5, v[19:20]
	v_mul_lo_u32 v39, v5, s4
	v_mad_co_u64_u32 v[4:5], null, 0x84, v6, v[19:20]
	s_delay_alu instid0(VALU_DEP_4)
	v_mad_co_u64_u32 v[5:6], null, 0x84, v7, v[19:20]
	v_mul_lo_u32 v41, v7, s4
	v_mad_co_u64_u32 v[6:7], null, 0x84, v8, v[19:20]
	v_mad_co_u64_u32 v[7:8], null, 0x84, v9, v[19:20]
	;; [unrolled: 1-line block ×7, first 2 shown]
	v_lshl_add_u32 v20, v18, 2, v49
	v_and_b32_e32 v28, 31, v0
	v_and_b32_e32 v31, 0xfc, v0
	s_ashr_i32 s6, s6, 5
	v_bfe_u32 v35, v0, 2, 8
	v_min_i32_e32 v21, s16, v20
	v_mad_co_u64_u32 v[13:14], null, 0x84, v15, v[19:20]
	v_mad_co_u64_u32 v[14:15], null, 0x84, v16, v[19:20]
	s_delay_alu instid0(VALU_DEP_3) | instskip(SKIP_3) | instid1(VALU_DEP_4)
	v_ashrrev_i32_e32 v23, 31, v21
	v_mad_co_u64_u32 v[15:16], null, 0x84, v17, v[19:20]
	v_add_nc_u32_e32 v25, 32, v20
	v_mad_co_u64_u32 v[16:17], null, 0x84, v22, v[19:20]
	v_lshrrev_b32_e32 v23, 30, v23
	v_lshl_or_b32 v63, v28, 2, v61
	s_delay_alu instid0(VALU_DEP_4)
	v_min_i32_e32 v17, s16, v25
	v_add_nc_u32_e32 v28, 32, v33
	v_mul_lo_u32 v55, v21, s4
	v_add_nc_u32_e32 v23, v21, v23
	v_lshlrev_b32_e32 v21, 5, v21
	v_ashrrev_i32_e32 v25, 31, v17
	v_lshrrev_b32_e32 v65, 3, v28
	v_and_b32_e32 v28, 0x1fc, v28
	v_and_b32_e32 v22, -4, v23
	v_add_nc_u32_e32 v23, 64, v20
	v_add_nc_u32_e32 v20, 0x60, v20
	v_lshrrev_b32_e32 v25, 30, v25
	v_mul_lo_u32 v56, v17, s4
	v_add3_u32 v22, v22, v24, 0x4200
	v_min_i32_e32 v23, s16, v23
	v_min_i32_e32 v20, s16, v20
	v_add_nc_u32_e32 v25, v17, v25
	v_lshlrev_b32_e32 v17, 5, v17
	v_cmp_gt_u32_e32 vcc_lo, 4, v33
	v_ashrrev_i32_e32 v27, 31, v23
	v_ashrrev_i32_e32 v30, 31, v20
	v_and_b32_e32 v25, -4, v25
	v_mul_lo_u32 v57, v23, s4
	v_mul_lo_u32 v59, v20, s4
	v_lshrrev_b32_e32 v27, 30, v27
	v_lshrrev_b32_e32 v30, 30, v30
	v_add3_u32 v25, v25, v24, 0x4200
	v_add_nc_u32_e32 v74, v22, v21
	s_mov_b32 s17, 0
	v_add_nc_u32_e32 v27, v23, v27
	v_add_nc_u32_e32 v30, v20, v30
	v_lshlrev_b32_e32 v23, 5, v23
	v_lshlrev_b32_e32 v20, 5, v20
	v_add_nc_u32_e32 v75, v25, v17
	v_and_b32_e32 v27, -4, v27
	v_and_b32_e32 v29, -4, v30
	v_xor_b32_e32 v30, s10, v32
	v_mov_b32_e32 v17, 0
	s_wait_alu 0xfffe
	s_mov_b32 s16, s17
	v_add3_u32 v27, v27, v24, 0x4200
	v_add3_u32 v24, v29, v24, 0x4200
	v_ashrrev_i32_e32 v29, 31, v30
	v_lshlrev_b32_e32 v30, 5, v33
	s_delay_alu instid0(VALU_DEP_4) | instskip(NEXT) | instid1(VALU_DEP_4)
	v_add_nc_u32_e32 v76, v27, v23
	v_add_nc_u32_e32 v77, v24, v20
	s_delay_alu instid0(VALU_DEP_4) | instskip(SKIP_3) | instid1(VALU_DEP_4)
	v_xor_b32_e32 v18, v26, v29
	v_and_b32_e32 v26, 28, v19
	v_add_nc_u32_e32 v19, 0x60, v33
	v_add_nc_u32_e32 v28, v30, v28
	v_sub_nc_u32_e32 v18, v18, v29
	v_add_nc_u32_e32 v29, 64, v33
	s_delay_alu instid0(VALU_DEP_4) | instskip(NEXT) | instid1(VALU_DEP_4)
	v_and_b32_e32 v19, 0x1fc, v19
	v_add_nc_u32_e32 v68, 0x4600, v28
	v_add_nc_u32_e32 v72, 0x4610, v28
	v_mul_lo_u32 v0, v18, s6
	v_and_b32_e32 v29, 0x1fc, v29
	v_add_nc_u32_e32 v58, v30, v19
	v_cmp_gt_i32_e64 s0, s7, v18
	v_add_co_u32 v18, s1, s2, v26
	s_delay_alu instid0(VALU_DEP_4)
	v_add_nc_u32_e32 v29, v30, v29
	v_add_nc_u32_e32 v30, v30, v31
	s_wait_alu 0xf1ff
	v_add_co_ci_u32_e64 v19, null, s3, 0, s1
	v_add_nc_u32_e32 v66, 0x4e00, v58
	v_add_nc_u32_e32 v67, 0x4a00, v29
	;; [unrolled: 1-line block ×5, first 2 shown]
	v_dual_mov_b32 v58, 0 :: v_dual_add_nc_u32 v73, 0x4210, v30
	s_and_b32 s8, vcc_lo, s0
	s_branch .LBB180_5
.LBB180_4:                              ;   in Loop: Header=BB180_5 Depth=1
	s_add_co_i32 s16, s16, 8
	s_wait_alu 0xfffe
	s_cmp_ge_i32 s16, s4
	s_cbranch_scc1 .LBB180_21
.LBB180_5:                              ; =>This Loop Header: Depth=1
                                        ;     Child Loop BB180_11 Depth 2
                                        ;     Child Loop BB180_19 Depth 2
	s_wait_alu 0xfffe
	s_mul_u64 s[18:19], s[16:17], 20
	s_wait_alu 0xfffe
	s_add_nc_u64 s[18:19], s[14:15], s[18:19]
	s_wait_alu 0xfffe
	v_mad_co_u64_u32 v[20:21], null, v35, 20, s[18:19]
	s_delay_alu instid0(VALU_DEP_1) | instskip(SKIP_3) | instid1(VALU_DEP_4)
	v_mad_co_i64_i32 v[22:23], null, v37, 20, v[20:21]
	v_mad_co_i64_i32 v[24:25], null, v38, 20, v[20:21]
	;; [unrolled: 1-line block ×4, first 2 shown]
	v_add_co_u32 v22, s1, v22, v36
	v_mad_co_i64_i32 v[30:31], null, v41, 20, v[20:21]
	s_wait_alu 0xf1ff
	v_add_co_ci_u32_e64 v23, null, 0, v23, s1
	v_add_co_u32 v24, s1, v24, v36
	v_mad_co_i64_i32 v[78:79], null, v42, 20, v[20:21]
	s_wait_alu 0xf1ff
	v_add_co_ci_u32_e64 v25, null, 0, v25, s1
	;; [unrolled: 4-line block ×4, first 2 shown]
	v_add_co_u32 v30, s1, v30, v36
	s_wait_alu 0xf1ff
	v_add_co_ci_u32_e64 v31, null, 0, v31, s1
	v_add_co_u32 v78, s1, v78, v36
	s_wait_alu 0xf1ff
	v_add_co_ci_u32_e64 v79, null, 0, v79, s1
	;; [unrolled: 3-line block ×3, first 2 shown]
	v_add_co_u32 v82, s1, v82, v36
	v_mad_co_i64_i32 v[84:85], null, v45, 20, v[20:21]
	s_wait_alu 0xf1ff
	v_add_co_ci_u32_e64 v83, null, 0, v83, s1
	s_clause 0x7
	global_load_b32 v90, v[22:23], off offset:4
	global_load_b32 v91, v[24:25], off offset:4
	;; [unrolled: 1-line block ×8, first 2 shown]
	v_mad_co_i64_i32 v[22:23], null, v46, 20, v[20:21]
	v_mad_co_i64_i32 v[26:27], null, v47, 20, v[20:21]
	;; [unrolled: 1-line block ×3, first 2 shown]
	v_add_co_u32 v24, s1, v84, v36
	v_mad_co_i64_i32 v[30:31], null, v50, 20, v[20:21]
	s_wait_alu 0xf1ff
	v_add_co_ci_u32_e64 v25, null, 0, v85, s1
	v_add_co_u32 v22, s1, v22, v36
	v_mad_co_i64_i32 v[78:79], null, v51, 20, v[20:21]
	s_wait_alu 0xf1ff
	v_add_co_ci_u32_e64 v23, null, 0, v23, s1
	;; [unrolled: 4-line block ×4, first 2 shown]
	v_add_co_u32 v30, s1, v30, v36
	v_mad_co_u64_u32 v[82:83], null, v54, 20, s[18:19]
	s_wait_alu 0xf1ff
	v_add_co_ci_u32_e64 v31, null, 0, v31, s1
	v_add_co_u32 v78, s1, v78, v36
	s_wait_alu 0xf1ff
	v_add_co_ci_u32_e64 v79, null, 0, v79, s1
	v_add_co_u32 v80, s1, v80, v36
	;; [unrolled: 3-line block ×3, first 2 shown]
	s_wait_alu 0xf1ff
	v_add_co_ci_u32_e64 v21, null, 0, v21, s1
	v_mad_co_i64_i32 v[84:85], null, v55, 20, v[82:83]
	v_mad_co_i64_i32 v[86:87], null, v56, 20, v[82:83]
	;; [unrolled: 1-line block ×4, first 2 shown]
	s_clause 0xb
	global_load_b32 v24, v[24:25], off offset:4
	global_load_b32 v22, v[22:23], off offset:4
	;; [unrolled: 1-line block ×8, first 2 shown]
	global_load_b32 v21, v[84:85], off
	global_load_b32 v29, v[86:87], off
	;; [unrolled: 1-line block ×4, first 2 shown]
	s_lshl_b32 s18, s16, 5
	s_wait_loadcnt 0x13
	ds_store_b32 v1, v90
	s_wait_loadcnt 0x12
	ds_store_b32 v2, v91
	;; [unrolled: 2-line block ×20, first 2 shown]
	s_wait_alu 0xfffe
	s_cmp_lt_i32 s18, s5
	s_cbranch_scc0 .LBB180_4
; %bb.6:                                ;   in Loop: Header=BB180_5 Depth=1
	v_add_nc_u32_e32 v20, s16, v49
	s_delay_alu instid0(VALU_DEP_1)
	v_cmp_gt_i32_e64 s1, s6, v20
	s_and_b32 s19, s0, s1
	s_wait_alu 0xfffe
	s_and_saveexec_b32 s1, s19
	s_cbranch_execz .LBB180_8
; %bb.7:                                ;   in Loop: Header=BB180_5 Depth=1
	v_add_nc_u32_e32 v20, v0, v20
	s_delay_alu instid0(VALU_DEP_1)
	v_mad_co_i64_i32 v[20:21], null, v20, 36, v[18:19]
	global_load_b32 v20, v[20:21], off offset:4
	s_wait_loadcnt 0x0
	ds_store_b32 v63, v20
.LBB180_8:                              ;   in Loop: Header=BB180_5 Depth=1
	s_wait_alu 0xfffe
	s_or_b32 exec_lo, exec_lo, s1
	v_add_nc_u32_e32 v78, s16, v33
	s_delay_alu instid0(VALU_DEP_1)
	v_cmp_gt_i32_e64 s1, s6, v78
	s_and_b32 s19, s8, s1
	s_wait_alu 0xfffe
	s_and_saveexec_b32 s1, s19
	s_cbranch_execz .LBB180_10
; %bb.9:                                ;   in Loop: Header=BB180_5 Depth=1
	v_add_nc_u32_e32 v20, v0, v78
	s_delay_alu instid0(VALU_DEP_1)
	v_mad_co_i64_i32 v[20:21], null, v20, 36, s[2:3]
	global_load_b32 v20, v[20:21], off
	s_wait_loadcnt 0x0
	ds_store_b32 v64, v20
.LBB180_10:                             ;   in Loop: Header=BB180_5 Depth=1
	s_wait_alu 0xfffe
	s_or_b32 exec_lo, exec_lo, s1
	v_dual_mov_b32 v79, v61 :: v_dual_mov_b32 v80, v62
	v_mul_u32_u24_e32 v85, 0x84, v33
	v_dual_mov_b32 v81, v69 :: v_dual_mov_b32 v82, v68
	v_dual_mov_b32 v83, v67 :: v_dual_mov_b32 v84, v66
	s_mov_b32 s1, -4
	s_wait_dscnt 0x0
	s_barrier_signal -1
	s_barrier_wait -1
	global_inv scope:SCOPE_SE
.LBB180_11:                             ;   Parent Loop BB180_5 Depth=1
                                        ; =>  This Inner Loop Header: Depth=2
	v_add_nc_u32_e32 v87, 0x1080, v85
	v_add_nc_u32_e32 v88, 0x1088, v85
	;; [unrolled: 1-line block ×5, first 2 shown]
	ds_load_2addr_b32 v[20:21], v79 offset0:4 offset1:7
	ds_load_2addr_b32 v[28:29], v85 offset1:1
	ds_load_2addr_b32 v[22:23], v79 offset1:3
	ds_load_2addr_b32 v[26:27], v79 offset0:1 offset1:2
	ds_load_2addr_b32 v[24:25], v79 offset0:5 offset1:6
	;; [unrolled: 1-line block ×3, first 2 shown]
	v_add_nc_u32_e32 v91, 0x3180, v85
	ds_load_b32 v86, v84
	ds_load_2addr_b32 v[92:93], v87 offset1:1
	ds_load_2addr_b32 v[87:88], v88 offset1:1
	;; [unrolled: 1-line block ×6, first 2 shown]
	v_add_nc_u32_e32 v85, 16, v85
	v_add_nc_u32_e32 v84, 4, v84
	;; [unrolled: 1-line block ×3, first 2 shown]
	s_wait_alu 0xfffe
	s_add_co_i32 s1, s1, 4
	s_wait_alu 0xfffe
	s_cmp_lt_u32 s1, 12
	s_wait_dscnt 0xc
	v_lshrrev_b16 v91, 8, v20
	v_ashrrev_i32_e32 v131, 24, v20
	v_bfe_i32 v132, v20, 16, 8
	v_bfe_i32 v20, v20, 0, 8
	s_wait_dscnt 0xb
	v_and_b32_e32 v101, 15, v28
	s_wait_dscnt 0xa
	v_lshrrev_b16 v128, 8, v22
	s_wait_dscnt 0x1
	v_bfe_u32 v201, v96, 4, 4
	v_ashrrev_i32_e32 v129, 24, v22
	v_bfe_i32 v130, v22, 16, 8
	v_bfe_i32 v22, v22, 0, 8
	v_and_b32_e32 v152, 15, v92
	v_and_b32_e32 v180, 15, v94
	v_mul_i32_i24_e32 v201, v201, v20
	v_and_b32_e32 v202, 15, v96
	v_mul_i32_i24_e32 v101, v22, v101
	v_mul_i32_i24_e32 v152, v22, v152
	v_bfe_u32 v103, v28, 16, 4
	v_bfe_u32 v154, v92, 16, 4
	v_mad_i32_i24 v201, v202, v22, v201
	v_mul_i32_i24_e32 v22, v22, v180
	v_bfe_u32 v180, v96, 20, 4
	v_bfe_u32 v182, v94, 16, 4
	;; [unrolled: 1-line block ×3, first 2 shown]
	v_mul_i32_i24_e32 v103, v130, v103
	v_mul_i32_i24_e32 v154, v130, v154
	;; [unrolled: 1-line block ×3, first 2 shown]
	v_bfe_u32 v102, v28, 8, 4
	v_bfe_u32 v104, v28, 24, 4
	;; [unrolled: 1-line block ×4, first 2 shown]
	v_mad_i32_i24 v180, v202, v130, v180
	v_mul_i32_i24_e32 v130, v130, v182
	v_lshrrev_b32_e32 v182, 28, v96
	v_bfe_u32 v181, v94, 8, 4
	v_bfe_u32 v183, v94, 24, 4
	v_bfe_i32 v128, v128, 0, 8
	v_bfe_u32 v202, v96, 24, 4
	v_mul_i32_i24_e32 v182, v182, v131
	v_bfe_u32 v105, v28, 4, 4
	v_bfe_u32 v106, v28, 12, 4
	;; [unrolled: 1-line block ×6, first 2 shown]
	v_mul_i32_i24_e32 v104, v129, v104
	v_mad_i32_i24 v101, v128, v102, v101
	v_mad_i32_i24 v152, v128, v153, v152
	v_mul_i32_i24_e32 v155, v129, v155
	v_mad_i32_i24 v182, v202, v129, v182
	v_mul_i32_i24_e32 v129, v129, v183
	v_mad_i32_i24 v22, v128, v181, v22
	v_bfe_i32 v91, v91, 0, 8
	v_bfe_u32 v100, v28, 20, 4
	v_lshrrev_b32_e32 v28, 28, v28
	v_bfe_u32 v151, v92, 20, 4
	v_lshrrev_b32_e32 v92, 28, v92
	;; [unrolled: 2-line block ×3, first 2 shown]
	v_add3_u32 v101, v101, v103, v104
	v_add3_u32 v152, v152, v154, v155
	;; [unrolled: 1-line block ×3, first 2 shown]
	v_mul_i32_i24_e32 v105, v20, v105
	v_mul_i32_i24_e32 v156, v20, v156
	;; [unrolled: 1-line block ×6, first 2 shown]
	v_and_b32_e32 v108, 15, v29
	v_bfe_u32 v109, v29, 8, 4
	v_ashrrev_i32_e32 v133, 24, v26
	v_bfe_i32 v134, v26, 16, 8
	v_bfe_i32 v135, v26, 8, 8
	v_bfe_i32 v26, v26, 0, 8
	v_and_b32_e32 v159, 15, v93
	v_bfe_u32 v160, v93, 8, 4
	v_and_b32_e32 v187, 15, v95
	v_bfe_u32 v188, v95, 8, 4
	v_mul_i32_i24_e32 v100, v132, v100
	v_mul_i32_i24_e32 v151, v132, v151
	;; [unrolled: 1-line block ×6, first 2 shown]
	v_add3_u32 v101, v101, v106, v105
	v_add3_u32 v105, v152, v157, v156
	;; [unrolled: 1-line block ×3, first 2 shown]
	v_bfe_u32 v110, v29, 16, 4
	v_bfe_u32 v111, v29, 24, 4
	v_bfe_u32 v161, v93, 16, 4
	v_bfe_u32 v162, v93, 24, 4
	v_bfe_u32 v189, v95, 16, 4
	v_bfe_u32 v190, v95, 24, 4
	v_mul_i32_i24_e32 v108, v26, v108
	v_mul_i32_i24_e32 v131, v26, v159
	;; [unrolled: 1-line block ×6, first 2 shown]
	v_add3_u32 v28, v101, v100, v28
	v_add3_u32 v92, v105, v151, v92
	v_add3_u32 v20, v20, v132, v94
	v_bfe_u32 v112, v29, 4, 4
	v_bfe_u32 v113, v29, 12, 4
	v_ashrrev_i32_e32 v136, 24, v24
	v_bfe_i32 v137, v24, 16, 8
	v_bfe_i32 v138, v24, 8, 8
	;; [unrolled: 1-line block ×3, first 2 shown]
	v_bfe_u32 v163, v93, 4, 4
	v_bfe_u32 v164, v93, 12, 4
	;; [unrolled: 1-line block ×5, first 2 shown]
	v_mul_i32_i24_e32 v110, v134, v110
	v_mul_i32_i24_e32 v161, v134, v161
	;; [unrolled: 1-line block ×6, first 2 shown]
	v_add3_u32 v28, v28, v109, v108
	v_add3_u32 v92, v92, v160, v131
	;; [unrolled: 1-line block ×3, first 2 shown]
	v_bfe_u32 v107, v29, 20, 4
	v_lshrrev_b32_e32 v29, 28, v29
	v_bfe_u32 v158, v93, 20, 4
	v_lshrrev_b32_e32 v93, 28, v93
	;; [unrolled: 2-line block ×3, first 2 shown]
	v_and_b32_e32 v130, 0xf0f0f0f, v97
	v_lshrrev_b32_e32 v181, 4, v97
	v_lshrrev_b32_e32 v202, 28, v97
	v_bfe_u32 v203, v97, 16, 4
	v_and_b32_e32 v204, 15, v97
	v_bfe_u32 v205, v97, 20, 4
	v_bfe_u32 v97, v97, 4, 4
	v_mul_i32_i24_e32 v129, v133, v129
	v_mul_i32_i24_e32 v112, v24, v112
	;; [unrolled: 1-line block ×7, first 2 shown]
	v_add3_u32 v28, v28, v110, v111
	v_add3_u32 v92, v92, v161, v162
	;; [unrolled: 1-line block ×3, first 2 shown]
	v_and_b32_e32 v115, 15, v30
	v_bfe_u32 v116, v30, 8, 4
	v_ashrrev_i32_e32 v139, 24, v27
	v_bfe_i32 v140, v27, 16, 8
	v_bfe_i32 v141, v27, 8, 8
	;; [unrolled: 1-line block ×3, first 2 shown]
	v_and_b32_e32 v166, 15, v87
	v_bfe_u32 v167, v87, 8, 4
	v_and_b32_e32 v194, 15, v89
	v_bfe_u32 v195, v89, 8, 4
	v_and_b32_e32 v183, 0xf0f0f0f, v96
	v_lshrrev_b32_e32 v96, 4, v96
	v_mul_i32_i24_e32 v26, v26, v204
	v_mul_i32_i24_e32 v24, v24, v97
	;; [unrolled: 1-line block ×8, first 2 shown]
	v_add3_u32 v28, v28, v112, v113
	v_add3_u32 v92, v92, v133, v164
	;; [unrolled: 1-line block ×3, first 2 shown]
	v_bfe_u32 v117, v30, 16, 4
	v_bfe_u32 v118, v30, 24, 4
	v_bfe_u32 v168, v87, 16, 4
	v_bfe_u32 v169, v87, 24, 4
	v_bfe_u32 v196, v89, 16, 4
	v_bfe_u32 v197, v89, 24, 4
	v_mul_i32_i24_e32 v115, v27, v115
	v_mul_i32_i24_e32 v166, v27, v166
	;; [unrolled: 1-line block ×4, first 2 shown]
	v_lshrrev_b16 v96, 8, v96
	v_mul_i32_i24_e32 v167, v141, v167
	v_mul_i32_i24_e32 v195, v141, v195
	v_add3_u32 v24, v201, v26, v24
	v_add3_u32 v26, v28, v97, v29
	;; [unrolled: 1-line block ×4, first 2 shown]
	v_bfe_u32 v119, v30, 4, 4
	v_bfe_u32 v120, v30, 12, 4
	v_ashrrev_i32_e32 v142, 24, v25
	v_bfe_i32 v143, v25, 16, 8
	v_bfe_i32 v144, v25, 8, 8
	;; [unrolled: 1-line block ×3, first 2 shown]
	v_bfe_u32 v170, v87, 4, 4
	v_bfe_u32 v171, v87, 12, 4
	;; [unrolled: 1-line block ×4, first 2 shown]
	s_wait_dscnt 0x0
	v_bfe_u32 v206, v98, 24, 4
	v_and_b32_e32 v207, 0xf0f0f0f, v98
	v_lshrrev_b32_e32 v208, 4, v98
	v_lshrrev_b32_e32 v209, 28, v98
	v_bfe_u32 v210, v98, 16, 4
	v_and_b32_e32 v211, 15, v98
	v_bfe_u32 v212, v98, 20, 4
	v_bfe_u32 v98, v98, 4, 4
	v_mul_i32_i24_e32 v117, v140, v117
	v_mul_i32_i24_e32 v168, v140, v168
	;; [unrolled: 1-line block ×6, first 2 shown]
	v_lshrrev_b16 v183, 8, v183
	v_lshrrev_b16 v130, 8, v130
	;; [unrolled: 1-line block ×3, first 2 shown]
	v_and_b32_e32 v96, 15, v96
	v_add3_u32 v26, v26, v116, v115
	v_add3_u32 v28, v28, v167, v166
	;; [unrolled: 1-line block ×3, first 2 shown]
	v_bfe_u32 v114, v30, 20, 4
	v_lshrrev_b32_e32 v30, 28, v30
	v_bfe_i32 v149, v21, 16, 8
	v_bfe_u32 v165, v87, 20, 4
	v_lshrrev_b32_e32 v87, 28, v87
	v_bfe_u32 v193, v89, 20, 4
	v_lshrrev_b32_e32 v89, 28, v89
	v_bfe_u32 v200, v90, 20, 4
	v_and_b32_e32 v214, 0xf0f0f0f, v99
	v_lshrrev_b32_e32 v215, 4, v99
	v_mul_i32_i24_e32 v27, v27, v211
	v_mul_i32_i24_e32 v119, v25, v119
	;; [unrolled: 1-line block ×5, first 2 shown]
	v_and_b32_e32 v183, 0xffff, v183
	v_mul_i32_i24_e32 v120, v144, v120
	v_lshrrev_b16 v196, 8, v207
	v_lshrrev_b16 v197, 8, v208
	v_mul_i32_i24_e32 v171, v144, v171
	v_mul_i32_i24_e32 v198, v144, v199
	v_and_b32_e32 v181, 15, v181
	v_and_b32_e32 v130, 0xffff, v130
	;; [unrolled: 1-line block ×3, first 2 shown]
	v_add3_u32 v26, v26, v117, v118
	v_add3_u32 v28, v28, v168, v169
	;; [unrolled: 1-line block ×3, first 2 shown]
	v_and_b32_e32 v122, 15, v31
	v_bfe_u32 v123, v31, 8, 4
	v_ashrrev_i32_e32 v145, 24, v23
	v_bfe_i32 v146, v23, 16, 8
	v_bfe_i32 v147, v23, 8, 8
	;; [unrolled: 1-line block ×3, first 2 shown]
	v_and_b32_e32 v173, 15, v88
	v_bfe_u32 v174, v88, 8, 4
	v_and_b32_e32 v102, 15, v90
	v_bfe_u32 v103, v90, 8, 4
	v_mul_i32_i24_e32 v136, v136, v202
	v_mul_i32_i24_e32 v98, v143, v114
	;; [unrolled: 1-line block ×9, first 2 shown]
	v_lshrrev_b16 v199, 8, v214
	v_lshrrev_b16 v200, 8, v215
	v_and_b32_e32 v197, 15, v197
	v_and_b32_e32 v196, 0xffff, v196
	v_mul_i32_i24_e32 v96, v135, v130
	v_and_b32_e32 v94, 0xffff, v181
	v_mul_i32_i24_e32 v22, v22, v91
	v_add3_u32 v24, v24, v27, v25
	v_add3_u32 v25, v26, v119, v120
	;; [unrolled: 1-line block ×4, first 2 shown]
	v_bfe_u32 v121, v31, 20, 4
	v_bfe_u32 v124, v31, 16, 4
	;; [unrolled: 1-line block ×5, first 2 shown]
	v_lshrrev_b32_e32 v31, 28, v31
	v_ashrrev_i32_e32 v148, 24, v21
	v_bfe_i32 v150, v21, 8, 8
	v_bfe_i32 v21, v21, 0, 8
	v_bfe_u32 v172, v88, 20, 4
	v_bfe_u32 v175, v88, 16, 4
	;; [unrolled: 1-line block ×5, first 2 shown]
	v_lshrrev_b32_e32 v88, 28, v88
	v_bfe_u32 v104, v90, 16, 4
	v_bfe_u32 v153, v90, 24, 4
	;; [unrolled: 1-line block ×4, first 2 shown]
	v_lshrrev_b32_e32 v90, 28, v90
	v_bfe_u32 v213, v99, 24, 4
	v_lshrrev_b32_e32 v216, 28, v99
	v_bfe_u32 v217, v99, 16, 4
	v_and_b32_e32 v218, 15, v99
	v_bfe_u32 v219, v99, 20, 4
	v_bfe_u32 v99, v99, 4, 4
	v_mul_i32_i24_e32 v134, v134, v203
	v_mul_i32_i24_e32 v137, v137, v205
	;; [unrolled: 1-line block ×10, first 2 shown]
	v_and_b32_e32 v200, 15, v200
	v_and_b32_e32 v199, 0xffff, v199
	v_mul_i32_i24_e32 v100, v141, v196
	v_and_b32_e32 v101, 0xffff, v197
	v_add3_u32 v108, v182, v129, v136
	v_mul_i32_i24_e32 v29, v138, v94
	v_add3_u32 v22, v128, v22, v96
	v_add3_u32 v25, v25, v98, v30
	;; [unrolled: 1-line block ×4, first 2 shown]
	v_mul_i32_i24_e32 v140, v140, v210
	v_mul_i32_i24_e32 v143, v143, v212
	;; [unrolled: 1-line block ×13, first 2 shown]
	ds_load_b32 v99, v80
	ds_load_b32 v193, v81
	;; [unrolled: 1-line block ×4, first 2 shown]
	v_mul_i32_i24_e32 v31, v148, v31
	v_mul_i32_i24_e32 v88, v148, v88
	;; [unrolled: 1-line block ×5, first 2 shown]
	v_and_b32_e32 v106, 0xffff, v200
	v_add3_u32 v109, v180, v134, v137
	v_mul_i32_i24_e32 v91, v144, v101
	v_add3_u32 v93, v108, v139, v142
	v_add3_u32 v22, v22, v29, v100
	;; [unrolled: 1-line block ×5, first 2 shown]
	v_mul_i32_i24_e32 v23, v23, v218
	v_mul_i32_i24_e32 v146, v146, v217
	v_mul_i32_i24_e32 v121, v149, v121
	v_mul_i32_i24_e32 v172, v149, v172
	v_mul_i32_i24_e32 v149, v149, v219
	v_mul_i32_i24_e32 v127, v150, v127
	v_mul_i32_i24_e32 v178, v150, v178
	v_mul_i32_i24_e32 v155, v150, v155
	v_mul_i32_i24_e32 v92, v150, v106
	v_add3_u32 v27, v109, v140, v143
	v_add3_u32 v28, v93, v145, v148
	;; [unrolled: 1-line block ×12, first 2 shown]
	s_wait_dscnt 0x2
	v_pk_mul_f16 v193, v99, v193
	v_add3_u32 v21, v21, v27, v22
	v_add3_u32 v22, v23, v121, v31
	;; [unrolled: 1-line block ×4, first 2 shown]
	s_wait_dscnt 0x1
	v_pk_mul_f16 v194, v99, v194
	s_wait_dscnt 0x0
	v_pk_mul_f16 v25, v99, v183
	v_pk_mul_f16 v24, v99, v86
	v_cvt_f32_i32_e32 v21, v21
	v_cvt_f32_i32_e32 v22, v22
	;; [unrolled: 1-line block ×4, first 2 shown]
	v_add_nc_u32_e32 v83, 4, v83
	v_fma_mix_f32 v21, v24, v21, v24 op_sel:[0,0,1] op_sel_hi:[1,0,1]
	v_fma_mix_f32 v22, v193, v22, v193 op_sel:[0,0,1] op_sel_hi:[1,0,1]
	;; [unrolled: 1-line block ×4, first 2 shown]
	v_add_nc_u32_e32 v82, 4, v82
	v_add_nc_u32_e32 v81, 4, v81
	v_dual_add_f32 v17, v17, v21 :: v_dual_add_nc_u32 v80, 4, v80
	v_add_f32_e32 v34, v34, v22
	v_add_f32_e32 v60, v60, v23
	;; [unrolled: 1-line block ×3, first 2 shown]
	s_cbranch_scc1 .LBB180_11
; %bb.12:                               ;   in Loop: Header=BB180_5 Depth=1
	s_bitset1_b32 s18, 7
	s_wait_loadcnt 0x0
	s_wait_alu 0xfffe
	s_cmp_ge_i32 s18, s5
	s_barrier_signal -1
	s_barrier_wait -1
	global_inv scope:SCOPE_SE
	s_cbranch_scc1 .LBB180_4
; %bb.13:                               ;   in Loop: Header=BB180_5 Depth=1
	v_add_nc_u32_e32 v20, s16, v65
	s_delay_alu instid0(VALU_DEP_1)
	v_cmp_gt_i32_e64 s1, s6, v20
	s_and_b32 s18, s0, s1
	s_wait_alu 0xfffe
	s_and_saveexec_b32 s1, s18
	s_cbranch_execz .LBB180_15
; %bb.14:                               ;   in Loop: Header=BB180_5 Depth=1
	v_add_nc_u32_e32 v20, v0, v20
	s_delay_alu instid0(VALU_DEP_1)
	v_mad_co_i64_i32 v[20:21], null, v20, 36, v[18:19]
	global_load_b32 v20, v[20:21], off offset:4
	s_wait_loadcnt 0x0
	ds_store_b32 v63, v20
.LBB180_15:                             ;   in Loop: Header=BB180_5 Depth=1
	s_wait_alu 0xfffe
	s_or_b32 exec_lo, exec_lo, s1
	s_and_saveexec_b32 s18, vcc_lo
	s_cbranch_execz .LBB180_18
; %bb.16:                               ;   in Loop: Header=BB180_5 Depth=1
	v_or_b32_e32 v20, 4, v78
	s_delay_alu instid0(VALU_DEP_1)
	v_cmp_gt_i32_e64 s1, s6, v20
	s_and_b32 s1, s0, s1
	s_wait_alu 0xfffe
	s_and_b32 exec_lo, exec_lo, s1
	s_cbranch_execz .LBB180_18
; %bb.17:                               ;   in Loop: Header=BB180_5 Depth=1
	v_ashrrev_i32_e32 v20, 31, v78
	v_ashrrev_i32_e32 v21, 31, v0
	v_add_co_u32 v22, s1, v0, v78
	s_wait_alu 0xf1ff
	s_delay_alu instid0(VALU_DEP_2) | instskip(NEXT) | instid1(VALU_DEP_2)
	v_add_co_ci_u32_e64 v23, null, v21, v20, s1
	v_mad_co_u64_u32 v[20:21], null, v22, 36, s[2:3]
	s_delay_alu instid0(VALU_DEP_1)
	v_mad_i32_i24 v21, v23, 36, v21
	global_load_b32 v20, v[20:21], off offset:144
	s_wait_loadcnt 0x0
	ds_store_b32 v64, v20
.LBB180_18:                             ;   in Loop: Header=BB180_5 Depth=1
	s_wait_alu 0xfffe
	s_or_b32 exec_lo, exec_lo, s18
	v_dual_mov_b32 v20, v62 :: v_dual_mov_b32 v21, v61
	v_mad_u32_u24 v26, 0x84, v33, 64
	v_dual_mov_b32 v22, v73 :: v_dual_mov_b32 v23, v72
	v_dual_mov_b32 v24, v71 :: v_dual_mov_b32 v25, v70
	s_mov_b32 s1, 12
	s_wait_loadcnt_dscnt 0x0
	s_barrier_signal -1
	s_barrier_wait -1
	global_inv scope:SCOPE_SE
.LBB180_19:                             ;   Parent Loop BB180_5 Depth=1
                                        ; =>  This Inner Loop Header: Depth=2
	ds_load_2addr_b32 v[30:31], v21 offset1:3
	ds_load_2addr_b32 v[78:79], v21 offset0:4 offset1:7
	ds_load_2addr_b32 v[80:81], v21 offset0:1 offset1:2
	ds_load_b32 v27, v20
	ds_load_2addr_b32 v[82:83], v26 offset1:1
	ds_load_2addr_b32 v[84:85], v26 offset0:2 offset1:3
	v_add_nc_u32_e32 v88, 0x1080, v26
	v_add_nc_u32_e32 v90, 0x1088, v26
	;; [unrolled: 1-line block ×6, first 2 shown]
	ds_load_2addr_b32 v[86:87], v21 offset0:5 offset1:6
	ds_load_b32 v100, v22
	ds_load_b32 v101, v23
	;; [unrolled: 1-line block ×4, first 2 shown]
	ds_load_2addr_b32 v[88:89], v88 offset1:1
	ds_load_2addr_b32 v[90:91], v90 offset1:1
	;; [unrolled: 1-line block ×6, first 2 shown]
	v_add_nc_u32_e32 v26, 16, v26
	v_add_nc_u32_e32 v24, 4, v24
	;; [unrolled: 1-line block ×5, first 2 shown]
	s_wait_alu 0xfffe
	s_add_co_i32 s1, s1, 4
	s_wait_dscnt 0x10
	v_lshrrev_b16 v131, 8, v30
	v_ashrrev_i32_e32 v132, 24, v30
	v_bfe_i32 v133, v30, 16, 8
	v_bfe_i32 v30, v30, 0, 8
	s_wait_dscnt 0xc
	v_and_b32_e32 v104, 15, v82
	v_bfe_u32 v105, v82, 8, 4
	v_bfe_u32 v106, v82, 16, 4
	;; [unrolled: 1-line block ×3, first 2 shown]
	s_wait_dscnt 0x5
	v_and_b32_e32 v155, 15, v88
	v_bfe_u32 v157, v88, 16, 4
	v_bfe_u32 v158, v88, 24, 4
	s_wait_dscnt 0x3
	v_and_b32_e32 v183, 15, v92
	v_bfe_i32 v131, v131, 0, 8
	v_mul_i32_i24_e32 v104, v30, v104
	v_lshrrev_b16 v102, 8, v78
	v_bfe_u32 v108, v82, 4, 4
	v_ashrrev_i32_e32 v134, 24, v78
	v_bfe_i32 v135, v78, 16, 8
	v_bfe_i32 v78, v78, 0, 8
	v_bfe_u32 v156, v88, 8, 4
	v_bfe_u32 v159, v88, 4, 4
	;; [unrolled: 1-line block ×6, first 2 shown]
	s_wait_dscnt 0x1
	v_bfe_u32 v210, v96, 24, 4
	v_and_b32_e32 v211, 0xf0f0f0f, v96
	v_lshrrev_b32_e32 v212, 4, v96
	v_lshrrev_b32_e32 v213, 28, v96
	v_mul_i32_i24_e32 v106, v133, v106
	v_mul_i32_i24_e32 v107, v132, v107
	v_bfe_u32 v214, v96, 16, 4
	v_and_b32_e32 v215, 15, v96
	v_bfe_u32 v216, v96, 20, 4
	v_bfe_u32 v96, v96, 4, 4
	v_mad_i32_i24 v104, v131, v105, v104
	v_mul_i32_i24_e32 v105, v30, v155
	v_mul_i32_i24_e32 v155, v133, v157
	v_mul_i32_i24_e32 v157, v132, v158
	v_mul_i32_i24_e32 v158, v30, v183
	v_bfe_u32 v109, v82, 12, 4
	v_bfe_u32 v160, v88, 12, 4
	v_bfe_u32 v188, v92, 12, 4
	v_bfe_i32 v102, v102, 0, 8
	v_mul_i32_i24_e32 v108, v78, v108
	v_mul_i32_i24_e32 v183, v133, v185
	;; [unrolled: 1-line block ×7, first 2 shown]
	v_add3_u32 v104, v104, v106, v107
	v_mad_i32_i24 v105, v131, v156, v105
	v_mad_i32_i24 v106, v131, v184, v158
	v_bfe_u32 v103, v82, 20, 4
	v_lshrrev_b32_e32 v82, 28, v82
	v_bfe_u32 v154, v88, 20, 4
	v_lshrrev_b32_e32 v88, 28, v88
	;; [unrolled: 2-line block ×3, first 2 shown]
	v_mul_i32_i24_e32 v109, v102, v109
	v_mul_i32_i24_e32 v160, v102, v160
	;; [unrolled: 1-line block ×3, first 2 shown]
	v_mad_i32_i24 v30, v215, v30, v78
	v_mad_i32_i24 v78, v214, v133, v96
	v_add3_u32 v96, v105, v155, v157
	v_add3_u32 v105, v106, v183, v185
	v_and_b32_e32 v111, 15, v83
	v_bfe_u32 v112, v83, 8, 4
	v_ashrrev_i32_e32 v136, 24, v80
	v_bfe_i32 v137, v80, 16, 8
	v_bfe_i32 v138, v80, 8, 8
	;; [unrolled: 1-line block ×3, first 2 shown]
	v_and_b32_e32 v162, 15, v89
	v_bfe_u32 v163, v89, 8, 4
	v_and_b32_e32 v190, 15, v93
	v_bfe_u32 v191, v93, 8, 4
	v_mul_i32_i24_e32 v103, v135, v103
	v_mul_i32_i24_e32 v82, v134, v82
	;; [unrolled: 1-line block ×6, first 2 shown]
	v_add3_u32 v104, v104, v109, v108
	v_add3_u32 v96, v96, v160, v159
	;; [unrolled: 1-line block ×3, first 2 shown]
	v_bfe_u32 v113, v83, 16, 4
	v_bfe_u32 v114, v83, 24, 4
	;; [unrolled: 1-line block ×6, first 2 shown]
	v_mul_i32_i24_e32 v111, v80, v111
	v_mul_i32_i24_e32 v112, v138, v112
	;; [unrolled: 1-line block ×6, first 2 shown]
	v_add3_u32 v82, v104, v103, v82
	v_add3_u32 v88, v96, v154, v88
	;; [unrolled: 1-line block ×3, first 2 shown]
	v_bfe_u32 v115, v83, 4, 4
	v_bfe_u32 v116, v83, 12, 4
	v_ashrrev_i32_e32 v139, 24, v86
	v_bfe_i32 v140, v86, 16, 8
	v_bfe_i32 v141, v86, 8, 8
	;; [unrolled: 1-line block ×3, first 2 shown]
	v_bfe_u32 v166, v89, 4, 4
	v_bfe_u32 v167, v89, 12, 4
	;; [unrolled: 1-line block ×4, first 2 shown]
	v_mul_i32_i24_e32 v113, v137, v113
	v_mul_i32_i24_e32 v114, v136, v114
	v_mul_i32_i24_e32 v164, v137, v164
	v_mul_i32_i24_e32 v165, v136, v165
	v_mul_i32_i24_e32 v192, v137, v192
	v_mul_i32_i24_e32 v193, v136, v193
	v_add3_u32 v82, v82, v112, v111
	v_add3_u32 v88, v88, v163, v162
	v_add3_u32 v92, v92, v191, v190
	v_bfe_u32 v110, v83, 20, 4
	v_lshrrev_b32_e32 v83, 28, v83
	v_bfe_u32 v161, v89, 20, 4
	v_lshrrev_b32_e32 v89, 28, v89
	;; [unrolled: 2-line block ×3, first 2 shown]
	v_bfe_u32 v217, v97, 24, 4
	v_and_b32_e32 v218, 0xf0f0f0f, v97
	v_lshrrev_b32_e32 v219, 4, v97
	v_lshrrev_b32_e32 v220, 28, v97
	v_bfe_u32 v221, v97, 16, 4
	v_and_b32_e32 v222, 15, v97
	v_mul_i32_i24_e32 v115, v86, v115
	v_mul_i32_i24_e32 v116, v141, v116
	v_bfe_u32 v223, v97, 20, 4
	v_bfe_u32 v97, v97, 4, 4
	v_mul_i32_i24_e32 v166, v86, v166
	v_mul_i32_i24_e32 v167, v141, v167
	v_mul_i32_i24_e32 v194, v86, v194
	v_mul_i32_i24_e32 v195, v141, v195
	v_add3_u32 v82, v82, v113, v114
	v_add3_u32 v88, v88, v164, v165
	;; [unrolled: 1-line block ×3, first 2 shown]
	v_and_b32_e32 v118, 15, v84
	v_bfe_u32 v119, v84, 8, 4
	v_ashrrev_i32_e32 v142, 24, v81
	v_bfe_i32 v143, v81, 16, 8
	v_bfe_i32 v144, v81, 8, 8
	;; [unrolled: 1-line block ×3, first 2 shown]
	v_and_b32_e32 v169, 15, v90
	v_bfe_u32 v170, v90, 8, 4
	v_and_b32_e32 v197, 15, v94
	v_bfe_u32 v198, v94, 8, 4
	v_mul_i32_i24_e32 v110, v140, v110
	v_mul_i32_i24_e32 v83, v139, v83
	;; [unrolled: 1-line block ×8, first 2 shown]
	v_add3_u32 v82, v82, v115, v116
	v_add3_u32 v88, v88, v166, v167
	;; [unrolled: 1-line block ×3, first 2 shown]
	v_bfe_u32 v120, v84, 16, 4
	v_bfe_u32 v121, v84, 24, 4
	;; [unrolled: 1-line block ×4, first 2 shown]
	v_ashrrev_i32_e32 v151, 24, v79
	v_bfe_i32 v152, v79, 16, 8
	v_bfe_i32 v153, v79, 8, 8
	;; [unrolled: 1-line block ×3, first 2 shown]
	v_bfe_u32 v171, v90, 16, 4
	v_bfe_u32 v172, v90, 24, 4
	;; [unrolled: 1-line block ×8, first 2 shown]
	v_mul_i32_i24_e32 v118, v81, v118
	v_mul_i32_i24_e32 v119, v144, v119
	s_wait_dscnt 0x0
	v_bfe_u32 v231, v99, 24, 4
	v_and_b32_e32 v232, 0xf0f0f0f, v99
	v_lshrrev_b32_e32 v233, 4, v99
	v_lshrrev_b32_e32 v234, 28, v99
	v_bfe_u32 v235, v99, 16, 4
	v_and_b32_e32 v236, 15, v99
	v_bfe_u32 v237, v99, 20, 4
	v_bfe_u32 v99, v99, 4, 4
	v_lshrrev_b16 v212, 8, v212
	v_mul_i32_i24_e32 v169, v81, v169
	v_mul_i32_i24_e32 v170, v144, v170
	;; [unrolled: 1-line block ×4, first 2 shown]
	v_add3_u32 v30, v30, v80, v86
	v_add3_u32 v80, v82, v110, v83
	v_add3_u32 v82, v88, v161, v89
	v_add3_u32 v83, v92, v189, v93
	v_bfe_u32 v122, v84, 4, 4
	v_bfe_u32 v123, v84, 12, 4
	v_ashrrev_i32_e32 v145, 24, v87
	v_bfe_i32 v146, v87, 16, 8
	v_bfe_i32 v147, v87, 8, 8
	v_bfe_i32 v87, v87, 0, 8
	v_bfe_u32 v173, v90, 4, 4
	v_bfe_u32 v174, v90, 12, 4
	;; [unrolled: 1-line block ×5, first 2 shown]
	v_and_b32_e32 v225, 0xf0f0f0f, v98
	v_lshrrev_b32_e32 v226, 4, v98
	v_lshrrev_b32_e32 v227, 28, v98
	v_mul_i32_i24_e32 v120, v143, v120
	v_mul_i32_i24_e32 v121, v142, v121
	v_bfe_u32 v228, v98, 16, 4
	v_and_b32_e32 v229, 15, v98
	v_bfe_u32 v230, v98, 20, 4
	v_bfe_u32 v98, v98, 4, 4
	v_mul_i32_i24_e32 v129, v79, v129
	v_mul_i32_i24_e32 v124, v152, v124
	v_lshrrev_b16 v211, 8, v211
	v_lshrrev_b16 v135, 8, v218
	;; [unrolled: 1-line block ×3, first 2 shown]
	v_mul_i32_i24_e32 v171, v143, v171
	v_mul_i32_i24_e32 v172, v142, v172
	;; [unrolled: 1-line block ×10, first 2 shown]
	v_and_b32_e32 v152, 15, v212
	v_add3_u32 v80, v80, v119, v118
	v_add3_u32 v82, v82, v170, v169
	;; [unrolled: 1-line block ×3, first 2 shown]
	v_bfe_u32 v117, v84, 20, 4
	v_lshrrev_b32_e32 v84, 28, v84
	v_bfe_u32 v168, v90, 20, 4
	v_lshrrev_b32_e32 v90, 28, v90
	v_bfe_u32 v196, v94, 20, 4
	v_lshrrev_b32_e32 v94, 28, v94
	v_mul_i32_i24_e32 v122, v87, v122
	v_mul_i32_i24_e32 v123, v147, v123
	;; [unrolled: 1-line block ×4, first 2 shown]
	v_lshrrev_b16 v140, 8, v225
	v_lshrrev_b16 v213, 8, v226
	v_mul_i32_i24_e32 v81, v81, v229
	v_mul_i32_i24_e32 v173, v87, v173
	;; [unrolled: 1-line block ×6, first 2 shown]
	v_and_b32_e32 v107, 0xffff, v211
	v_and_b32_e32 v156, 15, v188
	;; [unrolled: 1-line block ×4, first 2 shown]
	v_add3_u32 v80, v80, v120, v121
	v_add3_u32 v82, v82, v171, v172
	;; [unrolled: 1-line block ×3, first 2 shown]
	v_and_b32_e32 v125, 15, v85
	v_bfe_u32 v126, v85, 8, 4
	v_ashrrev_i32_e32 v148, 24, v31
	v_bfe_i32 v149, v31, 16, 8
	v_bfe_i32 v150, v31, 8, 8
	;; [unrolled: 1-line block ×3, first 2 shown]
	v_and_b32_e32 v176, 15, v91
	v_bfe_u32 v177, v91, 8, 4
	v_and_b32_e32 v204, 15, v95
	v_bfe_u32 v205, v95, 8, 4
	v_mul_i32_i24_e32 v117, v146, v117
	v_mul_i32_i24_e32 v84, v145, v84
	;; [unrolled: 1-line block ×9, first 2 shown]
	v_lshrrev_b16 v146, 8, v232
	v_lshrrev_b16 v216, 8, v233
	v_and_b32_e32 v158, 15, v213
	v_and_b32_e32 v140, 0xffff, v140
	v_mad_i32_i24 v106, v210, v132, v134
	v_mul_i32_i24_e32 v107, v107, v131
	v_mul_i32_i24_e32 v109, v138, v135
	v_and_b32_e32 v96, 0xffff, v156
	v_mul_i32_i24_e32 v86, v108, v102
	v_add3_u32 v30, v30, v81, v87
	v_add3_u32 v80, v80, v122, v123
	;; [unrolled: 1-line block ×4, first 2 shown]
	v_bfe_u32 v127, v85, 16, 4
	v_bfe_u32 v128, v85, 24, 4
	v_bfe_u32 v130, v85, 12, 4
	v_lshrrev_b32_e32 v85, 28, v85
	v_bfe_u32 v178, v91, 16, 4
	v_bfe_u32 v179, v91, 24, 4
	v_bfe_u32 v181, v91, 12, 4
	v_lshrrev_b32_e32 v91, 28, v91
	;; [unrolled: 4-line block ×3, first 2 shown]
	v_mul_i32_i24_e32 v125, v31, v125
	v_mul_i32_i24_e32 v126, v150, v126
	;; [unrolled: 1-line block ×9, first 2 shown]
	v_and_b32_e32 v184, 15, v216
	v_and_b32_e32 v146, 0xffff, v146
	v_mul_i32_i24_e32 v103, v144, v140
	v_and_b32_e32 v104, 0xffff, v158
	v_add3_u32 v106, v106, v136, v139
	v_mul_i32_i24_e32 v88, v141, v96
	v_add3_u32 v83, v107, v86, v109
	v_add3_u32 v80, v80, v117, v84
	;; [unrolled: 1-line block ×4, first 2 shown]
	v_mul_i32_i24_e32 v127, v149, v127
	v_mul_i32_i24_e32 v128, v148, v128
	;; [unrolled: 1-line block ×13, first 2 shown]
	v_and_b32_e32 v111, 0xffff, v184
	v_add3_u32 v78, v78, v137, v97
	v_mul_i32_i24_e32 v89, v147, v104
	v_add3_u32 v93, v106, v142, v145
	v_add3_u32 v83, v83, v88, v103
	v_add3_u32 v80, v80, v126, v125
	v_add3_u32 v81, v81, v177, v176
	v_add3_u32 v82, v82, v205, v204
	v_mul_i32_i24_e32 v130, v153, v130
	v_mul_i32_i24_e32 v31, v31, v236
	;; [unrolled: 1-line block ×6, first 2 shown]
	v_add3_u32 v78, v78, v143, v98
	v_add3_u32 v84, v93, v148, v151
	;; [unrolled: 1-line block ×12, first 2 shown]
	v_pk_mul_f16 v100, v27, v100
	v_add3_u32 v30, v30, v78, v31
	v_add3_u32 v31, v79, v124, v85
	;; [unrolled: 1-line block ×4, first 2 shown]
	v_pk_mul_f16 v101, v27, v101
	v_pk_mul_f16 v29, v27, v29
	;; [unrolled: 1-line block ×3, first 2 shown]
	v_cvt_f32_i32_e32 v28, v30
	v_cvt_f32_i32_e32 v30, v31
	;; [unrolled: 1-line block ×4, first 2 shown]
	s_wait_alu 0xfffe
	s_cmp_lt_u32 s1, 28
	v_fma_mix_f32 v27, v27, v28, v27 op_sel:[0,0,1] op_sel_hi:[1,0,1]
	v_fma_mix_f32 v28, v100, v30, v100 op_sel:[0,0,1] op_sel_hi:[1,0,1]
	;; [unrolled: 1-line block ×4, first 2 shown]
	v_add_nc_u32_e32 v25, 4, v25
	v_add_nc_u32_e32 v23, 4, v23
	v_dual_add_f32 v17, v17, v27 :: v_dual_add_f32 v34, v34, v28
	v_add_f32_e32 v60, v60, v30
	v_add_f32_e32 v58, v58, v29
	s_cbranch_scc1 .LBB180_19
; %bb.20:                               ;   in Loop: Header=BB180_5 Depth=1
	s_wait_loadcnt 0x0
	s_barrier_signal -1
	s_barrier_wait -1
	global_inv scope:SCOPE_SE
	s_branch .LBB180_4
.LBB180_21:
	s_mul_i32 s0, s10, s7
	s_wait_loadcnt 0x0
	s_wait_alu 0xfffe
	v_cmp_gt_i32_e32 vcc_lo, s0, v32
	s_and_saveexec_b32 s0, vcc_lo
	s_cbranch_execz .LBB180_30
; %bb.22:
	v_mul_lo_u32 v0, v32, s9
	v_add_nc_u32_e32 v1, s11, v33
	s_mov_b32 s0, exec_lo
	s_delay_alu instid0(VALU_DEP_1)
	v_cmpx_gt_u32_e64 s9, v1
	s_cbranch_execz .LBB180_24
; %bb.23:
	s_delay_alu instid0(VALU_DEP_3) | instskip(NEXT) | instid1(VALU_DEP_1)
	v_dual_mov_b32 v3, 0 :: v_dual_add_nc_u32 v2, v0, v1
	v_lshlrev_b64_e32 v[2:3], 2, v[2:3]
	s_delay_alu instid0(VALU_DEP_1) | instskip(SKIP_1) | instid1(VALU_DEP_2)
	v_add_co_u32 v2, vcc_lo, s12, v2
	s_wait_alu 0xfffd
	v_add_co_ci_u32_e64 v3, null, s13, v3, vcc_lo
	global_store_b32 v[2:3], v34, off
.LBB180_24:
	s_wait_alu 0xfffe
	s_or_b32 exec_lo, exec_lo, s0
	v_add_nc_u32_e32 v2, 32, v1
	s_mov_b32 s0, exec_lo
	s_delay_alu instid0(VALU_DEP_1)
	v_cmpx_gt_u32_e64 s9, v2
	s_cbranch_execz .LBB180_26
; %bb.25:
	v_dual_mov_b32 v3, 0 :: v_dual_add_nc_u32 v2, v0, v2
	s_delay_alu instid0(VALU_DEP_1) | instskip(NEXT) | instid1(VALU_DEP_1)
	v_lshlrev_b64_e32 v[2:3], 2, v[2:3]
	v_add_co_u32 v2, vcc_lo, s12, v2
	s_wait_alu 0xfffd
	s_delay_alu instid0(VALU_DEP_2)
	v_add_co_ci_u32_e64 v3, null, s13, v3, vcc_lo
	global_store_b32 v[2:3], v60, off
.LBB180_26:
	s_wait_alu 0xfffe
	s_or_b32 exec_lo, exec_lo, s0
	v_add_nc_u32_e32 v2, 64, v1
	s_mov_b32 s0, exec_lo
	s_delay_alu instid0(VALU_DEP_1)
	v_cmpx_gt_u32_e64 s9, v2
	s_cbranch_execz .LBB180_28
; %bb.27:
	v_dual_mov_b32 v3, 0 :: v_dual_add_nc_u32 v2, v0, v2
	s_delay_alu instid0(VALU_DEP_1) | instskip(NEXT) | instid1(VALU_DEP_1)
	v_lshlrev_b64_e32 v[2:3], 2, v[2:3]
	v_add_co_u32 v2, vcc_lo, s12, v2
	s_wait_alu 0xfffd
	s_delay_alu instid0(VALU_DEP_2)
	v_add_co_ci_u32_e64 v3, null, s13, v3, vcc_lo
	global_store_b32 v[2:3], v58, off
.LBB180_28:
	s_wait_alu 0xfffe
	s_or_b32 exec_lo, exec_lo, s0
	v_add_nc_u32_e32 v1, 0x60, v1
	s_delay_alu instid0(VALU_DEP_1)
	v_cmp_gt_u32_e32 vcc_lo, s9, v1
	s_and_b32 exec_lo, exec_lo, vcc_lo
	s_cbranch_execz .LBB180_30
; %bb.29:
	v_dual_mov_b32 v1, 0 :: v_dual_add_nc_u32 v0, v0, v1
	s_delay_alu instid0(VALU_DEP_1) | instskip(NEXT) | instid1(VALU_DEP_1)
	v_lshlrev_b64_e32 v[0:1], 2, v[0:1]
	v_add_co_u32 v0, vcc_lo, s12, v0
	s_wait_alu 0xfffd
	s_delay_alu instid0(VALU_DEP_2)
	v_add_co_ci_u32_e64 v1, null, s13, v1, vcc_lo
	global_store_b32 v[0:1], v17, off
.LBB180_30:
	s_nop 0
	s_sendmsg sendmsg(MSG_DEALLOC_VGPRS)
	s_endpgm
	.section	.rodata,"a",@progbits
	.p2align	6, 0x0
	.amdhsa_kernel _ZL8moe_q4_1IfLb1EEvPKvS1_PT_PKiS5_S5_iiiiiii
		.amdhsa_group_segment_fixed_size 22272
		.amdhsa_private_segment_fixed_size 0
		.amdhsa_kernarg_size 76
		.amdhsa_user_sgpr_count 2
		.amdhsa_user_sgpr_dispatch_ptr 0
		.amdhsa_user_sgpr_queue_ptr 0
		.amdhsa_user_sgpr_kernarg_segment_ptr 1
		.amdhsa_user_sgpr_dispatch_id 0
		.amdhsa_user_sgpr_private_segment_size 0
		.amdhsa_wavefront_size32 1
		.amdhsa_uses_dynamic_stack 0
		.amdhsa_enable_private_segment 0
		.amdhsa_system_sgpr_workgroup_id_x 1
		.amdhsa_system_sgpr_workgroup_id_y 1
		.amdhsa_system_sgpr_workgroup_id_z 0
		.amdhsa_system_sgpr_workgroup_info 0
		.amdhsa_system_vgpr_workitem_id 1
		.amdhsa_next_free_vgpr 238
		.amdhsa_next_free_sgpr 21
		.amdhsa_reserve_vcc 1
		.amdhsa_float_round_mode_32 0
		.amdhsa_float_round_mode_16_64 0
		.amdhsa_float_denorm_mode_32 3
		.amdhsa_float_denorm_mode_16_64 3
		.amdhsa_fp16_overflow 0
		.amdhsa_workgroup_processor_mode 1
		.amdhsa_memory_ordered 1
		.amdhsa_forward_progress 1
		.amdhsa_inst_pref_size 68
		.amdhsa_round_robin_scheduling 0
		.amdhsa_exception_fp_ieee_invalid_op 0
		.amdhsa_exception_fp_denorm_src 0
		.amdhsa_exception_fp_ieee_div_zero 0
		.amdhsa_exception_fp_ieee_overflow 0
		.amdhsa_exception_fp_ieee_underflow 0
		.amdhsa_exception_fp_ieee_inexact 0
		.amdhsa_exception_int_div_zero 0
	.end_amdhsa_kernel
	.section	.text._ZL8moe_q4_1IfLb1EEvPKvS1_PT_PKiS5_S5_iiiiiii,"axG",@progbits,_ZL8moe_q4_1IfLb1EEvPKvS1_PT_PKiS5_S5_iiiiiii,comdat
.Lfunc_end180:
	.size	_ZL8moe_q4_1IfLb1EEvPKvS1_PT_PKiS5_S5_iiiiiii, .Lfunc_end180-_ZL8moe_q4_1IfLb1EEvPKvS1_PT_PKiS5_S5_iiiiiii
                                        ; -- End function
	.set _ZL8moe_q4_1IfLb1EEvPKvS1_PT_PKiS5_S5_iiiiiii.num_vgpr, 238
	.set _ZL8moe_q4_1IfLb1EEvPKvS1_PT_PKiS5_S5_iiiiiii.num_agpr, 0
	.set _ZL8moe_q4_1IfLb1EEvPKvS1_PT_PKiS5_S5_iiiiiii.numbered_sgpr, 21
	.set _ZL8moe_q4_1IfLb1EEvPKvS1_PT_PKiS5_S5_iiiiiii.num_named_barrier, 0
	.set _ZL8moe_q4_1IfLb1EEvPKvS1_PT_PKiS5_S5_iiiiiii.private_seg_size, 0
	.set _ZL8moe_q4_1IfLb1EEvPKvS1_PT_PKiS5_S5_iiiiiii.uses_vcc, 1
	.set _ZL8moe_q4_1IfLb1EEvPKvS1_PT_PKiS5_S5_iiiiiii.uses_flat_scratch, 0
	.set _ZL8moe_q4_1IfLb1EEvPKvS1_PT_PKiS5_S5_iiiiiii.has_dyn_sized_stack, 0
	.set _ZL8moe_q4_1IfLb1EEvPKvS1_PT_PKiS5_S5_iiiiiii.has_recursion, 0
	.set _ZL8moe_q4_1IfLb1EEvPKvS1_PT_PKiS5_S5_iiiiiii.has_indirect_call, 0
	.section	.AMDGPU.csdata,"",@progbits
; Kernel info:
; codeLenInByte = 8684
; TotalNumSgprs: 23
; NumVgprs: 238
; ScratchSize: 0
; MemoryBound: 0
; FloatMode: 240
; IeeeMode: 1
; LDSByteSize: 22272 bytes/workgroup (compile time only)
; SGPRBlocks: 0
; VGPRBlocks: 29
; NumSGPRsForWavesPerEU: 23
; NumVGPRsForWavesPerEU: 238
; Occupancy: 6
; WaveLimiterHint : 1
; COMPUTE_PGM_RSRC2:SCRATCH_EN: 0
; COMPUTE_PGM_RSRC2:USER_SGPR: 2
; COMPUTE_PGM_RSRC2:TRAP_HANDLER: 0
; COMPUTE_PGM_RSRC2:TGID_X_EN: 1
; COMPUTE_PGM_RSRC2:TGID_Y_EN: 1
; COMPUTE_PGM_RSRC2:TGID_Z_EN: 0
; COMPUTE_PGM_RSRC2:TIDIG_COMP_CNT: 1
	.section	.text._ZL8moe_q5_0IfLb0EEvPKvS1_PT_PKiS5_S5_iiiiiii,"axG",@progbits,_ZL8moe_q5_0IfLb0EEvPKvS1_PT_PKiS5_S5_iiiiiii,comdat
	.globl	_ZL8moe_q5_0IfLb0EEvPKvS1_PT_PKiS5_S5_iiiiiii ; -- Begin function _ZL8moe_q5_0IfLb0EEvPKvS1_PT_PKiS5_S5_iiiiiii
	.p2align	8
	.type	_ZL8moe_q5_0IfLb0EEvPKvS1_PT_PKiS5_S5_iiiiiii,@function
_ZL8moe_q5_0IfLb0EEvPKvS1_PT_PKiS5_S5_iiiiiii: ; @_ZL8moe_q5_0IfLb0EEvPKvS1_PT_PKiS5_S5_iiiiiii
; %bb.0:
	s_load_b128 s[4:7], s[0:1], 0x18
	s_mov_b32 s2, ttmp7
	s_mov_b32 s3, 0
	s_delay_alu instid0(SALU_CYCLE_1)
	s_lshl_b64 s[2:3], s[2:3], 2
	s_wait_kmcnt 0x0
	s_add_nc_u64 s[2:3], s[6:7], s[2:3]
	s_load_b32 s12, s[2:3], 0x0
	s_wait_kmcnt 0x0
	s_cmp_gt_u32 s12, 0xff
	s_cbranch_scc1 .LBB181_30
; %bb.1:
	s_load_b64 s[2:3], s[0:1], 0x28
	s_wait_kmcnt 0x0
	s_load_b32 s3, s[2:3], 0x0
	s_lshl_b32 s2, ttmp7, 3
	s_wait_kmcnt 0x0
	s_cmp_gt_u32 s2, s3
	s_cbranch_scc1 .LBB181_30
; %bb.2:
	v_bfe_u32 v3, v0, 10, 10
	v_mov_b32_e32 v2, 0
	s_lshl_b32 s18, ttmp9, 7
	s_delay_alu instid0(VALU_DEP_2) | instskip(NEXT) | instid1(VALU_DEP_2)
	v_add_nc_u32_e32 v1, s2, v3
	v_dual_mov_b32 v51, v2 :: v_dual_and_b32 v8, 0x3ff, v0
	v_dual_mov_b32 v46, v2 :: v_dual_mov_b32 v9, v2
	s_delay_alu instid0(VALU_DEP_3) | instskip(NEXT) | instid1(VALU_DEP_1)
	v_lshlrev_b64_e32 v[4:5], 2, v[1:2]
	v_add_co_u32 v4, vcc_lo, s4, v4
	s_delay_alu instid0(VALU_DEP_1)
	v_add_co_ci_u32_e64 v5, null, s5, v5, vcc_lo
	global_load_b32 v7, v[4:5], off
	s_clause 0x2
	s_load_b64 s[10:11], s[0:1], 0x30
	s_load_b64 s[8:9], s[0:1], 0x10
	s_load_b128 s[4:7], s[0:1], 0x3c
	s_wait_kmcnt 0x0
	s_cmp_lt_i32 s11, 32
	s_cbranch_scc1 .LBB181_21
; %bb.3:
	s_abs_i32 s17, s7
	s_wait_loadcnt 0x0
	v_sub_nc_u32_e32 v4, 0, v7
	s_cvt_f32_u32 s19, s17
	s_sub_co_i32 s20, 0, s17
	s_ashr_i32 s13, s11, 31
	s_mul_i32 s12, s12, s10
	v_rcp_iflag_f32_e32 v6, s19
	v_max_i32_e32 v4, v7, v4
	s_lshr_b32 s13, s13, 27
	v_dual_mov_b32 v9, 0 :: v_dual_lshlrev_b32 v2, 3, v8
	s_add_co_i32 s15, s11, s13
	v_bfe_u32 v13, v0, 3, 7
	s_ashr_i32 s10, s15, 5
	v_and_b32_e32 v12, 7, v0
	v_mul_lo_u32 v11, s10, v3
	s_delay_alu instid0(TRANS32_DEP_1)
	v_readfirstlane_b32 s19, v6
	s_lshl_b32 s16, s10, 3
	v_mad_u32_u24 v17, 0x104, v3, v2
	v_lshl_add_u32 v2, v3, 2, v13
	v_lshlrev_b32_e32 v5, 2, v12
	s_mul_f32 s19, s19, 0x4f7ffffe
	s_load_b128 s[0:3], s[0:1], 0x0
	v_xor_b32_e32 v54, s7, v7
	v_mul_lo_u32 v40, s10, v2
	s_cvt_u32_f32 s19, s19
	v_and_b32_e32 v6, 0x1ffc, v2
	v_lshlrev_b32_e32 v46, 5, v2
	v_add_nc_u32_e32 v44, 32, v2
	s_wait_alu 0xfffe
	s_mul_i32 s20, s20, s19
	v_add_nc_u32_e32 v50, 64, v2
	s_mul_hi_u32 s20, s19, s20
	v_add_nc_u32_e32 v2, 0x60, v2
	s_add_co_i32 s19, s19, s20
	v_add3_u32 v6, v6, v5, 0x8200
	s_wait_alu 0xfffe
	v_mul_hi_u32 v51, v4, s19
	v_and_b32_e32 v47, 0x3ffc, v44
	v_and_b32_e32 v48, 0x3ffc, v50
	v_lshlrev_b32_e32 v70, 5, v44
	v_lshlrev_b32_e32 v73, 5, v50
	v_dual_mov_b32 v46, 0 :: v_dual_add_nc_u32 v69, v6, v46
	v_add3_u32 v71, v47, v5, 0x8200
	v_mul_lo_u32 v49, v51, s17
	v_add_nc_u32_e32 v52, 1, v51
	v_add3_u32 v72, v48, v5, 0x8200
	v_ashrrev_i32_e32 v56, 31, v54
	v_add_nc_u32_e32 v70, v71, v70
	s_ashr_i32 s14, s5, 31
	v_and_b32_e32 v55, 31, v0
	v_add_nc_u32_e32 v71, v72, v73
	v_sub_nc_u32_e32 v4, v4, v49
	s_lshr_b32 s14, s14, 27
	v_add_nc_u32_e32 v59, 0x60, v8
	s_add_co_i32 s5, s5, s14
	s_mul_i32 s14, s10, s18
	v_subrev_nc_u32_e32 v53, s17, v4
	v_cmp_le_u32_e32 vcc_lo, s17, v4
	v_lshlrev_b32_e32 v1, 2, v8
	v_add_nc_u32_e32 v14, s16, v11
	s_ashr_i32 s13, s12, 31
	s_and_b32 s21, s15, 0xffffffe0
	s_wait_alu 0xfffd
	v_dual_cndmask_b32 v51, v51, v52 :: v_dual_cndmask_b32 v4, v4, v53
	v_and_b32_e32 v52, 0x3ffc, v2
	v_lshlrev_b32_e32 v2, 5, v2
	v_and_b32_e32 v16, 12, v1
	s_delay_alu instid0(VALU_DEP_4)
	v_add_nc_u32_e32 v53, 1, v51
	v_cmp_le_u32_e32 vcc_lo, s17, v4
	v_add_nc_u32_e32 v15, s16, v14
	v_add3_u32 v5, v52, v5, 0x8200
	v_lshl_add_u32 v52, v3, 7, 0x9280
	s_ashr_i32 s15, s14, 31
	s_wait_alu 0xfffd
	v_cndmask_b32_e32 v4, v51, v53, vcc_lo
	v_add_nc_u32_e32 v18, s16, v15
	v_add_nc_u32_e32 v72, v5, v2
	v_mov_b32_e32 v2, 0
	v_lshl_add_u32 v53, v3, 4, 0x9680
	v_xor_b32_e32 v4, v4, v56
	v_add_nc_u32_e32 v19, s16, v18
	v_and_b32_e32 v3, 28, v1
	v_lshl_or_b32 v54, v55, 2, v52
	v_add_nc_u32_e32 v55, v53, v1
	v_add_nc_u32_e32 v1, 32, v8
	;; [unrolled: 1-line block ×3, first 2 shown]
	v_sub_nc_u32_e32 v4, v4, v56
	v_add_nc_u32_e32 v51, 64, v8
	s_wait_alu 0xfffe
	s_ashr_i32 s5, s5, 5
	s_mul_u64 s[14:15], s[14:15], 22
	v_add_nc_u32_e32 v25, s16, v20
	s_wait_kmcnt 0x0
	s_add_nc_u64 s[0:1], s[0:1], s[12:13]
	v_add_nc_u32_e32 v45, s21, v40
	s_add_nc_u64 s[12:13], s[0:1], s[14:15]
	v_cmp_gt_i32_e64 s0, s4, v4
	v_add_nc_u32_e32 v30, s16, v25
	s_wait_alu 0xfffe
	v_mul_lo_u32 v58, v4, s5
	v_lshlrev_b32_e32 v4, 5, v8
	v_and_b32_e32 v59, 0x1fc, v59
	v_and_b32_e32 v51, 0x1fc, v51
	v_add_nc_u32_e32 v34, s16, v30
	v_and_b32_e32 v60, 0x1fc, v1
	v_and_b32_e32 v61, 0xfc, v0
	v_bfe_u32 v10, v0, 2, 8
	v_add_nc_u32_e32 v48, s21, v45
	v_add_nc_u32_e32 v38, s16, v34
	v_add_co_u32 v0, s1, s2, v3
	v_add_nc_u32_e32 v3, v4, v59
	v_add_nc_u32_e32 v51, v4, v51
	s_delay_alu instid0(VALU_DEP_4)
	v_add_nc_u32_e32 v41, s16, v38
	v_add_nc_u32_e32 v66, v4, v60
	;; [unrolled: 1-line block ×3, first 2 shown]
	v_cmp_gt_u32_e32 vcc_lo, 4, v8
	v_lshrrev_b32_e32 v57, 3, v1
	v_add_nc_u32_e32 v42, s16, v41
	v_add_co_ci_u32_e64 v1, null, s3, 0, s1
	s_movk_i32 s1, 0x80
	v_add_nc_u32_e32 v21, 0x820, v17
	v_add_nc_u32_e32 v43, s16, v42
	;; [unrolled: 1-line block ×20, first 2 shown]
	v_mul_u32_u24_e32 v56, 0x104, v8
	v_ashrrev_i32_e32 v59, 31, v58
	v_add_nc_u32_e32 v60, 0x8e00, v3
	v_add_nc_u32_e32 v61, 0x8a00, v51
	;; [unrolled: 1-line block ×8, first 2 shown]
	s_wait_alu 0xfffe
	v_mad_u32_u24 v68, 0x104, v8, s1
	v_mov_b32_e32 v51, 0
	s_mov_b32 s15, 0
	s_and_b32 s19, vcc_lo, s0
	s_mov_b32 s14, s15
	s_branch .LBB181_5
.LBB181_4:                              ;   in Loop: Header=BB181_5 Depth=1
	s_add_co_i32 s14, s14, 8
	s_wait_alu 0xfffe
	s_cmp_ge_i32 s14, s10
	s_cbranch_scc1 .LBB181_21
.LBB181_5:                              ; =>This Loop Header: Depth=1
                                        ;     Child Loop BB181_11 Depth 2
                                        ;     Child Loop BB181_19 Depth 2
	s_mul_u64 s[16:17], s[14:15], 22
	s_wait_alu 0xfffe
	s_add_nc_u64 s[16:17], s[12:13], s[16:17]
	s_wait_alu 0xfffe
	v_mad_co_u64_u32 v[3:4], null, v10, 22, s[16:17]
	s_delay_alu instid0(VALU_DEP_1) | instskip(SKIP_3) | instid1(VALU_DEP_4)
	v_mad_co_u64_u32 v[5:6], null, v11, 22, v[3:4]
	v_mad_co_u64_u32 v[73:74], null, v14, 22, v[3:4]
	;; [unrolled: 1-line block ×4, first 2 shown]
	v_add_co_u32 v77, s1, v5, v16
	s_wait_alu 0xf1ff
	v_add_co_ci_u32_e64 v78, null, 0, v6, s1
	v_add_co_u32 v79, s1, v73, v16
	s_wait_alu 0xf1ff
	v_add_co_ci_u32_e64 v80, null, 0, v74, s1
	;; [unrolled: 3-line block ×4, first 2 shown]
	s_clause 0x7
	global_load_b32 v81, v[77:78], off offset:6
	global_load_b32 v79, v[79:80], off offset:6
	;; [unrolled: 1-line block ×8, first 2 shown]
	v_mad_co_u64_u32 v[5:6], null, v19, 22, v[3:4]
	v_mad_co_u64_u32 v[85:86], null, v20, 22, v[3:4]
	;; [unrolled: 1-line block ×4, first 2 shown]
	s_delay_alu instid0(VALU_DEP_4)
	v_add_co_u32 v89, s1, v5, v16
	s_wait_alu 0xf1ff
	v_add_co_ci_u32_e64 v90, null, 0, v6, s1
	v_add_co_u32 v96, s1, v85, v16
	s_wait_alu 0xf1ff
	v_add_co_ci_u32_e64 v97, null, 0, v86, s1
	s_clause 0x5
	global_load_b32 v74, v[94:95], off offset:2
	global_load_b32 v76, v[92:93], off offset:2
	;; [unrolled: 1-line block ×6, first 2 shown]
	v_add_co_u32 v5, s1, v92, v16
	s_wait_alu 0xf1ff
	v_add_co_ci_u32_e64 v6, null, 0, v93, s1
	v_add_co_u32 v85, s1, v94, v16
	s_wait_alu 0xf1ff
	v_add_co_ci_u32_e64 v86, null, 0, v95, s1
	s_clause 0x1
	global_load_b32 v75, v[5:6], off offset:6
	global_load_b32 v73, v[85:86], off offset:6
	v_mad_co_u64_u32 v[94:95], null, v34, 22, v[3:4]
	v_mad_co_u64_u32 v[5:6], null, v12, 22, s[16:17]
	;; [unrolled: 1-line block ×5, first 2 shown]
	v_add_co_u32 v92, s1, v94, v16
	v_mad_co_u64_u32 v[85:86], null, v40, 22, v[5:6]
	s_wait_alu 0xf1ff
	v_add_co_ci_u32_e64 v93, null, 0, v95, s1
	v_add_co_u32 v106, s1, v96, v16
	s_wait_alu 0xf1ff
	v_add_co_ci_u32_e64 v107, null, 0, v97, s1
	v_add_co_u32 v108, s1, v98, v16
	;; [unrolled: 3-line block ×3, first 2 shown]
	s_wait_alu 0xf1ff
	v_add_co_ci_u32_e64 v111, null, 0, v101, s1
	s_clause 0x8
	global_load_u16 v86, v[85:86], off
	global_load_b32 v112, v[92:93], off offset:6
	global_load_b32 v106, v[106:107], off offset:6
	;; [unrolled: 1-line block ×8, first 2 shown]
	v_mad_co_u64_u32 v[102:103], null, v43, 22, v[3:4]
	v_mad_co_u64_u32 v[104:105], null, v44, 22, v[3:4]
	s_lshl_b32 s16, s14, 5
	s_wait_alu 0xfffe
	s_cmp_lt_i32 s16, s11
	s_wait_loadcnt 0x18
	v_and_b32_e32 v95, 0xf0f0f0f, v81
	v_lshrrev_b32_e32 v81, 4, v81
	s_wait_loadcnt 0x17
	v_and_b32_e32 v97, 0xf0f0f0f, v79
	v_lshrrev_b32_e32 v79, 4, v79
	s_wait_loadcnt 0x14
	v_ashrrev_i32_e32 v80, v16, v80
	s_wait_loadcnt 0x13
	v_ashrrev_i32_e32 v82, v16, v82
	;; [unrolled: 2-line block ×4, first 2 shown]
	v_and_b32_e32 v98, 0xf0f0f0f, v77
	v_lshrrev_b32_e32 v77, 4, v77
	v_lshlrev_b32_e32 v122, 4, v82
	v_lshlrev_b32_e32 v115, 4, v83
	;; [unrolled: 1-line block ×6, first 2 shown]
	v_lshrrev_b32_e32 v111, 12, v84
	v_lshrrev_b32_e32 v113, 5, v84
	v_lshlrev_b32_e32 v114, 2, v84
	v_lshlrev_b32_e32 v84, 9, v84
	;; [unrolled: 1-line block ×3, first 2 shown]
	s_wait_loadcnt 0xe
	v_ashrrev_i32_e32 v88, v16, v88
	s_wait_loadcnt 0xd
	v_ashrrev_i32_e32 v91, v16, v91
	v_lshlrev_b32_e32 v117, 18, v83
	v_lshlrev_b32_e32 v118, 25, v83
	v_lshrrev_b32_e32 v119, 12, v83
	v_lshrrev_b32_e32 v120, 5, v83
	v_lshlrev_b32_e32 v121, 2, v83
	v_lshlrev_b32_e32 v83, 9, v83
	;; [unrolled: 1-line block ×5, first 2 shown]
	v_lshrrev_b32_e32 v126, 12, v82
	v_lshrrev_b32_e32 v127, 5, v82
	v_lshlrev_b32_e32 v128, 2, v82
	v_lshlrev_b32_e32 v82, 9, v82
	;; [unrolled: 1-line block ×4, first 2 shown]
	v_and_b32_e32 v99, 0xf0f0f0f, v78
	v_lshrrev_b32_e32 v78, 4, v78
	s_wait_loadcnt 0xb
	v_and_b32_e32 v101, 0xf0f0f0f, v89
	v_lshrrev_b32_e32 v89, 4, v89
	v_and_b32_e32 v81, 0xf0f0f0f, v81
	v_lshlrev_b32_e32 v131, 18, v80
	v_lshlrev_b32_e32 v132, 25, v80
	v_lshrrev_b32_e32 v133, 12, v80
	v_lshrrev_b32_e32 v134, 5, v80
	v_lshlrev_b32_e32 v135, 2, v80
	v_lshlrev_b32_e32 v80, 9, v80
	;; [unrolled: 1-line block ×8, first 2 shown]
	v_lshrrev_b32_e32 v147, 12, v88
	v_lshrrev_b32_e32 v148, 5, v88
	v_lshlrev_b32_e32 v149, 2, v88
	v_lshlrev_b32_e32 v88, 9, v88
	v_and_b32_e32 v107, 16, v107
	v_and_b32_e32 v108, 0x1000, v108
	;; [unrolled: 1-line block ×37, first 2 shown]
	v_or3_b32 v107, v107, v95, v108
	v_or3_b32 v95, v95, v109, v110
	;; [unrolled: 1-line block ×5, first 2 shown]
	v_and_b32_e32 v117, 0x100000, v117
	v_and_b32_e32 v118, 0x10000000, v118
	v_or3_b32 v109, v119, v79, v120
	v_or3_b32 v79, v79, v121, v83
	;; [unrolled: 1-line block ×6, first 2 shown]
	v_lshlrev_b32_e32 v138, 18, v91
	v_lshlrev_b32_e32 v139, 25, v91
	v_and_b32_e32 v124, 0x100000, v124
	v_and_b32_e32 v125, 0x10000000, v125
	v_or3_b32 v111, v133, v78, v134
	v_or3_b32 v78, v78, v135, v80
	;; [unrolled: 1-line block ×5, first 2 shown]
	v_lshrrev_b32_e32 v89, 16, v95
	v_and_b32_e32 v95, 0x1f00, v107
	v_lshlrev_b16 v107, 8, v107
	v_and_b32_e32 v115, 0x1f00, v108
	v_lshlrev_b16 v108, 8, v108
	;; [unrolled: 2-line block ×3, first 2 shown]
	v_or3_b32 v97, v97, v117, v118
	v_and_b32_e32 v118, 0x1f00, v83
	v_lshlrev_b16 v83, 8, v83
	v_and_b32_e32 v131, 0x100000, v131
	v_and_b32_e32 v132, 0x10000000, v132
	;; [unrolled: 1-line block ×3, first 2 shown]
	v_lshlrev_b16 v82, 8, v82
	v_and_b32_e32 v138, 0x100000, v138
	v_and_b32_e32 v139, 0x10000000, v139
	v_or3_b32 v98, v98, v124, v125
	v_and_b32_e32 v122, 0x1f00, v80
	v_lshlrev_b16 v80, 8, v80
	v_lshrrev_b32_e32 v125, 16, v88
	v_and_b32_e32 v88, 0x1f00, v114
	v_add_nc_u16 v95, 0xf000, v95
	v_add_nc_u16 v107, 0xf000, v107
	v_and_b32_e32 v126, 0x1f00, v89
	v_lshlrev_b16 v89, 8, v89
	v_add_nc_u16 v108, 0xf000, v108
	v_add_nc_u16 v84, 0xf000, v84
	;; [unrolled: 1-line block ×3, first 2 shown]
	v_or3_b32 v99, v99, v131, v132
	v_add_nc_u16 v82, 0xf000, v82
	v_or3_b32 v100, v100, v138, v139
	v_lshrrev_b32_e32 v81, 16, v81
	v_add_nc_u16 v80, 0xf000, v80
	v_add_nc_u16 v137, 0xf000, v88
	v_perm_b32 v88, v107, v95, 0xc0c0105
	v_add_nc_u16 v95, 0xf000, v126
	v_add_nc_u16 v89, 0xf000, v89
	v_lshrrev_b16 v108, 8, v108
	v_lshrrev_b32_e32 v97, 16, v97
	v_lshrrev_b32_e32 v79, 16, v79
	v_and_b32_e32 v117, 0x1f00, v109
	v_lshlrev_b16 v109, 8, v109
	v_lshrrev_b16 v84, 8, v84
	v_lshrrev_b32_e32 v98, 16, v98
	v_lshrrev_b32_e32 v77, 16, v77
	v_and_b32_e32 v119, 0x1f00, v110
	v_lshlrev_b16 v110, 8, v110
	;; [unrolled: 5-line block ×3, first 2 shown]
	v_lshrrev_b16 v82, 8, v82
	v_lshrrev_b32_e32 v100, 16, v100
	v_and_b32_e32 v127, 0x1f00, v81
	v_lshlrev_b16 v81, 8, v81
	v_lshrrev_b16 v80, 8, v80
	v_perm_b32 v89, v89, v95, 0xc0c0105
	v_or_b32_e32 v95, v115, v108
	v_and_b32_e32 v128, 0x1f00, v97
	v_lshlrev_b16 v97, 8, v97
	v_add_nc_u16 v117, 0xf000, v117
	v_add_nc_u16 v109, 0xf000, v109
	v_and_b32_e32 v129, 0x1f00, v79
	v_lshlrev_b16 v79, 8, v79
	v_or_b32_e32 v84, v116, v84
	v_and_b32_e32 v130, 0x1f00, v98
	v_lshlrev_b16 v98, 8, v98
	v_add_nc_u16 v119, 0xf000, v119
	v_add_nc_u16 v110, 0xf000, v110
	v_and_b32_e32 v131, 0x1f00, v77
	v_lshlrev_b16 v77, 8, v77
	;; [unrolled: 7-line block ×3, first 2 shown]
	v_or_b32_e32 v82, v120, v82
	v_and_b32_e32 v134, 0x1f00, v100
	v_lshlrev_b16 v100, 8, v100
	v_add_nc_u16 v107, 0xf000, v127
	v_add_nc_u16 v81, 0xf000, v81
	v_or_b32_e32 v80, v122, v80
	v_lshl_or_b32 v88, v89, 16, v88
	v_add_nc_u16 v89, 0xf000, v95
	v_add_nc_u16 v126, 0xf000, v128
	v_add_nc_u16 v97, 0xf000, v97
	v_perm_b32 v109, v109, v117, 0xc0c0105
	v_add_nc_u16 v117, 0xf000, v129
	v_add_nc_u16 v79, 0xf000, v79
	v_add_nc_u16 v84, 0xf000, v84
	v_add_nc_u16 v127, 0xf000, v130
	v_add_nc_u16 v98, 0xf000, v98
	v_perm_b32 v110, v110, v119, 0xc0c0105
	v_add_nc_u16 v119, 0xf000, v131
	v_add_nc_u16 v77, 0xf000, v77
	;; [unrolled: 6-line block ×3, first 2 shown]
	v_add_nc_u16 v82, 0xf000, v82
	v_lshrrev_b32_e32 v90, 4, v90
	v_lshrrev_b32_e32 v140, 12, v91
	;; [unrolled: 1-line block ×3, first 2 shown]
	v_lshlrev_b32_e32 v142, 2, v91
	v_lshlrev_b32_e32 v91, 9, v91
	v_add_nc_u16 v129, 0xf000, v134
	v_add_nc_u16 v100, 0xf000, v100
	v_perm_b32 v81, v81, v107, 0xc0c0105
	v_add_nc_u16 v80, 0xf000, v80
	v_and_b32_e32 v89, 0xffff, v89
	v_perm_b32 v97, v97, v126, 0xc0c0105
	v_perm_b32 v79, v79, v117, 0xc0c0105
	v_and_b32_e32 v84, 0xffff, v84
	v_perm_b32 v98, v98, v127, 0xc0c0105
	v_perm_b32 v77, v77, v119, 0xc0c0105
	v_and_b32_e32 v83, 0xffff, v83
	v_perm_b32 v99, v99, v128, 0xc0c0105
	v_perm_b32 v78, v78, v121, 0xc0c0105
	v_and_b32_e32 v82, 0xffff, v82
	v_and_b32_e32 v90, 0xf0f0f0f, v90
	;; [unrolled: 1-line block ×8, first 2 shown]
	v_perm_b32 v100, v100, v129, 0xc0c0105
	v_and_b32_e32 v80, 0xffff, v80
	v_lshl_or_b32 v81, v81, 16, v89
	v_lshl_or_b32 v79, v79, 16, v109
	;; [unrolled: 1-line block ×7, first 2 shown]
	v_or3_b32 v113, v140, v90, v141
	v_or3_b32 v90, v90, v142, v91
	;; [unrolled: 1-line block ×3, first 2 shown]
	v_lshl_or_b32 v95, v100, 16, v80
	ds_store_2addr_b32 v17, v88, v81 offset1:1
	ds_store_2addr_b32 v21, v84, v79 offset1:1
	;; [unrolled: 1-line block ×4, first 2 shown]
	v_mad_co_u64_u32 v[79:80], null, v47, 22, v[3:4]
	v_mad_co_u64_u32 v[3:4], null, v49, 22, v[3:4]
	v_add_co_u32 v77, s1, v102, v16
	v_and_b32_e32 v145, 0x100000, v145
	v_and_b32_e32 v146, 0x10000000, v146
	;; [unrolled: 1-line block ×3, first 2 shown]
	v_lshlrev_b16 v91, 8, v91
	s_wait_alu 0xf1ff
	v_add_co_ci_u32_e64 v78, null, 0, v103, s1
	v_add_co_u32 v81, s1, v104, v16
	s_wait_alu 0xf1ff
	v_add_co_ci_u32_e64 v82, null, 0, v105, s1
	v_add_co_u32 v83, s1, v79, v16
	v_or3_b32 v101, v101, v145, v146
	v_add_nc_u16 v91, 0xf000, v91
	s_wait_alu 0xf1ff
	v_add_co_ci_u32_e64 v84, null, 0, v80, s1
	v_add_co_u32 v88, s1, v3, v16
	v_ashrrev_i32_e32 v76, v16, v76
	s_wait_alu 0xf1ff
	v_add_co_ci_u32_e64 v89, null, 0, v4, s1
	s_clause 0x7
	global_load_b32 v77, v[77:78], off offset:6
	global_load_b32 v78, v[81:82], off offset:6
	global_load_b32 v81, v[83:84], off offset:6
	global_load_b32 v82, v[88:89], off offset:6
	global_load_b32 v83, v[3:4], off offset:2
	global_load_b32 v79, v[79:80], off offset:2
	global_load_b32 v80, v[104:105], off offset:2
	global_load_b32 v84, v[102:103], off offset:2
	v_lshrrev_b32_e32 v101, 16, v101
	v_lshrrev_b16 v91, 8, v91
	v_and_b32_e32 v3, 0x1f00, v125
	v_lshlrev_b16 v4, 8, v125
	v_lshlrev_b32_e32 v89, 4, v76
	v_lshlrev_b32_e32 v97, 11, v76
	v_and_b32_e32 v136, 0x1f00, v101
	v_lshlrev_b16 v101, 8, v101
	v_or_b32_e32 v91, v124, v91
	v_add_nc_u16 v3, 0xf000, v3
	v_add_nc_u16 v4, 0xf000, v4
	s_wait_loadcnt 0x12
	v_and_b32_e32 v98, 0xf0f0f0f, v75
	v_and_b32_e32 v89, 16, v89
	v_and_b32_e32 v97, 0x1000, v97
	v_add_nc_u16 v130, 0xf000, v136
	v_add_nc_u16 v101, 0xf000, v101
	;; [unrolled: 1-line block ×3, first 2 shown]
	v_perm_b32 v3, v4, v3, 0xc0c0105
	v_or3_b32 v4, v89, v98, v97
	v_lshlrev_b32_e32 v89, 18, v76
	v_lshlrev_b32_e32 v97, 25, v76
	v_lshrrev_b32_e32 v75, 4, v75
	v_lshrrev_b32_e32 v99, 12, v76
	;; [unrolled: 1-line block ×3, first 2 shown]
	v_perm_b32 v101, v101, v130, 0xc0c0105
	v_and_b32_e32 v91, 0xffff, v91
	v_and_b32_e32 v89, 0x100000, v89
	;; [unrolled: 1-line block ×6, first 2 shown]
	v_lshl_or_b32 v91, v101, 16, v91
	v_lshlrev_b32_e32 v101, 2, v76
	v_lshlrev_b32_e32 v76, 9, v76
	v_or3_b32 v89, v98, v89, v97
	v_or3_b32 v98, v99, v75, v100
	v_lshlrev_b16 v114, 8, v114
	v_and_b32_e32 v99, 0x100000, v101
	v_and_b32_e32 v76, 0x10000000, v76
	v_lshrrev_b32_e32 v89, 16, v89
	v_lshlrev_b16 v100, 8, v98
	v_and_b32_e32 v97, 0x1f00, v4
	v_lshlrev_b16 v4, 8, v4
	v_or3_b32 v75, v75, v99, v76
	v_and_b32_e32 v76, 0x1f00, v89
	v_lshlrev_b16 v89, 8, v89
	v_add_nc_u16 v99, 0xf000, v100
	v_add_nc_u16 v88, 0xf000, v114
	;; [unrolled: 1-line block ×4, first 2 shown]
	v_lshrrev_b32_e32 v75, 16, v75
	v_add_nc_u16 v76, 0xf000, v76
	v_add_nc_u16 v89, 0xf000, v89
	v_and_b32_e32 v98, 0x1f00, v98
	v_lshrrev_b16 v99, 8, v99
	v_perm_b32 v88, v88, v137, 0xc0c0105
	v_and_b32_e32 v100, 0x1f00, v75
	v_lshlrev_b16 v75, 8, v75
	v_perm_b32 v4, v4, v97, 0xc0c0105
	v_perm_b32 v76, v89, v76, 0xc0c0105
	v_or_b32_e32 v89, v98, v99
	v_ashrrev_i32_e32 v74, v16, v74
	v_add_nc_u16 v97, 0xf000, v100
	v_add_nc_u16 v75, 0xf000, v75
	v_lshl_or_b32 v3, v3, 16, v88
	v_add_nc_u16 v88, 0xf000, v89
	v_lshl_or_b32 v4, v76, 16, v4
	v_lshlrev_b32_e32 v76, 4, v74
	v_lshlrev_b32_e32 v89, 11, v74
	v_perm_b32 v75, v75, v97, 0xc0c0105
	v_lshlrev_b32_e32 v97, 18, v74
	s_wait_loadcnt 0x11
	v_and_b32_e32 v98, 0xf0f0f0f, v73
	v_and_b32_e32 v76, 16, v76
	;; [unrolled: 1-line block ×3, first 2 shown]
	v_lshlrev_b32_e32 v99, 25, v74
	v_lshrrev_b32_e32 v73, 4, v73
	v_lshrrev_b32_e32 v100, 12, v74
	;; [unrolled: 1-line block ×3, first 2 shown]
	v_and_b32_e32 v97, 0x100000, v97
	v_and_b32_e32 v99, 0x10000000, v99
	v_or3_b32 v76, v76, v98, v89
	v_and_b32_e32 v73, 0xf0f0f0f, v73
	v_and_b32_e32 v89, 16, v100
	;; [unrolled: 1-line block ×3, first 2 shown]
	v_or3_b32 v97, v98, v97, v99
	v_lshlrev_b32_e32 v98, 2, v74
	v_lshlrev_b32_e32 v74, 9, v74
	v_and_b32_e32 v88, 0xffff, v88
	v_or3_b32 v89, v89, v73, v100
	v_lshrrev_b32_e32 v90, 16, v90
	v_and_b32_e32 v98, 0x100000, v98
	v_and_b32_e32 v74, 0x10000000, v74
	;; [unrolled: 1-line block ×3, first 2 shown]
	v_lshlrev_b16 v100, 8, v89
	v_lshlrev_b16 v113, 8, v113
	v_lshrrev_b32_e32 v97, 16, v97
	v_or3_b32 v73, v73, v98, v74
	v_lshl_or_b32 v74, v75, 16, v88
	v_add_nc_u16 v75, 0xf000, v100
	v_and_b32_e32 v89, 0x1f00, v89
	v_add_nc_u16 v123, 0xf000, v123
	v_lshrrev_b32_e32 v73, 16, v73
	v_add_nc_u16 v113, 0xf000, v113
	v_lshrrev_b16 v75, 8, v75
	v_and_b32_e32 v135, 0x1f00, v90
	v_lshlrev_b16 v90, 8, v90
	v_and_b32_e32 v88, 0x1f00, v97
	v_lshlrev_b16 v97, 8, v97
	;; [unrolled: 2-line block ×4, first 2 shown]
	v_or_b32_e32 v75, v89, v75
	v_perm_b32 v113, v113, v123, 0xc0c0105
	v_add_nc_u16 v123, 0xf000, v135
	v_add_nc_u16 v90, 0xf000, v90
	;; [unrolled: 1-line block ×4, first 2 shown]
	s_wait_loadcnt 0x8
	v_ashrrev_i32_e32 v94, v16, v94
	v_add_nc_u16 v99, 0xf000, v99
	v_add_nc_u16 v76, 0xf000, v76
	v_add_nc_u16 v97, 0xf000, v98
	v_add_nc_u16 v73, 0xf000, v73
	v_add_nc_u16 v75, 0xf000, v75
	v_perm_b32 v90, v90, v123, 0xc0c0105
	v_perm_b32 v88, v89, v88, 0xc0c0105
	v_lshlrev_b32_e32 v89, 4, v94
	v_lshlrev_b32_e32 v98, 11, v94
	v_perm_b32 v76, v76, v99, 0xc0c0105
	v_perm_b32 v73, v73, v97, 0xc0c0105
	v_and_b32_e32 v75, 0xffff, v75
	v_lshl_or_b32 v90, v90, 16, v113
	v_and_b32_e32 v97, 0xf0f0f0f, v112
	v_and_b32_e32 v89, 16, v89
	v_and_b32_e32 v98, 0x1000, v98
	v_lshlrev_b32_e32 v99, 18, v94
	v_lshlrev_b32_e32 v100, 25, v94
	v_lshl_or_b32 v76, v88, 16, v76
	v_lshl_or_b32 v73, v73, 16, v75
	v_or3_b32 v75, v89, v97, v98
	v_and_b32_e32 v88, 0x100000, v99
	v_and_b32_e32 v89, 0x10000000, v100
	ds_store_2addr_b32 v24, v95, v90 offset1:1
	ds_store_2addr_b32 v26, v91, v3 offset1:1
	;; [unrolled: 1-line block ×4, first 2 shown]
	v_lshrrev_b32_e32 v73, 4, v112
	v_lshrrev_b32_e32 v74, 12, v94
	;; [unrolled: 1-line block ×3, first 2 shown]
	v_or3_b32 v3, v97, v88, v89
	v_lshlrev_b32_e32 v88, 2, v94
	v_lshlrev_b32_e32 v89, 9, v94
	v_and_b32_e32 v73, 0xf0f0f0f, v73
	v_and_b32_e32 v74, 16, v74
	;; [unrolled: 1-line block ×6, first 2 shown]
	v_lshlrev_b16 v75, 8, v75
	v_lshrrev_b32_e32 v3, 16, v3
	v_or3_b32 v74, v74, v73, v76
	v_add_nc_u16 v4, 0xf000, v4
	v_or3_b32 v73, v73, v88, v89
	v_add_nc_u16 v75, 0xf000, v75
	v_and_b32_e32 v76, 0x1f00, v3
	v_lshlrev_b16 v88, 8, v74
	v_lshlrev_b16 v3, 8, v3
	v_lshrrev_b32_e32 v73, 16, v73
	v_perm_b32 v4, v75, v4, 0xc0c0105
	v_add_nc_u16 v75, 0xf000, v76
	v_add_nc_u16 v76, 0xf000, v88
	;; [unrolled: 1-line block ×3, first 2 shown]
	v_and_b32_e32 v88, 0x1f00, v73
	v_ashrrev_i32_e32 v89, v16, v96
	v_and_b32_e32 v74, 0x1f00, v74
	v_lshrrev_b16 v76, 8, v76
	v_perm_b32 v3, v3, v75, 0xc0c0105
	v_add_nc_u16 v75, 0xf000, v88
	v_lshlrev_b32_e32 v88, 4, v89
	v_lshlrev_b16 v73, 8, v73
	v_or_b32_e32 v74, v74, v76
	v_lshlrev_b32_e32 v76, 11, v89
	v_and_b32_e32 v90, 0xf0f0f0f, v106
	v_and_b32_e32 v88, 16, v88
	v_lshlrev_b32_e32 v91, 18, v89
	v_lshlrev_b32_e32 v94, 25, v89
	v_and_b32_e32 v76, 0x1000, v76
	v_add_nc_u16 v73, 0xf000, v73
	v_add_nc_u16 v74, 0xf000, v74
	v_and_b32_e32 v91, 0x100000, v91
	v_and_b32_e32 v94, 0x10000000, v94
	v_or3_b32 v76, v88, v90, v76
	v_lshl_or_b32 v88, v3, 16, v4
	v_perm_b32 v75, v73, v75, 0xc0c0105
	v_and_b32_e32 v95, 0xffff, v74
	v_or3_b32 v3, v90, v91, v94
	v_and_b32_e32 v4, 0x1f00, v76
	v_lshlrev_b16 v73, 8, v76
	v_lshrrev_b32_e32 v74, 4, v106
	v_lshlrev_b32_e32 v76, 2, v89
	v_lshlrev_b32_e32 v90, 9, v89
	v_lshrrev_b32_e32 v91, 12, v89
	v_lshrrev_b32_e32 v89, 5, v89
	v_and_b32_e32 v74, 0xf0f0f0f, v74
	v_and_b32_e32 v76, 0x100000, v76
	;; [unrolled: 1-line block ×5, first 2 shown]
	v_lshrrev_b32_e32 v3, 16, v3
	v_add_nc_u16 v4, 0xf000, v4
	v_add_nc_u16 v73, 0xf000, v73
	v_or3_b32 v76, v74, v76, v90
	v_or3_b32 v89, v91, v74, v89
	v_and_b32_e32 v74, 0x1f00, v3
	v_lshlrev_b16 v3, 8, v3
	v_perm_b32 v90, v73, v4, 0xc0c0105
	v_lshrrev_b32_e32 v76, 16, v76
	v_lshlrev_b16 v4, 8, v89
	v_add_nc_u16 v91, 0xf000, v74
	v_add_nc_u16 v94, 0xf000, v3
	v_mad_co_u64_u32 v[73:74], null, v48, 22, v[5:6]
	s_delay_alu instid0(VALU_DEP_4)
	v_add_nc_u16 v97, 0xf000, v4
	v_mad_co_u64_u32 v[3:4], null, v45, 22, v[5:6]
	v_mad_co_u64_u32 v[5:6], null, v50, 22, v[5:6]
	v_and_b32_e32 v96, 0x1f00, v76
	v_lshlrev_b16 v76, 8, v76
	v_and_b32_e32 v89, 0x1f00, v89
	v_lshrrev_b16 v97, 8, v97
	s_clause 0x2
	global_load_u16 v3, v[3:4], off
	global_load_u16 v73, v[73:74], off
	;; [unrolled: 1-line block ×3, first 2 shown]
	v_add_nc_u16 v96, 0xf000, v96
	v_add_nc_u16 v76, 0xf000, v76
	v_ashrrev_i32_e32 v4, v16, v93
	v_perm_b32 v74, v94, v91, 0xc0c0105
	v_and_b32_e32 v93, 0xf0f0f0f, v92
	v_lshrrev_b32_e32 v92, 4, v92
	v_perm_b32 v76, v76, v96, 0xc0c0105
	v_lshrrev_b32_e32 v94, 12, v4
	v_lshrrev_b32_e32 v96, 5, v4
	v_or_b32_e32 v6, v89, v97
	v_lshlrev_b32_e32 v89, 4, v4
	v_lshlrev_b32_e32 v91, 11, v4
	v_and_b32_e32 v92, 0xf0f0f0f, v92
	v_and_b32_e32 v94, 16, v94
	;; [unrolled: 1-line block ×5, first 2 shown]
	v_lshlrev_b32_e32 v97, 18, v4
	v_lshlrev_b32_e32 v98, 25, v4
	;; [unrolled: 1-line block ×4, first 2 shown]
	v_or3_b32 v94, v94, v92, v96
	v_and_b32_e32 v97, 0x100000, v97
	v_and_b32_e32 v98, 0x10000000, v98
	v_or3_b32 v89, v89, v93, v91
	v_and_b32_e32 v91, 0x100000, v99
	v_and_b32_e32 v4, 0x10000000, v4
	v_lshlrev_b16 v96, 8, v94
	v_or3_b32 v93, v93, v97, v98
	v_and_b32_e32 v97, 0x1f00, v89
	v_and_b32_e32 v94, 0x1f00, v94
	v_or3_b32 v4, v92, v91, v4
	v_add_nc_u16 v92, 0xf000, v96
	v_lshrrev_b32_e32 v91, 16, v93
	v_lshlrev_b16 v89, 8, v89
	v_add_nc_u16 v93, 0xf000, v97
	v_lshrrev_b32_e32 v4, 16, v4
	v_lshrrev_b16 v92, 8, v92
	v_and_b32_e32 v96, 0x1f00, v91
	v_lshlrev_b16 v91, 8, v91
	v_add_nc_u16 v6, 0xf000, v6
	v_and_b32_e32 v97, 0x1f00, v4
	v_lshlrev_b16 v4, 8, v4
	v_or_b32_e32 v92, v94, v92
	v_add_nc_u16 v89, 0xf000, v89
	v_add_nc_u16 v94, 0xf000, v96
	;; [unrolled: 1-line block ×6, first 2 shown]
	v_and_b32_e32 v6, 0xffff, v6
	v_perm_b32 v89, v89, v93, 0xc0c0105
	v_perm_b32 v91, v91, v94, 0xc0c0105
	;; [unrolled: 1-line block ×3, first 2 shown]
	v_and_b32_e32 v92, 0xffff, v92
	v_lshl_or_b32 v75, v75, 16, v95
	v_ashrrev_i32_e32 v87, v16, v87
	v_lshl_or_b32 v74, v74, 16, v90
	v_lshl_or_b32 v6, v76, 16, v6
	;; [unrolled: 1-line block ×4, first 2 shown]
	ds_store_2addr_b32 v29, v88, v75 offset1:1
	ds_store_2addr_b32 v31, v74, v6 offset1:1
	;; [unrolled: 1-line block ×3, first 2 shown]
	v_lshlrev_b32_e32 v4, 4, v87
	v_lshlrev_b32_e32 v6, 11, v87
	;; [unrolled: 1-line block ×4, first 2 shown]
	v_and_b32_e32 v76, 0xf0f0f0f, v85
	v_and_b32_e32 v4, 16, v4
	;; [unrolled: 1-line block ×5, first 2 shown]
	v_lshrrev_b32_e32 v85, 4, v85
	v_lshrrev_b32_e32 v88, 12, v87
	;; [unrolled: 1-line block ×3, first 2 shown]
	v_or3_b32 v4, v4, v76, v6
	v_or3_b32 v6, v76, v74, v75
	v_and_b32_e32 v74, 0xf0f0f0f, v85
	v_and_b32_e32 v75, 16, v88
	;; [unrolled: 1-line block ×4, first 2 shown]
	v_lshlrev_b32_e32 v88, 2, v87
	v_lshlrev_b32_e32 v87, 9, v87
	v_lshrrev_b32_e32 v6, 16, v6
	v_or3_b32 v75, v75, v74, v76
	v_add_nc_u16 v76, 0xf000, v85
	v_and_b32_e32 v85, 0x100000, v88
	v_and_b32_e32 v87, 0x10000000, v87
	v_lshlrev_b16 v4, 8, v4
	v_lshlrev_b16 v88, 8, v75
	v_and_b32_e32 v89, 0x1f00, v6
	v_lshlrev_b16 v6, 8, v6
	v_or3_b32 v74, v74, v85, v87
	v_add_nc_u16 v4, 0xf000, v4
	v_add_nc_u16 v85, 0xf000, v88
	;; [unrolled: 1-line block ×4, first 2 shown]
	v_lshrrev_b32_e32 v74, 16, v74
	v_and_b32_e32 v75, 0x1f00, v75
	v_lshrrev_b16 v85, 8, v85
	v_perm_b32 v4, v4, v76, 0xc0c0105
	v_perm_b32 v6, v6, v87, 0xc0c0105
	v_and_b32_e32 v76, 0x1f00, v74
	s_wait_loadcnt 0x3
	v_ashrrev_i32_e32 v84, v16, v84
	v_lshlrev_b16 v74, 8, v74
	v_or_b32_e32 v75, v75, v85
	v_lshl_or_b32 v4, v6, 16, v4
	v_add_nc_u16 v6, 0xf000, v76
	v_lshlrev_b32_e32 v76, 18, v84
	v_lshlrev_b32_e32 v85, 25, v84
	v_add_nc_u16 v74, 0xf000, v74
	v_add_nc_u16 v75, 0xf000, v75
	v_and_b32_e32 v87, 0xf0f0f0f, v77
	v_lshlrev_b32_e32 v88, 4, v84
	v_lshlrev_b32_e32 v89, 11, v84
	v_and_b32_e32 v76, 0x100000, v76
	v_and_b32_e32 v85, 0x10000000, v85
	v_perm_b32 v6, v74, v6, 0xc0c0105
	v_and_b32_e32 v74, 0xffff, v75
	v_and_b32_e32 v75, 16, v88
	;; [unrolled: 1-line block ×3, first 2 shown]
	v_or3_b32 v76, v87, v76, v85
	v_lshrrev_b32_e32 v77, 4, v77
	v_lshrrev_b32_e32 v85, 12, v84
	;; [unrolled: 1-line block ×3, first 2 shown]
	v_or3_b32 v75, v75, v87, v88
	v_lshlrev_b32_e32 v88, 2, v84
	v_and_b32_e32 v77, 0xf0f0f0f, v77
	v_and_b32_e32 v85, 16, v85
	;; [unrolled: 1-line block ×3, first 2 shown]
	v_lshlrev_b32_e32 v84, 9, v84
	v_and_b32_e32 v89, 0x1f00, v75
	v_lshrrev_b32_e32 v76, 16, v76
	v_lshl_or_b32 v6, v6, 16, v74
	v_or3_b32 v85, v85, v77, v87
	v_and_b32_e32 v87, 0x100000, v88
	v_and_b32_e32 v84, 0x10000000, v84
	v_add_nc_u16 v88, 0xf000, v89
	v_lshlrev_b16 v75, 8, v75
	v_lshlrev_b16 v89, 8, v85
	v_and_b32_e32 v85, 0x1f00, v85
	v_or3_b32 v74, v77, v87, v84
	v_and_b32_e32 v77, 0x1f00, v76
	v_lshlrev_b16 v76, 8, v76
	v_add_nc_u16 v84, 0xf000, v89
	v_ashrrev_i32_e32 v80, v16, v80
	v_lshrrev_b32_e32 v74, 16, v74
	v_add_nc_u16 v77, 0xf000, v77
	v_add_nc_u16 v76, 0xf000, v76
	v_lshrrev_b16 v84, 8, v84
	v_add_nc_u16 v75, 0xf000, v75
	v_and_b32_e32 v87, 0x1f00, v74
	v_lshlrev_b16 v74, 8, v74
	v_perm_b32 v76, v76, v77, 0xc0c0105
	v_or_b32_e32 v84, v85, v84
	v_lshlrev_b32_e32 v85, 4, v80
	v_add_nc_u16 v77, 0xf000, v87
	v_add_nc_u16 v74, 0xf000, v74
	v_lshlrev_b32_e32 v87, 11, v80
	v_add_nc_u16 v84, 0xf000, v84
	v_lshlrev_b32_e32 v89, 18, v80
	v_lshlrev_b32_e32 v90, 25, v80
	v_perm_b32 v75, v75, v88, 0xc0c0105
	v_and_b32_e32 v88, 0xf0f0f0f, v78
	v_and_b32_e32 v85, 16, v85
	;; [unrolled: 1-line block ×3, first 2 shown]
	v_perm_b32 v74, v74, v77, 0xc0c0105
	v_and_b32_e32 v77, 0xffff, v84
	v_and_b32_e32 v84, 0x100000, v89
	;; [unrolled: 1-line block ×3, first 2 shown]
	v_or3_b32 v85, v85, v88, v87
	v_lshl_or_b32 v75, v76, 16, v75
	v_lshl_or_b32 v74, v74, 16, v77
	v_lshrrev_b32_e32 v76, 4, v78
	v_or3_b32 v77, v88, v84, v89
	v_lshlrev_b32_e32 v84, 2, v80
	v_lshlrev_b32_e32 v87, 9, v80
	v_lshrrev_b32_e32 v88, 12, v80
	v_lshrrev_b32_e32 v80, 5, v80
	v_and_b32_e32 v76, 0xf0f0f0f, v76
	v_and_b32_e32 v84, 0x100000, v84
	;; [unrolled: 1-line block ×3, first 2 shown]
	v_lshrrev_b32_e32 v77, 16, v77
	v_and_b32_e32 v88, 16, v88
	v_and_b32_e32 v80, 0x1000, v80
	;; [unrolled: 1-line block ×3, first 2 shown]
	v_or3_b32 v84, v76, v84, v87
	v_lshlrev_b16 v85, 8, v85
	v_and_b32_e32 v87, 0x1f00, v77
	v_or3_b32 v76, v88, v76, v80
	v_add_nc_u16 v78, 0xf000, v78
	v_lshlrev_b16 v77, 8, v77
	v_lshrrev_b32_e32 v80, 16, v84
	v_add_nc_u16 v84, 0xf000, v85
	v_add_nc_u16 v85, 0xf000, v87
	v_lshlrev_b16 v87, 8, v76
	v_add_nc_u16 v77, 0xf000, v77
	v_and_b32_e32 v88, 0x1f00, v80
	v_perm_b32 v78, v84, v78, 0xc0c0105
	v_ashrrev_i32_e32 v79, v16, v79
	v_add_nc_u16 v84, 0xf000, v87
	v_perm_b32 v77, v77, v85, 0xc0c0105
	v_add_nc_u16 v85, 0xf000, v88
	v_lshlrev_b16 v80, 8, v80
	v_lshlrev_b32_e32 v87, 4, v79
	v_and_b32_e32 v76, 0x1f00, v76
	v_lshrrev_b16 v84, 8, v84
	v_lshlrev_b32_e32 v88, 11, v79
	v_lshlrev_b32_e32 v90, 18, v79
	;; [unrolled: 1-line block ×3, first 2 shown]
	v_and_b32_e32 v89, 0xf0f0f0f, v81
	v_and_b32_e32 v87, 16, v87
	;; [unrolled: 1-line block ×3, first 2 shown]
	v_add_nc_u16 v80, 0xf000, v80
	v_or_b32_e32 v76, v76, v84
	v_and_b32_e32 v84, 0x100000, v90
	v_and_b32_e32 v90, 0x10000000, v91
	v_or3_b32 v87, v87, v89, v88
	v_lshl_or_b32 v77, v77, 16, v78
	v_perm_b32 v78, v80, v85, 0xc0c0105
	v_lshrrev_b32_e32 v81, 4, v81
	v_or3_b32 v80, v89, v84, v90
	v_lshrrev_b32_e32 v85, 12, v79
	v_lshrrev_b32_e32 v88, 5, v79
	v_lshlrev_b32_e32 v89, 2, v79
	v_lshlrev_b32_e32 v79, 9, v79
	v_and_b32_e32 v81, 0xf0f0f0f, v81
	v_and_b32_e32 v85, 16, v85
	v_and_b32_e32 v88, 0x1000, v88
	v_and_b32_e32 v89, 0x100000, v89
	v_and_b32_e32 v79, 0x10000000, v79
	v_and_b32_e32 v84, 0x1f00, v87
	v_lshlrev_b16 v87, 8, v87
	v_lshrrev_b32_e32 v80, 16, v80
	v_or3_b32 v85, v85, v81, v88
	v_or3_b32 v79, v81, v89, v79
	v_add_nc_u16 v84, 0xf000, v84
	v_add_nc_u16 v81, 0xf000, v87
	v_and_b32_e32 v87, 0x1f00, v80
	v_lshlrev_b16 v88, 8, v85
	v_lshrrev_b32_e32 v79, 16, v79
	v_lshlrev_b16 v80, 8, v80
	v_perm_b32 v81, v81, v84, 0xc0c0105
	v_add_nc_u16 v84, 0xf000, v87
	v_add_nc_u16 v87, 0xf000, v88
	v_and_b32_e32 v88, 0x1f00, v79
	v_lshlrev_b16 v79, 8, v79
	v_ashrrev_i32_e32 v83, v16, v83
	v_and_b32_e32 v85, 0x1f00, v85
	v_lshrrev_b16 v87, 8, v87
	v_add_nc_u16 v88, 0xf000, v88
	v_add_nc_u16 v79, 0xf000, v79
	;; [unrolled: 1-line block ×3, first 2 shown]
	v_lshrrev_b32_e32 v89, 12, v83
	v_lshrrev_b32_e32 v90, 5, v83
	v_or_b32_e32 v85, v85, v87
	v_perm_b32 v79, v79, v88, 0xc0c0105
	v_and_b32_e32 v88, 0xf0f0f0f, v82
	v_lshrrev_b32_e32 v82, 4, v82
	v_perm_b32 v80, v80, v84, 0xc0c0105
	v_lshlrev_b32_e32 v84, 4, v83
	v_lshlrev_b32_e32 v87, 11, v83
	v_and_b32_e32 v89, 16, v89
	v_and_b32_e32 v82, 0xf0f0f0f, v82
	;; [unrolled: 1-line block ×5, first 2 shown]
	v_lshlrev_b32_e32 v91, 18, v83
	v_lshlrev_b32_e32 v92, 25, v83
	;; [unrolled: 1-line block ×4, first 2 shown]
	v_or3_b32 v89, v89, v82, v90
	v_and_b32_e32 v91, 0x100000, v91
	v_and_b32_e32 v92, 0x10000000, v92
	v_or3_b32 v84, v84, v88, v87
	v_and_b32_e32 v87, 0x100000, v93
	v_and_b32_e32 v83, 0x10000000, v83
	v_lshlrev_b16 v90, 8, v89
	v_or3_b32 v88, v88, v91, v92
	v_and_b32_e32 v91, 0x1f00, v84
	v_and_b32_e32 v89, 0x1f00, v89
	v_or3_b32 v82, v82, v87, v83
	v_add_nc_u16 v87, 0xf000, v90
	v_lshrrev_b32_e32 v83, 16, v88
	v_lshlrev_b16 v84, 8, v84
	v_add_nc_u16 v88, 0xf000, v91
	v_lshrrev_b32_e32 v82, 16, v82
	v_lshrrev_b16 v87, 8, v87
	v_and_b32_e32 v90, 0x1f00, v83
	v_lshlrev_b16 v83, 8, v83
	v_add_nc_u16 v76, 0xf000, v76
	v_and_b32_e32 v91, 0x1f00, v82
	v_lshlrev_b16 v82, 8, v82
	v_or_b32_e32 v87, v89, v87
	v_add_nc_u16 v85, 0xf000, v85
	v_add_nc_u16 v84, 0xf000, v84
	;; [unrolled: 1-line block ×7, first 2 shown]
	v_and_b32_e32 v76, 0xffff, v76
	v_and_b32_e32 v85, 0xffff, v85
	v_perm_b32 v84, v84, v88, 0xc0c0105
	v_perm_b32 v83, v83, v89, 0xc0c0105
	;; [unrolled: 1-line block ×3, first 2 shown]
	v_and_b32_e32 v87, 0xffff, v87
	v_lshl_or_b32 v76, v78, 16, v76
	v_lshl_or_b32 v78, v80, 16, v81
	;; [unrolled: 1-line block ×5, first 2 shown]
	v_cvt_f32_f16_e32 v86, v86
	ds_store_2addr_b32 v33, v4, v6 offset1:1
	ds_store_2addr_b32 v35, v75, v74 offset1:1
	;; [unrolled: 1-line block ×5, first 2 shown]
	s_wait_loadcnt 0x2
	v_cvt_f32_f16_e32 v3, v3
	s_wait_loadcnt 0x1
	v_cvt_f32_f16_e32 v4, v73
	;; [unrolled: 2-line block ×3, first 2 shown]
	ds_store_b32 v69, v86
	ds_store_b32 v70, v3
	;; [unrolled: 1-line block ×4, first 2 shown]
	s_cbranch_scc0 .LBB181_4
; %bb.6:                                ;   in Loop: Header=BB181_5 Depth=1
	v_add_nc_u32_e32 v3, s14, v13
	s_delay_alu instid0(VALU_DEP_1)
	v_cmp_gt_i32_e64 s1, s5, v3
	s_and_b32 s17, s0, s1
	s_wait_alu 0xfffe
	s_and_saveexec_b32 s1, s17
	s_cbranch_execz .LBB181_8
; %bb.7:                                ;   in Loop: Header=BB181_5 Depth=1
	v_add_nc_u32_e32 v3, v58, v3
	s_delay_alu instid0(VALU_DEP_1)
	v_mad_co_i64_i32 v[3:4], null, v3, 36, v[0:1]
	global_load_b32 v3, v[3:4], off offset:4
	s_wait_loadcnt 0x0
	ds_store_b32 v54, v3
.LBB181_8:                              ;   in Loop: Header=BB181_5 Depth=1
	s_wait_alu 0xfffe
	s_or_b32 exec_lo, exec_lo, s1
	v_add_nc_u32_e32 v3, s14, v8
	s_delay_alu instid0(VALU_DEP_1)
	v_cmp_gt_i32_e64 s1, s5, v3
	s_and_b32 s17, s19, s1
	s_wait_alu 0xfffe
	s_and_saveexec_b32 s1, s17
	s_cbranch_execz .LBB181_10
; %bb.9:                                ;   in Loop: Header=BB181_5 Depth=1
	v_add_nc_u32_e32 v4, v58, v3
	s_delay_alu instid0(VALU_DEP_1)
	v_mad_co_i64_i32 v[4:5], null, v4, 36, s[2:3]
	global_load_b32 v4, v[4:5], off
	s_wait_loadcnt 0x0
	v_cvt_f32_f16_e32 v4, v4
	ds_store_b32 v55, v4
.LBB181_10:                             ;   in Loop: Header=BB181_5 Depth=1
	s_wait_alu 0xfffe
	s_or_b32 exec_lo, exec_lo, s1
	v_dual_mov_b32 v4, v52 :: v_dual_mov_b32 v5, v56
	v_dual_mov_b32 v6, v53 :: v_dual_mov_b32 v73, v63
	;; [unrolled: 1-line block ×3, first 2 shown]
	v_mov_b32_e32 v76, v60
	s_mov_b32 s1, -4
	s_wait_dscnt 0x0
	s_barrier_signal -1
	s_barrier_wait -1
	global_inv scope:SCOPE_SE
.LBB181_11:                             ;   Parent Loop BB181_5 Depth=1
                                        ; =>  This Inner Loop Header: Depth=2
	ds_load_2addr_b32 v[77:78], v4 offset0:3 offset1:4
	ds_load_2addr_b32 v[79:80], v4 offset0:5 offset1:6
	ds_load_2addr_b32 v[81:82], v5 offset1:1
	ds_load_2addr_b32 v[83:84], v4 offset0:1 offset1:2
	ds_load_2addr_b32 v[85:86], v4 offset1:7
	ds_load_b32 v117, v6
	ds_load_2addr_b32 v[87:88], v5 offset0:2 offset1:3
	ds_load_2addr_b32 v[89:90], v5 offset0:4 offset1:5
	;; [unrolled: 1-line block ×3, first 2 shown]
	ds_load_b32 v118, v73
	ds_load_b32 v119, v74
	;; [unrolled: 1-line block ×4, first 2 shown]
	v_add_nc_u32_e32 v93, 0x2080, v5
	v_add_nc_u32_e32 v95, 0x2088, v5
	;; [unrolled: 1-line block ×13, first 2 shown]
	s_wait_dscnt 0xc
	v_lshlrev_b32_e32 v129, 24, v78
	v_lshlrev_b32_e32 v130, 16, v78
	s_wait_dscnt 0x3
	v_dual_mul_f32 v118, v117, v118 :: v_dual_lshlrev_b32 v123, 8, v83
	ds_load_2addr_b32 v[93:94], v93 offset1:1
	ds_load_2addr_b32 v[95:96], v95 offset1:1
	;; [unrolled: 1-line block ×12, first 2 shown]
	s_wait_dscnt 0xe
	v_dual_mul_f32 v119, v117, v119 :: v_dual_lshlrev_b32 v122, 8, v78
	v_lshlrev_b32_e32 v124, 8, v79
	v_lshlrev_b32_e32 v125, 8, v84
	;; [unrolled: 1-line block ×16, first 2 shown]
	v_perm_b32 v146, v130, v129, 0xc0c0703
	v_perm_b32 v147, v78, v122, 0x7030c0c
	v_dot4_i32_iu8 v81, v85, v81, 0 neg_lo:[1,1,0]
	v_lshlrev_b32_e32 v142, 16, v86
	v_perm_b32 v143, v79, v83, 0x7030c0c
	v_perm_b32 v144, v80, v84, 0xc0c0703
	;; [unrolled: 1-line block ×3, first 2 shown]
	s_wait_dscnt 0xb
	v_dot4_i32_iu8 v93, v85, v93, 0 neg_lo:[1,1,0]
	s_wait_dscnt 0x7
	v_dot4_i32_iu8 v101, v85, v101, 0 neg_lo:[1,1,0]
	v_perm_b32 v148, v132, v131, 0xc0c0703
	v_perm_b32 v83, v83, v123, 0x7030c0c
	v_perm_b32 v149, v134, v133, 0xc0c0703
	v_perm_b32 v79, v79, v124, 0x7030c0c
	v_perm_b32 v150, v136, v135, 0xc0c0703
	v_perm_b32 v84, v84, v125, 0x7030c0c
	v_perm_b32 v151, v138, v137, 0xc0c0703
	v_perm_b32 v80, v80, v126, 0x7030c0c
	v_perm_b32 v152, v140, v139, 0xc0c0703
	v_perm_b32 v77, v77, v127, 0x7030c0c
	v_perm_b32 v86, v86, v128, 0x7030c0c
	s_wait_dscnt 0x3
	v_perm_b32 v130, v109, v130, 0xc0c0503
	v_perm_b32 v132, v134, v132, 0x7030c0c
	s_wait_dscnt 0x2
	v_perm_b32 v134, v112, v111, 0x5010c0c
	v_perm_b32 v154, v85, v110, 0xc0c0501
	;; [unrolled: 1-line block ×13, first 2 shown]
	s_wait_dscnt 0x1
	v_perm_b32 v110, v114, v113, 0xc0c0602
	s_wait_dscnt 0x0
	v_perm_b32 v112, v116, v115, 0x6020c0c
	v_perm_b32 v123, v126, v125, 0xc0c0703
	;; [unrolled: 1-line block ×12, first 2 shown]
	v_or_b32_e32 v136, v147, v146
	v_or_b32_e32 v83, v83, v148
	v_or_b32_e32 v79, v79, v149
	v_perm_b32 v116, v142, v140, 0x7030c0c
	v_or_b32_e32 v84, v84, v150
	v_dot4_i32_iu8 v81, v136, v82, v81 neg_lo:[1,1,0]
	v_dot4_i32_iu8 v82, v136, v94, v93 neg_lo:[1,1,0]
	v_dot4_i32_iu8 v93, v136, v102, v101 neg_lo:[1,1,0]
	v_or_b32_e32 v130, v132, v130
	v_or_b32_e32 v132, v134, v154
	v_dot4_i32_iu8 v81, v83, v87, v81 neg_lo:[1,1,0]
	v_dot4_i32_iu8 v82, v83, v95, v82 neg_lo:[1,1,0]
	v_dot4_i32_iu8 v83, v83, v103, v93 neg_lo:[1,1,0]
	v_or_b32_e32 v134, v155, v156
	;; [unrolled: 5-line block ×3, first 2 shown]
	v_or_b32_e32 v80, v80, v151
	v_or_b32_e32 v129, v131, v129
	;; [unrolled: 1-line block ×9, first 2 shown]
	v_dot4_i32_iu8 v101, v130, v132, 0 neg_lo:[1,1,0]
	v_dot4_i32_iu8 v78, v78, v134, 0 neg_lo:[1,1,0]
	;; [unrolled: 1-line block ×5, first 2 shown]
	v_perm_b32 v153, v142, v141, 0xc0c0703
	v_or_b32_e32 v77, v77, v152
	v_or_b32_e32 v110, v112, v110
	;; [unrolled: 1-line block ×4, first 2 shown]
	v_dot4_i32_iu8 v85, v109, v85, 0 neg_lo:[1,1,0]
	v_dot4_i32_iu8 v83, v129, v131, 0 neg_lo:[1,1,0]
	;; [unrolled: 1-line block ×7, first 2 shown]
	v_or_b32_e32 v86, v86, v153
	v_dot4_i32_iu8 v85, v111, v110, v85 neg_lo:[1,1,0]
	v_dot4_i32_iu8 v80, v122, v112, v83 neg_lo:[1,1,0]
	v_add_nc_u32_e32 v78, v84, v78
	v_dot4_i32_iu8 v81, v77, v91, v81 neg_lo:[1,1,0]
	v_dot4_i32_iu8 v82, v77, v99, v82 neg_lo:[1,1,0]
	;; [unrolled: 1-line block ×3, first 2 shown]
	v_add_nc_u32_e32 v75, 4, v75
	v_add3_u32 v78, v80, v85, v78
	v_dot4_i32_iu8 v80, v86, v92, v81 neg_lo:[1,1,0]
	v_dot4_i32_iu8 v81, v86, v100, v82 neg_lo:[1,1,0]
	;; [unrolled: 1-line block ×3, first 2 shown]
	v_dual_mul_f32 v79, v117, v120 :: v_dual_add_nc_u32 v74, 4, v74
	v_mul_f32_e32 v82, v117, v121
	v_cvt_f32_i32_e32 v78, v78
	v_cvt_f32_i32_e32 v80, v80
	;; [unrolled: 1-line block ×4, first 2 shown]
	v_add_nc_u32_e32 v73, 4, v73
	s_delay_alu instid0(VALU_DEP_4)
	v_dual_fmac_f32 v9, v118, v80 :: v_dual_add_nc_u32 v6, 4, v6
	v_add_nc_u32_e32 v5, 32, v5
	v_add_nc_u32_e32 v4, 32, v4
	v_dual_fmac_f32 v2, v82, v78 :: v_dual_fmac_f32 v51, v119, v81
	v_fmac_f32_e32 v46, v79, v77
	s_wait_alu 0xfffe
	s_add_co_i32 s1, s1, 4
	s_wait_alu 0xfffe
	s_cmp_lt_u32 s1, 12
	s_cbranch_scc1 .LBB181_11
; %bb.12:                               ;   in Loop: Header=BB181_5 Depth=1
	s_bitset1_b32 s16, 7
	s_wait_loadcnt 0x0
	s_wait_alu 0xfffe
	s_cmp_ge_i32 s16, s11
	s_barrier_signal -1
	s_barrier_wait -1
	global_inv scope:SCOPE_SE
	s_cbranch_scc1 .LBB181_4
; %bb.13:                               ;   in Loop: Header=BB181_5 Depth=1
	v_add_nc_u32_e32 v4, s14, v57
	s_delay_alu instid0(VALU_DEP_1)
	v_cmp_gt_i32_e64 s1, s5, v4
	s_and_b32 s16, s0, s1
	s_wait_alu 0xfffe
	s_and_saveexec_b32 s1, s16
	s_cbranch_execz .LBB181_15
; %bb.14:                               ;   in Loop: Header=BB181_5 Depth=1
	v_add_nc_u32_e32 v4, v58, v4
	s_delay_alu instid0(VALU_DEP_1)
	v_mad_co_i64_i32 v[4:5], null, v4, 36, v[0:1]
	global_load_b32 v4, v[4:5], off offset:4
	s_wait_loadcnt 0x0
	ds_store_b32 v54, v4
.LBB181_15:                             ;   in Loop: Header=BB181_5 Depth=1
	s_wait_alu 0xfffe
	s_or_b32 exec_lo, exec_lo, s1
	s_and_saveexec_b32 s16, vcc_lo
	s_cbranch_execz .LBB181_18
; %bb.16:                               ;   in Loop: Header=BB181_5 Depth=1
	v_or_b32_e32 v4, 4, v3
	s_delay_alu instid0(VALU_DEP_1)
	v_cmp_gt_i32_e64 s1, s5, v4
	s_and_b32 s1, s0, s1
	s_wait_alu 0xfffe
	s_and_b32 exec_lo, exec_lo, s1
	s_cbranch_execz .LBB181_18
; %bb.17:                               ;   in Loop: Header=BB181_5 Depth=1
	v_ashrrev_i32_e32 v4, 31, v3
	v_add_co_u32 v3, s1, v58, v3
	s_wait_alu 0xf1ff
	s_delay_alu instid0(VALU_DEP_2) | instskip(NEXT) | instid1(VALU_DEP_2)
	v_add_co_ci_u32_e64 v5, null, v59, v4, s1
	v_mad_co_u64_u32 v[3:4], null, v3, 36, s[2:3]
	s_delay_alu instid0(VALU_DEP_1)
	v_mad_i32_i24 v4, v5, 36, v4
	global_load_b32 v3, v[3:4], off offset:144
	s_wait_loadcnt 0x0
	v_cvt_f32_f16_e32 v3, v3
	ds_store_b32 v55, v3
.LBB181_18:                             ;   in Loop: Header=BB181_5 Depth=1
	s_wait_alu 0xfffe
	s_or_b32 exec_lo, exec_lo, s16
	v_dual_mov_b32 v3, v53 :: v_dual_mov_b32 v4, v52
	v_dual_mov_b32 v5, v68 :: v_dual_mov_b32 v6, v67
	;; [unrolled: 1-line block ×3, first 2 shown]
	v_mov_b32_e32 v75, v64
	s_mov_b32 s1, 12
	s_wait_loadcnt_dscnt 0x0
	s_barrier_signal -1
	s_barrier_wait -1
	global_inv scope:SCOPE_SE
.LBB181_19:                             ;   Parent Loop BB181_5 Depth=1
                                        ; =>  This Inner Loop Header: Depth=2
	ds_load_2addr_b32 v[76:77], v4 offset1:7
	ds_load_2addr_b32 v[78:79], v4 offset0:3 offset1:4
	ds_load_2addr_b32 v[80:81], v4 offset0:5 offset1:6
	;; [unrolled: 1-line block ×3, first 2 shown]
	ds_load_b32 v116, v3
	ds_load_2addr_b32 v[84:85], v5 offset1:1
	ds_load_2addr_b32 v[86:87], v5 offset0:2 offset1:3
	ds_load_2addr_b32 v[88:89], v5 offset0:4 offset1:5
	;; [unrolled: 1-line block ×3, first 2 shown]
	ds_load_b32 v117, v6
	ds_load_b32 v118, v73
	;; [unrolled: 1-line block ×4, first 2 shown]
	v_add_nc_u32_e32 v74, 4, v74
	v_add_nc_u32_e32 v94, 0x2088, v5
	;; [unrolled: 1-line block ×12, first 2 shown]
	s_wait_dscnt 0xb
	v_lshlrev_b32_e32 v121, 8, v79
	v_lshlrev_b32_e32 v128, 24, v79
	;; [unrolled: 1-line block ×3, first 2 shown]
	s_wait_dscnt 0x3
	v_dual_mul_f32 v117, v116, v117 :: v_dual_lshlrev_b32 v122, 8, v82
	v_add_nc_u32_e32 v92, 0x2080, v5
	v_lshlrev_b32_e32 v123, 8, v80
	v_lshlrev_b32_e32 v124, 8, v83
	ds_load_2addr_b32 v[92:93], v92 offset1:1
	ds_load_2addr_b32 v[94:95], v94 offset1:1
	;; [unrolled: 1-line block ×12, first 2 shown]
	v_lshlrev_b32_e32 v125, 8, v81
	v_lshlrev_b32_e32 v126, 8, v78
	;; [unrolled: 1-line block ×14, first 2 shown]
	v_perm_b32 v145, v129, v128, 0xc0c0703
	v_perm_b32 v146, v79, v121, 0x7030c0c
	v_dot4_i32_iu8 v84, v76, v84, 0 neg_lo:[1,1,0]
	v_lshlrev_b32_e32 v141, 16, v77
	v_perm_b32 v142, v80, v82, 0x7030c0c
	v_perm_b32 v143, v81, v83, 0xc0c0703
	;; [unrolled: 1-line block ×3, first 2 shown]
	s_wait_dscnt 0xb
	v_dot4_i32_iu8 v92, v76, v92, 0 neg_lo:[1,1,0]
	s_wait_dscnt 0x7
	v_dot4_i32_iu8 v100, v76, v100, 0 neg_lo:[1,1,0]
	v_perm_b32 v147, v131, v130, 0xc0c0703
	v_perm_b32 v82, v82, v122, 0x7030c0c
	;; [unrolled: 1-line block ×11, first 2 shown]
	s_wait_dscnt 0x3
	v_perm_b32 v129, v108, v129, 0xc0c0503
	v_perm_b32 v131, v133, v131, 0x7030c0c
	s_wait_dscnt 0x2
	v_perm_b32 v133, v111, v110, 0x5010c0c
	v_perm_b32 v153, v76, v109, 0xc0c0501
	;; [unrolled: 1-line block ×13, first 2 shown]
	s_wait_dscnt 0x1
	v_perm_b32 v109, v113, v112, 0xc0c0602
	s_wait_dscnt 0x0
	v_perm_b32 v111, v115, v114, 0x6020c0c
	v_perm_b32 v122, v125, v124, 0xc0c0703
	;; [unrolled: 1-line block ×12, first 2 shown]
	v_or_b32_e32 v135, v146, v145
	v_or_b32_e32 v82, v82, v147
	v_or_b32_e32 v80, v80, v148
	v_perm_b32 v115, v141, v139, 0x7030c0c
	v_or_b32_e32 v83, v83, v149
	v_dot4_i32_iu8 v84, v135, v85, v84 neg_lo:[1,1,0]
	v_dot4_i32_iu8 v85, v135, v93, v92 neg_lo:[1,1,0]
	v_dot4_i32_iu8 v92, v135, v101, v100 neg_lo:[1,1,0]
	v_or_b32_e32 v129, v131, v129
	v_or_b32_e32 v131, v133, v153
	v_dot4_i32_iu8 v84, v82, v86, v84 neg_lo:[1,1,0]
	v_dot4_i32_iu8 v85, v82, v94, v85 neg_lo:[1,1,0]
	v_dot4_i32_iu8 v82, v82, v102, v92 neg_lo:[1,1,0]
	v_or_b32_e32 v133, v154, v155
	;; [unrolled: 5-line block ×3, first 2 shown]
	v_or_b32_e32 v81, v81, v150
	v_or_b32_e32 v128, v130, v128
	;; [unrolled: 1-line block ×9, first 2 shown]
	v_dot4_i32_iu8 v100, v129, v131, 0 neg_lo:[1,1,0]
	v_dot4_i32_iu8 v79, v79, v133, 0 neg_lo:[1,1,0]
	;; [unrolled: 1-line block ×5, first 2 shown]
	v_perm_b32 v152, v141, v140, 0xc0c0703
	v_or_b32_e32 v78, v78, v151
	v_or_b32_e32 v109, v111, v109
	;; [unrolled: 1-line block ×4, first 2 shown]
	v_dot4_i32_iu8 v76, v108, v76, 0 neg_lo:[1,1,0]
	v_dot4_i32_iu8 v82, v128, v130, 0 neg_lo:[1,1,0]
	;; [unrolled: 1-line block ×7, first 2 shown]
	v_or_b32_e32 v77, v77, v152
	v_dot4_i32_iu8 v76, v110, v109, v76 neg_lo:[1,1,0]
	v_dot4_i32_iu8 v81, v121, v111, v82 neg_lo:[1,1,0]
	v_add_nc_u32_e32 v79, v83, v79
	v_dot4_i32_iu8 v82, v78, v90, v84 neg_lo:[1,1,0]
	v_dot4_i32_iu8 v83, v78, v98, v85 neg_lo:[1,1,0]
	;; [unrolled: 1-line block ×3, first 2 shown]
	v_dual_mul_f32 v118, v116, v118 :: v_dual_add_nc_u32 v75, 4, v75
	v_add3_u32 v76, v81, v76, v79
	v_dot4_i32_iu8 v79, v77, v91, v82 neg_lo:[1,1,0]
	v_dot4_i32_iu8 v81, v77, v99, v83 neg_lo:[1,1,0]
	;; [unrolled: 1-line block ×3, first 2 shown]
	v_dual_mul_f32 v80, v116, v119 :: v_dual_add_nc_u32 v73, 4, v73
	v_dual_mul_f32 v78, v116, v120 :: v_dual_add_nc_u32 v5, 32, v5
	v_cvt_f32_i32_e32 v76, v76
	v_cvt_f32_i32_e32 v79, v79
	;; [unrolled: 1-line block ×4, first 2 shown]
	v_add_nc_u32_e32 v6, 4, v6
	v_add_nc_u32_e32 v4, 32, v4
	v_dual_fmac_f32 v2, v78, v76 :: v_dual_add_nc_u32 v3, 4, v3
	v_fmac_f32_e32 v9, v117, v79
	v_fmac_f32_e32 v51, v118, v81
	;; [unrolled: 1-line block ×3, first 2 shown]
	s_wait_alu 0xfffe
	s_add_co_i32 s1, s1, 4
	s_wait_alu 0xfffe
	s_cmp_lt_u32 s1, 28
	s_cbranch_scc1 .LBB181_19
; %bb.20:                               ;   in Loop: Header=BB181_5 Depth=1
	s_wait_loadcnt 0x0
	s_barrier_signal -1
	s_barrier_wait -1
	global_inv scope:SCOPE_SE
	s_branch .LBB181_4
.LBB181_21:
	s_mul_i32 s0, s7, s4
	s_wait_loadcnt 0x0
	s_wait_alu 0xfffe
	v_cmp_gt_i32_e32 vcc_lo, s0, v7
	s_and_saveexec_b32 s0, vcc_lo
	s_cbranch_execz .LBB181_30
; %bb.22:
	v_mul_lo_u32 v0, v7, s6
	v_add_nc_u32_e32 v1, s18, v8
	s_mov_b32 s0, exec_lo
	s_delay_alu instid0(VALU_DEP_1)
	v_cmpx_gt_u32_e64 s6, v1
	s_cbranch_execz .LBB181_24
; %bb.23:
	s_delay_alu instid0(VALU_DEP_3) | instskip(NEXT) | instid1(VALU_DEP_1)
	v_dual_mov_b32 v4, 0 :: v_dual_add_nc_u32 v3, v0, v1
	v_lshlrev_b64_e32 v[3:4], 2, v[3:4]
	s_delay_alu instid0(VALU_DEP_1) | instskip(SKIP_1) | instid1(VALU_DEP_2)
	v_add_co_u32 v3, vcc_lo, s8, v3
	s_wait_alu 0xfffd
	v_add_co_ci_u32_e64 v4, null, s9, v4, vcc_lo
	global_store_b32 v[3:4], v9, off
.LBB181_24:
	s_wait_alu 0xfffe
	s_or_b32 exec_lo, exec_lo, s0
	v_add_nc_u32_e32 v3, 32, v1
	s_mov_b32 s0, exec_lo
	s_delay_alu instid0(VALU_DEP_1)
	v_cmpx_gt_u32_e64 s6, v3
	s_cbranch_execz .LBB181_26
; %bb.25:
	v_dual_mov_b32 v4, 0 :: v_dual_add_nc_u32 v3, v0, v3
	s_delay_alu instid0(VALU_DEP_1) | instskip(NEXT) | instid1(VALU_DEP_1)
	v_lshlrev_b64_e32 v[3:4], 2, v[3:4]
	v_add_co_u32 v3, vcc_lo, s8, v3
	s_wait_alu 0xfffd
	s_delay_alu instid0(VALU_DEP_2)
	v_add_co_ci_u32_e64 v4, null, s9, v4, vcc_lo
	global_store_b32 v[3:4], v51, off
.LBB181_26:
	s_wait_alu 0xfffe
	s_or_b32 exec_lo, exec_lo, s0
	v_add_nc_u32_e32 v3, 64, v1
	s_mov_b32 s0, exec_lo
	s_delay_alu instid0(VALU_DEP_1)
	v_cmpx_gt_u32_e64 s6, v3
	s_cbranch_execz .LBB181_28
; %bb.27:
	v_dual_mov_b32 v4, 0 :: v_dual_add_nc_u32 v3, v0, v3
	s_delay_alu instid0(VALU_DEP_1) | instskip(NEXT) | instid1(VALU_DEP_1)
	v_lshlrev_b64_e32 v[3:4], 2, v[3:4]
	v_add_co_u32 v3, vcc_lo, s8, v3
	s_wait_alu 0xfffd
	s_delay_alu instid0(VALU_DEP_2)
	v_add_co_ci_u32_e64 v4, null, s9, v4, vcc_lo
	global_store_b32 v[3:4], v46, off
.LBB181_28:
	s_wait_alu 0xfffe
	s_or_b32 exec_lo, exec_lo, s0
	v_add_nc_u32_e32 v1, 0x60, v1
	s_delay_alu instid0(VALU_DEP_1)
	v_cmp_gt_u32_e32 vcc_lo, s6, v1
	s_and_b32 exec_lo, exec_lo, vcc_lo
	s_cbranch_execz .LBB181_30
; %bb.29:
	v_dual_mov_b32 v1, 0 :: v_dual_add_nc_u32 v0, v0, v1
	s_delay_alu instid0(VALU_DEP_1) | instskip(NEXT) | instid1(VALU_DEP_1)
	v_lshlrev_b64_e32 v[0:1], 2, v[0:1]
	v_add_co_u32 v0, vcc_lo, s8, v0
	s_wait_alu 0xfffd
	s_delay_alu instid0(VALU_DEP_2)
	v_add_co_ci_u32_e64 v1, null, s9, v1, vcc_lo
	global_store_b32 v[0:1], v2, off
.LBB181_30:
	s_nop 0
	s_sendmsg sendmsg(MSG_DEALLOC_VGPRS)
	s_endpgm
	.section	.rodata,"a",@progbits
	.p2align	6, 0x0
	.amdhsa_kernel _ZL8moe_q5_0IfLb0EEvPKvS1_PT_PKiS5_S5_iiiiiii
		.amdhsa_group_segment_fixed_size 38656
		.amdhsa_private_segment_fixed_size 0
		.amdhsa_kernarg_size 76
		.amdhsa_user_sgpr_count 2
		.amdhsa_user_sgpr_dispatch_ptr 0
		.amdhsa_user_sgpr_queue_ptr 0
		.amdhsa_user_sgpr_kernarg_segment_ptr 1
		.amdhsa_user_sgpr_dispatch_id 0
		.amdhsa_user_sgpr_private_segment_size 0
		.amdhsa_wavefront_size32 1
		.amdhsa_uses_dynamic_stack 0
		.amdhsa_enable_private_segment 0
		.amdhsa_system_sgpr_workgroup_id_x 1
		.amdhsa_system_sgpr_workgroup_id_y 1
		.amdhsa_system_sgpr_workgroup_id_z 0
		.amdhsa_system_sgpr_workgroup_info 0
		.amdhsa_system_vgpr_workitem_id 1
		.amdhsa_next_free_vgpr 217
		.amdhsa_next_free_sgpr 22
		.amdhsa_reserve_vcc 1
		.amdhsa_float_round_mode_32 0
		.amdhsa_float_round_mode_16_64 0
		.amdhsa_float_denorm_mode_32 3
		.amdhsa_float_denorm_mode_16_64 3
		.amdhsa_fp16_overflow 0
		.amdhsa_workgroup_processor_mode 1
		.amdhsa_memory_ordered 1
		.amdhsa_forward_progress 1
		.amdhsa_inst_pref_size 97
		.amdhsa_round_robin_scheduling 0
		.amdhsa_exception_fp_ieee_invalid_op 0
		.amdhsa_exception_fp_denorm_src 0
		.amdhsa_exception_fp_ieee_div_zero 0
		.amdhsa_exception_fp_ieee_overflow 0
		.amdhsa_exception_fp_ieee_underflow 0
		.amdhsa_exception_fp_ieee_inexact 0
		.amdhsa_exception_int_div_zero 0
	.end_amdhsa_kernel
	.section	.text._ZL8moe_q5_0IfLb0EEvPKvS1_PT_PKiS5_S5_iiiiiii,"axG",@progbits,_ZL8moe_q5_0IfLb0EEvPKvS1_PT_PKiS5_S5_iiiiiii,comdat
.Lfunc_end181:
	.size	_ZL8moe_q5_0IfLb0EEvPKvS1_PT_PKiS5_S5_iiiiiii, .Lfunc_end181-_ZL8moe_q5_0IfLb0EEvPKvS1_PT_PKiS5_S5_iiiiiii
                                        ; -- End function
	.set _ZL8moe_q5_0IfLb0EEvPKvS1_PT_PKiS5_S5_iiiiiii.num_vgpr, 158
	.set _ZL8moe_q5_0IfLb0EEvPKvS1_PT_PKiS5_S5_iiiiiii.num_agpr, 0
	.set _ZL8moe_q5_0IfLb0EEvPKvS1_PT_PKiS5_S5_iiiiiii.numbered_sgpr, 22
	.set _ZL8moe_q5_0IfLb0EEvPKvS1_PT_PKiS5_S5_iiiiiii.num_named_barrier, 0
	.set _ZL8moe_q5_0IfLb0EEvPKvS1_PT_PKiS5_S5_iiiiiii.private_seg_size, 0
	.set _ZL8moe_q5_0IfLb0EEvPKvS1_PT_PKiS5_S5_iiiiiii.uses_vcc, 1
	.set _ZL8moe_q5_0IfLb0EEvPKvS1_PT_PKiS5_S5_iiiiiii.uses_flat_scratch, 0
	.set _ZL8moe_q5_0IfLb0EEvPKvS1_PT_PKiS5_S5_iiiiiii.has_dyn_sized_stack, 0
	.set _ZL8moe_q5_0IfLb0EEvPKvS1_PT_PKiS5_S5_iiiiiii.has_recursion, 0
	.set _ZL8moe_q5_0IfLb0EEvPKvS1_PT_PKiS5_S5_iiiiiii.has_indirect_call, 0
	.section	.AMDGPU.csdata,"",@progbits
; Kernel info:
; codeLenInByte = 12296
; TotalNumSgprs: 24
; NumVgprs: 158
; ScratchSize: 0
; MemoryBound: 0
; FloatMode: 240
; IeeeMode: 1
; LDSByteSize: 38656 bytes/workgroup (compile time only)
; SGPRBlocks: 0
; VGPRBlocks: 27
; NumSGPRsForWavesPerEU: 24
; NumVGPRsForWavesPerEU: 217
; Occupancy: 6
; WaveLimiterHint : 1
; COMPUTE_PGM_RSRC2:SCRATCH_EN: 0
; COMPUTE_PGM_RSRC2:USER_SGPR: 2
; COMPUTE_PGM_RSRC2:TRAP_HANDLER: 0
; COMPUTE_PGM_RSRC2:TGID_X_EN: 1
; COMPUTE_PGM_RSRC2:TGID_Y_EN: 1
; COMPUTE_PGM_RSRC2:TGID_Z_EN: 0
; COMPUTE_PGM_RSRC2:TIDIG_COMP_CNT: 1
	.section	.text._ZL8moe_q5_0IfLb1EEvPKvS1_PT_PKiS5_S5_iiiiiii,"axG",@progbits,_ZL8moe_q5_0IfLb1EEvPKvS1_PT_PKiS5_S5_iiiiiii,comdat
	.globl	_ZL8moe_q5_0IfLb1EEvPKvS1_PT_PKiS5_S5_iiiiiii ; -- Begin function _ZL8moe_q5_0IfLb1EEvPKvS1_PT_PKiS5_S5_iiiiiii
	.p2align	8
	.type	_ZL8moe_q5_0IfLb1EEvPKvS1_PT_PKiS5_S5_iiiiiii,@function
_ZL8moe_q5_0IfLb1EEvPKvS1_PT_PKiS5_S5_iiiiiii: ; @_ZL8moe_q5_0IfLb1EEvPKvS1_PT_PKiS5_S5_iiiiiii
; %bb.0:
	s_load_b128 s[4:7], s[0:1], 0x18
	s_mov_b32 s2, ttmp7
	s_mov_b32 s3, 0
	s_delay_alu instid0(SALU_CYCLE_1)
	s_lshl_b64 s[2:3], s[2:3], 2
	s_wait_kmcnt 0x0
	s_add_nc_u64 s[2:3], s[6:7], s[2:3]
	s_load_b32 s14, s[2:3], 0x0
	s_wait_kmcnt 0x0
	s_cmp_gt_u32 s14, 0xff
	s_cbranch_scc1 .LBB182_30
; %bb.1:
	s_load_b64 s[2:3], s[0:1], 0x28
	s_wait_kmcnt 0x0
	s_load_b32 s3, s[2:3], 0x0
	s_lshl_b32 s2, ttmp7, 3
	s_wait_kmcnt 0x0
	s_cmp_gt_u32 s2, s3
	s_cbranch_scc1 .LBB182_30
; %bb.2:
	v_bfe_u32 v19, v0, 10, 10
	v_mov_b32_e32 v16, 0
	s_lshl_b32 s11, ttmp9, 7
	s_delay_alu instid0(VALU_DEP_2) | instskip(NEXT) | instid1(VALU_DEP_2)
	v_add_nc_u32_e32 v15, s2, v19
	v_dual_mov_b32 v62, v16 :: v_dual_and_b32 v39, 0x3ff, v0
	v_mov_b32_e32 v66, v16
	v_mov_b32_e32 v40, v16
	s_delay_alu instid0(VALU_DEP_4) | instskip(NEXT) | instid1(VALU_DEP_1)
	v_lshlrev_b64_e32 v[1:2], 2, v[15:16]
	v_add_co_u32 v1, vcc_lo, s4, v1
	s_delay_alu instid0(VALU_DEP_1)
	v_add_co_ci_u32_e64 v2, null, s5, v2, vcc_lo
	global_load_b32 v38, v[1:2], off
	s_clause 0x2
	s_load_b128 s[4:7], s[0:1], 0x30
	s_load_b64 s[12:13], s[0:1], 0x10
	s_load_b96 s[8:10], s[0:1], 0x40
	s_wait_kmcnt 0x0
	s_cmp_lt_i32 s5, 32
	s_cbranch_scc1 .LBB182_21
; %bb.3:
	s_load_b128 s[0:3], s[0:1], 0x0
	s_ashr_i32 s15, s5, 31
	s_mul_i32 s14, s14, s4
	s_lshr_b32 s4, s15, 27
	s_ashr_i32 s15, s14, 31
	s_wait_alu 0xfffe
	s_add_co_i32 s4, s5, s4
	s_ashr_i32 s16, s8, 31
	s_wait_alu 0xfffe
	s_ashr_i32 s4, s4, 5
	s_not_b32 s17, s11
	s_wait_alu 0xfffe
	s_mul_i32 s18, s4, s11
	s_lshr_b32 s20, s16, 27
	s_ashr_i32 s19, s18, 31
	s_wait_loadcnt 0x0
	v_sub_nc_u32_e32 v26, 0, v38
	s_mul_u64 s[18:19], s[18:19], 22
	s_add_co_i32 s16, s6, s17
	s_add_co_i32 s6, s8, s20
	v_dual_mov_b32 v40, 0 :: v_dual_add_nc_u32 v1, 8, v19
	v_max_i32_e32 v26, v38, v26
	v_add_nc_u32_e32 v6, 24, v19
	s_wait_kmcnt 0x0
	s_add_nc_u64 s[0:1], s[0:1], s[14:15]
	v_min_i32_e32 v2, s16, v19
	s_add_nc_u64 s[14:15], s[0:1], s[18:19]
	s_abs_i32 s0, s10
	v_add_nc_u32_e32 v8, 40, v19
	s_cvt_f32_u32 s1, s0
	s_sub_co_i32 s8, 0, s0
	v_min_i32_e32 v4, s16, v1
	v_dual_mov_b32 v66, 0 :: v_dual_add_nc_u32 v9, 48, v19
	v_rcp_iflag_f32_e32 v25, s1
	v_add_nc_u32_e32 v10, 56, v19
	v_min_i32_e32 v6, s16, v6
	v_dual_mov_b32 v62, 0 :: v_dual_add_nc_u32 v11, 64, v19
	v_add_nc_u32_e32 v12, 0x48, v19
	v_mul_lo_u32 v43, v2, s4
	v_min_i32_e32 v8, s16, v8
	v_add_nc_u32_e32 v13, 0x50, v19
	v_min_i32_e32 v9, s16, v9
	s_delay_alu instid0(TRANS32_DEP_1)
	v_readfirstlane_b32 s1, v25
	v_add_nc_u32_e32 v14, 0x58, v19
	v_mul_lo_u32 v44, v4, s4
	v_min_i32_e32 v10, s16, v10
	v_min_i32_e32 v11, s16, v11
	s_mul_f32 s1, s1, 0x4f7ffffe
	v_mul_lo_u32 v46, v6, s4
	v_min_i32_e32 v12, s16, v12
	v_min_i32_e32 v13, s16, v13
	s_wait_alu 0xfffe
	s_cvt_u32_f32 s1, s1
	v_mul_lo_u32 v48, v8, s4
	v_min_i32_e32 v14, s16, v14
	v_add_nc_u32_e32 v15, 0x60, v19
	s_wait_alu 0xfffe
	s_mul_i32 s8, s8, s1
	v_mul_lo_u32 v49, v9, s4
	s_mul_hi_u32 s8, s1, s8
	v_mul_lo_u32 v50, v10, s4
	s_add_co_i32 s1, s1, s8
	v_mul_lo_u32 v51, v11, s4
	s_wait_alu 0xfffe
	v_mul_hi_u32 v28, v26, s1
	v_mul_lo_u32 v52, v12, s4
	v_mul_lo_u32 v53, v13, s4
	v_min_i32_e32 v15, s16, v15
	v_add_nc_u32_e32 v16, 0x68, v19
	v_add_nc_u32_e32 v22, 0x78, v19
	v_bfe_u32 v55, v0, 3, 7
	v_mul_lo_u32 v54, v14, s4
	v_mul_lo_u32 v29, v28, s0
	v_min_i32_e32 v16, s16, v16
	v_min_i32_e32 v22, s16, v22
	v_lshl_add_u32 v21, v19, 2, v55
	v_mul_lo_u32 v56, v15, s4
	v_and_b32_e32 v60, 7, v0
	v_mul_lo_u32 v57, v16, s4
	v_mul_lo_u32 v59, v22, s4
	v_sub_nc_u32_e32 v26, v26, v29
	v_add_nc_u32_e32 v29, 1, v28
	v_min_i32_e32 v23, s16, v21
	v_lshlrev_b32_e32 v20, 2, v39
	v_lshl_add_u32 v67, v19, 7, 0x9280
	v_cmp_le_u32_e32 vcc_lo, s0, v26
	v_add_nc_u32_e32 v3, 16, v19
	v_lshlrev_b32_e32 v17, 3, v39
	v_ashrrev_i32_e32 v24, 31, v23
	v_lshl_add_u32 v68, v19, 4, 0x9680
	s_wait_alu 0xfffd
	v_dual_cndmask_b32 v28, v28, v29 :: v_dual_add_nc_u32 v7, 32, v19
	v_min_i32_e32 v5, s16, v3
	v_mad_co_u64_u32 v[1:2], null, 0x104, v2, v[17:18]
	v_mad_co_u64_u32 v[2:3], null, 0x104, v4, v[17:18]
	s_delay_alu instid0(VALU_DEP_4) | instskip(NEXT) | instid1(VALU_DEP_4)
	v_min_i32_e32 v7, s16, v7
	v_mad_co_u64_u32 v[3:4], null, 0x104, v5, v[17:18]
	v_mul_lo_u32 v45, v5, s4
	v_mad_co_u64_u32 v[4:5], null, 0x104, v6, v[17:18]
	s_delay_alu instid0(VALU_DEP_4)
	v_mad_co_u64_u32 v[5:6], null, 0x104, v7, v[17:18]
	v_mul_lo_u32 v47, v7, s4
	v_mad_co_u64_u32 v[6:7], null, 0x104, v8, v[17:18]
	v_mad_co_u64_u32 v[7:8], null, 0x104, v9, v[17:18]
	v_mad_co_u64_u32 v[8:9], null, 0x104, v10, v[17:18]
	v_mad_co_u64_u32 v[9:10], null, 0x104, v11, v[17:18]
	v_mad_co_u64_u32 v[10:11], null, 0x104, v12, v[17:18]
	v_mad_co_u64_u32 v[11:12], null, 0x104, v13, v[17:18]
	v_mad_co_u64_u32 v[12:13], null, 0x104, v14, v[17:18]
	v_add_nc_u32_e32 v18, 0x70, v19
	v_xor_b32_e32 v29, s10, v38
	v_and_b32_e32 v42, 12, v20
	v_and_b32_e32 v19, 28, v20
	v_add_nc_u32_e32 v70, v68, v20
	v_mad_co_u64_u32 v[13:14], null, 0x104, v15, v[17:18]
	v_min_i32_e32 v18, s16, v18
	v_ashrrev_i32_e32 v29, 31, v29
	s_ashr_i32 s6, s6, 5
	v_bfe_u32 v41, v0, 2, 8
	v_mul_lo_u32 v61, v23, s4
	v_mad_co_u64_u32 v[14:15], null, 0x104, v16, v[17:18]
	v_mul_lo_u32 v58, v18, s4
	v_mad_co_u64_u32 v[15:16], null, 0x104, v18, v[17:18]
	v_mad_co_u64_u32 v[17:18], null, 0x104, v22, v[17:18]
	v_add_nc_u32_e32 v18, 32, v21
	v_add_nc_u32_e32 v22, 64, v21
	;; [unrolled: 1-line block ×3, first 2 shown]
	v_lshrrev_b32_e32 v16, 30, v24
	v_lshlrev_b32_e32 v24, 2, v60
	v_min_i32_e32 v18, s16, v18
	v_min_i32_e32 v22, s16, v22
	;; [unrolled: 1-line block ×3, first 2 shown]
	v_add_nc_u32_e32 v16, v23, v16
	v_lshlrev_b32_e32 v23, 5, v23
	v_ashrrev_i32_e32 v25, 31, v18
	v_ashrrev_i32_e32 v27, 31, v22
	;; [unrolled: 1-line block ×3, first 2 shown]
	v_mul_lo_u32 v63, v18, s4
	v_lshlrev_b32_e32 v31, 5, v18
	v_lshrrev_b32_e32 v25, 30, v25
	v_lshrrev_b32_e32 v27, 30, v27
	v_and_b32_e32 v16, -4, v16
	v_mul_lo_u32 v64, v22, s4
	v_mul_lo_u32 v65, v21, s4
	v_add_nc_u32_e32 v25, v18, v25
	v_lshrrev_b32_e32 v18, 30, v30
	v_subrev_nc_u32_e32 v30, s0, v26
	v_add_nc_u32_e32 v27, v22, v27
	v_add3_u32 v16, v16, v24, 0x8200
	v_and_b32_e32 v25, -4, v25
	v_add_nc_u32_e32 v18, v21, v18
	v_cndmask_b32_e32 v26, v26, v30, vcc_lo
	v_add_nc_u32_e32 v30, 1, v28
	v_and_b32_e32 v27, -4, v27
	v_add3_u32 v25, v25, v24, 0x8200
	v_and_b32_e32 v18, -4, v18
	v_cmp_le_u32_e32 vcc_lo, s0, v26
	v_lshlrev_b32_e32 v22, 5, v22
	v_add3_u32 v27, v27, v24, 0x8200
	v_lshlrev_b32_e32 v21, 5, v21
	v_add3_u32 v24, v18, v24, 0x8200
	s_wait_alu 0xfffd
	v_cndmask_b32_e32 v26, v28, v30, vcc_lo
	v_and_b32_e32 v18, 31, v0
	v_add_nc_u32_e32 v28, 0x60, v39
	v_and_b32_e32 v0, 0xfc, v0
	v_cmp_gt_u32_e32 vcc_lo, 4, v39
	v_xor_b32_e32 v26, v26, v29
	v_lshl_or_b32 v69, v18, 2, v67
	v_add_nc_u32_e32 v18, 32, v39
	v_and_b32_e32 v28, 0x1fc, v28
	v_mul_u32_u24_e32 v71, 0x104, v39
	v_sub_nc_u32_e32 v20, v26, v29
	v_add_nc_u32_e32 v26, 64, v39
	v_and_b32_e32 v29, 0x1fc, v18
	v_lshrrev_b32_e32 v72, 3, v18
	v_add_co_u32 v18, s1, s2, v19
	v_cmp_gt_i32_e64 s0, s7, v20
	v_mul_lo_u32 v73, v20, s6
	v_lshlrev_b32_e32 v20, 5, v39
	v_and_b32_e32 v26, 0x1fc, v26
	s_wait_alu 0xf1ff
	v_add_co_ci_u32_e64 v19, null, s3, 0, s1
	s_movk_i32 s1, 0x80
	v_add_nc_u32_e32 v28, v20, v28
	v_add_nc_u32_e32 v26, v20, v26
	;; [unrolled: 1-line block ×4, first 2 shown]
	v_ashrrev_i32_e32 v0, 31, v73
	v_add_nc_u32_e32 v74, 0x8e00, v28
	v_add_nc_u32_e32 v75, 0x8a00, v26
	;; [unrolled: 1-line block ×8, first 2 shown]
	s_wait_alu 0xfffe
	v_mad_u32_u24 v82, 0x104, v39, s1
	v_add_nc_u32_e32 v83, v16, v23
	v_add_nc_u32_e32 v84, v25, v31
	;; [unrolled: 1-line block ×4, first 2 shown]
	v_mov_b32_e32 v16, 0
	s_mov_b32 s17, 0
	s_and_b32 s8, vcc_lo, s0
	s_wait_alu 0xfffe
	s_mov_b32 s16, s17
	s_branch .LBB182_5
.LBB182_4:                              ;   in Loop: Header=BB182_5 Depth=1
	s_add_co_i32 s16, s16, 8
	s_wait_alu 0xfffe
	s_cmp_ge_i32 s16, s4
	s_cbranch_scc1 .LBB182_21
.LBB182_5:                              ; =>This Loop Header: Depth=1
                                        ;     Child Loop BB182_11 Depth 2
                                        ;     Child Loop BB182_19 Depth 2
	s_wait_alu 0xfffe
	s_mul_u64 s[18:19], s[16:17], 22
	s_wait_alu 0xfffe
	s_add_nc_u64 s[18:19], s[14:15], s[18:19]
	s_wait_alu 0xfffe
	v_mad_co_u64_u32 v[20:21], null, v41, 22, s[18:19]
	v_mad_co_u64_u32 v[87:88], null, v60, 22, s[18:19]
	s_lshl_b32 s18, s16, 5
	s_wait_alu 0xfffe
	s_cmp_lt_i32 s18, s5
	v_mad_co_i64_i32 v[22:23], null, v43, 22, v[20:21]
	v_mad_co_i64_i32 v[24:25], null, v44, 22, v[20:21]
	;; [unrolled: 1-line block ×4, first 2 shown]
	s_delay_alu instid0(VALU_DEP_4)
	v_add_co_u32 v30, s1, v22, v42
	s_wait_alu 0xf1ff
	v_add_co_ci_u32_e64 v31, null, 0, v23, s1
	v_add_co_u32 v32, s1, v24, v42
	s_wait_alu 0xf1ff
	v_add_co_ci_u32_e64 v33, null, 0, v25, s1
	;; [unrolled: 3-line block ×4, first 2 shown]
	s_clause 0x7
	global_load_b32 v91, v[30:31], off offset:6
	global_load_b32 v92, v[32:33], off offset:6
	global_load_b32 v93, v[34:35], off offset:6
	global_load_b32 v37, v[36:37], off offset:6
	global_load_b32 v94, v[28:29], off offset:2
	global_load_b32 v95, v[26:27], off offset:2
	global_load_b32 v96, v[24:25], off offset:2
	global_load_b32 v97, v[22:23], off offset:2
	v_mad_co_i64_i32 v[24:25], null, v61, 22, v[87:88]
	v_mad_co_i64_i32 v[26:27], null, v63, 22, v[87:88]
	;; [unrolled: 1-line block ×6, first 2 shown]
	s_clause 0x3
	global_load_u16 v98, v[24:25], off
	global_load_u16 v99, v[26:27], off
	;; [unrolled: 1-line block ×4, first 2 shown]
	v_mad_co_i64_i32 v[24:25], null, v50, 22, v[20:21]
	v_mad_co_i64_i32 v[34:35], null, v49, 22, v[20:21]
	v_add_co_u32 v26, s1, v22, v42
	s_wait_alu 0xf1ff
	v_add_co_ci_u32_e64 v27, null, 0, v23, s1
	v_add_co_u32 v28, s1, v32, v42
	s_wait_alu 0xf1ff
	v_add_co_ci_u32_e64 v29, null, 0, v33, s1
	s_clause 0x5
	global_load_b32 v102, v[24:25], off offset:2
	global_load_b32 v103, v[34:35], off offset:2
	;; [unrolled: 1-line block ×6, first 2 shown]
	v_add_co_u32 v22, s1, v34, v42
	s_wait_alu 0xf1ff
	v_add_co_ci_u32_e64 v23, null, 0, v35, s1
	v_add_co_u32 v24, s1, v24, v42
	s_wait_alu 0xf1ff
	v_add_co_ci_u32_e64 v25, null, 0, v25, s1
	s_clause 0x1
	global_load_b32 v108, v[22:23], off offset:6
	global_load_b32 v109, v[24:25], off offset:6
	v_mad_co_i64_i32 v[27:28], null, v51, 22, v[20:21]
	v_mad_co_i64_i32 v[29:30], null, v52, 22, v[20:21]
	;; [unrolled: 1-line block ×4, first 2 shown]
	s_delay_alu instid0(VALU_DEP_4)
	v_add_co_u32 v22, s1, v27, v42
	s_wait_alu 0xf1ff
	v_add_co_ci_u32_e64 v23, null, 0, v28, s1
	v_add_co_u32 v24, s1, v29, v42
	s_wait_alu 0xf1ff
	v_add_co_ci_u32_e64 v25, null, 0, v30, s1
	;; [unrolled: 3-line block ×4, first 2 shown]
	s_clause 0x7
	global_load_b32 v110, v[22:23], off offset:6
	global_load_b32 v111, v[24:25], off offset:6
	;; [unrolled: 1-line block ×8, first 2 shown]
	v_mad_co_i64_i32 v[89:90], null, v56, 22, v[20:21]
	s_wait_loadcnt 0x1b
	v_and_b32_e32 v31, 0xf0f0f0f, v91
	v_lshrrev_b32_e32 v32, 4, v91
	s_wait_loadcnt 0x19
	v_and_b32_e32 v87, 0xf0f0f0f, v93
	v_lshrrev_b32_e32 v88, 4, v93
	s_wait_loadcnt 0x17
	v_ashrrev_i32_e32 v91, v42, v94
	s_wait_loadcnt 0x16
	v_ashrrev_i32_e32 v36, v42, v95
	;; [unrolled: 2-line block ×4, first 2 shown]
	v_lshrrev_b32_e32 v35, 4, v92
	v_and_b32_e32 v32, 0xf0f0f0f, v32
	v_lshlrev_b32_e32 v121, 4, v36
	v_lshlrev_b32_e32 v114, 4, v33
	;; [unrolled: 1-line block ×5, first 2 shown]
	v_lshrrev_b32_e32 v118, 12, v33
	v_lshrrev_b32_e32 v119, 5, v33
	s_wait_loadcnt 0x13
	v_cvt_f32_f16_e32 v27, v98
	s_wait_loadcnt 0x12
	v_cvt_f32_f16_e32 v28, v99
	;; [unrolled: 2-line block ×4, first 2 shown]
	v_lshlrev_b32_e32 v99, 4, v30
	v_lshlrev_b32_e32 v100, 11, v30
	;; [unrolled: 1-line block ×8, first 2 shown]
	v_lshrrev_b32_e32 v125, 12, v36
	s_wait_loadcnt 0xd
	v_ashrrev_i32_e32 v96, v42, v104
	s_wait_loadcnt 0xc
	v_ashrrev_i32_e32 v93, v42, v105
	s_wait_loadcnt 0xb
	v_and_b32_e32 v94, 0xf0f0f0f, v106
	v_lshrrev_b32_e32 v95, 4, v106
	v_lshlrev_b32_e32 v104, 25, v30
	v_lshrrev_b32_e32 v105, 12, v30
	v_lshrrev_b32_e32 v106, 5, v30
	s_wait_loadcnt 0xa
	v_and_b32_e32 v97, 0xf0f0f0f, v107
	v_lshrrev_b32_e32 v98, 4, v107
	v_lshlrev_b32_e32 v107, 2, v30
	v_lshlrev_b32_e32 v30, 9, v30
	v_lshrrev_b32_e32 v126, 5, v36
	v_lshlrev_b32_e32 v127, 2, v36
	v_lshlrev_b32_e32 v36, 9, v36
	;; [unrolled: 1-line block ×8, first 2 shown]
	v_lshrrev_b32_e32 v146, 12, v96
	v_lshrrev_b32_e32 v147, 5, v96
	v_lshlrev_b32_e32 v148, 2, v96
	v_lshlrev_b32_e32 v96, 9, v96
	v_and_b32_e32 v99, 16, v99
	v_and_b32_e32 v100, 0x1000, v100
	;; [unrolled: 1-line block ×31, first 2 shown]
	v_or3_b32 v99, v99, v31, v100
	v_or3_b32 v31, v31, v101, v104
	;; [unrolled: 1-line block ×5, first 2 shown]
	v_and_b32_e32 v116, 0x100000, v116
	v_and_b32_e32 v117, 0x10000000, v117
	v_or3_b32 v101, v118, v35, v119
	v_or3_b32 v33, v35, v120, v33
	;; [unrolled: 1-line block ×3, first 2 shown]
	v_lshrrev_b32_e32 v37, 4, v37
	v_lshlrev_b32_e32 v130, 18, v91
	v_lshlrev_b32_e32 v131, 25, v91
	v_lshrrev_b32_e32 v132, 12, v91
	v_lshrrev_b32_e32 v133, 5, v91
	v_lshlrev_b32_e32 v134, 2, v91
	v_lshlrev_b32_e32 v91, 9, v91
	v_and_b32_e32 v123, 0x100000, v123
	v_and_b32_e32 v124, 0x10000000, v124
	v_or3_b32 v104, v125, v88, v126
	v_or3_b32 v36, v88, v127, v36
	;; [unrolled: 1-line block ×5, first 2 shown]
	v_lshrrev_b32_e32 v31, 16, v31
	v_and_b32_e32 v98, 0x1f00, v99
	v_lshlrev_b16 v99, 8, v99
	v_and_b32_e32 v114, 0x1f00, v100
	v_lshlrev_b16 v100, 8, v100
	;; [unrolled: 2-line block ×3, first 2 shown]
	v_or3_b32 v34, v34, v116, v117
	v_and_b32_e32 v117, 0x1f00, v35
	v_lshlrev_b16 v35, 8, v35
	v_and_b32_e32 v37, 0xf0f0f0f, v37
	v_and_b32_e32 v130, 0x100000, v130
	v_and_b32_e32 v131, 0x10000000, v131
	v_and_b32_e32 v132, 16, v132
	v_and_b32_e32 v133, 0x1000, v133
	v_and_b32_e32 v134, 0x100000, v134
	v_and_b32_e32 v91, 0x10000000, v91
	v_or3_b32 v87, v87, v123, v124
	v_and_b32_e32 v119, 0x1f00, v88
	v_lshlrev_b16 v88, 8, v88
	v_add_nc_u16 v98, 0xf000, v98
	v_add_nc_u16 v99, 0xf000, v99
	v_and_b32_e32 v124, 0x1f00, v31
	v_lshlrev_b16 v31, 8, v31
	v_add_nc_u16 v100, 0xf000, v100
	v_add_nc_u16 v32, 0xf000, v32
	;; [unrolled: 1-line block ×3, first 2 shown]
	v_or3_b32 v92, v92, v130, v131
	v_or3_b32 v105, v132, v37, v133
	;; [unrolled: 1-line block ×3, first 2 shown]
	v_lshrrev_b32_e32 v30, 16, v30
	v_add_nc_u16 v88, 0xf000, v88
	v_perm_b32 v98, v99, v98, 0xc0c0105
	v_add_nc_u16 v99, 0xf000, v124
	v_add_nc_u16 v31, 0xf000, v31
	v_lshrrev_b16 v100, 8, v100
	v_lshrrev_b32_e32 v34, 16, v34
	v_lshrrev_b32_e32 v33, 16, v33
	v_and_b32_e32 v116, 0x1f00, v101
	v_lshlrev_b16 v101, 8, v101
	v_lshrrev_b16 v32, 8, v32
	v_lshrrev_b32_e32 v87, 16, v87
	v_lshrrev_b32_e32 v36, 16, v36
	v_and_b32_e32 v118, 0x1f00, v104
	v_lshlrev_b16 v104, 8, v104
	;; [unrolled: 5-line block ×3, first 2 shown]
	v_and_b32_e32 v125, 0x1f00, v30
	v_lshlrev_b16 v30, 8, v30
	v_lshrrev_b16 v88, 8, v88
	v_perm_b32 v31, v31, v99, 0xc0c0105
	v_or_b32_e32 v99, v114, v100
	v_and_b32_e32 v126, 0x1f00, v34
	v_lshlrev_b16 v34, 8, v34
	v_add_nc_u16 v116, 0xf000, v116
	v_add_nc_u16 v101, 0xf000, v101
	v_and_b32_e32 v127, 0x1f00, v33
	v_lshlrev_b16 v33, 8, v33
	v_or_b32_e32 v32, v115, v32
	v_and_b32_e32 v128, 0x1f00, v87
	v_lshlrev_b16 v87, 8, v87
	v_add_nc_u16 v118, 0xf000, v118
	v_add_nc_u16 v104, 0xf000, v104
	v_and_b32_e32 v129, 0x1f00, v36
	v_lshlrev_b16 v36, 8, v36
	;; [unrolled: 7-line block ×3, first 2 shown]
	v_add_nc_u16 v124, 0xf000, v125
	v_add_nc_u16 v30, 0xf000, v30
	v_or_b32_e32 v88, v119, v88
	v_lshl_or_b32 v31, v31, 16, v98
	v_add_nc_u16 v98, 0xf000, v99
	v_add_nc_u16 v125, 0xf000, v126
	v_add_nc_u16 v34, 0xf000, v34
	v_perm_b32 v101, v101, v116, 0xc0c0105
	v_add_nc_u16 v116, 0xf000, v127
	v_add_nc_u16 v33, 0xf000, v33
	v_add_nc_u16 v32, 0xf000, v32
	v_add_nc_u16 v126, 0xf000, v128
	v_add_nc_u16 v87, 0xf000, v87
	v_perm_b32 v104, v104, v118, 0xc0c0105
	v_add_nc_u16 v118, 0xf000, v129
	v_add_nc_u16 v36, 0xf000, v36
	v_add_nc_u16 v35, 0xf000, v35
	v_add_nc_u16 v127, 0xf000, v130
	v_add_nc_u16 v92, 0xf000, v92
	v_perm_b32 v105, v105, v120, 0xc0c0105
	v_add_nc_u16 v120, 0xf000, v131
	v_add_nc_u16 v37, 0xf000, v37
	v_perm_b32 v30, v30, v124, 0xc0c0105
	v_add_nc_u16 v88, 0xf000, v88
	v_and_b32_e32 v98, 0xffff, v98
	v_perm_b32 v34, v34, v125, 0xc0c0105
	v_perm_b32 v33, v33, v116, 0xc0c0105
	v_and_b32_e32 v32, 0xffff, v32
	v_perm_b32 v87, v87, v126, 0xc0c0105
	v_perm_b32 v36, v36, v118, 0xc0c0105
	;; [unrolled: 3-line block ×3, first 2 shown]
	v_and_b32_e32 v88, 0xffff, v88
	v_lshl_or_b32 v30, v30, 16, v98
	v_lshl_or_b32 v33, v33, 16, v101
	;; [unrolled: 1-line block ×7, first 2 shown]
	ds_store_2addr_b32 v1, v31, v30 offset1:1
	ds_store_b32 v83, v27
	ds_store_2addr_b32 v2, v32, v33 offset1:1
	ds_store_b32 v84, v28
	;; [unrolled: 2-line block ×3, first 2 shown]
	ds_store_2addr_b32 v4, v35, v37 offset1:1
	v_mad_co_i64_i32 v[27:28], null, v57, 22, v[20:21]
	v_mad_co_i64_i32 v[31:32], null, v58, 22, v[20:21]
	;; [unrolled: 1-line block ×3, first 2 shown]
	v_add_co_u32 v29, s1, v89, v42
	s_wait_alu 0xf1ff
	v_add_co_ci_u32_e64 v30, null, 0, v90, s1
	v_add_co_u32 v33, s1, v27, v42
	s_wait_alu 0xf1ff
	v_add_co_ci_u32_e64 v34, null, 0, v28, s1
	v_add_co_u32 v35, s1, v31, v42
	v_lshlrev_b32_e32 v135, 4, v93
	v_lshlrev_b32_e32 v136, 11, v93
	s_wait_alu 0xf1ff
	v_add_co_ci_u32_e64 v36, null, 0, v32, s1
	v_add_co_u32 v87, s1, v20, v42
	s_wait_alu 0xf1ff
	v_add_co_ci_u32_e64 v88, null, 0, v21, s1
	v_and_b32_e32 v135, 16, v135
	v_and_b32_e32 v136, 0x1000, v136
	s_clause 0x7
	global_load_b32 v29, v[29:30], off offset:6
	global_load_b32 v30, v[33:34], off offset:6
	;; [unrolled: 1-line block ×8, first 2 shown]
	v_lshlrev_b32_e32 v137, 18, v93
	v_lshlrev_b32_e32 v138, 25, v93
	v_lshrrev_b32_e32 v139, 12, v93
	v_or3_b32 v91, v135, v94, v136
	v_lshrrev_b32_e32 v140, 5, v93
	v_and_b32_e32 v137, 0x100000, v137
	v_and_b32_e32 v138, 0x10000000, v138
	v_lshlrev_b32_e32 v141, 2, v93
	v_and_b32_e32 v121, 0x1f00, v91
	v_lshlrev_b16 v91, 8, v91
	v_lshlrev_b32_e32 v93, 9, v93
	v_or3_b32 v94, v94, v137, v138
	v_and_b32_e32 v95, 0xf0f0f0f, v95
	v_and_b32_e32 v139, 16, v139
	v_add_nc_u16 v91, 0xf000, v91
	v_and_b32_e32 v140, 0x1000, v140
	v_and_b32_e32 v141, 0x100000, v141
	;; [unrolled: 1-line block ×5, first 2 shown]
	v_lshrrev_b32_e32 v94, 16, v94
	v_lshrrev_b16 v91, 8, v91
	v_or3_b32 v106, v139, v95, v140
	v_or3_b32 v93, v95, v141, v93
	;; [unrolled: 1-line block ×3, first 2 shown]
	v_and_b32_e32 v132, 0x1f00, v94
	v_lshlrev_b16 v94, 8, v94
	v_or_b32_e32 v91, v121, v91
	v_and_b32_e32 v144, 0x100000, v144
	v_and_b32_e32 v145, 0x10000000, v145
	;; [unrolled: 1-line block ×3, first 2 shown]
	v_lshlrev_b16 v95, 8, v95
	v_add_nc_u16 v128, 0xf000, v132
	v_add_nc_u16 v94, 0xf000, v94
	;; [unrolled: 1-line block ×3, first 2 shown]
	v_or3_b32 v97, v97, v144, v145
	v_add_nc_u16 v92, 0xf000, v95
	v_lshlrev_b16 v95, 8, v107
	v_perm_b32 v94, v94, v128, 0xc0c0105
	v_and_b32_e32 v91, 0xffff, v91
	v_lshrrev_b32_e32 v97, 16, v97
	v_lshrrev_b32_e32 v93, 16, v93
	v_add_nc_u16 v95, 0xf000, v95
	v_and_b32_e32 v122, 0x1f00, v106
	v_lshl_or_b32 v91, v94, 16, v91
	v_lshrrev_b32_e32 v94, 16, v96
	v_lshlrev_b16 v106, 8, v106
	v_and_b32_e32 v31, 0x1f00, v107
	v_lshrrev_b16 v32, 8, v95
	v_and_b32_e32 v35, 0x1f00, v97
	v_lshlrev_b16 v36, 8, v97
	v_and_b32_e32 v87, 0x1f00, v94
	v_lshlrev_b16 v88, 8, v94
	v_add_nc_u16 v122, 0xf000, v122
	v_add_nc_u16 v106, 0xf000, v106
	v_and_b32_e32 v133, 0x1f00, v93
	v_lshlrev_b16 v93, 8, v93
	v_add_nc_u16 v37, 0xf000, v123
	v_or_b32_e32 v31, v31, v32
	v_add_nc_u16 v32, 0xf000, v35
	v_add_nc_u16 v35, 0xf000, v36
	;; [unrolled: 1-line block ×4, first 2 shown]
	v_ashrrev_i32_e32 v88, v42, v103
	v_perm_b32 v106, v106, v122, 0xc0c0105
	v_add_nc_u16 v122, 0xf000, v133
	v_add_nc_u16 v93, 0xf000, v93
	v_perm_b32 v37, v92, v37, 0xc0c0105
	v_perm_b32 v32, v35, v32, 0xc0c0105
	;; [unrolled: 1-line block ×3, first 2 shown]
	v_lshlrev_b32_e32 v87, 11, v88
	v_perm_b32 v93, v93, v122, 0xc0c0105
	v_add_nc_u16 v31, 0xf000, v31
	v_lshl_or_b32 v32, v32, 16, v37
	v_lshrrev_b32_e32 v89, 12, v88
	v_and_b32_e32 v37, 0x1000, v87
	s_wait_loadcnt 0x11
	v_lshrrev_b32_e32 v87, 4, v108
	v_lshrrev_b32_e32 v90, 5, v88
	v_lshl_or_b32 v93, v93, 16, v106
	v_and_b32_e32 v31, 0xffff, v31
	v_lshlrev_b32_e32 v36, 4, v88
	v_and_b32_e32 v87, 0xf0f0f0f, v87
	v_and_b32_e32 v89, 16, v89
	;; [unrolled: 1-line block ×3, first 2 shown]
	ds_store_2addr_b32 v5, v91, v93 offset1:1
	v_lshl_or_b32 v31, v35, 16, v31
	v_and_b32_e32 v35, 0xf0f0f0f, v108
	v_and_b32_e32 v36, 16, v36
	v_lshlrev_b32_e32 v91, 18, v88
	v_lshlrev_b32_e32 v92, 25, v88
	v_lshlrev_b32_e32 v93, 2, v88
	v_lshlrev_b32_e32 v88, 9, v88
	v_or3_b32 v89, v89, v87, v90
	v_and_b32_e32 v91, 0x100000, v91
	v_and_b32_e32 v92, 0x10000000, v92
	v_or3_b32 v36, v36, v35, v37
	v_and_b32_e32 v37, 0x100000, v93
	v_and_b32_e32 v88, 0x10000000, v88
	v_lshlrev_b16 v90, 8, v89
	v_or3_b32 v35, v35, v91, v92
	v_and_b32_e32 v91, 0x1f00, v36
	v_and_b32_e32 v89, 0x1f00, v89
	v_or3_b32 v37, v87, v37, v88
	v_add_nc_u16 v87, 0xf000, v90
	v_lshrrev_b32_e32 v35, 16, v35
	v_lshlrev_b16 v36, 8, v36
	v_add_nc_u16 v88, 0xf000, v91
	v_lshrrev_b32_e32 v37, 16, v37
	v_lshrrev_b16 v87, 8, v87
	v_and_b32_e32 v90, 0x1f00, v35
	v_lshlrev_b16 v35, 8, v35
	v_add_nc_u16 v36, 0xf000, v36
	v_and_b32_e32 v91, 0x1f00, v37
	v_lshlrev_b16 v37, 8, v37
	v_or_b32_e32 v87, v89, v87
	v_add_nc_u16 v89, 0xf000, v90
	v_add_nc_u16 v35, 0xf000, v35
	;; [unrolled: 1-line block ×5, first 2 shown]
	v_perm_b32 v36, v36, v88, 0xc0c0105
	v_ashrrev_i32_e32 v88, v42, v102
	v_perm_b32 v35, v35, v89, 0xc0c0105
	v_perm_b32 v37, v37, v90, 0xc0c0105
	v_and_b32_e32 v87, 0xffff, v87
	ds_store_2addr_b32 v6, v32, v31 offset1:1
	v_lshrrev_b32_e32 v89, 12, v88
	v_lshl_or_b32 v35, v35, 16, v36
	v_lshrrev_b32_e32 v90, 5, v88
	v_lshl_or_b32 v36, v37, 16, v87
	s_wait_loadcnt 0x10
	v_lshrrev_b32_e32 v87, 4, v109
	v_lshlrev_b32_e32 v31, 4, v88
	v_lshlrev_b32_e32 v32, 11, v88
	v_and_b32_e32 v89, 16, v89
	v_and_b32_e32 v90, 0x1000, v90
	;; [unrolled: 1-line block ×6, first 2 shown]
	v_lshlrev_b32_e32 v91, 18, v88
	v_lshlrev_b32_e32 v92, 25, v88
	;; [unrolled: 1-line block ×4, first 2 shown]
	v_or3_b32 v89, v89, v87, v90
	v_and_b32_e32 v91, 0x100000, v91
	v_and_b32_e32 v92, 0x10000000, v92
	v_or3_b32 v31, v31, v37, v32
	v_and_b32_e32 v32, 0x100000, v93
	v_and_b32_e32 v88, 0x10000000, v88
	v_lshlrev_b16 v90, 8, v89
	v_or3_b32 v37, v37, v91, v92
	v_and_b32_e32 v91, 0x1f00, v31
	v_and_b32_e32 v89, 0x1f00, v89
	v_or3_b32 v32, v87, v32, v88
	v_add_nc_u16 v87, 0xf000, v90
	v_lshrrev_b32_e32 v37, 16, v37
	v_lshlrev_b16 v31, 8, v31
	v_add_nc_u16 v88, 0xf000, v91
	v_lshrrev_b32_e32 v32, 16, v32
	v_lshrrev_b16 v87, 8, v87
	v_and_b32_e32 v90, 0x1f00, v37
	v_add_nc_u16 v31, 0xf000, v31
	v_lshlrev_b16 v37, 8, v37
	v_and_b32_e32 v91, 0x1f00, v32
	v_lshlrev_b16 v32, 8, v32
	v_or_b32_e32 v87, v89, v87
	v_add_nc_u16 v89, 0xf000, v90
	v_add_nc_u16 v37, 0xf000, v37
	;; [unrolled: 1-line block ×5, first 2 shown]
	v_perm_b32 v31, v31, v88, 0xc0c0105
	s_wait_loadcnt 0x8
	v_ashrrev_i32_e32 v88, v42, v113
	v_perm_b32 v37, v37, v89, 0xc0c0105
	v_perm_b32 v32, v32, v90, 0xc0c0105
	v_and_b32_e32 v87, 0xffff, v87
	ds_store_2addr_b32 v7, v35, v36 offset1:1
	v_lshrrev_b32_e32 v89, 12, v88
	v_lshrrev_b32_e32 v90, 5, v88
	v_lshlrev_b32_e32 v35, 4, v88
	v_lshl_or_b32 v32, v32, 16, v87
	v_lshrrev_b32_e32 v87, 4, v110
	v_lshlrev_b32_e32 v36, 11, v88
	v_and_b32_e32 v89, 16, v89
	v_and_b32_e32 v90, 0x1000, v90
	v_lshl_or_b32 v31, v37, 16, v31
	v_and_b32_e32 v87, 0xf0f0f0f, v87
	v_and_b32_e32 v37, 0xf0f0f0f, v110
	;; [unrolled: 1-line block ×4, first 2 shown]
	v_lshlrev_b32_e32 v91, 18, v88
	v_lshlrev_b32_e32 v92, 25, v88
	;; [unrolled: 1-line block ×4, first 2 shown]
	v_or3_b32 v89, v89, v87, v90
	v_and_b32_e32 v91, 0x100000, v91
	v_and_b32_e32 v92, 0x10000000, v92
	v_or3_b32 v35, v35, v37, v36
	v_and_b32_e32 v36, 0x100000, v93
	v_and_b32_e32 v88, 0x10000000, v88
	v_lshlrev_b16 v90, 8, v89
	v_or3_b32 v37, v37, v91, v92
	v_and_b32_e32 v91, 0x1f00, v35
	v_and_b32_e32 v89, 0x1f00, v89
	v_or3_b32 v36, v87, v36, v88
	v_add_nc_u16 v87, 0xf000, v90
	v_lshrrev_b32_e32 v37, 16, v37
	v_lshlrev_b16 v35, 8, v35
	v_add_nc_u16 v88, 0xf000, v91
	v_lshrrev_b32_e32 v36, 16, v36
	v_lshrrev_b16 v87, 8, v87
	v_and_b32_e32 v90, 0x1f00, v37
	v_add_nc_u16 v35, 0xf000, v35
	v_lshlrev_b16 v37, 8, v37
	v_and_b32_e32 v91, 0x1f00, v36
	v_lshlrev_b16 v36, 8, v36
	v_or_b32_e32 v87, v89, v87
	v_add_nc_u16 v89, 0xf000, v90
	v_add_nc_u16 v37, 0xf000, v37
	v_add_nc_u16 v90, 0xf000, v91
	v_add_nc_u16 v36, 0xf000, v36
	v_add_nc_u16 v87, 0xf000, v87
	v_perm_b32 v35, v35, v88, 0xc0c0105
	v_ashrrev_i32_e32 v88, v42, v112
	v_perm_b32 v37, v37, v89, 0xc0c0105
	v_perm_b32 v36, v36, v90, 0xc0c0105
	v_and_b32_e32 v87, 0xffff, v87
	ds_store_2addr_b32 v8, v31, v32 offset1:1
	v_lshrrev_b32_e32 v89, 12, v88
	v_lshrrev_b32_e32 v90, 5, v88
	v_lshlrev_b32_e32 v31, 4, v88
	v_lshl_or_b32 v36, v36, 16, v87
	v_lshrrev_b32_e32 v87, 4, v111
	v_lshlrev_b32_e32 v32, 11, v88
	v_and_b32_e32 v89, 16, v89
	v_and_b32_e32 v90, 0x1000, v90
	v_lshl_or_b32 v35, v37, 16, v35
	v_and_b32_e32 v87, 0xf0f0f0f, v87
	v_and_b32_e32 v37, 0xf0f0f0f, v111
	v_and_b32_e32 v31, 16, v31
	v_and_b32_e32 v32, 0x1000, v32
	v_lshlrev_b32_e32 v91, 18, v88
	v_lshlrev_b32_e32 v92, 25, v88
	;; [unrolled: 1-line block ×4, first 2 shown]
	v_or3_b32 v89, v89, v87, v90
	v_and_b32_e32 v91, 0x100000, v91
	v_and_b32_e32 v92, 0x10000000, v92
	v_or3_b32 v31, v31, v37, v32
	v_and_b32_e32 v32, 0x100000, v93
	v_and_b32_e32 v88, 0x10000000, v88
	v_lshlrev_b16 v90, 8, v89
	v_or3_b32 v37, v37, v91, v92
	v_and_b32_e32 v91, 0x1f00, v31
	v_and_b32_e32 v89, 0x1f00, v89
	v_or3_b32 v32, v87, v32, v88
	v_add_nc_u16 v87, 0xf000, v90
	v_lshrrev_b32_e32 v37, 16, v37
	v_lshlrev_b16 v31, 8, v31
	v_add_nc_u16 v88, 0xf000, v91
	v_lshrrev_b32_e32 v32, 16, v32
	v_lshrrev_b16 v87, 8, v87
	v_and_b32_e32 v90, 0x1f00, v37
	v_lshlrev_b16 v37, 8, v37
	v_add_nc_u16 v31, 0xf000, v31
	v_and_b32_e32 v91, 0x1f00, v32
	v_lshlrev_b16 v32, 8, v32
	v_or_b32_e32 v87, v89, v87
	v_add_nc_u16 v89, 0xf000, v90
	v_add_nc_u16 v37, 0xf000, v37
	v_add_nc_u16 v90, 0xf000, v91
	v_add_nc_u16 v32, 0xf000, v32
	v_add_nc_u16 v87, 0xf000, v87
	v_perm_b32 v31, v31, v88, 0xc0c0105
	v_ashrrev_i32_e32 v26, v42, v26
	v_perm_b32 v37, v37, v89, 0xc0c0105
	v_perm_b32 v32, v32, v90, 0xc0c0105
	v_and_b32_e32 v87, 0xffff, v87
	ds_store_2addr_b32 v9, v35, v36 offset1:1
	v_lshrrev_b32_e32 v88, 5, v26
	v_lshl_or_b32 v31, v37, 16, v31
	v_and_b32_e32 v37, 0xf0f0f0f, v25
	v_lshl_or_b32 v32, v32, 16, v87
	v_lshrrev_b32_e32 v25, 4, v25
	v_lshrrev_b32_e32 v87, 12, v26
	v_lshlrev_b32_e32 v35, 4, v26
	v_lshlrev_b32_e32 v36, 11, v26
	v_and_b32_e32 v88, 0x1000, v88
	v_and_b32_e32 v25, 0xf0f0f0f, v25
	;; [unrolled: 1-line block ×5, first 2 shown]
	v_lshlrev_b32_e32 v89, 18, v26
	v_lshlrev_b32_e32 v90, 25, v26
	;; [unrolled: 1-line block ×4, first 2 shown]
	v_or3_b32 v87, v87, v25, v88
	v_and_b32_e32 v89, 0x100000, v89
	v_and_b32_e32 v90, 0x10000000, v90
	v_or3_b32 v35, v35, v37, v36
	v_and_b32_e32 v36, 0x100000, v91
	v_and_b32_e32 v26, 0x10000000, v26
	v_lshlrev_b16 v88, 8, v87
	v_or3_b32 v37, v37, v89, v90
	v_and_b32_e32 v89, 0x1f00, v35
	v_and_b32_e32 v87, 0x1f00, v87
	v_or3_b32 v25, v25, v36, v26
	v_add_nc_u16 v36, 0xf000, v88
	v_lshrrev_b32_e32 v26, 16, v37
	v_lshlrev_b16 v35, 8, v35
	v_add_nc_u16 v37, 0xf000, v89
	v_lshrrev_b32_e32 v25, 16, v25
	v_lshrrev_b16 v36, 8, v36
	v_and_b32_e32 v88, 0x1f00, v26
	v_lshlrev_b16 v26, 8, v26
	v_add_nc_u16 v35, 0xf000, v35
	v_and_b32_e32 v89, 0x1f00, v25
	v_lshlrev_b16 v25, 8, v25
	v_or_b32_e32 v36, v87, v36
	v_add_nc_u16 v87, 0xf000, v88
	v_add_nc_u16 v26, 0xf000, v26
	;; [unrolled: 1-line block ×5, first 2 shown]
	v_perm_b32 v35, v35, v37, 0xc0c0105
	v_ashrrev_i32_e32 v24, v42, v24
	v_perm_b32 v26, v26, v87, 0xc0c0105
	v_perm_b32 v25, v25, v88, 0xc0c0105
	v_and_b32_e32 v36, 0xffff, v36
	ds_store_2addr_b32 v10, v31, v32 offset1:1
	v_lshrrev_b32_e32 v37, 5, v24
	v_lshl_or_b32 v26, v26, 16, v35
	v_and_b32_e32 v35, 0xf0f0f0f, v23
	v_lshl_or_b32 v25, v25, 16, v36
	v_lshrrev_b32_e32 v23, 4, v23
	v_lshrrev_b32_e32 v36, 12, v24
	v_lshlrev_b32_e32 v31, 4, v24
	v_lshlrev_b32_e32 v32, 11, v24
	;; [unrolled: 1-line block ×4, first 2 shown]
	v_and_b32_e32 v23, 0xf0f0f0f, v23
	v_and_b32_e32 v36, 16, v36
	;; [unrolled: 1-line block ×6, first 2 shown]
	v_lshlrev_b32_e32 v89, 2, v24
	v_lshlrev_b32_e32 v24, 9, v24
	v_and_b32_e32 v88, 0x10000000, v88
	v_or3_b32 v36, v36, v23, v37
	v_or3_b32 v31, v31, v35, v32
	v_and_b32_e32 v32, 0x100000, v89
	v_and_b32_e32 v24, 0x10000000, v24
	v_or3_b32 v35, v35, v87, v88
	v_lshlrev_b16 v37, 8, v36
	v_and_b32_e32 v87, 0x1f00, v31
	v_lshlrev_b16 v31, 8, v31
	v_or3_b32 v23, v23, v32, v24
	v_lshrrev_b32_e32 v24, 16, v35
	v_add_nc_u16 v32, 0xf000, v37
	v_and_b32_e32 v36, 0x1f00, v36
	v_add_nc_u16 v35, 0xf000, v87
	v_lshrrev_b32_e32 v23, 16, v23
	v_and_b32_e32 v37, 0x1f00, v24
	v_lshrrev_b16 v32, 8, v32
	v_lshlrev_b16 v24, 8, v24
	v_add_nc_u16 v31, 0xf000, v31
	v_and_b32_e32 v87, 0x1f00, v23
	v_lshlrev_b16 v23, 8, v23
	v_or_b32_e32 v32, v36, v32
	v_add_nc_u16 v36, 0xf000, v37
	v_add_nc_u16 v24, 0xf000, v24
	;; [unrolled: 1-line block ×5, first 2 shown]
	v_perm_b32 v31, v31, v35, 0xc0c0105
	s_wait_loadcnt 0x0
	v_ashrrev_i32_e32 v28, v42, v28
	v_perm_b32 v24, v24, v36, 0xc0c0105
	v_perm_b32 v23, v23, v37, 0xc0c0105
	v_and_b32_e32 v32, 0xffff, v32
	ds_store_2addr_b32 v11, v26, v25 offset1:1
	v_lshlrev_b32_e32 v25, 4, v28
	v_lshl_or_b32 v24, v24, 16, v31
	v_lshlrev_b32_e32 v26, 11, v28
	v_and_b32_e32 v31, 0xf0f0f0f, v29
	v_lshrrev_b32_e32 v29, 4, v29
	v_lshrrev_b32_e32 v35, 12, v28
	;; [unrolled: 1-line block ×3, first 2 shown]
	v_lshl_or_b32 v23, v23, 16, v32
	v_and_b32_e32 v25, 16, v25
	v_lshlrev_b32_e32 v32, 18, v28
	v_and_b32_e32 v26, 0x1000, v26
	v_lshlrev_b32_e32 v37, 25, v28
	v_and_b32_e32 v29, 0xf0f0f0f, v29
	v_and_b32_e32 v35, 16, v35
	;; [unrolled: 1-line block ×4, first 2 shown]
	v_lshlrev_b32_e32 v87, 2, v28
	v_lshlrev_b32_e32 v28, 9, v28
	v_and_b32_e32 v37, 0x10000000, v37
	v_or3_b32 v25, v25, v31, v26
	v_or3_b32 v26, v35, v29, v36
	v_and_b32_e32 v35, 0x100000, v87
	v_and_b32_e32 v28, 0x10000000, v28
	v_or3_b32 v31, v31, v32, v37
	v_and_b32_e32 v32, 0x1f00, v25
	v_lshlrev_b16 v36, 8, v26
	v_and_b32_e32 v26, 0x1f00, v26
	v_or3_b32 v28, v29, v35, v28
	v_lshrrev_b32_e32 v29, 16, v31
	v_add_nc_u16 v31, 0xf000, v32
	v_add_nc_u16 v32, 0xf000, v36
	v_lshlrev_b16 v25, 8, v25
	v_lshrrev_b32_e32 v28, 16, v28
	v_and_b32_e32 v35, 0x1f00, v29
	v_lshlrev_b16 v29, 8, v29
	v_lshrrev_b16 v32, 8, v32
	v_add_nc_u16 v25, 0xf000, v25
	v_and_b32_e32 v36, 0x1f00, v28
	v_lshlrev_b16 v28, 8, v28
	v_add_nc_u16 v35, 0xf000, v35
	v_or_b32_e32 v26, v26, v32
	v_add_nc_u16 v29, 0xf000, v29
	v_add_nc_u16 v32, 0xf000, v36
	v_ashrrev_i32_e32 v27, v42, v27
	v_add_nc_u16 v28, 0xf000, v28
	v_add_nc_u16 v26, 0xf000, v26
	v_perm_b32 v25, v25, v31, 0xc0c0105
	v_perm_b32 v29, v29, v35, 0xc0c0105
	v_lshlrev_b32_e32 v36, 18, v27
	v_perm_b32 v28, v28, v32, 0xc0c0105
	v_and_b32_e32 v26, 0xffff, v26
	v_lshlrev_b32_e32 v37, 25, v27
	v_lshlrev_b32_e32 v31, 4, v27
	;; [unrolled: 1-line block ×3, first 2 shown]
	v_and_b32_e32 v35, 0xf0f0f0f, v30
	v_lshl_or_b32 v25, v29, 16, v25
	v_lshl_or_b32 v26, v28, 16, v26
	v_and_b32_e32 v28, 0x100000, v36
	v_and_b32_e32 v29, 0x10000000, v37
	;; [unrolled: 1-line block ×4, first 2 shown]
	ds_store_2addr_b32 v12, v24, v23 offset1:1
	ds_store_2addr_b32 v13, v25, v26 offset1:1
	v_lshrrev_b32_e32 v23, 4, v30
	v_or3_b32 v24, v35, v28, v29
	v_lshlrev_b32_e32 v26, 2, v27
	v_lshlrev_b32_e32 v28, 9, v27
	v_lshrrev_b32_e32 v29, 12, v27
	v_lshrrev_b32_e32 v27, 5, v27
	v_or3_b32 v31, v31, v35, v32
	v_and_b32_e32 v23, 0xf0f0f0f, v23
	v_and_b32_e32 v26, 0x100000, v26
	;; [unrolled: 1-line block ×6, first 2 shown]
	v_lshrrev_b32_e32 v24, 16, v24
	v_or3_b32 v26, v23, v26, v28
	v_lshlrev_b16 v28, 8, v31
	v_or3_b32 v23, v29, v23, v27
	v_add_nc_u16 v25, 0xf000, v25
	v_and_b32_e32 v30, 0x1f00, v24
	v_lshlrev_b16 v24, 8, v24
	v_lshrrev_b32_e32 v26, 16, v26
	v_add_nc_u16 v27, 0xf000, v28
	v_lshlrev_b16 v29, 8, v23
	v_add_nc_u16 v28, 0xf000, v30
	v_add_nc_u16 v24, 0xf000, v24
	v_and_b32_e32 v30, 0x1f00, v26
	v_perm_b32 v25, v27, v25, 0xc0c0105
	v_ashrrev_i32_e32 v21, v42, v21
	v_add_nc_u16 v27, 0xf000, v29
	v_perm_b32 v24, v24, v28, 0xc0c0105
	v_add_nc_u16 v28, 0xf000, v30
	v_lshlrev_b16 v26, 8, v26
	v_lshlrev_b32_e32 v29, 4, v21
	v_and_b32_e32 v23, 0x1f00, v23
	v_lshrrev_b16 v27, 8, v27
	v_lshlrev_b32_e32 v30, 11, v21
	v_lshlrev_b32_e32 v32, 18, v21
	;; [unrolled: 1-line block ×3, first 2 shown]
	v_and_b32_e32 v31, 0xf0f0f0f, v33
	v_and_b32_e32 v29, 16, v29
	;; [unrolled: 1-line block ×3, first 2 shown]
	v_add_nc_u16 v26, 0xf000, v26
	v_or_b32_e32 v23, v23, v27
	v_and_b32_e32 v27, 0x100000, v32
	v_and_b32_e32 v32, 0x10000000, v35
	v_or3_b32 v29, v29, v31, v30
	v_lshl_or_b32 v24, v24, 16, v25
	v_perm_b32 v25, v26, v28, 0xc0c0105
	v_lshrrev_b32_e32 v28, 4, v33
	v_or3_b32 v26, v31, v27, v32
	v_lshrrev_b32_e32 v30, 12, v21
	v_lshrrev_b32_e32 v31, 5, v21
	v_lshlrev_b32_e32 v32, 2, v21
	v_lshlrev_b32_e32 v21, 9, v21
	v_and_b32_e32 v28, 0xf0f0f0f, v28
	v_and_b32_e32 v30, 16, v30
	;; [unrolled: 1-line block ×6, first 2 shown]
	v_lshlrev_b16 v29, 8, v29
	v_lshrrev_b32_e32 v26, 16, v26
	v_or3_b32 v30, v30, v28, v31
	v_or3_b32 v21, v28, v32, v21
	v_add_nc_u16 v27, 0xf000, v27
	v_add_nc_u16 v28, 0xf000, v29
	v_and_b32_e32 v29, 0x1f00, v26
	v_lshlrev_b16 v31, 8, v30
	v_lshrrev_b32_e32 v21, 16, v21
	v_lshlrev_b16 v26, 8, v26
	v_perm_b32 v27, v28, v27, 0xc0c0105
	v_add_nc_u16 v28, 0xf000, v29
	v_add_nc_u16 v29, 0xf000, v31
	v_and_b32_e32 v31, 0x1f00, v21
	v_lshlrev_b16 v21, 8, v21
	v_ashrrev_i32_e32 v20, v42, v20
	v_and_b32_e32 v30, 0x1f00, v30
	v_lshrrev_b16 v29, 8, v29
	v_add_nc_u16 v31, 0xf000, v31
	v_add_nc_u16 v21, 0xf000, v21
	;; [unrolled: 1-line block ×3, first 2 shown]
	v_lshrrev_b32_e32 v32, 4, v34
	v_lshrrev_b32_e32 v33, 12, v20
	v_or_b32_e32 v29, v30, v29
	v_perm_b32 v21, v21, v31, 0xc0c0105
	v_and_b32_e32 v31, 0xf0f0f0f, v34
	v_lshrrev_b32_e32 v34, 5, v20
	v_perm_b32 v26, v26, v28, 0xc0c0105
	v_lshlrev_b32_e32 v28, 4, v20
	v_lshlrev_b32_e32 v30, 11, v20
	v_lshlrev_b32_e32 v35, 18, v20
	v_lshlrev_b32_e32 v36, 25, v20
	v_and_b32_e32 v32, 0xf0f0f0f, v32
	v_and_b32_e32 v33, 16, v33
	;; [unrolled: 1-line block ×6, first 2 shown]
	v_lshlrev_b32_e32 v37, 2, v20
	v_lshlrev_b32_e32 v20, 9, v20
	v_and_b32_e32 v36, 0x10000000, v36
	v_or3_b32 v33, v33, v32, v34
	v_or3_b32 v28, v28, v31, v30
	v_and_b32_e32 v30, 0x100000, v37
	v_and_b32_e32 v20, 0x10000000, v20
	v_or3_b32 v31, v31, v35, v36
	v_lshlrev_b16 v34, 8, v33
	v_and_b32_e32 v35, 0x1f00, v28
	v_and_b32_e32 v33, 0x1f00, v33
	v_or3_b32 v20, v32, v30, v20
	v_lshrrev_b32_e32 v30, 16, v31
	v_add_nc_u16 v31, 0xf000, v34
	v_lshlrev_b16 v28, 8, v28
	v_add_nc_u16 v32, 0xf000, v35
	v_lshrrev_b32_e32 v20, 16, v20
	v_and_b32_e32 v34, 0x1f00, v30
	v_lshrrev_b16 v31, 8, v31
	v_lshlrev_b16 v30, 8, v30
	v_add_nc_u16 v23, 0xf000, v23
	v_and_b32_e32 v35, 0x1f00, v20
	v_lshlrev_b16 v20, 8, v20
	v_or_b32_e32 v31, v33, v31
	v_add_nc_u16 v29, 0xf000, v29
	v_add_nc_u16 v28, 0xf000, v28
	;; [unrolled: 1-line block ×7, first 2 shown]
	v_and_b32_e32 v23, 0xffff, v23
	v_and_b32_e32 v29, 0xffff, v29
	v_perm_b32 v28, v28, v32, 0xc0c0105
	v_perm_b32 v30, v30, v33, 0xc0c0105
	;; [unrolled: 1-line block ×3, first 2 shown]
	v_and_b32_e32 v31, 0xffff, v31
	v_lshl_or_b32 v23, v25, 16, v23
	v_lshl_or_b32 v25, v26, 16, v27
	;; [unrolled: 1-line block ×5, first 2 shown]
	ds_store_2addr_b32 v14, v24, v23 offset1:1
	ds_store_2addr_b32 v15, v25, v21 offset1:1
	;; [unrolled: 1-line block ×3, first 2 shown]
	ds_store_b32 v86, v22
	s_cbranch_scc0 .LBB182_4
; %bb.6:                                ;   in Loop: Header=BB182_5 Depth=1
	v_add_nc_u32_e32 v20, s16, v55
	s_delay_alu instid0(VALU_DEP_1)
	v_cmp_gt_i32_e64 s1, s6, v20
	s_and_b32 s19, s0, s1
	s_wait_alu 0xfffe
	s_and_saveexec_b32 s1, s19
	s_cbranch_execz .LBB182_8
; %bb.7:                                ;   in Loop: Header=BB182_5 Depth=1
	v_add_nc_u32_e32 v20, v73, v20
	s_delay_alu instid0(VALU_DEP_1)
	v_mad_co_i64_i32 v[20:21], null, v20, 36, v[18:19]
	global_load_b32 v20, v[20:21], off offset:4
	s_wait_loadcnt 0x0
	ds_store_b32 v69, v20
.LBB182_8:                              ;   in Loop: Header=BB182_5 Depth=1
	s_wait_alu 0xfffe
	s_or_b32 exec_lo, exec_lo, s1
	v_add_nc_u32_e32 v20, s16, v39
	s_delay_alu instid0(VALU_DEP_1)
	v_cmp_gt_i32_e64 s1, s6, v20
	s_and_b32 s19, s8, s1
	s_wait_alu 0xfffe
	s_and_saveexec_b32 s1, s19
	s_cbranch_execz .LBB182_10
; %bb.9:                                ;   in Loop: Header=BB182_5 Depth=1
	v_add_nc_u32_e32 v21, v73, v20
	s_delay_alu instid0(VALU_DEP_1)
	v_mad_co_i64_i32 v[21:22], null, v21, 36, s[2:3]
	global_load_b32 v21, v[21:22], off
	s_wait_loadcnt 0x0
	v_cvt_f32_f16_e32 v21, v21
	ds_store_b32 v70, v21
.LBB182_10:                             ;   in Loop: Header=BB182_5 Depth=1
	s_wait_alu 0xfffe
	s_or_b32 exec_lo, exec_lo, s1
	v_dual_mov_b32 v21, v67 :: v_dual_mov_b32 v22, v71
	v_dual_mov_b32 v23, v68 :: v_dual_mov_b32 v24, v77
	;; [unrolled: 1-line block ×3, first 2 shown]
	v_mov_b32_e32 v27, v74
	s_mov_b32 s1, -4
	s_wait_dscnt 0x0
	s_barrier_signal -1
	s_barrier_wait -1
	global_inv scope:SCOPE_SE
.LBB182_11:                             ;   Parent Loop BB182_5 Depth=1
                                        ; =>  This Inner Loop Header: Depth=2
	ds_load_2addr_b32 v[28:29], v21 offset0:3 offset1:4
	ds_load_2addr_b32 v[30:31], v21 offset0:5 offset1:6
	ds_load_2addr_b32 v[32:33], v22 offset1:1
	ds_load_2addr_b32 v[34:35], v21 offset0:1 offset1:2
	ds_load_2addr_b32 v[36:37], v21 offset1:7
	ds_load_b32 v117, v23
	ds_load_2addr_b32 v[87:88], v22 offset0:2 offset1:3
	ds_load_2addr_b32 v[89:90], v22 offset0:4 offset1:5
	;; [unrolled: 1-line block ×3, first 2 shown]
	ds_load_b32 v118, v24
	ds_load_b32 v119, v25
	;; [unrolled: 1-line block ×4, first 2 shown]
	v_add_nc_u32_e32 v93, 0x2080, v22
	v_add_nc_u32_e32 v95, 0x2088, v22
	;; [unrolled: 1-line block ×12, first 2 shown]
	s_wait_dscnt 0xc
	v_lshlrev_b32_e32 v122, 8, v29
	v_lshlrev_b32_e32 v129, 24, v29
	;; [unrolled: 1-line block ×3, first 2 shown]
	s_wait_dscnt 0x9
	v_lshlrev_b32_e32 v123, 8, v34
	s_wait_dscnt 0x3
	v_mul_f32_e32 v118, v117, v118
	v_add_nc_u32_e32 v97, 0x2090, v22
	s_wait_dscnt 0x2
	v_mul_f32_e32 v119, v117, v119
	v_add_nc_u32_e32 v99, 0x2098, v22
	ds_load_2addr_b32 v[93:94], v93 offset1:1
	ds_load_2addr_b32 v[95:96], v95 offset1:1
	;; [unrolled: 1-line block ×12, first 2 shown]
	v_lshlrev_b32_e32 v124, 8, v30
	v_lshlrev_b32_e32 v125, 8, v35
	;; [unrolled: 1-line block ×16, first 2 shown]
	v_perm_b32 v146, v130, v129, 0xc0c0703
	v_perm_b32 v147, v29, v122, 0x7030c0c
	v_dot4_i32_iu8 v32, v36, v32, 0 neg_lo:[1,1,0]
	v_lshlrev_b32_e32 v142, 16, v37
	v_perm_b32 v143, v30, v34, 0x7030c0c
	v_perm_b32 v144, v31, v35, 0xc0c0703
	v_perm_b32 v145, v37, v28, 0x7030c0c
	s_wait_dscnt 0xb
	v_dot4_i32_iu8 v93, v36, v93, 0 neg_lo:[1,1,0]
	s_wait_dscnt 0x7
	v_dot4_i32_iu8 v101, v36, v101, 0 neg_lo:[1,1,0]
	v_perm_b32 v148, v132, v131, 0xc0c0703
	v_perm_b32 v34, v34, v123, 0x7030c0c
	;; [unrolled: 1-line block ×11, first 2 shown]
	s_wait_dscnt 0x3
	v_perm_b32 v130, v109, v130, 0xc0c0503
	v_perm_b32 v132, v134, v132, 0x7030c0c
	s_wait_dscnt 0x2
	v_perm_b32 v134, v112, v111, 0x5010c0c
	v_perm_b32 v154, v36, v110, 0xc0c0501
	;; [unrolled: 1-line block ×13, first 2 shown]
	s_wait_dscnt 0x1
	v_perm_b32 v110, v114, v113, 0xc0c0602
	s_wait_dscnt 0x0
	v_perm_b32 v112, v116, v115, 0x6020c0c
	v_perm_b32 v123, v126, v125, 0xc0c0703
	;; [unrolled: 1-line block ×12, first 2 shown]
	v_or_b32_e32 v136, v147, v146
	v_or_b32_e32 v34, v34, v148
	;; [unrolled: 1-line block ×3, first 2 shown]
	v_perm_b32 v116, v142, v140, 0x7030c0c
	v_or_b32_e32 v35, v35, v150
	v_dot4_i32_iu8 v32, v136, v33, v32 neg_lo:[1,1,0]
	v_dot4_i32_iu8 v33, v136, v94, v93 neg_lo:[1,1,0]
	v_dot4_i32_iu8 v93, v136, v102, v101 neg_lo:[1,1,0]
	v_or_b32_e32 v130, v132, v130
	v_or_b32_e32 v132, v134, v154
	v_dot4_i32_iu8 v32, v34, v87, v32 neg_lo:[1,1,0]
	v_dot4_i32_iu8 v33, v34, v95, v33 neg_lo:[1,1,0]
	v_dot4_i32_iu8 v34, v34, v103, v93 neg_lo:[1,1,0]
	v_or_b32_e32 v134, v155, v156
	;; [unrolled: 5-line block ×3, first 2 shown]
	v_or_b32_e32 v31, v31, v151
	v_or_b32_e32 v129, v131, v129
	;; [unrolled: 1-line block ×9, first 2 shown]
	v_dot4_i32_iu8 v101, v130, v132, 0 neg_lo:[1,1,0]
	v_dot4_i32_iu8 v29, v29, v134, 0 neg_lo:[1,1,0]
	;; [unrolled: 1-line block ×5, first 2 shown]
	v_perm_b32 v153, v142, v141, 0xc0c0703
	v_or_b32_e32 v28, v28, v152
	v_or_b32_e32 v110, v112, v110
	;; [unrolled: 1-line block ×4, first 2 shown]
	v_dot4_i32_iu8 v36, v109, v36, 0 neg_lo:[1,1,0]
	v_dot4_i32_iu8 v34, v129, v131, 0 neg_lo:[1,1,0]
	;; [unrolled: 1-line block ×7, first 2 shown]
	v_or_b32_e32 v37, v37, v153
	v_dot4_i32_iu8 v36, v111, v110, v36 neg_lo:[1,1,0]
	v_dot4_i32_iu8 v31, v122, v112, v34 neg_lo:[1,1,0]
	v_add_nc_u32_e32 v29, v35, v29
	v_dot4_i32_iu8 v32, v28, v91, v32 neg_lo:[1,1,0]
	v_dot4_i32_iu8 v33, v28, v99, v33 neg_lo:[1,1,0]
	;; [unrolled: 1-line block ×3, first 2 shown]
	v_add_nc_u32_e32 v24, 4, v24
	v_add3_u32 v29, v31, v36, v29
	v_dot4_i32_iu8 v31, v37, v92, v32 neg_lo:[1,1,0]
	v_dot4_i32_iu8 v32, v37, v100, v33 neg_lo:[1,1,0]
	;; [unrolled: 1-line block ×3, first 2 shown]
	v_mul_f32_e32 v30, v117, v120
	v_mul_f32_e32 v33, v117, v121
	v_cvt_f32_i32_e32 v29, v29
	v_cvt_f32_i32_e32 v31, v31
	;; [unrolled: 1-line block ×4, first 2 shown]
	v_add_nc_u32_e32 v25, 4, v25
	v_add_nc_u32_e32 v23, 4, v23
	;; [unrolled: 1-line block ×4, first 2 shown]
	v_fmac_f32_e32 v16, v33, v29
	v_fmac_f32_e32 v40, v118, v31
	v_fmac_f32_e32 v66, v119, v32
	v_fmac_f32_e32 v62, v30, v28
	s_wait_alu 0xfffe
	s_add_co_i32 s1, s1, 4
	s_wait_alu 0xfffe
	s_cmp_lt_u32 s1, 12
	s_cbranch_scc1 .LBB182_11
; %bb.12:                               ;   in Loop: Header=BB182_5 Depth=1
	s_bitset1_b32 s18, 7
	s_wait_loadcnt 0x0
	s_wait_alu 0xfffe
	s_cmp_ge_i32 s18, s5
	s_barrier_signal -1
	s_barrier_wait -1
	global_inv scope:SCOPE_SE
	s_cbranch_scc1 .LBB182_4
; %bb.13:                               ;   in Loop: Header=BB182_5 Depth=1
	v_add_nc_u32_e32 v21, s16, v72
	s_delay_alu instid0(VALU_DEP_1)
	v_cmp_gt_i32_e64 s1, s6, v21
	s_and_b32 s18, s0, s1
	s_wait_alu 0xfffe
	s_and_saveexec_b32 s1, s18
	s_cbranch_execz .LBB182_15
; %bb.14:                               ;   in Loop: Header=BB182_5 Depth=1
	v_add_nc_u32_e32 v21, v73, v21
	s_delay_alu instid0(VALU_DEP_1)
	v_mad_co_i64_i32 v[21:22], null, v21, 36, v[18:19]
	global_load_b32 v21, v[21:22], off offset:4
	s_wait_loadcnt 0x0
	ds_store_b32 v69, v21
.LBB182_15:                             ;   in Loop: Header=BB182_5 Depth=1
	s_wait_alu 0xfffe
	s_or_b32 exec_lo, exec_lo, s1
	s_and_saveexec_b32 s18, vcc_lo
	s_cbranch_execz .LBB182_18
; %bb.16:                               ;   in Loop: Header=BB182_5 Depth=1
	v_or_b32_e32 v21, 4, v20
	s_delay_alu instid0(VALU_DEP_1)
	v_cmp_gt_i32_e64 s1, s6, v21
	s_and_b32 s1, s0, s1
	s_wait_alu 0xfffe
	s_and_b32 exec_lo, exec_lo, s1
	s_cbranch_execz .LBB182_18
; %bb.17:                               ;   in Loop: Header=BB182_5 Depth=1
	v_ashrrev_i32_e32 v21, 31, v20
	v_add_co_u32 v20, s1, v73, v20
	s_wait_alu 0xf1ff
	s_delay_alu instid0(VALU_DEP_2) | instskip(NEXT) | instid1(VALU_DEP_2)
	v_add_co_ci_u32_e64 v22, null, v0, v21, s1
	v_mad_co_u64_u32 v[20:21], null, v20, 36, s[2:3]
	s_delay_alu instid0(VALU_DEP_1)
	v_mad_i32_i24 v21, v22, 36, v21
	global_load_b32 v20, v[20:21], off offset:144
	s_wait_loadcnt 0x0
	v_cvt_f32_f16_e32 v20, v20
	ds_store_b32 v70, v20
.LBB182_18:                             ;   in Loop: Header=BB182_5 Depth=1
	s_wait_alu 0xfffe
	s_or_b32 exec_lo, exec_lo, s18
	v_dual_mov_b32 v20, v68 :: v_dual_mov_b32 v21, v67
	v_dual_mov_b32 v22, v82 :: v_dual_mov_b32 v23, v81
	;; [unrolled: 1-line block ×3, first 2 shown]
	v_mov_b32_e32 v26, v78
	s_mov_b32 s1, 12
	s_wait_loadcnt_dscnt 0x0
	s_barrier_signal -1
	s_barrier_wait -1
	global_inv scope:SCOPE_SE
.LBB182_19:                             ;   Parent Loop BB182_5 Depth=1
                                        ; =>  This Inner Loop Header: Depth=2
	ds_load_2addr_b32 v[27:28], v21 offset1:7
	ds_load_2addr_b32 v[29:30], v21 offset0:3 offset1:4
	ds_load_2addr_b32 v[31:32], v21 offset0:5 offset1:6
	;; [unrolled: 1-line block ×3, first 2 shown]
	ds_load_b32 v37, v20
	ds_load_2addr_b32 v[35:36], v22 offset1:1
	ds_load_2addr_b32 v[87:88], v22 offset0:2 offset1:3
	ds_load_2addr_b32 v[89:90], v22 offset0:4 offset1:5
	;; [unrolled: 1-line block ×3, first 2 shown]
	ds_load_b32 v117, v23
	ds_load_b32 v118, v24
	;; [unrolled: 1-line block ×4, first 2 shown]
	v_add_nc_u32_e32 v93, 0x2080, v22
	v_add_nc_u32_e32 v25, 4, v25
	;; [unrolled: 1-line block ×12, first 2 shown]
	s_wait_dscnt 0xb
	v_lshlrev_b32_e32 v121, 8, v30
	v_lshlrev_b32_e32 v128, 24, v30
	;; [unrolled: 1-line block ×3, first 2 shown]
	s_wait_dscnt 0x9
	v_lshlrev_b32_e32 v122, 8, v33
	s_wait_dscnt 0x2
	v_dual_mul_f32 v118, v37, v118 :: v_dual_lshlrev_b32 v123, 8, v31
	v_add_nc_u32_e32 v95, 0x2088, v22
	v_lshlrev_b32_e32 v124, 8, v34
	ds_load_2addr_b32 v[93:94], v93 offset1:1
	ds_load_2addr_b32 v[95:96], v95 offset1:1
	;; [unrolled: 1-line block ×12, first 2 shown]
	v_lshlrev_b32_e32 v125, 8, v32
	v_lshlrev_b32_e32 v126, 8, v29
	;; [unrolled: 1-line block ×14, first 2 shown]
	v_perm_b32 v145, v129, v128, 0xc0c0703
	v_perm_b32 v146, v30, v121, 0x7030c0c
	v_dot4_i32_iu8 v35, v27, v35, 0 neg_lo:[1,1,0]
	v_lshlrev_b32_e32 v141, 16, v28
	v_perm_b32 v142, v31, v33, 0x7030c0c
	v_perm_b32 v143, v32, v34, 0xc0c0703
	;; [unrolled: 1-line block ×3, first 2 shown]
	s_wait_dscnt 0xb
	v_dot4_i32_iu8 v93, v27, v93, 0 neg_lo:[1,1,0]
	s_wait_dscnt 0x7
	v_dot4_i32_iu8 v101, v27, v101, 0 neg_lo:[1,1,0]
	v_perm_b32 v147, v131, v130, 0xc0c0703
	v_perm_b32 v33, v33, v122, 0x7030c0c
	;; [unrolled: 1-line block ×11, first 2 shown]
	s_wait_dscnt 0x3
	v_perm_b32 v129, v109, v129, 0xc0c0503
	v_perm_b32 v131, v133, v131, 0x7030c0c
	s_wait_dscnt 0x2
	v_perm_b32 v133, v112, v111, 0x5010c0c
	v_perm_b32 v153, v27, v110, 0xc0c0501
	;; [unrolled: 1-line block ×13, first 2 shown]
	s_wait_dscnt 0x1
	v_perm_b32 v110, v114, v113, 0xc0c0602
	s_wait_dscnt 0x0
	v_perm_b32 v112, v116, v115, 0x6020c0c
	v_perm_b32 v122, v125, v124, 0xc0c0703
	;; [unrolled: 1-line block ×12, first 2 shown]
	v_or_b32_e32 v135, v146, v145
	v_or_b32_e32 v33, v33, v147
	;; [unrolled: 1-line block ×3, first 2 shown]
	v_perm_b32 v116, v141, v139, 0x7030c0c
	v_or_b32_e32 v34, v34, v149
	v_dot4_i32_iu8 v35, v135, v36, v35 neg_lo:[1,1,0]
	v_dot4_i32_iu8 v36, v135, v94, v93 neg_lo:[1,1,0]
	v_dot4_i32_iu8 v93, v135, v102, v101 neg_lo:[1,1,0]
	v_or_b32_e32 v129, v131, v129
	v_or_b32_e32 v131, v133, v153
	v_dot4_i32_iu8 v35, v33, v87, v35 neg_lo:[1,1,0]
	v_dot4_i32_iu8 v36, v33, v95, v36 neg_lo:[1,1,0]
	v_dot4_i32_iu8 v33, v33, v103, v93 neg_lo:[1,1,0]
	v_or_b32_e32 v133, v154, v155
	;; [unrolled: 5-line block ×3, first 2 shown]
	v_or_b32_e32 v32, v32, v150
	v_or_b32_e32 v128, v130, v128
	;; [unrolled: 1-line block ×9, first 2 shown]
	v_dot4_i32_iu8 v101, v129, v131, 0 neg_lo:[1,1,0]
	v_dot4_i32_iu8 v30, v30, v133, 0 neg_lo:[1,1,0]
	;; [unrolled: 1-line block ×5, first 2 shown]
	v_perm_b32 v152, v141, v140, 0xc0c0703
	v_or_b32_e32 v29, v29, v151
	v_or_b32_e32 v110, v112, v110
	;; [unrolled: 1-line block ×4, first 2 shown]
	v_dot4_i32_iu8 v27, v109, v27, 0 neg_lo:[1,1,0]
	v_dot4_i32_iu8 v33, v128, v130, 0 neg_lo:[1,1,0]
	;; [unrolled: 1-line block ×7, first 2 shown]
	v_or_b32_e32 v28, v28, v152
	v_dot4_i32_iu8 v27, v111, v110, v27 neg_lo:[1,1,0]
	v_dot4_i32_iu8 v32, v121, v112, v33 neg_lo:[1,1,0]
	v_add_nc_u32_e32 v30, v34, v30
	v_dot4_i32_iu8 v33, v29, v91, v35 neg_lo:[1,1,0]
	v_dot4_i32_iu8 v34, v29, v99, v36 neg_lo:[1,1,0]
	;; [unrolled: 1-line block ×3, first 2 shown]
	v_dual_mul_f32 v117, v37, v117 :: v_dual_add_nc_u32 v26, 4, v26
	v_add3_u32 v27, v32, v27, v30
	v_dot4_i32_iu8 v30, v28, v92, v33 neg_lo:[1,1,0]
	v_dot4_i32_iu8 v32, v28, v100, v34 neg_lo:[1,1,0]
	v_dot4_i32_iu8 v28, v28, v108, v29 neg_lo:[1,1,0]
	v_dual_mul_f32 v31, v37, v119 :: v_dual_add_nc_u32 v24, 4, v24
	v_dual_mul_f32 v29, v37, v120 :: v_dual_add_nc_u32 v22, 32, v22
	v_cvt_f32_i32_e32 v27, v27
	v_cvt_f32_i32_e32 v30, v30
	;; [unrolled: 1-line block ×4, first 2 shown]
	v_add_nc_u32_e32 v23, 4, v23
	v_add_nc_u32_e32 v21, 32, v21
	;; [unrolled: 1-line block ×3, first 2 shown]
	v_fmac_f32_e32 v16, v29, v27
	v_fmac_f32_e32 v40, v117, v30
	;; [unrolled: 1-line block ×4, first 2 shown]
	s_wait_alu 0xfffe
	s_add_co_i32 s1, s1, 4
	s_wait_alu 0xfffe
	s_cmp_lt_u32 s1, 28
	s_cbranch_scc1 .LBB182_19
; %bb.20:                               ;   in Loop: Header=BB182_5 Depth=1
	s_wait_loadcnt 0x0
	s_barrier_signal -1
	s_barrier_wait -1
	global_inv scope:SCOPE_SE
	s_branch .LBB182_4
.LBB182_21:
	s_mul_i32 s0, s10, s7
	s_wait_loadcnt 0x0
	s_wait_alu 0xfffe
	v_cmp_gt_i32_e32 vcc_lo, s0, v38
	s_and_saveexec_b32 s0, vcc_lo
	s_cbranch_execz .LBB182_30
; %bb.22:
	v_mul_lo_u32 v0, v38, s9
	v_add_nc_u32_e32 v1, s11, v39
	s_mov_b32 s0, exec_lo
	s_delay_alu instid0(VALU_DEP_1)
	v_cmpx_gt_u32_e64 s9, v1
	s_cbranch_execz .LBB182_24
; %bb.23:
	s_delay_alu instid0(VALU_DEP_3) | instskip(NEXT) | instid1(VALU_DEP_1)
	v_dual_mov_b32 v3, 0 :: v_dual_add_nc_u32 v2, v0, v1
	v_lshlrev_b64_e32 v[2:3], 2, v[2:3]
	s_delay_alu instid0(VALU_DEP_1) | instskip(SKIP_1) | instid1(VALU_DEP_2)
	v_add_co_u32 v2, vcc_lo, s12, v2
	s_wait_alu 0xfffd
	v_add_co_ci_u32_e64 v3, null, s13, v3, vcc_lo
	global_store_b32 v[2:3], v40, off
.LBB182_24:
	s_wait_alu 0xfffe
	s_or_b32 exec_lo, exec_lo, s0
	v_add_nc_u32_e32 v2, 32, v1
	s_mov_b32 s0, exec_lo
	s_delay_alu instid0(VALU_DEP_1)
	v_cmpx_gt_u32_e64 s9, v2
	s_cbranch_execz .LBB182_26
; %bb.25:
	v_dual_mov_b32 v3, 0 :: v_dual_add_nc_u32 v2, v0, v2
	s_delay_alu instid0(VALU_DEP_1) | instskip(NEXT) | instid1(VALU_DEP_1)
	v_lshlrev_b64_e32 v[2:3], 2, v[2:3]
	v_add_co_u32 v2, vcc_lo, s12, v2
	s_wait_alu 0xfffd
	s_delay_alu instid0(VALU_DEP_2)
	v_add_co_ci_u32_e64 v3, null, s13, v3, vcc_lo
	global_store_b32 v[2:3], v66, off
.LBB182_26:
	s_wait_alu 0xfffe
	s_or_b32 exec_lo, exec_lo, s0
	v_add_nc_u32_e32 v2, 64, v1
	s_mov_b32 s0, exec_lo
	s_delay_alu instid0(VALU_DEP_1)
	v_cmpx_gt_u32_e64 s9, v2
	s_cbranch_execz .LBB182_28
; %bb.27:
	v_dual_mov_b32 v3, 0 :: v_dual_add_nc_u32 v2, v0, v2
	s_delay_alu instid0(VALU_DEP_1) | instskip(NEXT) | instid1(VALU_DEP_1)
	v_lshlrev_b64_e32 v[2:3], 2, v[2:3]
	v_add_co_u32 v2, vcc_lo, s12, v2
	s_wait_alu 0xfffd
	s_delay_alu instid0(VALU_DEP_2)
	v_add_co_ci_u32_e64 v3, null, s13, v3, vcc_lo
	global_store_b32 v[2:3], v62, off
.LBB182_28:
	s_wait_alu 0xfffe
	s_or_b32 exec_lo, exec_lo, s0
	v_add_nc_u32_e32 v1, 0x60, v1
	s_delay_alu instid0(VALU_DEP_1)
	v_cmp_gt_u32_e32 vcc_lo, s9, v1
	s_and_b32 exec_lo, exec_lo, vcc_lo
	s_cbranch_execz .LBB182_30
; %bb.29:
	v_dual_mov_b32 v1, 0 :: v_dual_add_nc_u32 v0, v0, v1
	s_delay_alu instid0(VALU_DEP_1) | instskip(NEXT) | instid1(VALU_DEP_1)
	v_lshlrev_b64_e32 v[0:1], 2, v[0:1]
	v_add_co_u32 v0, vcc_lo, s12, v0
	s_wait_alu 0xfffd
	s_delay_alu instid0(VALU_DEP_2)
	v_add_co_ci_u32_e64 v1, null, s13, v1, vcc_lo
	global_store_b32 v[0:1], v16, off
.LBB182_30:
	s_nop 0
	s_sendmsg sendmsg(MSG_DEALLOC_VGPRS)
	s_endpgm
	.section	.rodata,"a",@progbits
	.p2align	6, 0x0
	.amdhsa_kernel _ZL8moe_q5_0IfLb1EEvPKvS1_PT_PKiS5_S5_iiiiiii
		.amdhsa_group_segment_fixed_size 38656
		.amdhsa_private_segment_fixed_size 0
		.amdhsa_kernarg_size 76
		.amdhsa_user_sgpr_count 2
		.amdhsa_user_sgpr_dispatch_ptr 0
		.amdhsa_user_sgpr_queue_ptr 0
		.amdhsa_user_sgpr_kernarg_segment_ptr 1
		.amdhsa_user_sgpr_dispatch_id 0
		.amdhsa_user_sgpr_private_segment_size 0
		.amdhsa_wavefront_size32 1
		.amdhsa_uses_dynamic_stack 0
		.amdhsa_enable_private_segment 0
		.amdhsa_system_sgpr_workgroup_id_x 1
		.amdhsa_system_sgpr_workgroup_id_y 1
		.amdhsa_system_sgpr_workgroup_id_z 0
		.amdhsa_system_sgpr_workgroup_info 0
		.amdhsa_system_vgpr_workitem_id 1
		.amdhsa_next_free_vgpr 217
		.amdhsa_next_free_sgpr 21
		.amdhsa_reserve_vcc 1
		.amdhsa_float_round_mode_32 0
		.amdhsa_float_round_mode_16_64 0
		.amdhsa_float_denorm_mode_32 3
		.amdhsa_float_denorm_mode_16_64 3
		.amdhsa_fp16_overflow 0
		.amdhsa_workgroup_processor_mode 1
		.amdhsa_memory_ordered 1
		.amdhsa_forward_progress 1
		.amdhsa_inst_pref_size 99
		.amdhsa_round_robin_scheduling 0
		.amdhsa_exception_fp_ieee_invalid_op 0
		.amdhsa_exception_fp_denorm_src 0
		.amdhsa_exception_fp_ieee_div_zero 0
		.amdhsa_exception_fp_ieee_overflow 0
		.amdhsa_exception_fp_ieee_underflow 0
		.amdhsa_exception_fp_ieee_inexact 0
		.amdhsa_exception_int_div_zero 0
	.end_amdhsa_kernel
	.section	.text._ZL8moe_q5_0IfLb1EEvPKvS1_PT_PKiS5_S5_iiiiiii,"axG",@progbits,_ZL8moe_q5_0IfLb1EEvPKvS1_PT_PKiS5_S5_iiiiiii,comdat
.Lfunc_end182:
	.size	_ZL8moe_q5_0IfLb1EEvPKvS1_PT_PKiS5_S5_iiiiiii, .Lfunc_end182-_ZL8moe_q5_0IfLb1EEvPKvS1_PT_PKiS5_S5_iiiiiii
                                        ; -- End function
	.set _ZL8moe_q5_0IfLb1EEvPKvS1_PT_PKiS5_S5_iiiiiii.num_vgpr, 158
	.set _ZL8moe_q5_0IfLb1EEvPKvS1_PT_PKiS5_S5_iiiiiii.num_agpr, 0
	.set _ZL8moe_q5_0IfLb1EEvPKvS1_PT_PKiS5_S5_iiiiiii.numbered_sgpr, 21
	.set _ZL8moe_q5_0IfLb1EEvPKvS1_PT_PKiS5_S5_iiiiiii.num_named_barrier, 0
	.set _ZL8moe_q5_0IfLb1EEvPKvS1_PT_PKiS5_S5_iiiiiii.private_seg_size, 0
	.set _ZL8moe_q5_0IfLb1EEvPKvS1_PT_PKiS5_S5_iiiiiii.uses_vcc, 1
	.set _ZL8moe_q5_0IfLb1EEvPKvS1_PT_PKiS5_S5_iiiiiii.uses_flat_scratch, 0
	.set _ZL8moe_q5_0IfLb1EEvPKvS1_PT_PKiS5_S5_iiiiiii.has_dyn_sized_stack, 0
	.set _ZL8moe_q5_0IfLb1EEvPKvS1_PT_PKiS5_S5_iiiiiii.has_recursion, 0
	.set _ZL8moe_q5_0IfLb1EEvPKvS1_PT_PKiS5_S5_iiiiiii.has_indirect_call, 0
	.section	.AMDGPU.csdata,"",@progbits
; Kernel info:
; codeLenInByte = 12652
; TotalNumSgprs: 23
; NumVgprs: 158
; ScratchSize: 0
; MemoryBound: 0
; FloatMode: 240
; IeeeMode: 1
; LDSByteSize: 38656 bytes/workgroup (compile time only)
; SGPRBlocks: 0
; VGPRBlocks: 27
; NumSGPRsForWavesPerEU: 23
; NumVGPRsForWavesPerEU: 217
; Occupancy: 6
; WaveLimiterHint : 1
; COMPUTE_PGM_RSRC2:SCRATCH_EN: 0
; COMPUTE_PGM_RSRC2:USER_SGPR: 2
; COMPUTE_PGM_RSRC2:TRAP_HANDLER: 0
; COMPUTE_PGM_RSRC2:TGID_X_EN: 1
; COMPUTE_PGM_RSRC2:TGID_Y_EN: 1
; COMPUTE_PGM_RSRC2:TGID_Z_EN: 0
; COMPUTE_PGM_RSRC2:TIDIG_COMP_CNT: 1
	.section	.text._ZL8moe_q5_1IfLb0EEvPKvS1_PT_PKiS5_S5_iiiiiii,"axG",@progbits,_ZL8moe_q5_1IfLb0EEvPKvS1_PT_PKiS5_S5_iiiiiii,comdat
	.globl	_ZL8moe_q5_1IfLb0EEvPKvS1_PT_PKiS5_S5_iiiiiii ; -- Begin function _ZL8moe_q5_1IfLb0EEvPKvS1_PT_PKiS5_S5_iiiiiii
	.p2align	8
	.type	_ZL8moe_q5_1IfLb0EEvPKvS1_PT_PKiS5_S5_iiiiiii,@function
_ZL8moe_q5_1IfLb0EEvPKvS1_PT_PKiS5_S5_iiiiiii: ; @_ZL8moe_q5_1IfLb0EEvPKvS1_PT_PKiS5_S5_iiiiiii
; %bb.0:
	s_load_b128 s[4:7], s[0:1], 0x18
	s_mov_b32 s2, ttmp7
	s_mov_b32 s3, 0
	s_delay_alu instid0(SALU_CYCLE_1)
	s_lshl_b64 s[2:3], s[2:3], 2
	s_wait_kmcnt 0x0
	s_add_nc_u64 s[2:3], s[6:7], s[2:3]
	s_load_b32 s12, s[2:3], 0x0
	s_wait_kmcnt 0x0
	s_cmp_gt_u32 s12, 0xff
	s_cbranch_scc1 .LBB183_30
; %bb.1:
	s_load_b64 s[2:3], s[0:1], 0x28
	s_wait_kmcnt 0x0
	s_load_b32 s3, s[2:3], 0x0
	s_lshl_b32 s2, ttmp7, 3
	s_wait_kmcnt 0x0
	s_cmp_gt_u32 s2, s3
	s_cbranch_scc1 .LBB183_30
; %bb.2:
	v_bfe_u32 v3, v0, 10, 10
	v_mov_b32_e32 v2, 0
	s_lshl_b32 s18, ttmp9, 7
	s_delay_alu instid0(VALU_DEP_2) | instskip(NEXT) | instid1(VALU_DEP_2)
	v_add_nc_u32_e32 v1, s2, v3
	v_dual_mov_b32 v49, v2 :: v_dual_and_b32 v6, 0x3ff, v0
	v_dual_mov_b32 v44, v2 :: v_dual_mov_b32 v7, v2
	s_delay_alu instid0(VALU_DEP_3) | instskip(NEXT) | instid1(VALU_DEP_1)
	v_lshlrev_b64_e32 v[4:5], 2, v[1:2]
	v_add_co_u32 v4, vcc_lo, s4, v4
	s_delay_alu instid0(VALU_DEP_1)
	v_add_co_ci_u32_e64 v5, null, s5, v5, vcc_lo
	global_load_b32 v5, v[4:5], off
	s_clause 0x2
	s_load_b64 s[10:11], s[0:1], 0x30
	s_load_b64 s[8:9], s[0:1], 0x10
	s_load_b128 s[4:7], s[0:1], 0x3c
	s_wait_kmcnt 0x0
	s_cmp_lt_i32 s11, 32
	s_cbranch_scc1 .LBB183_21
; %bb.3:
	s_abs_i32 s17, s7
	s_wait_loadcnt 0x0
	v_sub_nc_u32_e32 v4, 0, v5
	s_cvt_f32_u32 s19, s17
	s_sub_co_i32 s20, 0, s17
	s_ashr_i32 s13, s11, 31
	v_dual_mov_b32 v7, 0 :: v_dual_lshlrev_b32 v2, 3, v6
	v_rcp_iflag_f32_e32 v32, s19
	v_max_i32_e32 v4, v5, v4
	v_bfe_u32 v11, v0, 3, 7
	s_lshr_b32 s13, s13, 27
	s_mul_i32 s12, s12, s10
	s_add_co_i32 s15, s11, s13
	v_mad_u32_u24 v15, 0x104, v3, v2
	s_ashr_i32 s10, s15, 5
	v_lshl_add_u32 v2, v3, 2, v11
	v_mul_lo_u32 v9, s10, v3
	v_readfirstlane_b32 s19, v32
	v_and_b32_e32 v10, 7, v0
	s_lshl_b32 s16, s10, 3
	v_mul_lo_u32 v38, s10, v2
	v_and_b32_e32 v42, 0x1ffc, v2
	s_mul_f32 s19, s19, 0x4f7ffffe
	v_lshlrev_b32_e32 v49, 5, v2
	v_add_nc_u32_e32 v43, 32, v2
	v_add_nc_u32_e32 v48, 64, v2
	s_wait_alu 0xfffe
	s_cvt_u32_f32 s19, s19
	v_add_nc_u32_e32 v2, 0x60, v2
	v_add_nc_u32_e32 v12, s16, v9
	v_lshlrev_b32_e32 v44, 2, v10
	s_wait_alu 0xfffe
	s_mul_i32 s20, s20, s19
	v_and_b32_e32 v45, 0x3ffc, v43
	s_mul_hi_u32 s20, s19, s20
	v_and_b32_e32 v46, 0x3ffc, v48
	s_add_co_i32 s19, s19, s20
	v_add_nc_u32_e32 v13, s16, v12
	s_wait_alu 0xfffe
	v_mul_hi_u32 v50, v4, s19
	v_add3_u32 v67, v42, v44, 0x8200
	v_lshlrev_b32_e32 v68, 5, v43
	v_add3_u32 v69, v45, v44, 0x8200
	v_add3_u32 v70, v46, v44, 0x8200
	v_lshlrev_b32_e32 v71, 5, v48
	s_load_b128 s[0:3], s[0:1], 0x0
	v_xor_b32_e32 v53, s7, v5
	v_mul_lo_u32 v47, v50, s17
	v_add_nc_u32_e32 v51, 1, v50
	v_add_nc_u32_e32 v68, v69, v68
	;; [unrolled: 1-line block ×3, first 2 shown]
	v_ashrrev_i32_e32 v55, 31, v53
	s_ashr_i32 s14, s5, 31
	v_add_nc_u32_e32 v57, 64, v6
	s_lshr_b32 s14, s14, 27
	v_sub_nc_u32_e32 v4, v4, v47
	s_add_co_i32 s5, s5, s14
	s_mul_i32 s14, s10, s18
	v_add_nc_u32_e32 v58, 0x60, v6
	s_ashr_i32 s13, s12, 31
	v_cmp_le_u32_e32 vcc_lo, s17, v4
	v_lshlrev_b32_e32 v1, 2, v6
	v_subrev_nc_u32_e32 v52, s17, v4
	v_add_nc_u32_e32 v19, 0x820, v15
	s_and_b32 s21, s15, 0xffffffe0
	s_wait_alu 0xfffd
	v_dual_cndmask_b32 v50, v50, v51 :: v_dual_and_b32 v51, 0x3ffc, v2
	v_lshlrev_b32_e32 v2, 5, v2
	v_cndmask_b32_e32 v4, v4, v52, vcc_lo
	v_and_b32_e32 v14, 12, v1
	s_delay_alu instid0(VALU_DEP_4)
	v_add_nc_u32_e32 v52, 1, v50
	v_add3_u32 v44, v51, v44, 0x8200
	v_lshl_add_u32 v51, v3, 4, 0x9680
	v_cmp_le_u32_e32 vcc_lo, s17, v4
	v_add_nc_u32_e32 v21, 0x1860, v15
	s_ashr_i32 s15, s14, 31
	v_add_nc_u32_e32 v70, v44, v2
	v_mov_b32_e32 v44, 0
	v_add_nc_u32_e32 v16, s16, v13
	v_mov_b32_e32 v2, 0
	s_wait_alu 0xfffd
	v_cndmask_b32_e32 v4, v50, v52, vcc_lo
	v_lshl_add_u32 v50, v3, 7, 0x9280
	v_and_b32_e32 v3, 28, v1
	v_add_nc_u32_e32 v17, s16, v16
	v_add_nc_u32_e32 v53, v51, v1
	v_xor_b32_e32 v4, v4, v55
	v_add_nc_u32_e32 v1, 32, v6
	s_wait_alu 0xfffe
	s_ashr_i32 s5, s5, 5
	v_add_nc_u32_e32 v18, s16, v17
	s_mul_u64 s[14:15], s[14:15], 24
	v_sub_nc_u32_e32 v4, v4, v55
	s_wait_kmcnt 0x0
	s_add_nc_u64 s[0:1], s[0:1], s[12:13]
	v_add_nc_u32_e32 v43, s21, v38
	v_add_nc_u32_e32 v23, s16, v18
	s_add_nc_u64 s[12:13], s[0:1], s[14:15]
	v_cmp_gt_i32_e64 s0, s4, v4
	s_wait_alu 0xfffe
	v_mul_lo_u32 v56, v4, s5
	v_lshlrev_b32_e32 v4, 5, v6
	v_add_nc_u32_e32 v28, s16, v23
	v_and_b32_e32 v58, 0x1fc, v58
	v_and_b32_e32 v57, 0x1fc, v57
	;; [unrolled: 1-line block ×4, first 2 shown]
	v_add_nc_u32_e32 v32, s16, v28
	v_bfe_u32 v8, v0, 2, 8
	v_add_nc_u32_e32 v46, s21, v43
	v_and_b32_e32 v54, 31, v0
	v_add_co_u32 v0, s1, s2, v3
	v_add_nc_u32_e32 v36, s16, v32
	v_add_nc_u32_e32 v3, v4, v58
	;; [unrolled: 1-line block ×6, first 2 shown]
	v_cmp_gt_u32_e32 vcc_lo, 4, v6
	v_lshrrev_b32_e32 v55, 3, v1
	v_add_co_ci_u32_e64 v1, null, s3, 0, s1
	s_delay_alu instid0(VALU_DEP_4)
	v_add_nc_u32_e32 v40, s16, v39
	s_movk_i32 s1, 0x80
	v_add_nc_u32_e32 v20, 0x1040, v15
	v_add_nc_u32_e32 v22, 0x2080, v15
	;; [unrolled: 1-line block ×17, first 2 shown]
	v_lshl_or_b32 v52, v54, 2, v50
	v_add_nc_u32_e32 v47, s16, v45
	v_mul_u32_u24_e32 v54, 0x104, v6
	v_ashrrev_i32_e32 v57, 31, v56
	v_add_nc_u32_e32 v58, 0x8e00, v3
	v_add_nc_u32_e32 v59, 0x8a00, v63
	;; [unrolled: 1-line block ×8, first 2 shown]
	s_wait_alu 0xfffe
	v_mad_u32_u24 v66, 0x104, v6, s1
	v_add_nc_u32_e32 v67, v67, v49
	v_mov_b32_e32 v49, 0
	s_mov_b32 s15, 0
	s_and_b32 s19, vcc_lo, s0
	s_mov_b32 s14, s15
	s_branch .LBB183_5
.LBB183_4:                              ;   in Loop: Header=BB183_5 Depth=1
	s_add_co_i32 s14, s14, 8
	s_wait_alu 0xfffe
	s_cmp_ge_i32 s14, s10
	s_cbranch_scc1 .LBB183_21
.LBB183_5:                              ; =>This Loop Header: Depth=1
                                        ;     Child Loop BB183_11 Depth 2
                                        ;     Child Loop BB183_19 Depth 2
	s_mul_u64 s[16:17], s[14:15], 24
	s_wait_alu 0xfffe
	s_add_nc_u64 s[16:17], s[12:13], s[16:17]
	s_wait_alu 0xfffe
	v_mad_co_u64_u32 v[3:4], null, v8, 24, s[16:17]
	s_delay_alu instid0(VALU_DEP_1) | instskip(SKIP_3) | instid1(VALU_DEP_4)
	v_mad_co_u64_u32 v[71:72], null, v9, 24, v[3:4]
	v_mad_co_u64_u32 v[73:74], null, v12, 24, v[3:4]
	v_mad_co_u64_u32 v[75:76], null, v13, 24, v[3:4]
	v_mad_co_u64_u32 v[77:78], null, v16, 24, v[3:4]
	v_add_co_u32 v79, s1, v71, v14
	v_mad_co_u64_u32 v[85:86], null, v17, 24, v[3:4]
	s_wait_alu 0xf1ff
	v_add_co_ci_u32_e64 v80, null, 0, v72, s1
	v_add_co_u32 v81, s1, v73, v14
	v_mad_co_u64_u32 v[89:90], null, v18, 24, v[3:4]
	s_wait_alu 0xf1ff
	v_add_co_ci_u32_e64 v82, null, 0, v74, s1
	;; [unrolled: 4-line block ×4, first 2 shown]
	v_add_co_u32 v91, s1, v85, v14
	s_wait_alu 0xf1ff
	v_add_co_ci_u32_e64 v92, null, 0, v86, s1
	v_add_co_u32 v97, s1, v89, v14
	s_wait_alu 0xf1ff
	v_add_co_ci_u32_e64 v98, null, 0, v90, s1
	;; [unrolled: 3-line block ×4, first 2 shown]
	s_clause 0xf
	global_load_b32 v103, v[79:80], off offset:8
	global_load_b32 v104, v[81:82], off offset:8
	;; [unrolled: 1-line block ×16, first 2 shown]
	v_mad_co_u64_u32 v[71:72], null, v32, 24, v[3:4]
	v_mad_co_u64_u32 v[73:74], null, v36, 24, v[3:4]
	v_mad_co_u64_u32 v[77:78], null, v40, 24, v[3:4]
	v_mad_co_u64_u32 v[75:76], null, v39, 24, v[3:4]
	s_delay_alu instid0(VALU_DEP_4)
	v_add_co_u32 v79, s1, v71, v14
	s_wait_alu 0xf1ff
	v_add_co_ci_u32_e64 v80, null, 0, v72, s1
	v_add_co_u32 v81, s1, v73, v14
	s_wait_alu 0xf1ff
	v_add_co_ci_u32_e64 v82, null, 0, v74, s1
	s_clause 0x5
	global_load_b32 v86, v[77:78], off offset:4
	global_load_b32 v90, v[75:76], off offset:4
	;; [unrolled: 1-line block ×6, first 2 shown]
	v_add_co_u32 v71, s1, v75, v14
	s_wait_alu 0xf1ff
	v_add_co_ci_u32_e64 v72, null, 0, v76, s1
	v_mad_co_u64_u32 v[75:76], null, v47, 24, v[3:4]
	v_mad_co_u64_u32 v[73:74], null, v42, 24, v[3:4]
	global_load_b32 v101, v[71:72], off offset:8
	v_add_co_u32 v71, s1, v77, v14
	s_wait_alu 0xf1ff
	v_add_co_ci_u32_e64 v72, null, 0, v78, s1
	v_mad_co_u64_u32 v[77:78], null, v10, 24, s[16:17]
	s_lshl_b32 s16, s14, 5
	global_load_b32 v102, v[71:72], off offset:8
	v_mad_co_u64_u32 v[71:72], null, v41, 24, v[3:4]
	v_mad_co_u64_u32 v[3:4], null, v45, 24, v[3:4]
	;; [unrolled: 1-line block ×3, first 2 shown]
	s_wait_alu 0xfffe
	s_cmp_lt_i32 s16, s11
	s_delay_alu instid0(VALU_DEP_3) | instskip(SKIP_1) | instid1(VALU_DEP_4)
	v_add_co_u32 v79, s1, v71, v14
	s_wait_alu 0xf1ff
	v_add_co_ci_u32_e64 v80, null, 0, v72, s1
	s_clause 0x4
	global_load_b32 v107, v[75:76], off offset:4
	global_load_b32 v108, v[3:4], off offset:4
	;; [unrolled: 1-line block ×5, first 2 shown]
	v_add_co_u32 v73, s1, v73, v14
	s_wait_alu 0xf1ff
	v_add_co_ci_u32_e64 v74, null, 0, v74, s1
	v_add_co_u32 v3, s1, v3, v14
	v_mad_co_u64_u32 v[71:72], null, v38, 24, v[77:78]
	s_wait_alu 0xf1ff
	v_add_co_ci_u32_e64 v4, null, 0, v4, s1
	v_add_co_u32 v75, s1, v75, v14
	v_mad_co_u64_u32 v[79:80], null, v43, 24, v[77:78]
	s_wait_alu 0xf1ff
	v_add_co_ci_u32_e64 v76, null, 0, v76, s1
	v_mad_co_u64_u32 v[77:78], null, v48, 24, v[77:78]
	s_clause 0x6
	global_load_b32 v73, v[73:74], off offset:8
	global_load_b32 v3, v[3:4], off offset:8
	;; [unrolled: 1-line block ×3, first 2 shown]
	global_load_b32 v71, v[71:72], off
	global_load_b32 v72, v[79:80], off
	;; [unrolled: 1-line block ×4, first 2 shown]
	s_wait_loadcnt 0x23
	v_lshrrev_b32_e32 v78, 4, v103
	s_wait_loadcnt 0x22
	v_lshrrev_b32_e32 v81, 4, v104
	v_and_b32_e32 v77, 0xf0f0f0f, v103
	s_wait_loadcnt 0x20
	v_and_b32_e32 v103, 0xf0f0f0f, v84
	s_wait_loadcnt 0x1f
	v_ashrrev_i32_e32 v87, v14, v87
	s_wait_loadcnt 0x1e
	v_ashrrev_i32_e32 v82, v14, v88
	;; [unrolled: 2-line block ×4, first 2 shown]
	v_and_b32_e32 v88, 0xf0f0f0f, v83
	v_lshrrev_b32_e32 v83, 4, v83
	v_lshlrev_b32_e32 v129, 4, v82
	v_lshlrev_b32_e32 v122, 4, v79
	s_wait_loadcnt 0x17
	v_ashrrev_i32_e32 v95, v14, v95
	s_wait_loadcnt 0x16
	v_ashrrev_i32_e32 v93, v14, v93
	;; [unrolled: 2-line block ×4, first 2 shown]
	v_lshlrev_b32_e32 v115, 4, v76
	v_lshlrev_b32_e32 v116, 11, v76
	v_lshrrev_b32_e32 v119, 12, v76
	v_lshrrev_b32_e32 v120, 5, v76
	v_lshlrev_b32_e32 v123, 11, v79
	v_lshrrev_b32_e32 v126, 12, v79
	v_lshrrev_b32_e32 v127, 5, v79
	;; [unrolled: 3-line block ×3, first 2 shown]
	v_lshrrev_b32_e32 v84, 4, v84
	v_lshlrev_b32_e32 v136, 4, v87
	v_lshlrev_b32_e32 v137, 11, v87
	v_lshrrev_b32_e32 v140, 12, v87
	v_lshrrev_b32_e32 v141, 5, v87
	v_and_b32_e32 v80, 0xf0f0f0f, v104
	v_and_b32_e32 v104, 0xf0f0f0f, v91
	v_lshrrev_b32_e32 v91, 4, v91
	v_lshlrev_b32_e32 v143, 4, v85
	v_lshlrev_b32_e32 v144, 11, v85
	v_lshrrev_b32_e32 v147, 12, v85
	v_lshrrev_b32_e32 v148, 5, v85
	v_and_b32_e32 v105, 0xf0f0f0f, v92
	v_lshrrev_b32_e32 v92, 4, v92
	v_and_b32_e32 v106, 0xf0f0f0f, v97
	;; [unrolled: 2-line block ×3, first 2 shown]
	v_lshrrev_b32_e32 v98, 4, v98
	v_lshlrev_b32_e32 v117, 18, v76
	v_lshlrev_b32_e32 v118, 25, v76
	v_and_b32_e32 v78, 0xf0f0f0f, v78
	v_lshlrev_b32_e32 v121, 2, v76
	v_lshlrev_b32_e32 v76, 9, v76
	;; [unrolled: 1-line block ×4, first 2 shown]
	v_lshrrev_b32_e32 v154, 12, v89
	v_lshrrev_b32_e32 v155, 5, v89
	v_lshlrev_b32_e32 v157, 4, v93
	v_lshlrev_b32_e32 v158, 11, v93
	v_lshrrev_b32_e32 v161, 12, v93
	v_lshrrev_b32_e32 v162, 5, v93
	v_lshlrev_b32_e32 v164, 4, v95
	v_lshlrev_b32_e32 v165, 11, v95
	v_lshrrev_b32_e32 v168, 12, v95
	v_lshrrev_b32_e32 v169, 5, v95
	v_and_b32_e32 v115, 16, v115
	v_and_b32_e32 v116, 0x1000, v116
	v_and_b32_e32 v119, 16, v119
	v_and_b32_e32 v120, 0x1000, v120
	v_lshlrev_b32_e32 v124, 18, v79
	v_lshlrev_b32_e32 v125, 25, v79
	v_and_b32_e32 v81, 0xf0f0f0f, v81
	v_lshlrev_b32_e32 v128, 2, v79
	v_lshlrev_b32_e32 v79, 9, v79
	v_and_b32_e32 v122, 16, v122
	v_and_b32_e32 v123, 0x1000, v123
	v_and_b32_e32 v126, 16, v126
	v_and_b32_e32 v127, 0x1000, v127
	v_lshlrev_b32_e32 v131, 18, v82
	v_lshlrev_b32_e32 v132, 25, v82
	v_and_b32_e32 v83, 0xf0f0f0f, v83
	v_lshlrev_b32_e32 v135, 2, v82
	v_lshlrev_b32_e32 v82, 9, v82
	;; [unrolled: 9-line block ×5, first 2 shown]
	v_lshlrev_b32_e32 v159, 18, v93
	v_lshlrev_b32_e32 v160, 25, v93
	v_and_b32_e32 v97, 0xf0f0f0f, v97
	v_lshlrev_b32_e32 v163, 2, v93
	v_lshlrev_b32_e32 v93, 9, v93
	;; [unrolled: 1-line block ×4, first 2 shown]
	v_and_b32_e32 v98, 0xf0f0f0f, v98
	v_lshlrev_b32_e32 v170, 2, v95
	v_lshlrev_b32_e32 v95, 9, v95
	v_and_b32_e32 v117, 0x100000, v117
	v_and_b32_e32 v118, 0x10000000, v118
	;; [unrolled: 1-line block ×16, first 2 shown]
	v_or3_b32 v77, v115, v77, v116
	v_or3_b32 v78, v119, v78, v120
	v_and_b32_e32 v124, 0x100000, v124
	v_and_b32_e32 v125, 0x10000000, v125
	v_and_b32_e32 v128, 0x100000, v128
	v_and_b32_e32 v79, 0x10000000, v79
	v_or3_b32 v80, v122, v80, v123
	v_or3_b32 v81, v126, v81, v127
	v_and_b32_e32 v131, 0x100000, v131
	v_and_b32_e32 v132, 0x10000000, v132
	v_and_b32_e32 v135, 0x100000, v135
	v_and_b32_e32 v82, 0x10000000, v82
	;; [unrolled: 6-line block ×4, first 2 shown]
	v_or3_b32 v104, v143, v104, v144
	v_or3_b32 v91, v147, v91, v148
	s_wait_loadcnt 0x10
	v_ashrrev_i32_e32 v96, v14, v96
	v_ashrrev_i32_e32 v94, v14, v94
	v_and_b32_e32 v152, 0x100000, v152
	v_and_b32_e32 v153, 0x10000000, v153
	;; [unrolled: 1-line block ×12, first 2 shown]
	v_or3_b32 v105, v150, v105, v151
	v_or3_b32 v92, v154, v92, v155
	;; [unrolled: 1-line block ×16, first 2 shown]
	s_wait_loadcnt 0xf
	v_and_b32_e32 v113, 0xf0f0f0f, v99
	v_lshrrev_b32_e32 v99, 4, v99
	v_lshlrev_b32_e32 v171, 4, v96
	v_lshlrev_b32_e32 v172, 11, v96
	v_lshrrev_b32_e32 v175, 12, v96
	v_lshrrev_b32_e32 v176, 5, v96
	v_or3_b32 v87, v105, v152, v153
	v_or3_b32 v88, v92, v156, v89
	;; [unrolled: 1-line block ×6, first 2 shown]
	ds_store_2addr_b32 v15, v77, v76 offset1:1
	ds_store_2addr_b32 v19, v78, v79 offset1:1
	;; [unrolled: 1-line block ×8, first 2 shown]
	s_wait_loadcnt 0xe
	v_lshrrev_b32_e32 v80, 4, v100
	v_lshrrev_b32_e32 v81, 12, v94
	;; [unrolled: 1-line block ×3, first 2 shown]
	v_lshlrev_b32_e32 v173, 18, v96
	v_lshlrev_b32_e32 v174, 25, v96
	v_and_b32_e32 v99, 0xf0f0f0f, v99
	v_lshlrev_b32_e32 v177, 2, v96
	v_lshlrev_b32_e32 v96, 9, v96
	;; [unrolled: 1-line block ×4, first 2 shown]
	v_and_b32_e32 v171, 16, v171
	v_and_b32_e32 v172, 0x1000, v172
	;; [unrolled: 1-line block ×7, first 2 shown]
	v_ashrrev_i32_e32 v84, v14, v90
	v_and_b32_e32 v114, 0xf0f0f0f, v100
	v_and_b32_e32 v173, 0x100000, v173
	;; [unrolled: 1-line block ×7, first 2 shown]
	v_or3_b32 v113, v171, v113, v172
	v_or3_b32 v99, v175, v99, v176
	v_lshlrev_b32_e32 v78, 18, v94
	v_lshlrev_b32_e32 v83, 25, v94
	;; [unrolled: 1-line block ×4, first 2 shown]
	v_or3_b32 v80, v81, v80, v82
	v_lshlrev_b32_e32 v81, 4, v84
	v_lshlrev_b32_e32 v82, 11, v84
	v_or3_b32 v76, v113, v173, v174
	v_or3_b32 v77, v99, v177, v96
	;; [unrolled: 1-line block ×3, first 2 shown]
	v_and_b32_e32 v78, 0x100000, v78
	v_and_b32_e32 v83, 0x10000000, v83
	v_and_b32_e32 v85, 0x100000, v85
	v_and_b32_e32 v87, 0x10000000, v87
	s_wait_loadcnt 0xd
	v_and_b32_e32 v88, 0xf0f0f0f, v101
	v_and_b32_e32 v81, 16, v81
	;; [unrolled: 1-line block ×3, first 2 shown]
	ds_store_2addr_b32 v27, v76, v77 offset1:1
	v_or3_b32 v76, v79, v78, v83
	v_or3_b32 v77, v80, v85, v87
	v_lshrrev_b32_e32 v80, 4, v101
	v_or3_b32 v79, v81, v88, v82
	v_lshrrev_b32_e32 v81, 12, v84
	v_lshrrev_b32_e32 v82, 5, v84
	v_ashrrev_i32_e32 v85, v14, v86
	v_and_b32_e32 v80, 0xf0f0f0f, v80
	v_lshlrev_b32_e32 v78, 18, v84
	v_and_b32_e32 v81, 16, v81
	v_and_b32_e32 v82, 0x1000, v82
	v_lshlrev_b32_e32 v83, 25, v84
	v_lshlrev_b32_e32 v86, 2, v84
	;; [unrolled: 1-line block ×3, first 2 shown]
	v_and_b32_e32 v78, 0x100000, v78
	v_or3_b32 v80, v81, v80, v82
	v_lshlrev_b32_e32 v81, 4, v85
	v_lshlrev_b32_e32 v82, 11, v85
	v_and_b32_e32 v83, 0x10000000, v83
	v_and_b32_e32 v86, 0x100000, v86
	;; [unrolled: 1-line block ×3, first 2 shown]
	s_wait_loadcnt 0xc
	v_and_b32_e32 v87, 0xf0f0f0f, v102
	v_and_b32_e32 v81, 16, v81
	;; [unrolled: 1-line block ×3, first 2 shown]
	ds_store_2addr_b32 v29, v76, v77 offset1:1
	v_or3_b32 v76, v79, v78, v83
	v_or3_b32 v77, v80, v86, v84
	v_lshrrev_b32_e32 v80, 4, v102
	v_or3_b32 v79, v81, v87, v82
	v_lshrrev_b32_e32 v81, 12, v85
	v_lshrrev_b32_e32 v82, 5, v85
	s_wait_loadcnt 0x8
	v_ashrrev_i32_e32 v84, v14, v110
	v_and_b32_e32 v80, 0xf0f0f0f, v80
	v_lshlrev_b32_e32 v78, 18, v85
	v_and_b32_e32 v81, 16, v81
	v_and_b32_e32 v82, 0x1000, v82
	v_lshlrev_b32_e32 v83, 25, v85
	v_lshlrev_b32_e32 v86, 2, v85
	;; [unrolled: 1-line block ×3, first 2 shown]
	v_and_b32_e32 v78, 0x100000, v78
	v_or3_b32 v80, v81, v80, v82
	v_lshlrev_b32_e32 v81, 4, v84
	v_lshlrev_b32_e32 v82, 11, v84
	v_and_b32_e32 v83, 0x10000000, v83
	v_and_b32_e32 v86, 0x100000, v86
	;; [unrolled: 1-line block ×3, first 2 shown]
	s_wait_loadcnt 0x7
	v_and_b32_e32 v87, 0xf0f0f0f, v111
	v_and_b32_e32 v81, 16, v81
	v_and_b32_e32 v82, 0x1000, v82
	ds_store_2addr_b32 v30, v76, v77 offset1:1
	v_or3_b32 v76, v79, v78, v83
	v_or3_b32 v77, v80, v86, v85
	v_lshrrev_b32_e32 v80, 4, v111
	v_or3_b32 v79, v81, v87, v82
	v_lshrrev_b32_e32 v81, 12, v84
	v_lshrrev_b32_e32 v82, 5, v84
	v_ashrrev_i32_e32 v85, v14, v109
	v_and_b32_e32 v80, 0xf0f0f0f, v80
	v_lshlrev_b32_e32 v78, 18, v84
	v_and_b32_e32 v81, 16, v81
	v_and_b32_e32 v82, 0x1000, v82
	v_lshlrev_b32_e32 v83, 25, v84
	v_lshlrev_b32_e32 v86, 2, v84
	;; [unrolled: 1-line block ×3, first 2 shown]
	v_and_b32_e32 v78, 0x100000, v78
	v_or3_b32 v80, v81, v80, v82
	v_lshlrev_b32_e32 v81, 4, v85
	v_lshlrev_b32_e32 v82, 11, v85
	v_and_b32_e32 v83, 0x10000000, v83
	v_and_b32_e32 v86, 0x100000, v86
	;; [unrolled: 1-line block ×3, first 2 shown]
	s_wait_loadcnt 0x6
	v_and_b32_e32 v87, 0xf0f0f0f, v73
	v_and_b32_e32 v81, 16, v81
	;; [unrolled: 1-line block ×3, first 2 shown]
	v_lshlrev_b32_e32 v88, 18, v85
	v_lshlrev_b32_e32 v89, 25, v85
	v_or3_b32 v78, v79, v78, v83
	v_or3_b32 v79, v80, v86, v84
	;; [unrolled: 1-line block ×3, first 2 shown]
	v_and_b32_e32 v81, 0x100000, v88
	v_and_b32_e32 v82, 0x10000000, v89
	v_lshrrev_b32_e32 v83, 12, v85
	v_lshrrev_b32_e32 v84, 5, v85
	v_ashrrev_i32_e32 v86, v14, v108
	v_lshrrev_b32_e32 v73, 4, v73
	v_or3_b32 v80, v80, v81, v82
	v_and_b32_e32 v81, 16, v83
	v_and_b32_e32 v82, 0x1000, v84
	v_lshlrev_b32_e32 v83, 4, v86
	v_lshlrev_b32_e32 v84, 11, v86
	s_wait_loadcnt 0x5
	v_and_b32_e32 v88, 0xf0f0f0f, v3
	v_and_b32_e32 v73, 0xf0f0f0f, v73
	v_lshlrev_b32_e32 v87, 2, v85
	v_and_b32_e32 v83, 16, v83
	v_and_b32_e32 v84, 0x1000, v84
	v_lshlrev_b32_e32 v85, 9, v85
	v_or3_b32 v73, v81, v73, v82
	v_and_b32_e32 v81, 0x100000, v87
	v_lshrrev_b32_e32 v3, 4, v3
	v_or3_b32 v83, v83, v88, v84
	v_ashrrev_i32_e32 v88, v14, v107
	v_and_b32_e32 v82, 0x10000000, v85
	v_lshrrev_b32_e32 v85, 12, v86
	v_lshrrev_b32_e32 v87, 5, v86
	v_and_b32_e32 v3, 0xf0f0f0f, v3
	v_lshlrev_b32_e32 v90, 4, v88
	v_lshlrev_b32_e32 v91, 11, v88
	v_and_b32_e32 v85, 16, v85
	v_and_b32_e32 v87, 0x1000, v87
	s_wait_loadcnt 0x4
	v_and_b32_e32 v93, 0xf0f0f0f, v4
	v_and_b32_e32 v90, 16, v90
	;; [unrolled: 1-line block ×3, first 2 shown]
	v_lshlrev_b32_e32 v89, 18, v86
	v_lshlrev_b32_e32 v92, 2, v86
	v_or3_b32 v3, v85, v3, v87
	v_lshrrev_b32_e32 v4, 4, v4
	v_or3_b32 v87, v90, v93, v91
	v_lshrrev_b32_e32 v90, 12, v88
	v_lshrrev_b32_e32 v91, 5, v88
	v_and_b32_e32 v84, 0x100000, v89
	v_lshlrev_b32_e32 v89, 25, v86
	v_lshlrev_b32_e32 v86, 9, v86
	v_and_b32_e32 v85, 0x100000, v92
	v_lshlrev_b32_e32 v92, 18, v88
	v_lshlrev_b32_e32 v93, 25, v88
	v_and_b32_e32 v4, 0xf0f0f0f, v4
	v_and_b32_e32 v90, 16, v90
	;; [unrolled: 1-line block ×3, first 2 shown]
	v_lshlrev_b32_e32 v94, 2, v88
	v_lshlrev_b32_e32 v88, 9, v88
	v_and_b32_e32 v89, 0x10000000, v89
	v_and_b32_e32 v86, 0x10000000, v86
	;; [unrolled: 1-line block ×4, first 2 shown]
	v_or3_b32 v4, v90, v4, v91
	v_and_b32_e32 v90, 0x100000, v94
	v_and_b32_e32 v88, 0x10000000, v88
	v_or3_b32 v73, v73, v81, v82
	v_or3_b32 v81, v83, v84, v89
	;; [unrolled: 1-line block ×5, first 2 shown]
	ds_store_2addr_b32 v31, v76, v77 offset1:1
	ds_store_2addr_b32 v33, v78, v79 offset1:1
	;; [unrolled: 1-line block ×5, first 2 shown]
	s_wait_loadcnt 0x3
	ds_store_b32 v67, v71
	s_wait_loadcnt 0x2
	ds_store_b32 v68, v72
	;; [unrolled: 2-line block ×4, first 2 shown]
	s_cbranch_scc0 .LBB183_4
; %bb.6:                                ;   in Loop: Header=BB183_5 Depth=1
	v_add_nc_u32_e32 v3, s14, v11
	s_delay_alu instid0(VALU_DEP_1)
	v_cmp_gt_i32_e64 s1, s5, v3
	s_and_b32 s17, s0, s1
	s_wait_alu 0xfffe
	s_and_saveexec_b32 s1, s17
	s_cbranch_execz .LBB183_8
; %bb.7:                                ;   in Loop: Header=BB183_5 Depth=1
	v_add_nc_u32_e32 v3, v56, v3
	s_delay_alu instid0(VALU_DEP_1)
	v_mad_co_i64_i32 v[3:4], null, v3, 36, v[0:1]
	global_load_b32 v3, v[3:4], off offset:4
	s_wait_loadcnt 0x0
	ds_store_b32 v52, v3
.LBB183_8:                              ;   in Loop: Header=BB183_5 Depth=1
	s_wait_alu 0xfffe
	s_or_b32 exec_lo, exec_lo, s1
	v_add_nc_u32_e32 v3, s14, v6
	s_delay_alu instid0(VALU_DEP_1)
	v_cmp_gt_i32_e64 s1, s5, v3
	s_and_b32 s17, s19, s1
	s_wait_alu 0xfffe
	s_and_saveexec_b32 s1, s17
	s_cbranch_execz .LBB183_10
; %bb.9:                                ;   in Loop: Header=BB183_5 Depth=1
	v_add_nc_u32_e32 v4, v56, v3
	s_delay_alu instid0(VALU_DEP_1)
	v_mad_co_i64_i32 v[71:72], null, v4, 36, s[2:3]
	global_load_b32 v4, v[71:72], off
	s_wait_loadcnt 0x0
	ds_store_b32 v53, v4
.LBB183_10:                             ;   in Loop: Header=BB183_5 Depth=1
	s_wait_alu 0xfffe
	s_or_b32 exec_lo, exec_lo, s1
	v_dual_mov_b32 v4, v50 :: v_dual_mov_b32 v71, v54
	v_dual_mov_b32 v72, v51 :: v_dual_mov_b32 v73, v61
	;; [unrolled: 1-line block ×3, first 2 shown]
	v_mov_b32_e32 v76, v58
	s_mov_b32 s1, -4
	s_wait_dscnt 0x0
	s_barrier_signal -1
	s_barrier_wait -1
	global_inv scope:SCOPE_SE
.LBB183_11:                             ;   Parent Loop BB183_5 Depth=1
                                        ; =>  This Inner Loop Header: Depth=2
	v_add_nc_u32_e32 v93, 0x2080, v71
	v_add_nc_u32_e32 v95, 0x2088, v71
	v_add_nc_u32_e32 v97, 0x2090, v71
	ds_load_2addr_b32 v[77:78], v4 offset0:3 offset1:4
	ds_load_2addr_b32 v[79:80], v4 offset0:5 offset1:6
	ds_load_2addr_b32 v[81:82], v71 offset1:1
	ds_load_2addr_b32 v[83:84], v4 offset0:1 offset1:2
	ds_load_2addr_b32 v[85:86], v4 offset1:7
	ds_load_b32 v117, v72
	ds_load_2addr_b32 v[87:88], v71 offset0:2 offset1:3
	ds_load_2addr_b32 v[89:90], v71 offset0:4 offset1:5
	;; [unrolled: 1-line block ×3, first 2 shown]
	v_add_nc_u32_e32 v99, 0x2098, v71
	v_add_nc_u32_e32 v101, 0x4100, v71
	;; [unrolled: 1-line block ×9, first 2 shown]
	ds_load_b32 v118, v73
	ds_load_b32 v119, v74
	;; [unrolled: 1-line block ×4, first 2 shown]
	ds_load_2addr_b32 v[93:94], v93 offset1:1
	ds_load_2addr_b32 v[95:96], v95 offset1:1
	;; [unrolled: 1-line block ×12, first 2 shown]
	s_wait_dscnt 0x18
	v_lshlrev_b32_e32 v122, 8, v78
	v_lshlrev_b32_e32 v129, 24, v78
	;; [unrolled: 1-line block ×3, first 2 shown]
	s_wait_dscnt 0x15
	v_lshlrev_b32_e32 v123, 8, v83
	v_lshlrev_b32_e32 v124, 8, v79
	;; [unrolled: 1-line block ×5, first 2 shown]
	s_wait_dscnt 0x14
	v_lshlrev_b32_e32 v128, 8, v86
	v_lshlrev_b32_e32 v131, 24, v83
	;; [unrolled: 1-line block ×12, first 2 shown]
	v_perm_b32 v146, v130, v129, 0xc0c0703
	v_perm_b32 v147, v78, v122, 0x7030c0c
	v_dot4_i32_iu8 v81, v85, v81, 0 neg_lo:[1,1,0]
	v_lshlrev_b32_e32 v142, 16, v86
	v_perm_b32 v143, v79, v83, 0x7030c0c
	v_perm_b32 v144, v80, v84, 0xc0c0703
	;; [unrolled: 1-line block ×3, first 2 shown]
	s_wait_dscnt 0xb
	v_dot4_i32_iu8 v93, v85, v93, 0 neg_lo:[1,1,0]
	s_wait_dscnt 0x7
	v_dot4_i32_iu8 v101, v85, v101, 0 neg_lo:[1,1,0]
	v_perm_b32 v148, v132, v131, 0xc0c0703
	v_perm_b32 v83, v83, v123, 0x7030c0c
	;; [unrolled: 1-line block ×11, first 2 shown]
	s_wait_dscnt 0x3
	v_perm_b32 v130, v109, v130, 0xc0c0503
	v_perm_b32 v132, v134, v132, 0x7030c0c
	s_wait_dscnt 0x2
	v_perm_b32 v134, v112, v111, 0x5010c0c
	v_perm_b32 v154, v85, v110, 0xc0c0501
	;; [unrolled: 1-line block ×13, first 2 shown]
	s_wait_dscnt 0x1
	v_perm_b32 v110, v114, v113, 0xc0c0602
	s_wait_dscnt 0x0
	v_perm_b32 v112, v116, v115, 0x6020c0c
	v_perm_b32 v123, v126, v125, 0xc0c0703
	;; [unrolled: 1-line block ×12, first 2 shown]
	v_or_b32_e32 v136, v147, v146
	v_or_b32_e32 v83, v83, v148
	;; [unrolled: 1-line block ×3, first 2 shown]
	v_perm_b32 v116, v142, v140, 0x7030c0c
	v_or_b32_e32 v84, v84, v150
	v_dot4_i32_iu8 v81, v136, v82, v81 neg_lo:[1,1,0]
	v_dot4_i32_iu8 v82, v136, v94, v93 neg_lo:[1,1,0]
	v_dot4_i32_iu8 v93, v136, v102, v101 neg_lo:[1,1,0]
	v_or_b32_e32 v130, v132, v130
	v_or_b32_e32 v132, v134, v154
	v_dot4_i32_iu8 v81, v83, v87, v81 neg_lo:[1,1,0]
	v_dot4_i32_iu8 v82, v83, v95, v82 neg_lo:[1,1,0]
	v_dot4_i32_iu8 v83, v83, v103, v93 neg_lo:[1,1,0]
	v_or_b32_e32 v134, v155, v156
	;; [unrolled: 5-line block ×3, first 2 shown]
	v_or_b32_e32 v80, v80, v151
	v_or_b32_e32 v129, v131, v129
	;; [unrolled: 1-line block ×9, first 2 shown]
	v_dot4_i32_iu8 v101, v130, v132, 0 neg_lo:[1,1,0]
	v_dot4_i32_iu8 v78, v78, v134, 0 neg_lo:[1,1,0]
	v_dot4_i32_iu8 v81, v84, v89, v81 neg_lo:[1,1,0]
	v_dot4_i32_iu8 v82, v84, v97, v82 neg_lo:[1,1,0]
	v_dot4_i32_iu8 v79, v84, v105, v79 neg_lo:[1,1,0]
	v_perm_b32 v153, v142, v141, 0xc0c0703
	v_or_b32_e32 v77, v77, v152
	v_or_b32_e32 v110, v112, v110
	;; [unrolled: 1-line block ×4, first 2 shown]
	v_dot4_i32_iu8 v85, v109, v85, 0 neg_lo:[1,1,0]
	v_dot4_i32_iu8 v83, v129, v131, 0 neg_lo:[1,1,0]
	;; [unrolled: 1-line block ×7, first 2 shown]
	v_or_b32_e32 v86, v86, v153
	v_dot4_i32_iu8 v85, v111, v110, v85 neg_lo:[1,1,0]
	v_dot4_i32_iu8 v80, v122, v112, v83 neg_lo:[1,1,0]
	v_add_nc_u32_e32 v78, v84, v78
	v_dot4_i32_iu8 v81, v77, v91, v81 neg_lo:[1,1,0]
	v_dot4_i32_iu8 v82, v77, v99, v82 neg_lo:[1,1,0]
	v_dot4_i32_iu8 v77, v77, v107, v79 neg_lo:[1,1,0]
	v_pk_mul_f16 v118, v117, v118
	v_add3_u32 v78, v80, v85, v78
	v_dot4_i32_iu8 v80, v86, v92, v81 neg_lo:[1,1,0]
	v_dot4_i32_iu8 v81, v86, v100, v82 neg_lo:[1,1,0]
	;; [unrolled: 1-line block ×3, first 2 shown]
	v_pk_mul_f16 v119, v117, v119
	v_pk_mul_f16 v79, v117, v120
	;; [unrolled: 1-line block ×3, first 2 shown]
	v_cvt_f32_i32_e32 v78, v78
	v_cvt_f32_i32_e32 v80, v80
	;; [unrolled: 1-line block ×4, first 2 shown]
	v_add_nc_u32_e32 v75, 4, v75
	v_fma_mix_f32 v78, v82, v78, v82 op_sel:[0,0,1] op_sel_hi:[1,0,1]
	v_fma_mix_f32 v80, v118, v80, v118 op_sel:[0,0,1] op_sel_hi:[1,0,1]
	;; [unrolled: 1-line block ×4, first 2 shown]
	v_add_nc_u32_e32 v76, 4, v76
	s_delay_alu instid0(VALU_DEP_4)
	v_dual_add_f32 v7, v7, v80 :: v_dual_add_nc_u32 v74, 4, v74
	v_add_nc_u32_e32 v73, 4, v73
	v_add_nc_u32_e32 v72, 4, v72
	;; [unrolled: 1-line block ×4, first 2 shown]
	v_dual_add_f32 v2, v2, v78 :: v_dual_add_f32 v49, v49, v81
	v_add_f32_e32 v44, v44, v77
	s_wait_alu 0xfffe
	s_add_co_i32 s1, s1, 4
	s_wait_alu 0xfffe
	s_cmp_lt_u32 s1, 12
	s_cbranch_scc1 .LBB183_11
; %bb.12:                               ;   in Loop: Header=BB183_5 Depth=1
	s_bitset1_b32 s16, 7
	s_wait_loadcnt 0x0
	s_wait_alu 0xfffe
	s_cmp_ge_i32 s16, s11
	s_barrier_signal -1
	s_barrier_wait -1
	global_inv scope:SCOPE_SE
	s_cbranch_scc1 .LBB183_4
; %bb.13:                               ;   in Loop: Header=BB183_5 Depth=1
	v_add_nc_u32_e32 v4, s14, v55
	s_delay_alu instid0(VALU_DEP_1)
	v_cmp_gt_i32_e64 s1, s5, v4
	s_and_b32 s16, s0, s1
	s_wait_alu 0xfffe
	s_and_saveexec_b32 s1, s16
	s_cbranch_execz .LBB183_15
; %bb.14:                               ;   in Loop: Header=BB183_5 Depth=1
	v_add_nc_u32_e32 v4, v56, v4
	s_delay_alu instid0(VALU_DEP_1)
	v_mad_co_i64_i32 v[71:72], null, v4, 36, v[0:1]
	global_load_b32 v4, v[71:72], off offset:4
	s_wait_loadcnt 0x0
	ds_store_b32 v52, v4
.LBB183_15:                             ;   in Loop: Header=BB183_5 Depth=1
	s_wait_alu 0xfffe
	s_or_b32 exec_lo, exec_lo, s1
	s_and_saveexec_b32 s16, vcc_lo
	s_cbranch_execz .LBB183_18
; %bb.16:                               ;   in Loop: Header=BB183_5 Depth=1
	v_or_b32_e32 v4, 4, v3
	s_delay_alu instid0(VALU_DEP_1)
	v_cmp_gt_i32_e64 s1, s5, v4
	s_and_b32 s1, s0, s1
	s_wait_alu 0xfffe
	s_and_b32 exec_lo, exec_lo, s1
	s_cbranch_execz .LBB183_18
; %bb.17:                               ;   in Loop: Header=BB183_5 Depth=1
	v_ashrrev_i32_e32 v4, 31, v3
	v_add_co_u32 v3, s1, v56, v3
	s_wait_alu 0xf1ff
	s_delay_alu instid0(VALU_DEP_2) | instskip(NEXT) | instid1(VALU_DEP_2)
	v_add_co_ci_u32_e64 v71, null, v57, v4, s1
	v_mad_co_u64_u32 v[3:4], null, v3, 36, s[2:3]
	s_delay_alu instid0(VALU_DEP_1)
	v_mad_i32_i24 v4, v71, 36, v4
	global_load_b32 v3, v[3:4], off offset:144
	s_wait_loadcnt 0x0
	ds_store_b32 v53, v3
.LBB183_18:                             ;   in Loop: Header=BB183_5 Depth=1
	s_wait_alu 0xfffe
	s_or_b32 exec_lo, exec_lo, s16
	v_dual_mov_b32 v3, v51 :: v_dual_mov_b32 v4, v50
	v_dual_mov_b32 v71, v66 :: v_dual_mov_b32 v72, v65
	;; [unrolled: 1-line block ×3, first 2 shown]
	v_mov_b32_e32 v75, v62
	s_mov_b32 s1, 12
	s_wait_loadcnt_dscnt 0x0
	s_barrier_signal -1
	s_barrier_wait -1
	global_inv scope:SCOPE_SE
.LBB183_19:                             ;   Parent Loop BB183_5 Depth=1
                                        ; =>  This Inner Loop Header: Depth=2
	v_add_nc_u32_e32 v92, 0x2080, v71
	v_add_nc_u32_e32 v94, 0x2088, v71
	ds_load_2addr_b32 v[76:77], v4 offset1:7
	ds_load_2addr_b32 v[78:79], v4 offset0:3 offset1:4
	ds_load_2addr_b32 v[80:81], v4 offset0:5 offset1:6
	;; [unrolled: 1-line block ×3, first 2 shown]
	ds_load_b32 v116, v3
	ds_load_2addr_b32 v[84:85], v71 offset1:1
	ds_load_2addr_b32 v[86:87], v71 offset0:2 offset1:3
	ds_load_2addr_b32 v[88:89], v71 offset0:4 offset1:5
	;; [unrolled: 1-line block ×3, first 2 shown]
	v_add_nc_u32_e32 v96, 0x2090, v71
	v_add_nc_u32_e32 v98, 0x2098, v71
	;; [unrolled: 1-line block ×10, first 2 shown]
	ds_load_b32 v117, v72
	ds_load_b32 v118, v73
	;; [unrolled: 1-line block ×4, first 2 shown]
	ds_load_2addr_b32 v[92:93], v92 offset1:1
	ds_load_2addr_b32 v[94:95], v94 offset1:1
	;; [unrolled: 1-line block ×12, first 2 shown]
	s_wait_dscnt 0x17
	v_lshlrev_b32_e32 v121, 8, v79
	v_lshlrev_b32_e32 v128, 24, v79
	;; [unrolled: 1-line block ×3, first 2 shown]
	s_wait_dscnt 0x15
	v_lshlrev_b32_e32 v122, 8, v82
	v_lshlrev_b32_e32 v123, 8, v80
	;; [unrolled: 1-line block ×17, first 2 shown]
	v_perm_b32 v145, v129, v128, 0xc0c0703
	v_perm_b32 v146, v79, v121, 0x7030c0c
	s_wait_dscnt 0x13
	v_dot4_i32_iu8 v84, v76, v84, 0 neg_lo:[1,1,0]
	v_lshlrev_b32_e32 v141, 16, v77
	v_perm_b32 v142, v80, v82, 0x7030c0c
	v_perm_b32 v143, v81, v83, 0xc0c0703
	;; [unrolled: 1-line block ×3, first 2 shown]
	s_wait_dscnt 0xb
	v_dot4_i32_iu8 v92, v76, v92, 0 neg_lo:[1,1,0]
	s_wait_dscnt 0x7
	v_dot4_i32_iu8 v100, v76, v100, 0 neg_lo:[1,1,0]
	v_perm_b32 v147, v131, v130, 0xc0c0703
	v_perm_b32 v82, v82, v122, 0x7030c0c
	;; [unrolled: 1-line block ×11, first 2 shown]
	s_wait_dscnt 0x3
	v_perm_b32 v129, v108, v129, 0xc0c0503
	v_perm_b32 v131, v133, v131, 0x7030c0c
	s_wait_dscnt 0x2
	v_perm_b32 v133, v111, v110, 0x5010c0c
	v_perm_b32 v153, v76, v109, 0xc0c0501
	;; [unrolled: 1-line block ×13, first 2 shown]
	s_wait_dscnt 0x1
	v_perm_b32 v109, v113, v112, 0xc0c0602
	s_wait_dscnt 0x0
	v_perm_b32 v111, v115, v114, 0x6020c0c
	v_perm_b32 v122, v125, v124, 0xc0c0703
	;; [unrolled: 1-line block ×12, first 2 shown]
	v_or_b32_e32 v135, v146, v145
	v_or_b32_e32 v82, v82, v147
	v_or_b32_e32 v80, v80, v148
	v_perm_b32 v115, v141, v139, 0x7030c0c
	v_or_b32_e32 v83, v83, v149
	v_dot4_i32_iu8 v84, v135, v85, v84 neg_lo:[1,1,0]
	v_dot4_i32_iu8 v85, v135, v93, v92 neg_lo:[1,1,0]
	v_dot4_i32_iu8 v92, v135, v101, v100 neg_lo:[1,1,0]
	v_or_b32_e32 v129, v131, v129
	v_or_b32_e32 v131, v133, v153
	v_dot4_i32_iu8 v84, v82, v86, v84 neg_lo:[1,1,0]
	v_dot4_i32_iu8 v85, v82, v94, v85 neg_lo:[1,1,0]
	v_dot4_i32_iu8 v82, v82, v102, v92 neg_lo:[1,1,0]
	v_or_b32_e32 v133, v154, v155
	;; [unrolled: 5-line block ×3, first 2 shown]
	v_or_b32_e32 v81, v81, v150
	v_or_b32_e32 v128, v130, v128
	;; [unrolled: 1-line block ×9, first 2 shown]
	v_dot4_i32_iu8 v100, v129, v131, 0 neg_lo:[1,1,0]
	v_dot4_i32_iu8 v79, v79, v133, 0 neg_lo:[1,1,0]
	v_dot4_i32_iu8 v84, v83, v88, v84 neg_lo:[1,1,0]
	v_dot4_i32_iu8 v85, v83, v96, v85 neg_lo:[1,1,0]
	v_dot4_i32_iu8 v80, v83, v104, v80 neg_lo:[1,1,0]
	v_perm_b32 v152, v141, v140, 0xc0c0703
	v_or_b32_e32 v78, v78, v151
	v_or_b32_e32 v109, v111, v109
	;; [unrolled: 1-line block ×4, first 2 shown]
	v_dot4_i32_iu8 v76, v108, v76, 0 neg_lo:[1,1,0]
	v_dot4_i32_iu8 v82, v128, v130, 0 neg_lo:[1,1,0]
	;; [unrolled: 1-line block ×7, first 2 shown]
	v_or_b32_e32 v77, v77, v152
	v_dot4_i32_iu8 v76, v110, v109, v76 neg_lo:[1,1,0]
	v_dot4_i32_iu8 v81, v121, v111, v82 neg_lo:[1,1,0]
	v_add_nc_u32_e32 v79, v83, v79
	v_dot4_i32_iu8 v82, v78, v90, v84 neg_lo:[1,1,0]
	v_dot4_i32_iu8 v83, v78, v98, v85 neg_lo:[1,1,0]
	;; [unrolled: 1-line block ×3, first 2 shown]
	v_pk_mul_f16 v117, v116, v117
	v_add3_u32 v76, v81, v76, v79
	v_dot4_i32_iu8 v79, v77, v91, v82 neg_lo:[1,1,0]
	v_dot4_i32_iu8 v81, v77, v99, v83 neg_lo:[1,1,0]
	v_dot4_i32_iu8 v77, v77, v107, v78 neg_lo:[1,1,0]
	v_pk_mul_f16 v118, v116, v118
	v_pk_mul_f16 v80, v116, v119
	;; [unrolled: 1-line block ×3, first 2 shown]
	v_cvt_f32_i32_e32 v76, v76
	v_cvt_f32_i32_e32 v79, v79
	;; [unrolled: 1-line block ×4, first 2 shown]
	v_add_nc_u32_e32 v73, 4, v73
	v_fma_mix_f32 v76, v78, v76, v78 op_sel:[0,0,1] op_sel_hi:[1,0,1]
	v_fma_mix_f32 v78, v117, v79, v117 op_sel:[0,0,1] op_sel_hi:[1,0,1]
	;; [unrolled: 1-line block ×4, first 2 shown]
	s_delay_alu instid0(VALU_DEP_4) | instskip(NEXT) | instid1(VALU_DEP_3)
	v_dual_add_f32 v2, v2, v76 :: v_dual_add_nc_u32 v75, 4, v75
	v_dual_add_f32 v49, v49, v79 :: v_dual_add_nc_u32 v74, 4, v74
	v_add_nc_u32_e32 v72, 4, v72
	s_delay_alu instid0(VALU_DEP_4)
	v_dual_add_f32 v44, v44, v77 :: v_dual_add_nc_u32 v71, 32, v71
	v_add_nc_u32_e32 v4, 32, v4
	v_add_nc_u32_e32 v3, 4, v3
	v_add_f32_e32 v7, v7, v78
	s_wait_alu 0xfffe
	s_add_co_i32 s1, s1, 4
	s_wait_alu 0xfffe
	s_cmp_lt_u32 s1, 28
	s_cbranch_scc1 .LBB183_19
; %bb.20:                               ;   in Loop: Header=BB183_5 Depth=1
	s_wait_loadcnt 0x0
	s_barrier_signal -1
	s_barrier_wait -1
	global_inv scope:SCOPE_SE
	s_branch .LBB183_4
.LBB183_21:
	s_mul_i32 s0, s7, s4
	s_wait_loadcnt 0x0
	s_wait_alu 0xfffe
	v_cmp_gt_i32_e32 vcc_lo, s0, v5
	s_and_saveexec_b32 s0, vcc_lo
	s_cbranch_execz .LBB183_30
; %bb.22:
	v_mul_lo_u32 v0, v5, s6
	v_add_nc_u32_e32 v1, s18, v6
	s_mov_b32 s0, exec_lo
	s_delay_alu instid0(VALU_DEP_1)
	v_cmpx_gt_u32_e64 s6, v1
	s_cbranch_execz .LBB183_24
; %bb.23:
	s_delay_alu instid0(VALU_DEP_3) | instskip(NEXT) | instid1(VALU_DEP_1)
	v_dual_mov_b32 v4, 0 :: v_dual_add_nc_u32 v3, v0, v1
	v_lshlrev_b64_e32 v[3:4], 2, v[3:4]
	s_delay_alu instid0(VALU_DEP_1) | instskip(SKIP_1) | instid1(VALU_DEP_2)
	v_add_co_u32 v3, vcc_lo, s8, v3
	s_wait_alu 0xfffd
	v_add_co_ci_u32_e64 v4, null, s9, v4, vcc_lo
	global_store_b32 v[3:4], v7, off
.LBB183_24:
	s_wait_alu 0xfffe
	s_or_b32 exec_lo, exec_lo, s0
	v_add_nc_u32_e32 v3, 32, v1
	s_mov_b32 s0, exec_lo
	s_delay_alu instid0(VALU_DEP_1)
	v_cmpx_gt_u32_e64 s6, v3
	s_cbranch_execz .LBB183_26
; %bb.25:
	v_dual_mov_b32 v4, 0 :: v_dual_add_nc_u32 v3, v0, v3
	s_delay_alu instid0(VALU_DEP_1) | instskip(NEXT) | instid1(VALU_DEP_1)
	v_lshlrev_b64_e32 v[3:4], 2, v[3:4]
	v_add_co_u32 v3, vcc_lo, s8, v3
	s_wait_alu 0xfffd
	s_delay_alu instid0(VALU_DEP_2)
	v_add_co_ci_u32_e64 v4, null, s9, v4, vcc_lo
	global_store_b32 v[3:4], v49, off
.LBB183_26:
	s_wait_alu 0xfffe
	s_or_b32 exec_lo, exec_lo, s0
	v_add_nc_u32_e32 v3, 64, v1
	s_mov_b32 s0, exec_lo
	s_delay_alu instid0(VALU_DEP_1)
	v_cmpx_gt_u32_e64 s6, v3
	s_cbranch_execz .LBB183_28
; %bb.27:
	v_dual_mov_b32 v4, 0 :: v_dual_add_nc_u32 v3, v0, v3
	s_delay_alu instid0(VALU_DEP_1) | instskip(NEXT) | instid1(VALU_DEP_1)
	v_lshlrev_b64_e32 v[3:4], 2, v[3:4]
	v_add_co_u32 v3, vcc_lo, s8, v3
	s_wait_alu 0xfffd
	s_delay_alu instid0(VALU_DEP_2)
	v_add_co_ci_u32_e64 v4, null, s9, v4, vcc_lo
	global_store_b32 v[3:4], v44, off
.LBB183_28:
	s_wait_alu 0xfffe
	s_or_b32 exec_lo, exec_lo, s0
	v_add_nc_u32_e32 v1, 0x60, v1
	s_delay_alu instid0(VALU_DEP_1)
	v_cmp_gt_u32_e32 vcc_lo, s6, v1
	s_and_b32 exec_lo, exec_lo, vcc_lo
	s_cbranch_execz .LBB183_30
; %bb.29:
	v_dual_mov_b32 v1, 0 :: v_dual_add_nc_u32 v0, v0, v1
	s_delay_alu instid0(VALU_DEP_1) | instskip(NEXT) | instid1(VALU_DEP_1)
	v_lshlrev_b64_e32 v[0:1], 2, v[0:1]
	v_add_co_u32 v0, vcc_lo, s8, v0
	s_wait_alu 0xfffd
	s_delay_alu instid0(VALU_DEP_2)
	v_add_co_ci_u32_e64 v1, null, s9, v1, vcc_lo
	global_store_b32 v[0:1], v2, off
.LBB183_30:
	s_nop 0
	s_sendmsg sendmsg(MSG_DEALLOC_VGPRS)
	s_endpgm
	.section	.rodata,"a",@progbits
	.p2align	6, 0x0
	.amdhsa_kernel _ZL8moe_q5_1IfLb0EEvPKvS1_PT_PKiS5_S5_iiiiiii
		.amdhsa_group_segment_fixed_size 38656
		.amdhsa_private_segment_fixed_size 0
		.amdhsa_kernarg_size 76
		.amdhsa_user_sgpr_count 2
		.amdhsa_user_sgpr_dispatch_ptr 0
		.amdhsa_user_sgpr_queue_ptr 0
		.amdhsa_user_sgpr_kernarg_segment_ptr 1
		.amdhsa_user_sgpr_dispatch_id 0
		.amdhsa_user_sgpr_private_segment_size 0
		.amdhsa_wavefront_size32 1
		.amdhsa_uses_dynamic_stack 0
		.amdhsa_enable_private_segment 0
		.amdhsa_system_sgpr_workgroup_id_x 1
		.amdhsa_system_sgpr_workgroup_id_y 1
		.amdhsa_system_sgpr_workgroup_id_z 0
		.amdhsa_system_sgpr_workgroup_info 0
		.amdhsa_system_vgpr_workitem_id 1
		.amdhsa_next_free_vgpr 217
		.amdhsa_next_free_sgpr 22
		.amdhsa_reserve_vcc 1
		.amdhsa_float_round_mode_32 0
		.amdhsa_float_round_mode_16_64 0
		.amdhsa_float_denorm_mode_32 3
		.amdhsa_float_denorm_mode_16_64 3
		.amdhsa_fp16_overflow 0
		.amdhsa_workgroup_processor_mode 1
		.amdhsa_memory_ordered 1
		.amdhsa_forward_progress 1
		.amdhsa_inst_pref_size 67
		.amdhsa_round_robin_scheduling 0
		.amdhsa_exception_fp_ieee_invalid_op 0
		.amdhsa_exception_fp_denorm_src 0
		.amdhsa_exception_fp_ieee_div_zero 0
		.amdhsa_exception_fp_ieee_overflow 0
		.amdhsa_exception_fp_ieee_underflow 0
		.amdhsa_exception_fp_ieee_inexact 0
		.amdhsa_exception_int_div_zero 0
	.end_amdhsa_kernel
	.section	.text._ZL8moe_q5_1IfLb0EEvPKvS1_PT_PKiS5_S5_iiiiiii,"axG",@progbits,_ZL8moe_q5_1IfLb0EEvPKvS1_PT_PKiS5_S5_iiiiiii,comdat
.Lfunc_end183:
	.size	_ZL8moe_q5_1IfLb0EEvPKvS1_PT_PKiS5_S5_iiiiiii, .Lfunc_end183-_ZL8moe_q5_1IfLb0EEvPKvS1_PT_PKiS5_S5_iiiiiii
                                        ; -- End function
	.set _ZL8moe_q5_1IfLb0EEvPKvS1_PT_PKiS5_S5_iiiiiii.num_vgpr, 180
	.set _ZL8moe_q5_1IfLb0EEvPKvS1_PT_PKiS5_S5_iiiiiii.num_agpr, 0
	.set _ZL8moe_q5_1IfLb0EEvPKvS1_PT_PKiS5_S5_iiiiiii.numbered_sgpr, 22
	.set _ZL8moe_q5_1IfLb0EEvPKvS1_PT_PKiS5_S5_iiiiiii.num_named_barrier, 0
	.set _ZL8moe_q5_1IfLb0EEvPKvS1_PT_PKiS5_S5_iiiiiii.private_seg_size, 0
	.set _ZL8moe_q5_1IfLb0EEvPKvS1_PT_PKiS5_S5_iiiiiii.uses_vcc, 1
	.set _ZL8moe_q5_1IfLb0EEvPKvS1_PT_PKiS5_S5_iiiiiii.uses_flat_scratch, 0
	.set _ZL8moe_q5_1IfLb0EEvPKvS1_PT_PKiS5_S5_iiiiiii.has_dyn_sized_stack, 0
	.set _ZL8moe_q5_1IfLb0EEvPKvS1_PT_PKiS5_S5_iiiiiii.has_recursion, 0
	.set _ZL8moe_q5_1IfLb0EEvPKvS1_PT_PKiS5_S5_iiiiiii.has_indirect_call, 0
	.section	.AMDGPU.csdata,"",@progbits
; Kernel info:
; codeLenInByte = 8568
; TotalNumSgprs: 24
; NumVgprs: 180
; ScratchSize: 0
; MemoryBound: 0
; FloatMode: 240
; IeeeMode: 1
; LDSByteSize: 38656 bytes/workgroup (compile time only)
; SGPRBlocks: 0
; VGPRBlocks: 27
; NumSGPRsForWavesPerEU: 24
; NumVGPRsForWavesPerEU: 217
; Occupancy: 6
; WaveLimiterHint : 1
; COMPUTE_PGM_RSRC2:SCRATCH_EN: 0
; COMPUTE_PGM_RSRC2:USER_SGPR: 2
; COMPUTE_PGM_RSRC2:TRAP_HANDLER: 0
; COMPUTE_PGM_RSRC2:TGID_X_EN: 1
; COMPUTE_PGM_RSRC2:TGID_Y_EN: 1
; COMPUTE_PGM_RSRC2:TGID_Z_EN: 0
; COMPUTE_PGM_RSRC2:TIDIG_COMP_CNT: 1
	.section	.text._ZL8moe_q5_1IfLb1EEvPKvS1_PT_PKiS5_S5_iiiiiii,"axG",@progbits,_ZL8moe_q5_1IfLb1EEvPKvS1_PT_PKiS5_S5_iiiiiii,comdat
	.globl	_ZL8moe_q5_1IfLb1EEvPKvS1_PT_PKiS5_S5_iiiiiii ; -- Begin function _ZL8moe_q5_1IfLb1EEvPKvS1_PT_PKiS5_S5_iiiiiii
	.p2align	8
	.type	_ZL8moe_q5_1IfLb1EEvPKvS1_PT_PKiS5_S5_iiiiiii,@function
_ZL8moe_q5_1IfLb1EEvPKvS1_PT_PKiS5_S5_iiiiiii: ; @_ZL8moe_q5_1IfLb1EEvPKvS1_PT_PKiS5_S5_iiiiiii
; %bb.0:
	s_load_b128 s[4:7], s[0:1], 0x18
	s_mov_b32 s2, ttmp7
	s_mov_b32 s3, 0
	s_delay_alu instid0(SALU_CYCLE_1)
	s_lshl_b64 s[2:3], s[2:3], 2
	s_wait_kmcnt 0x0
	s_add_nc_u64 s[2:3], s[6:7], s[2:3]
	s_load_b32 s14, s[2:3], 0x0
	s_wait_kmcnt 0x0
	s_cmp_gt_u32 s14, 0xff
	s_cbranch_scc1 .LBB184_30
; %bb.1:
	s_load_b64 s[2:3], s[0:1], 0x28
	s_wait_kmcnt 0x0
	s_load_b32 s3, s[2:3], 0x0
	s_lshl_b32 s2, ttmp7, 3
	s_wait_kmcnt 0x0
	s_cmp_gt_u32 s2, s3
	s_cbranch_scc1 .LBB184_30
; %bb.2:
	v_bfe_u32 v19, v0, 10, 10
	v_mov_b32_e32 v16, 0
	s_lshl_b32 s11, ttmp9, 7
	s_delay_alu instid0(VALU_DEP_2) | instskip(NEXT) | instid1(VALU_DEP_2)
	v_add_nc_u32_e32 v15, s2, v19
	v_dual_mov_b32 v46, v16 :: v_dual_and_b32 v23, 0x3ff, v0
	v_mov_b32_e32 v50, v16
	v_mov_b32_e32 v24, v16
	s_delay_alu instid0(VALU_DEP_4) | instskip(NEXT) | instid1(VALU_DEP_1)
	v_lshlrev_b64_e32 v[1:2], 2, v[15:16]
	v_add_co_u32 v1, vcc_lo, s4, v1
	s_delay_alu instid0(VALU_DEP_1)
	v_add_co_ci_u32_e64 v2, null, s5, v2, vcc_lo
	global_load_b32 v22, v[1:2], off
	s_clause 0x2
	s_load_b128 s[4:7], s[0:1], 0x30
	s_load_b64 s[12:13], s[0:1], 0x10
	s_load_b96 s[8:10], s[0:1], 0x40
	s_wait_kmcnt 0x0
	s_cmp_lt_i32 s5, 32
	s_cbranch_scc1 .LBB184_21
; %bb.3:
	s_load_b128 s[0:3], s[0:1], 0x0
	s_ashr_i32 s15, s5, 31
	s_mul_i32 s14, s14, s4
	s_lshr_b32 s4, s15, 27
	s_ashr_i32 s15, s14, 31
	s_wait_alu 0xfffe
	s_add_co_i32 s4, s5, s4
	s_ashr_i32 s16, s8, 31
	s_wait_alu 0xfffe
	s_ashr_i32 s4, s4, 5
	s_not_b32 s17, s11
	s_wait_alu 0xfffe
	s_mul_i32 s18, s4, s11
	s_lshr_b32 s20, s16, 27
	s_ashr_i32 s19, s18, 31
	s_wait_loadcnt 0x0
	v_sub_nc_u32_e32 v49, 0, v22
	s_mul_u64 s[18:19], s[18:19], 24
	s_add_co_i32 s16, s6, s17
	s_add_co_i32 s6, s8, s20
	v_dual_mov_b32 v24, 0 :: v_dual_add_nc_u32 v1, 8, v19
	v_max_i32_e32 v49, v22, v49
	v_add_nc_u32_e32 v3, 16, v19
	s_wait_kmcnt 0x0
	s_add_nc_u64 s[0:1], s[0:1], s[14:15]
	v_add_nc_u32_e32 v6, 24, v19
	s_add_nc_u64 s[14:15], s[0:1], s[18:19]
	s_abs_i32 s0, s10
	v_add_nc_u32_e32 v7, 32, v19
	s_cvt_f32_u32 s1, s0
	s_sub_co_i32 s8, 0, s0
	v_min_i32_e32 v2, s16, v19
	v_add_nc_u32_e32 v8, 40, v19
	v_rcp_iflag_f32_e32 v47, s1
	v_min_i32_e32 v4, s16, v1
	v_add_nc_u32_e32 v9, 48, v19
	v_min_i32_e32 v5, s16, v3
	v_add_nc_u32_e32 v10, 56, v19
	;; [unrolled: 2-line block ×4, first 2 shown]
	v_mul_lo_u32 v27, v2, s4
	v_readfirstlane_b32 s1, v47
	v_min_i32_e32 v8, s16, v8
	v_add_nc_u32_e32 v13, 0x50, v19
	v_min_i32_e32 v9, s16, v9
	v_add_nc_u32_e32 v14, 0x58, v19
	s_mul_f32 s1, s1, 0x4f7ffffe
	v_mul_lo_u32 v28, v4, s4
	v_min_i32_e32 v10, s16, v10
	v_mul_lo_u32 v29, v5, s4
	s_wait_alu 0xfffe
	s_cvt_u32_f32 s1, s1
	v_min_i32_e32 v11, s16, v11
	v_mul_lo_u32 v30, v6, s4
	v_min_i32_e32 v12, s16, v12
	s_wait_alu 0xfffe
	s_mul_i32 s8, s8, s1
	v_mul_lo_u32 v31, v7, s4
	s_mul_hi_u32 s8, s1, s8
	v_min_i32_e32 v13, s16, v13
	s_add_co_i32 s1, s1, s8
	v_mul_lo_u32 v32, v8, s4
	s_wait_alu 0xfffe
	v_mul_hi_u32 v52, v49, s1
	v_min_i32_e32 v14, s16, v14
	v_add_nc_u32_e32 v15, 0x60, v19
	v_mul_lo_u32 v33, v9, s4
	v_mul_lo_u32 v34, v10, s4
	;; [unrolled: 1-line block ×6, first 2 shown]
	v_min_i32_e32 v15, s16, v15
	v_add_nc_u32_e32 v16, 0x68, v19
	v_add_nc_u32_e32 v43, 0x78, v19
	v_bfe_u32 v39, v0, 3, 7
	v_mul_lo_u32 v38, v14, s4
	v_mul_lo_u32 v40, v15, s4
	v_min_i32_e32 v16, s16, v16
	v_sub_nc_u32_e32 v54, v49, v54
	v_add_nc_u32_e32 v49, 1, v52
	v_min_i32_e32 v45, s16, v43
	v_lshl_add_u32 v21, v19, 2, v39
	v_mul_lo_u32 v41, v16, s4
	v_cmp_le_u32_e32 vcc_lo, s0, v54
	v_lshlrev_b32_e32 v17, 3, v23
	v_add_nc_u32_e32 v58, 64, v23
	v_add_nc_u32_e32 v47, 64, v21
	v_min_i32_e32 v46, s16, v21
	s_wait_alu 0xfffd
	v_cndmask_b32_e32 v52, v52, v49, vcc_lo
	v_mad_co_u64_u32 v[1:2], null, 0x104, v2, v[17:18]
	v_mad_co_u64_u32 v[2:3], null, 0x104, v4, v[17:18]
	;; [unrolled: 1-line block ×12, first 2 shown]
	v_add_nc_u32_e32 v18, 0x70, v19
	v_min_i32_e32 v51, s16, v47
	v_ashrrev_i32_e32 v44, 31, v46
	v_add_nc_u32_e32 v59, 0x60, v23
	s_ashr_i32 s6, s6, 5
	v_mad_co_u64_u32 v[13:14], null, 0x104, v15, v[17:18]
	v_min_i32_e32 v18, s16, v18
	v_lshlrev_b32_e32 v71, 5, v51
	v_bfe_u32 v25, v0, 2, 8
	v_and_b32_e32 v59, 0x1fc, v59
	v_and_b32_e32 v58, 0x1fc, v58
	v_mad_co_u64_u32 v[14:15], null, 0x104, v16, v[17:18]
	v_mul_lo_u32 v42, v18, s4
	v_mad_co_u64_u32 v[15:16], null, 0x104, v18, v[17:18]
	v_mad_co_u64_u32 v[17:18], null, 0x104, v45, v[17:18]
	v_add_nc_u32_e32 v18, 32, v21
	v_lshrrev_b32_e32 v16, 30, v44
	v_and_b32_e32 v44, 7, v0
	v_add_nc_u32_e32 v21, 0x60, v21
	v_mul_lo_u32 v43, v45, s4
	v_min_i32_e32 v18, s16, v18
	v_add_nc_u32_e32 v16, v46, v16
	v_lshlrev_b32_e32 v50, 2, v44
	v_min_i32_e32 v21, s16, v21
	v_mul_lo_u32 v45, v46, s4
	v_ashrrev_i32_e32 v48, 31, v18
	v_lshlrev_b32_e32 v69, 5, v18
	v_and_b32_e32 v16, -4, v16
	v_ashrrev_i32_e32 v55, 31, v21
	v_lshlrev_b32_e32 v46, 5, v46
	v_lshrrev_b32_e32 v47, 30, v48
	v_ashrrev_i32_e32 v48, 31, v51
	v_add3_u32 v16, v16, v50, 0x8200
	v_mul_lo_u32 v49, v21, s4
	s_mov_b32 s17, 0
	v_add_nc_u32_e32 v47, v18, v47
	v_lshrrev_b32_e32 v48, 30, v48
	v_dual_mov_b32 v46, 0 :: v_dual_add_nc_u32 v67, v16, v46
	s_delay_alu instid0(VALU_DEP_3) | instskip(NEXT) | instid1(VALU_DEP_3)
	v_dual_mov_b32 v16, 0 :: v_dual_and_b32 v53, -4, v47
	v_add_nc_u32_e32 v48, v51, v48
	v_mul_lo_u32 v47, v18, s4
	v_lshrrev_b32_e32 v18, 30, v55
	s_wait_alu 0xfffe
	s_mov_b32 s16, s17
	v_add3_u32 v68, v53, v50, 0x8200
	v_and_b32_e32 v53, -4, v48
	v_mul_lo_u32 v48, v51, s4
	v_subrev_nc_u32_e32 v51, s0, v54
	v_add_nc_u32_e32 v18, v21, v18
	v_lshlrev_b32_e32 v21, 5, v21
	v_add3_u32 v70, v53, v50, 0x8200
	v_xor_b32_e32 v53, s10, v22
	v_dual_cndmask_b32 v51, v54, v51 :: v_dual_add_nc_u32 v54, 1, v52
	v_and_b32_e32 v18, -4, v18
	v_add_nc_u32_e32 v68, v68, v69
	s_delay_alu instid0(VALU_DEP_4) | instskip(NEXT) | instid1(VALU_DEP_4)
	v_ashrrev_i32_e32 v55, 31, v53
	v_cmp_le_u32_e32 vcc_lo, s0, v51
	v_lshlrev_b32_e32 v20, 2, v23
	v_add3_u32 v50, v18, v50, 0x8200
	v_and_b32_e32 v18, 31, v0
	v_lshl_add_u32 v51, v19, 7, 0x9280
	s_wait_alu 0xfffd
	v_cndmask_b32_e32 v53, v52, v54, vcc_lo
	v_lshl_add_u32 v52, v19, 4, 0x9680
	v_and_b32_e32 v26, 12, v20
	v_and_b32_e32 v19, 28, v20
	;; [unrolled: 1-line block ×3, first 2 shown]
	v_xor_b32_e32 v56, v53, v55
	v_lshl_or_b32 v53, v18, 2, v51
	v_add_nc_u32_e32 v54, v52, v20
	v_add_nc_u32_e32 v18, 32, v23
	v_cmp_gt_u32_e32 vcc_lo, 4, v23
	v_sub_nc_u32_e32 v20, v56, v55
	v_mul_u32_u24_e32 v55, 0x104, v23
	v_add_nc_u32_e32 v69, v70, v71
	v_and_b32_e32 v60, 0x1fc, v18
	v_lshrrev_b32_e32 v56, 3, v18
	v_cmp_gt_i32_e64 s0, s7, v20
	v_mul_lo_u32 v57, v20, s6
	v_lshlrev_b32_e32 v20, 5, v23
	v_add_co_u32 v18, s1, s2, v19
	s_wait_alu 0xf1ff
	v_add_co_ci_u32_e64 v19, null, s3, 0, s1
	s_delay_alu instid0(VALU_DEP_3)
	v_add_nc_u32_e32 v62, v20, v59
	v_add_nc_u32_e32 v63, v20, v58
	;; [unrolled: 1-line block ×4, first 2 shown]
	s_movk_i32 s1, 0x80
	v_ashrrev_i32_e32 v0, 31, v57
	v_add_nc_u32_e32 v58, 0x8e00, v62
	v_add_nc_u32_e32 v59, 0x8a00, v63
	;; [unrolled: 1-line block ×8, first 2 shown]
	s_wait_alu 0xfffe
	v_mad_u32_u24 v66, 0x104, v23, s1
	v_add_nc_u32_e32 v70, v50, v21
	v_mov_b32_e32 v50, 0
	s_and_b32 s8, vcc_lo, s0
	s_branch .LBB184_5
.LBB184_4:                              ;   in Loop: Header=BB184_5 Depth=1
	s_add_co_i32 s16, s16, 8
	s_wait_alu 0xfffe
	s_cmp_ge_i32 s16, s4
	s_cbranch_scc1 .LBB184_21
.LBB184_5:                              ; =>This Loop Header: Depth=1
                                        ;     Child Loop BB184_11 Depth 2
                                        ;     Child Loop BB184_19 Depth 2
	s_mul_u64 s[18:19], s[16:17], 24
	s_wait_alu 0xfffe
	s_add_nc_u64 s[18:19], s[14:15], s[18:19]
	s_wait_alu 0xfffe
	v_mad_co_u64_u32 v[20:21], null, v25, 24, s[18:19]
	s_delay_alu instid0(VALU_DEP_1) | instskip(SKIP_3) | instid1(VALU_DEP_4)
	v_mad_co_i64_i32 v[71:72], null, v27, 24, v[20:21]
	v_mad_co_i64_i32 v[73:74], null, v28, 24, v[20:21]
	;; [unrolled: 1-line block ×4, first 2 shown]
	v_add_co_u32 v79, s1, v71, v26
	v_mad_co_i64_i32 v[85:86], null, v31, 24, v[20:21]
	s_wait_alu 0xf1ff
	v_add_co_ci_u32_e64 v80, null, 0, v72, s1
	v_add_co_u32 v81, s1, v73, v26
	v_mad_co_i64_i32 v[89:90], null, v32, 24, v[20:21]
	s_wait_alu 0xf1ff
	v_add_co_ci_u32_e64 v82, null, 0, v74, s1
	;; [unrolled: 4-line block ×4, first 2 shown]
	v_add_co_u32 v91, s1, v85, v26
	s_wait_alu 0xf1ff
	v_add_co_ci_u32_e64 v92, null, 0, v86, s1
	v_add_co_u32 v97, s1, v89, v26
	s_wait_alu 0xf1ff
	v_add_co_ci_u32_e64 v98, null, 0, v90, s1
	;; [unrolled: 3-line block ×4, first 2 shown]
	s_clause 0xf
	global_load_b32 v103, v[79:80], off offset:8
	global_load_b32 v104, v[81:82], off offset:8
	;; [unrolled: 1-line block ×16, first 2 shown]
	v_mad_co_i64_i32 v[71:72], null, v35, 24, v[20:21]
	v_mad_co_i64_i32 v[73:74], null, v36, 24, v[20:21]
	;; [unrolled: 1-line block ×4, first 2 shown]
	s_delay_alu instid0(VALU_DEP_4)
	v_add_co_u32 v79, s1, v71, v26
	s_wait_alu 0xf1ff
	v_add_co_ci_u32_e64 v80, null, 0, v72, s1
	v_add_co_u32 v81, s1, v73, v26
	s_wait_alu 0xf1ff
	v_add_co_ci_u32_e64 v82, null, 0, v74, s1
	s_clause 0x5
	global_load_b32 v86, v[77:78], off offset:4
	global_load_b32 v90, v[75:76], off offset:4
	;; [unrolled: 1-line block ×6, first 2 shown]
	v_add_co_u32 v71, s1, v75, v26
	s_wait_alu 0xf1ff
	v_add_co_ci_u32_e64 v72, null, 0, v76, s1
	v_mad_co_i64_i32 v[75:76], null, v43, 24, v[20:21]
	v_mad_co_i64_i32 v[73:74], null, v41, 24, v[20:21]
	global_load_b32 v101, v[71:72], off offset:8
	v_add_co_u32 v71, s1, v77, v26
	s_wait_alu 0xf1ff
	v_add_co_ci_u32_e64 v72, null, 0, v78, s1
	v_mad_co_u64_u32 v[77:78], null, v44, 24, s[18:19]
	s_lshl_b32 s18, s16, 5
	global_load_b32 v102, v[71:72], off offset:8
	v_mad_co_i64_i32 v[71:72], null, v40, 24, v[20:21]
	v_mad_co_i64_i32 v[20:21], null, v42, 24, v[20:21]
	;; [unrolled: 1-line block ×3, first 2 shown]
	s_wait_alu 0xfffe
	s_cmp_lt_i32 s18, s5
	s_delay_alu instid0(VALU_DEP_3) | instskip(SKIP_1) | instid1(VALU_DEP_4)
	v_add_co_u32 v79, s1, v71, v26
	s_wait_alu 0xf1ff
	v_add_co_ci_u32_e64 v80, null, 0, v72, s1
	s_clause 0x4
	global_load_b32 v107, v[75:76], off offset:4
	global_load_b32 v108, v[20:21], off offset:4
	;; [unrolled: 1-line block ×5, first 2 shown]
	v_add_co_u32 v73, s1, v73, v26
	s_wait_alu 0xf1ff
	v_add_co_ci_u32_e64 v74, null, 0, v74, s1
	v_add_co_u32 v20, s1, v20, v26
	v_mad_co_i64_i32 v[71:72], null, v45, 24, v[77:78]
	s_wait_alu 0xf1ff
	v_add_co_ci_u32_e64 v21, null, 0, v21, s1
	v_add_co_u32 v75, s1, v75, v26
	v_mad_co_i64_i32 v[79:80], null, v47, 24, v[77:78]
	s_wait_alu 0xf1ff
	v_add_co_ci_u32_e64 v76, null, 0, v76, s1
	v_mad_co_i64_i32 v[77:78], null, v49, 24, v[77:78]
	s_clause 0x6
	global_load_b32 v73, v[73:74], off offset:8
	global_load_b32 v20, v[20:21], off offset:8
	;; [unrolled: 1-line block ×3, first 2 shown]
	global_load_b32 v71, v[71:72], off
	global_load_b32 v72, v[79:80], off
	;; [unrolled: 1-line block ×4, first 2 shown]
	s_wait_loadcnt 0x23
	v_lshrrev_b32_e32 v78, 4, v103
	s_wait_loadcnt 0x22
	v_lshrrev_b32_e32 v81, 4, v104
	v_and_b32_e32 v77, 0xf0f0f0f, v103
	s_wait_loadcnt 0x20
	v_and_b32_e32 v103, 0xf0f0f0f, v84
	s_wait_loadcnt 0x1f
	v_ashrrev_i32_e32 v87, v26, v87
	s_wait_loadcnt 0x1e
	v_ashrrev_i32_e32 v82, v26, v88
	;; [unrolled: 2-line block ×4, first 2 shown]
	v_and_b32_e32 v88, 0xf0f0f0f, v83
	v_lshrrev_b32_e32 v83, 4, v83
	v_lshlrev_b32_e32 v129, 4, v82
	v_lshlrev_b32_e32 v122, 4, v79
	s_wait_loadcnt 0x17
	v_ashrrev_i32_e32 v95, v26, v95
	s_wait_loadcnt 0x16
	v_ashrrev_i32_e32 v93, v26, v93
	;; [unrolled: 2-line block ×4, first 2 shown]
	v_lshlrev_b32_e32 v115, 4, v76
	v_lshlrev_b32_e32 v116, 11, v76
	v_lshrrev_b32_e32 v119, 12, v76
	v_lshrrev_b32_e32 v120, 5, v76
	v_lshlrev_b32_e32 v123, 11, v79
	v_lshrrev_b32_e32 v126, 12, v79
	v_lshrrev_b32_e32 v127, 5, v79
	;; [unrolled: 3-line block ×3, first 2 shown]
	v_lshrrev_b32_e32 v84, 4, v84
	v_lshlrev_b32_e32 v136, 4, v87
	v_lshlrev_b32_e32 v137, 11, v87
	v_lshrrev_b32_e32 v140, 12, v87
	v_lshrrev_b32_e32 v141, 5, v87
	v_and_b32_e32 v80, 0xf0f0f0f, v104
	v_and_b32_e32 v104, 0xf0f0f0f, v91
	v_lshrrev_b32_e32 v91, 4, v91
	v_lshlrev_b32_e32 v143, 4, v85
	v_lshlrev_b32_e32 v144, 11, v85
	v_lshrrev_b32_e32 v147, 12, v85
	v_lshrrev_b32_e32 v148, 5, v85
	v_and_b32_e32 v105, 0xf0f0f0f, v92
	v_lshrrev_b32_e32 v92, 4, v92
	v_and_b32_e32 v106, 0xf0f0f0f, v97
	;; [unrolled: 2-line block ×3, first 2 shown]
	v_lshrrev_b32_e32 v98, 4, v98
	v_lshlrev_b32_e32 v117, 18, v76
	v_lshlrev_b32_e32 v118, 25, v76
	v_and_b32_e32 v78, 0xf0f0f0f, v78
	v_lshlrev_b32_e32 v121, 2, v76
	v_lshlrev_b32_e32 v76, 9, v76
	;; [unrolled: 1-line block ×4, first 2 shown]
	v_lshrrev_b32_e32 v154, 12, v89
	v_lshrrev_b32_e32 v155, 5, v89
	v_lshlrev_b32_e32 v157, 4, v93
	v_lshlrev_b32_e32 v158, 11, v93
	v_lshrrev_b32_e32 v161, 12, v93
	v_lshrrev_b32_e32 v162, 5, v93
	v_lshlrev_b32_e32 v164, 4, v95
	v_lshlrev_b32_e32 v165, 11, v95
	v_lshrrev_b32_e32 v168, 12, v95
	v_lshrrev_b32_e32 v169, 5, v95
	v_and_b32_e32 v115, 16, v115
	v_and_b32_e32 v116, 0x1000, v116
	v_and_b32_e32 v119, 16, v119
	v_and_b32_e32 v120, 0x1000, v120
	v_lshlrev_b32_e32 v124, 18, v79
	v_lshlrev_b32_e32 v125, 25, v79
	v_and_b32_e32 v81, 0xf0f0f0f, v81
	v_lshlrev_b32_e32 v128, 2, v79
	v_lshlrev_b32_e32 v79, 9, v79
	v_and_b32_e32 v122, 16, v122
	v_and_b32_e32 v123, 0x1000, v123
	v_and_b32_e32 v126, 16, v126
	v_and_b32_e32 v127, 0x1000, v127
	v_lshlrev_b32_e32 v131, 18, v82
	v_lshlrev_b32_e32 v132, 25, v82
	v_and_b32_e32 v83, 0xf0f0f0f, v83
	v_lshlrev_b32_e32 v135, 2, v82
	v_lshlrev_b32_e32 v82, 9, v82
	;; [unrolled: 9-line block ×5, first 2 shown]
	v_lshlrev_b32_e32 v159, 18, v93
	v_lshlrev_b32_e32 v160, 25, v93
	v_and_b32_e32 v97, 0xf0f0f0f, v97
	v_lshlrev_b32_e32 v163, 2, v93
	v_lshlrev_b32_e32 v93, 9, v93
	;; [unrolled: 1-line block ×4, first 2 shown]
	v_and_b32_e32 v98, 0xf0f0f0f, v98
	v_lshlrev_b32_e32 v170, 2, v95
	v_lshlrev_b32_e32 v95, 9, v95
	v_and_b32_e32 v117, 0x100000, v117
	v_and_b32_e32 v118, 0x10000000, v118
	;; [unrolled: 1-line block ×16, first 2 shown]
	v_or3_b32 v77, v115, v77, v116
	v_or3_b32 v78, v119, v78, v120
	v_and_b32_e32 v124, 0x100000, v124
	v_and_b32_e32 v125, 0x10000000, v125
	v_and_b32_e32 v128, 0x100000, v128
	v_and_b32_e32 v79, 0x10000000, v79
	v_or3_b32 v80, v122, v80, v123
	v_or3_b32 v81, v126, v81, v127
	v_and_b32_e32 v131, 0x100000, v131
	v_and_b32_e32 v132, 0x10000000, v132
	v_and_b32_e32 v135, 0x100000, v135
	v_and_b32_e32 v82, 0x10000000, v82
	v_or3_b32 v88, v129, v88, v130
	v_or3_b32 v83, v133, v83, v134
	v_and_b32_e32 v138, 0x100000, v138
	v_and_b32_e32 v139, 0x10000000, v139
	v_and_b32_e32 v142, 0x100000, v142
	v_and_b32_e32 v87, 0x10000000, v87
	v_or3_b32 v103, v136, v103, v137
	v_or3_b32 v84, v140, v84, v141
	v_and_b32_e32 v145, 0x100000, v145
	v_and_b32_e32 v146, 0x10000000, v146
	v_and_b32_e32 v149, 0x100000, v149
	v_and_b32_e32 v85, 0x10000000, v85
	v_or3_b32 v104, v143, v104, v144
	v_or3_b32 v91, v147, v91, v148
	s_wait_loadcnt 0x10
	v_ashrrev_i32_e32 v96, v26, v96
	v_ashrrev_i32_e32 v94, v26, v94
	v_and_b32_e32 v152, 0x100000, v152
	v_and_b32_e32 v153, 0x10000000, v153
	;; [unrolled: 1-line block ×12, first 2 shown]
	v_or3_b32 v105, v150, v105, v151
	v_or3_b32 v92, v154, v92, v155
	;; [unrolled: 1-line block ×16, first 2 shown]
	s_wait_loadcnt 0xf
	v_and_b32_e32 v113, 0xf0f0f0f, v99
	v_lshrrev_b32_e32 v99, 4, v99
	v_lshlrev_b32_e32 v171, 4, v96
	v_lshlrev_b32_e32 v172, 11, v96
	v_lshrrev_b32_e32 v175, 12, v96
	v_lshrrev_b32_e32 v176, 5, v96
	v_or3_b32 v87, v105, v152, v153
	v_or3_b32 v88, v92, v156, v89
	;; [unrolled: 1-line block ×6, first 2 shown]
	ds_store_2addr_b32 v1, v77, v76 offset1:1
	ds_store_2addr_b32 v2, v78, v79 offset1:1
	;; [unrolled: 1-line block ×8, first 2 shown]
	s_wait_loadcnt 0xe
	v_lshrrev_b32_e32 v80, 4, v100
	v_lshrrev_b32_e32 v81, 12, v94
	;; [unrolled: 1-line block ×3, first 2 shown]
	v_lshlrev_b32_e32 v173, 18, v96
	v_lshlrev_b32_e32 v174, 25, v96
	v_and_b32_e32 v99, 0xf0f0f0f, v99
	v_lshlrev_b32_e32 v177, 2, v96
	v_lshlrev_b32_e32 v96, 9, v96
	;; [unrolled: 1-line block ×4, first 2 shown]
	v_and_b32_e32 v171, 16, v171
	v_and_b32_e32 v172, 0x1000, v172
	;; [unrolled: 1-line block ×7, first 2 shown]
	v_ashrrev_i32_e32 v84, v26, v90
	v_and_b32_e32 v114, 0xf0f0f0f, v100
	v_and_b32_e32 v173, 0x100000, v173
	;; [unrolled: 1-line block ×7, first 2 shown]
	v_or3_b32 v113, v171, v113, v172
	v_or3_b32 v99, v175, v99, v176
	v_lshlrev_b32_e32 v78, 18, v94
	v_lshlrev_b32_e32 v83, 25, v94
	;; [unrolled: 1-line block ×4, first 2 shown]
	v_or3_b32 v80, v81, v80, v82
	v_lshlrev_b32_e32 v81, 4, v84
	v_lshlrev_b32_e32 v82, 11, v84
	v_or3_b32 v76, v113, v173, v174
	v_or3_b32 v77, v99, v177, v96
	;; [unrolled: 1-line block ×3, first 2 shown]
	v_and_b32_e32 v78, 0x100000, v78
	v_and_b32_e32 v83, 0x10000000, v83
	;; [unrolled: 1-line block ×4, first 2 shown]
	s_wait_loadcnt 0xd
	v_and_b32_e32 v88, 0xf0f0f0f, v101
	v_and_b32_e32 v81, 16, v81
	;; [unrolled: 1-line block ×3, first 2 shown]
	ds_store_2addr_b32 v9, v76, v77 offset1:1
	v_or3_b32 v76, v79, v78, v83
	v_or3_b32 v77, v80, v85, v87
	v_lshrrev_b32_e32 v80, 4, v101
	v_or3_b32 v79, v81, v88, v82
	v_lshrrev_b32_e32 v81, 12, v84
	v_lshrrev_b32_e32 v82, 5, v84
	v_ashrrev_i32_e32 v85, v26, v86
	v_and_b32_e32 v80, 0xf0f0f0f, v80
	v_lshlrev_b32_e32 v78, 18, v84
	v_and_b32_e32 v81, 16, v81
	v_and_b32_e32 v82, 0x1000, v82
	v_lshlrev_b32_e32 v83, 25, v84
	v_lshlrev_b32_e32 v86, 2, v84
	;; [unrolled: 1-line block ×3, first 2 shown]
	v_and_b32_e32 v78, 0x100000, v78
	v_or3_b32 v80, v81, v80, v82
	v_lshlrev_b32_e32 v81, 4, v85
	v_lshlrev_b32_e32 v82, 11, v85
	v_and_b32_e32 v83, 0x10000000, v83
	v_and_b32_e32 v86, 0x100000, v86
	v_and_b32_e32 v84, 0x10000000, v84
	s_wait_loadcnt 0xc
	v_and_b32_e32 v87, 0xf0f0f0f, v102
	v_and_b32_e32 v81, 16, v81
	;; [unrolled: 1-line block ×3, first 2 shown]
	ds_store_2addr_b32 v10, v76, v77 offset1:1
	v_or3_b32 v76, v79, v78, v83
	v_or3_b32 v77, v80, v86, v84
	v_lshrrev_b32_e32 v80, 4, v102
	v_or3_b32 v79, v81, v87, v82
	v_lshrrev_b32_e32 v81, 12, v85
	v_lshrrev_b32_e32 v82, 5, v85
	s_wait_loadcnt 0x8
	v_ashrrev_i32_e32 v84, v26, v110
	v_and_b32_e32 v80, 0xf0f0f0f, v80
	v_lshlrev_b32_e32 v78, 18, v85
	v_and_b32_e32 v81, 16, v81
	v_and_b32_e32 v82, 0x1000, v82
	v_lshlrev_b32_e32 v83, 25, v85
	v_lshlrev_b32_e32 v86, 2, v85
	;; [unrolled: 1-line block ×3, first 2 shown]
	v_and_b32_e32 v78, 0x100000, v78
	v_or3_b32 v80, v81, v80, v82
	v_lshlrev_b32_e32 v81, 4, v84
	v_lshlrev_b32_e32 v82, 11, v84
	v_and_b32_e32 v83, 0x10000000, v83
	v_and_b32_e32 v86, 0x100000, v86
	;; [unrolled: 1-line block ×3, first 2 shown]
	s_wait_loadcnt 0x7
	v_and_b32_e32 v87, 0xf0f0f0f, v111
	v_and_b32_e32 v81, 16, v81
	v_and_b32_e32 v82, 0x1000, v82
	ds_store_2addr_b32 v11, v76, v77 offset1:1
	v_or3_b32 v76, v79, v78, v83
	v_or3_b32 v77, v80, v86, v85
	v_lshrrev_b32_e32 v80, 4, v111
	v_or3_b32 v79, v81, v87, v82
	v_lshrrev_b32_e32 v81, 12, v84
	v_lshrrev_b32_e32 v82, 5, v84
	v_ashrrev_i32_e32 v85, v26, v109
	v_and_b32_e32 v80, 0xf0f0f0f, v80
	v_lshlrev_b32_e32 v78, 18, v84
	v_and_b32_e32 v81, 16, v81
	v_and_b32_e32 v82, 0x1000, v82
	v_lshlrev_b32_e32 v83, 25, v84
	v_lshlrev_b32_e32 v86, 2, v84
	;; [unrolled: 1-line block ×3, first 2 shown]
	v_and_b32_e32 v78, 0x100000, v78
	v_or3_b32 v80, v81, v80, v82
	v_lshlrev_b32_e32 v81, 4, v85
	v_lshlrev_b32_e32 v82, 11, v85
	v_and_b32_e32 v83, 0x10000000, v83
	v_and_b32_e32 v86, 0x100000, v86
	;; [unrolled: 1-line block ×3, first 2 shown]
	s_wait_loadcnt 0x6
	v_and_b32_e32 v87, 0xf0f0f0f, v73
	v_and_b32_e32 v81, 16, v81
	;; [unrolled: 1-line block ×3, first 2 shown]
	v_lshlrev_b32_e32 v88, 18, v85
	v_lshlrev_b32_e32 v89, 25, v85
	v_or3_b32 v78, v79, v78, v83
	v_or3_b32 v79, v80, v86, v84
	;; [unrolled: 1-line block ×3, first 2 shown]
	v_and_b32_e32 v81, 0x100000, v88
	v_and_b32_e32 v82, 0x10000000, v89
	v_lshrrev_b32_e32 v83, 12, v85
	v_lshrrev_b32_e32 v84, 5, v85
	v_ashrrev_i32_e32 v86, v26, v108
	v_lshrrev_b32_e32 v73, 4, v73
	v_or3_b32 v80, v80, v81, v82
	v_and_b32_e32 v81, 16, v83
	v_and_b32_e32 v82, 0x1000, v84
	v_lshlrev_b32_e32 v83, 4, v86
	v_lshlrev_b32_e32 v84, 11, v86
	s_wait_loadcnt 0x5
	v_and_b32_e32 v88, 0xf0f0f0f, v20
	v_and_b32_e32 v73, 0xf0f0f0f, v73
	v_lshlrev_b32_e32 v87, 2, v85
	v_and_b32_e32 v83, 16, v83
	v_and_b32_e32 v84, 0x1000, v84
	v_lshlrev_b32_e32 v85, 9, v85
	v_or3_b32 v73, v81, v73, v82
	v_and_b32_e32 v81, 0x100000, v87
	v_lshrrev_b32_e32 v20, 4, v20
	v_or3_b32 v83, v83, v88, v84
	v_ashrrev_i32_e32 v88, v26, v107
	v_and_b32_e32 v82, 0x10000000, v85
	v_lshrrev_b32_e32 v85, 12, v86
	v_lshrrev_b32_e32 v87, 5, v86
	v_and_b32_e32 v20, 0xf0f0f0f, v20
	v_lshlrev_b32_e32 v90, 4, v88
	v_lshlrev_b32_e32 v91, 11, v88
	v_and_b32_e32 v85, 16, v85
	v_and_b32_e32 v87, 0x1000, v87
	s_wait_loadcnt 0x4
	v_and_b32_e32 v93, 0xf0f0f0f, v21
	v_and_b32_e32 v90, 16, v90
	;; [unrolled: 1-line block ×3, first 2 shown]
	v_lshlrev_b32_e32 v89, 18, v86
	v_lshlrev_b32_e32 v92, 2, v86
	v_or3_b32 v20, v85, v20, v87
	v_lshrrev_b32_e32 v21, 4, v21
	v_or3_b32 v87, v90, v93, v91
	v_lshrrev_b32_e32 v90, 12, v88
	v_lshrrev_b32_e32 v91, 5, v88
	v_and_b32_e32 v84, 0x100000, v89
	v_lshlrev_b32_e32 v89, 25, v86
	v_lshlrev_b32_e32 v86, 9, v86
	v_and_b32_e32 v85, 0x100000, v92
	v_lshlrev_b32_e32 v92, 18, v88
	v_lshlrev_b32_e32 v93, 25, v88
	v_and_b32_e32 v21, 0xf0f0f0f, v21
	v_and_b32_e32 v90, 16, v90
	;; [unrolled: 1-line block ×3, first 2 shown]
	v_lshlrev_b32_e32 v94, 2, v88
	v_lshlrev_b32_e32 v88, 9, v88
	v_and_b32_e32 v89, 0x10000000, v89
	v_and_b32_e32 v86, 0x10000000, v86
	;; [unrolled: 1-line block ×4, first 2 shown]
	v_or3_b32 v21, v90, v21, v91
	v_and_b32_e32 v90, 0x100000, v94
	v_and_b32_e32 v88, 0x10000000, v88
	v_or3_b32 v73, v73, v81, v82
	v_or3_b32 v81, v83, v84, v89
	;; [unrolled: 1-line block ×5, first 2 shown]
	ds_store_2addr_b32 v12, v76, v77 offset1:1
	ds_store_2addr_b32 v13, v78, v79 offset1:1
	;; [unrolled: 1-line block ×5, first 2 shown]
	s_wait_loadcnt 0x3
	ds_store_b32 v67, v71
	s_wait_loadcnt 0x2
	ds_store_b32 v68, v72
	;; [unrolled: 2-line block ×4, first 2 shown]
	s_cbranch_scc0 .LBB184_4
; %bb.6:                                ;   in Loop: Header=BB184_5 Depth=1
	v_add_nc_u32_e32 v20, s16, v39
	s_delay_alu instid0(VALU_DEP_1)
	v_cmp_gt_i32_e64 s1, s6, v20
	s_and_b32 s19, s0, s1
	s_wait_alu 0xfffe
	s_and_saveexec_b32 s1, s19
	s_cbranch_execz .LBB184_8
; %bb.7:                                ;   in Loop: Header=BB184_5 Depth=1
	v_add_nc_u32_e32 v20, v57, v20
	s_delay_alu instid0(VALU_DEP_1)
	v_mad_co_i64_i32 v[20:21], null, v20, 36, v[18:19]
	global_load_b32 v20, v[20:21], off offset:4
	s_wait_loadcnt 0x0
	ds_store_b32 v53, v20
.LBB184_8:                              ;   in Loop: Header=BB184_5 Depth=1
	s_wait_alu 0xfffe
	s_or_b32 exec_lo, exec_lo, s1
	v_add_nc_u32_e32 v20, s16, v23
	s_delay_alu instid0(VALU_DEP_1)
	v_cmp_gt_i32_e64 s1, s6, v20
	s_and_b32 s19, s8, s1
	s_wait_alu 0xfffe
	s_and_saveexec_b32 s1, s19
	s_cbranch_execz .LBB184_10
; %bb.9:                                ;   in Loop: Header=BB184_5 Depth=1
	v_add_nc_u32_e32 v21, v57, v20
	s_delay_alu instid0(VALU_DEP_1)
	v_mad_co_i64_i32 v[71:72], null, v21, 36, s[2:3]
	global_load_b32 v21, v[71:72], off
	s_wait_loadcnt 0x0
	ds_store_b32 v54, v21
.LBB184_10:                             ;   in Loop: Header=BB184_5 Depth=1
	s_wait_alu 0xfffe
	s_or_b32 exec_lo, exec_lo, s1
	v_dual_mov_b32 v21, v51 :: v_dual_mov_b32 v72, v52
	v_dual_mov_b32 v71, v55 :: v_dual_mov_b32 v74, v60
	;; [unrolled: 1-line block ×3, first 2 shown]
	v_mov_b32_e32 v75, v59
	s_mov_b32 s1, -4
	s_wait_dscnt 0x0
	s_barrier_signal -1
	s_barrier_wait -1
	global_inv scope:SCOPE_SE
.LBB184_11:                             ;   Parent Loop BB184_5 Depth=1
                                        ; =>  This Inner Loop Header: Depth=2
	v_add_nc_u32_e32 v93, 0x2080, v71
	v_add_nc_u32_e32 v95, 0x2088, v71
	;; [unrolled: 1-line block ×3, first 2 shown]
	ds_load_2addr_b32 v[77:78], v21 offset0:3 offset1:4
	ds_load_2addr_b32 v[79:80], v21 offset0:5 offset1:6
	ds_load_2addr_b32 v[81:82], v71 offset1:1
	ds_load_2addr_b32 v[83:84], v21 offset0:1 offset1:2
	ds_load_2addr_b32 v[85:86], v21 offset1:7
	ds_load_b32 v117, v72
	ds_load_2addr_b32 v[87:88], v71 offset0:2 offset1:3
	ds_load_2addr_b32 v[89:90], v71 offset0:4 offset1:5
	;; [unrolled: 1-line block ×3, first 2 shown]
	v_add_nc_u32_e32 v99, 0x2098, v71
	v_add_nc_u32_e32 v101, 0x4100, v71
	;; [unrolled: 1-line block ×9, first 2 shown]
	ds_load_b32 v118, v73
	ds_load_b32 v119, v74
	;; [unrolled: 1-line block ×4, first 2 shown]
	ds_load_2addr_b32 v[93:94], v93 offset1:1
	ds_load_2addr_b32 v[95:96], v95 offset1:1
	;; [unrolled: 1-line block ×12, first 2 shown]
	s_wait_dscnt 0x18
	v_lshlrev_b32_e32 v122, 8, v78
	v_lshlrev_b32_e32 v129, 24, v78
	;; [unrolled: 1-line block ×3, first 2 shown]
	s_wait_dscnt 0x15
	v_lshlrev_b32_e32 v123, 8, v83
	v_lshlrev_b32_e32 v124, 8, v79
	;; [unrolled: 1-line block ×5, first 2 shown]
	s_wait_dscnt 0x14
	v_lshlrev_b32_e32 v128, 8, v86
	v_lshlrev_b32_e32 v131, 24, v83
	;; [unrolled: 1-line block ×12, first 2 shown]
	v_perm_b32 v146, v130, v129, 0xc0c0703
	v_perm_b32 v147, v78, v122, 0x7030c0c
	v_dot4_i32_iu8 v81, v85, v81, 0 neg_lo:[1,1,0]
	v_lshlrev_b32_e32 v142, 16, v86
	v_perm_b32 v143, v79, v83, 0x7030c0c
	v_perm_b32 v144, v80, v84, 0xc0c0703
	;; [unrolled: 1-line block ×3, first 2 shown]
	s_wait_dscnt 0xb
	v_dot4_i32_iu8 v93, v85, v93, 0 neg_lo:[1,1,0]
	s_wait_dscnt 0x7
	v_dot4_i32_iu8 v101, v85, v101, 0 neg_lo:[1,1,0]
	v_perm_b32 v148, v132, v131, 0xc0c0703
	v_perm_b32 v83, v83, v123, 0x7030c0c
	;; [unrolled: 1-line block ×11, first 2 shown]
	s_wait_dscnt 0x3
	v_perm_b32 v130, v109, v130, 0xc0c0503
	v_perm_b32 v132, v134, v132, 0x7030c0c
	s_wait_dscnt 0x2
	v_perm_b32 v134, v112, v111, 0x5010c0c
	v_perm_b32 v154, v85, v110, 0xc0c0501
	;; [unrolled: 1-line block ×13, first 2 shown]
	s_wait_dscnt 0x1
	v_perm_b32 v110, v114, v113, 0xc0c0602
	s_wait_dscnt 0x0
	v_perm_b32 v112, v116, v115, 0x6020c0c
	v_perm_b32 v123, v126, v125, 0xc0c0703
	;; [unrolled: 1-line block ×12, first 2 shown]
	v_or_b32_e32 v136, v147, v146
	v_or_b32_e32 v83, v83, v148
	;; [unrolled: 1-line block ×3, first 2 shown]
	v_perm_b32 v116, v142, v140, 0x7030c0c
	v_or_b32_e32 v84, v84, v150
	v_dot4_i32_iu8 v81, v136, v82, v81 neg_lo:[1,1,0]
	v_dot4_i32_iu8 v82, v136, v94, v93 neg_lo:[1,1,0]
	v_dot4_i32_iu8 v93, v136, v102, v101 neg_lo:[1,1,0]
	v_or_b32_e32 v130, v132, v130
	v_or_b32_e32 v132, v134, v154
	v_dot4_i32_iu8 v81, v83, v87, v81 neg_lo:[1,1,0]
	v_dot4_i32_iu8 v82, v83, v95, v82 neg_lo:[1,1,0]
	v_dot4_i32_iu8 v83, v83, v103, v93 neg_lo:[1,1,0]
	v_or_b32_e32 v134, v155, v156
	;; [unrolled: 5-line block ×3, first 2 shown]
	v_or_b32_e32 v80, v80, v151
	v_or_b32_e32 v129, v131, v129
	;; [unrolled: 1-line block ×9, first 2 shown]
	v_dot4_i32_iu8 v101, v130, v132, 0 neg_lo:[1,1,0]
	v_dot4_i32_iu8 v78, v78, v134, 0 neg_lo:[1,1,0]
	;; [unrolled: 1-line block ×5, first 2 shown]
	v_perm_b32 v153, v142, v141, 0xc0c0703
	v_or_b32_e32 v77, v77, v152
	v_or_b32_e32 v110, v112, v110
	;; [unrolled: 1-line block ×4, first 2 shown]
	v_dot4_i32_iu8 v85, v109, v85, 0 neg_lo:[1,1,0]
	v_dot4_i32_iu8 v83, v129, v131, 0 neg_lo:[1,1,0]
	;; [unrolled: 1-line block ×7, first 2 shown]
	v_or_b32_e32 v86, v86, v153
	v_dot4_i32_iu8 v85, v111, v110, v85 neg_lo:[1,1,0]
	v_dot4_i32_iu8 v80, v122, v112, v83 neg_lo:[1,1,0]
	v_add_nc_u32_e32 v78, v84, v78
	v_dot4_i32_iu8 v81, v77, v91, v81 neg_lo:[1,1,0]
	v_dot4_i32_iu8 v82, v77, v99, v82 neg_lo:[1,1,0]
	v_dot4_i32_iu8 v77, v77, v107, v79 neg_lo:[1,1,0]
	v_pk_mul_f16 v118, v117, v118
	v_add3_u32 v78, v80, v85, v78
	v_dot4_i32_iu8 v80, v86, v92, v81 neg_lo:[1,1,0]
	v_dot4_i32_iu8 v81, v86, v100, v82 neg_lo:[1,1,0]
	;; [unrolled: 1-line block ×3, first 2 shown]
	v_pk_mul_f16 v119, v117, v119
	v_pk_mul_f16 v79, v117, v120
	;; [unrolled: 1-line block ×3, first 2 shown]
	v_cvt_f32_i32_e32 v78, v78
	v_cvt_f32_i32_e32 v80, v80
	;; [unrolled: 1-line block ×4, first 2 shown]
	v_add_nc_u32_e32 v76, 4, v76
	v_fma_mix_f32 v78, v82, v78, v82 op_sel:[0,0,1] op_sel_hi:[1,0,1]
	v_fma_mix_f32 v80, v118, v80, v118 op_sel:[0,0,1] op_sel_hi:[1,0,1]
	v_fma_mix_f32 v81, v119, v81, v119 op_sel:[0,0,1] op_sel_hi:[1,0,1]
	v_fma_mix_f32 v77, v79, v77, v79 op_sel:[0,0,1] op_sel_hi:[1,0,1]
	v_add_nc_u32_e32 v75, 4, v75
	v_add_nc_u32_e32 v74, 4, v74
	;; [unrolled: 1-line block ×5, first 2 shown]
	v_dual_add_f32 v16, v16, v78 :: v_dual_add_nc_u32 v21, 32, v21
	v_add_f32_e32 v24, v24, v80
	v_add_f32_e32 v50, v50, v81
	;; [unrolled: 1-line block ×3, first 2 shown]
	s_wait_alu 0xfffe
	s_add_co_i32 s1, s1, 4
	s_wait_alu 0xfffe
	s_cmp_lt_u32 s1, 12
	s_cbranch_scc1 .LBB184_11
; %bb.12:                               ;   in Loop: Header=BB184_5 Depth=1
	s_bitset1_b32 s18, 7
	s_wait_loadcnt 0x0
	s_wait_alu 0xfffe
	s_cmp_ge_i32 s18, s5
	s_barrier_signal -1
	s_barrier_wait -1
	global_inv scope:SCOPE_SE
	s_cbranch_scc1 .LBB184_4
; %bb.13:                               ;   in Loop: Header=BB184_5 Depth=1
	v_add_nc_u32_e32 v21, s16, v56
	s_delay_alu instid0(VALU_DEP_1)
	v_cmp_gt_i32_e64 s1, s6, v21
	s_and_b32 s18, s0, s1
	s_wait_alu 0xfffe
	s_and_saveexec_b32 s1, s18
	s_cbranch_execz .LBB184_15
; %bb.14:                               ;   in Loop: Header=BB184_5 Depth=1
	v_add_nc_u32_e32 v21, v57, v21
	s_delay_alu instid0(VALU_DEP_1)
	v_mad_co_i64_i32 v[71:72], null, v21, 36, v[18:19]
	global_load_b32 v21, v[71:72], off offset:4
	s_wait_loadcnt 0x0
	ds_store_b32 v53, v21
.LBB184_15:                             ;   in Loop: Header=BB184_5 Depth=1
	s_wait_alu 0xfffe
	s_or_b32 exec_lo, exec_lo, s1
	s_and_saveexec_b32 s18, vcc_lo
	s_cbranch_execz .LBB184_18
; %bb.16:                               ;   in Loop: Header=BB184_5 Depth=1
	v_or_b32_e32 v21, 4, v20
	s_delay_alu instid0(VALU_DEP_1)
	v_cmp_gt_i32_e64 s1, s6, v21
	s_and_b32 s1, s0, s1
	s_wait_alu 0xfffe
	s_and_b32 exec_lo, exec_lo, s1
	s_cbranch_execz .LBB184_18
; %bb.17:                               ;   in Loop: Header=BB184_5 Depth=1
	v_ashrrev_i32_e32 v21, 31, v20
	v_add_co_u32 v20, s1, v57, v20
	s_wait_alu 0xf1ff
	s_delay_alu instid0(VALU_DEP_2) | instskip(NEXT) | instid1(VALU_DEP_2)
	v_add_co_ci_u32_e64 v71, null, v0, v21, s1
	v_mad_co_u64_u32 v[20:21], null, v20, 36, s[2:3]
	s_delay_alu instid0(VALU_DEP_1)
	v_mad_i32_i24 v21, v71, 36, v21
	global_load_b32 v20, v[20:21], off offset:144
	s_wait_loadcnt 0x0
	ds_store_b32 v54, v20
.LBB184_18:                             ;   in Loop: Header=BB184_5 Depth=1
	s_wait_alu 0xfffe
	s_or_b32 exec_lo, exec_lo, s18
	v_dual_mov_b32 v20, v52 :: v_dual_mov_b32 v21, v51
	v_dual_mov_b32 v71, v66 :: v_dual_mov_b32 v72, v65
	;; [unrolled: 1-line block ×3, first 2 shown]
	v_mov_b32_e32 v75, v62
	s_mov_b32 s1, 12
	s_wait_loadcnt_dscnt 0x0
	s_barrier_signal -1
	s_barrier_wait -1
	global_inv scope:SCOPE_SE
.LBB184_19:                             ;   Parent Loop BB184_5 Depth=1
                                        ; =>  This Inner Loop Header: Depth=2
	v_add_nc_u32_e32 v92, 0x2080, v71
	v_add_nc_u32_e32 v94, 0x2088, v71
	ds_load_2addr_b32 v[76:77], v21 offset1:7
	ds_load_2addr_b32 v[78:79], v21 offset0:3 offset1:4
	ds_load_2addr_b32 v[80:81], v21 offset0:5 offset1:6
	;; [unrolled: 1-line block ×3, first 2 shown]
	ds_load_b32 v116, v20
	ds_load_2addr_b32 v[84:85], v71 offset1:1
	ds_load_2addr_b32 v[86:87], v71 offset0:2 offset1:3
	ds_load_2addr_b32 v[88:89], v71 offset0:4 offset1:5
	ds_load_2addr_b32 v[90:91], v71 offset0:6 offset1:7
	v_add_nc_u32_e32 v96, 0x2090, v71
	v_add_nc_u32_e32 v98, 0x2098, v71
	;; [unrolled: 1-line block ×10, first 2 shown]
	ds_load_b32 v117, v72
	ds_load_b32 v118, v73
	;; [unrolled: 1-line block ×4, first 2 shown]
	ds_load_2addr_b32 v[92:93], v92 offset1:1
	ds_load_2addr_b32 v[94:95], v94 offset1:1
	;; [unrolled: 1-line block ×12, first 2 shown]
	s_wait_dscnt 0x17
	v_lshlrev_b32_e32 v121, 8, v79
	v_lshlrev_b32_e32 v128, 24, v79
	;; [unrolled: 1-line block ×3, first 2 shown]
	s_wait_dscnt 0x15
	v_lshlrev_b32_e32 v122, 8, v82
	v_lshlrev_b32_e32 v123, 8, v80
	;; [unrolled: 1-line block ×17, first 2 shown]
	v_perm_b32 v145, v129, v128, 0xc0c0703
	v_perm_b32 v146, v79, v121, 0x7030c0c
	s_wait_dscnt 0x13
	v_dot4_i32_iu8 v84, v76, v84, 0 neg_lo:[1,1,0]
	v_lshlrev_b32_e32 v141, 16, v77
	v_perm_b32 v142, v80, v82, 0x7030c0c
	v_perm_b32 v143, v81, v83, 0xc0c0703
	;; [unrolled: 1-line block ×3, first 2 shown]
	s_wait_dscnt 0xb
	v_dot4_i32_iu8 v92, v76, v92, 0 neg_lo:[1,1,0]
	s_wait_dscnt 0x7
	v_dot4_i32_iu8 v100, v76, v100, 0 neg_lo:[1,1,0]
	v_perm_b32 v147, v131, v130, 0xc0c0703
	v_perm_b32 v82, v82, v122, 0x7030c0c
	;; [unrolled: 1-line block ×11, first 2 shown]
	s_wait_dscnt 0x3
	v_perm_b32 v129, v108, v129, 0xc0c0503
	v_perm_b32 v131, v133, v131, 0x7030c0c
	s_wait_dscnt 0x2
	v_perm_b32 v133, v111, v110, 0x5010c0c
	v_perm_b32 v153, v76, v109, 0xc0c0501
	;; [unrolled: 1-line block ×13, first 2 shown]
	s_wait_dscnt 0x1
	v_perm_b32 v109, v113, v112, 0xc0c0602
	s_wait_dscnt 0x0
	v_perm_b32 v111, v115, v114, 0x6020c0c
	v_perm_b32 v122, v125, v124, 0xc0c0703
	;; [unrolled: 1-line block ×12, first 2 shown]
	v_or_b32_e32 v135, v146, v145
	v_or_b32_e32 v82, v82, v147
	;; [unrolled: 1-line block ×3, first 2 shown]
	v_perm_b32 v115, v141, v139, 0x7030c0c
	v_or_b32_e32 v83, v83, v149
	v_dot4_i32_iu8 v84, v135, v85, v84 neg_lo:[1,1,0]
	v_dot4_i32_iu8 v85, v135, v93, v92 neg_lo:[1,1,0]
	v_dot4_i32_iu8 v92, v135, v101, v100 neg_lo:[1,1,0]
	v_or_b32_e32 v129, v131, v129
	v_or_b32_e32 v131, v133, v153
	v_dot4_i32_iu8 v84, v82, v86, v84 neg_lo:[1,1,0]
	v_dot4_i32_iu8 v85, v82, v94, v85 neg_lo:[1,1,0]
	v_dot4_i32_iu8 v82, v82, v102, v92 neg_lo:[1,1,0]
	v_or_b32_e32 v133, v154, v155
	v_or_b32_e32 v79, v142, v79
	v_dot4_i32_iu8 v84, v80, v87, v84 neg_lo:[1,1,0]
	v_dot4_i32_iu8 v85, v80, v95, v85 neg_lo:[1,1,0]
	v_dot4_i32_iu8 v80, v80, v103, v82 neg_lo:[1,1,0]
	v_or_b32_e32 v134, v144, v143
	v_or_b32_e32 v81, v81, v150
	v_or_b32_e32 v128, v130, v128
	;; [unrolled: 1-line block ×9, first 2 shown]
	v_dot4_i32_iu8 v100, v129, v131, 0 neg_lo:[1,1,0]
	v_dot4_i32_iu8 v79, v79, v133, 0 neg_lo:[1,1,0]
	;; [unrolled: 1-line block ×5, first 2 shown]
	v_perm_b32 v152, v141, v140, 0xc0c0703
	v_or_b32_e32 v78, v78, v151
	v_or_b32_e32 v109, v111, v109
	;; [unrolled: 1-line block ×4, first 2 shown]
	v_dot4_i32_iu8 v76, v108, v76, 0 neg_lo:[1,1,0]
	v_dot4_i32_iu8 v82, v128, v130, 0 neg_lo:[1,1,0]
	;; [unrolled: 1-line block ×7, first 2 shown]
	v_or_b32_e32 v77, v77, v152
	v_dot4_i32_iu8 v76, v110, v109, v76 neg_lo:[1,1,0]
	v_dot4_i32_iu8 v81, v121, v111, v82 neg_lo:[1,1,0]
	v_add_nc_u32_e32 v79, v83, v79
	v_dot4_i32_iu8 v82, v78, v90, v84 neg_lo:[1,1,0]
	v_dot4_i32_iu8 v83, v78, v98, v85 neg_lo:[1,1,0]
	;; [unrolled: 1-line block ×3, first 2 shown]
	v_pk_mul_f16 v117, v116, v117
	v_add3_u32 v76, v81, v76, v79
	v_dot4_i32_iu8 v79, v77, v91, v82 neg_lo:[1,1,0]
	v_dot4_i32_iu8 v81, v77, v99, v83 neg_lo:[1,1,0]
	v_dot4_i32_iu8 v77, v77, v107, v78 neg_lo:[1,1,0]
	v_pk_mul_f16 v118, v116, v118
	v_pk_mul_f16 v80, v116, v119
	;; [unrolled: 1-line block ×3, first 2 shown]
	v_cvt_f32_i32_e32 v76, v76
	v_cvt_f32_i32_e32 v79, v79
	;; [unrolled: 1-line block ×4, first 2 shown]
	v_add_nc_u32_e32 v74, 4, v74
	v_fma_mix_f32 v76, v78, v76, v78 op_sel:[0,0,1] op_sel_hi:[1,0,1]
	v_fma_mix_f32 v78, v117, v79, v117 op_sel:[0,0,1] op_sel_hi:[1,0,1]
	;; [unrolled: 1-line block ×4, first 2 shown]
	s_delay_alu instid0(VALU_DEP_4) | instskip(NEXT) | instid1(VALU_DEP_4)
	v_dual_add_f32 v16, v16, v76 :: v_dual_add_nc_u32 v75, 4, v75
	v_dual_add_f32 v24, v24, v78 :: v_dual_add_nc_u32 v73, 4, v73
	v_add_nc_u32_e32 v72, 4, v72
	s_delay_alu instid0(VALU_DEP_4)
	v_dual_add_f32 v46, v46, v77 :: v_dual_add_nc_u32 v71, 32, v71
	v_add_nc_u32_e32 v21, 32, v21
	v_add_nc_u32_e32 v20, 4, v20
	v_add_f32_e32 v50, v50, v79
	s_wait_alu 0xfffe
	s_add_co_i32 s1, s1, 4
	s_wait_alu 0xfffe
	s_cmp_lt_u32 s1, 28
	s_cbranch_scc1 .LBB184_19
; %bb.20:                               ;   in Loop: Header=BB184_5 Depth=1
	s_wait_loadcnt 0x0
	s_barrier_signal -1
	s_barrier_wait -1
	global_inv scope:SCOPE_SE
	s_branch .LBB184_4
.LBB184_21:
	s_mul_i32 s0, s10, s7
	s_wait_loadcnt 0x0
	s_wait_alu 0xfffe
	v_cmp_gt_i32_e32 vcc_lo, s0, v22
	s_and_saveexec_b32 s0, vcc_lo
	s_cbranch_execz .LBB184_30
; %bb.22:
	v_mul_lo_u32 v0, v22, s9
	v_add_nc_u32_e32 v1, s11, v23
	s_mov_b32 s0, exec_lo
	s_delay_alu instid0(VALU_DEP_1)
	v_cmpx_gt_u32_e64 s9, v1
	s_cbranch_execz .LBB184_24
; %bb.23:
	s_delay_alu instid0(VALU_DEP_3) | instskip(NEXT) | instid1(VALU_DEP_1)
	v_dual_mov_b32 v3, 0 :: v_dual_add_nc_u32 v2, v0, v1
	v_lshlrev_b64_e32 v[2:3], 2, v[2:3]
	s_delay_alu instid0(VALU_DEP_1) | instskip(SKIP_1) | instid1(VALU_DEP_2)
	v_add_co_u32 v2, vcc_lo, s12, v2
	s_wait_alu 0xfffd
	v_add_co_ci_u32_e64 v3, null, s13, v3, vcc_lo
	global_store_b32 v[2:3], v24, off
.LBB184_24:
	s_wait_alu 0xfffe
	s_or_b32 exec_lo, exec_lo, s0
	v_add_nc_u32_e32 v2, 32, v1
	s_mov_b32 s0, exec_lo
	s_delay_alu instid0(VALU_DEP_1)
	v_cmpx_gt_u32_e64 s9, v2
	s_cbranch_execz .LBB184_26
; %bb.25:
	v_dual_mov_b32 v3, 0 :: v_dual_add_nc_u32 v2, v0, v2
	s_delay_alu instid0(VALU_DEP_1) | instskip(NEXT) | instid1(VALU_DEP_1)
	v_lshlrev_b64_e32 v[2:3], 2, v[2:3]
	v_add_co_u32 v2, vcc_lo, s12, v2
	s_wait_alu 0xfffd
	s_delay_alu instid0(VALU_DEP_2)
	v_add_co_ci_u32_e64 v3, null, s13, v3, vcc_lo
	global_store_b32 v[2:3], v50, off
.LBB184_26:
	s_wait_alu 0xfffe
	s_or_b32 exec_lo, exec_lo, s0
	v_add_nc_u32_e32 v2, 64, v1
	s_mov_b32 s0, exec_lo
	s_delay_alu instid0(VALU_DEP_1)
	v_cmpx_gt_u32_e64 s9, v2
	s_cbranch_execz .LBB184_28
; %bb.27:
	v_dual_mov_b32 v3, 0 :: v_dual_add_nc_u32 v2, v0, v2
	s_delay_alu instid0(VALU_DEP_1) | instskip(NEXT) | instid1(VALU_DEP_1)
	v_lshlrev_b64_e32 v[2:3], 2, v[2:3]
	v_add_co_u32 v2, vcc_lo, s12, v2
	s_wait_alu 0xfffd
	s_delay_alu instid0(VALU_DEP_2)
	v_add_co_ci_u32_e64 v3, null, s13, v3, vcc_lo
	global_store_b32 v[2:3], v46, off
.LBB184_28:
	s_wait_alu 0xfffe
	s_or_b32 exec_lo, exec_lo, s0
	v_add_nc_u32_e32 v1, 0x60, v1
	s_delay_alu instid0(VALU_DEP_1)
	v_cmp_gt_u32_e32 vcc_lo, s9, v1
	s_and_b32 exec_lo, exec_lo, vcc_lo
	s_cbranch_execz .LBB184_30
; %bb.29:
	v_dual_mov_b32 v1, 0 :: v_dual_add_nc_u32 v0, v0, v1
	s_delay_alu instid0(VALU_DEP_1) | instskip(NEXT) | instid1(VALU_DEP_1)
	v_lshlrev_b64_e32 v[0:1], 2, v[0:1]
	v_add_co_u32 v0, vcc_lo, s12, v0
	s_wait_alu 0xfffd
	s_delay_alu instid0(VALU_DEP_2)
	v_add_co_ci_u32_e64 v1, null, s13, v1, vcc_lo
	global_store_b32 v[0:1], v16, off
.LBB184_30:
	s_nop 0
	s_sendmsg sendmsg(MSG_DEALLOC_VGPRS)
	s_endpgm
	.section	.rodata,"a",@progbits
	.p2align	6, 0x0
	.amdhsa_kernel _ZL8moe_q5_1IfLb1EEvPKvS1_PT_PKiS5_S5_iiiiiii
		.amdhsa_group_segment_fixed_size 38656
		.amdhsa_private_segment_fixed_size 0
		.amdhsa_kernarg_size 76
		.amdhsa_user_sgpr_count 2
		.amdhsa_user_sgpr_dispatch_ptr 0
		.amdhsa_user_sgpr_queue_ptr 0
		.amdhsa_user_sgpr_kernarg_segment_ptr 1
		.amdhsa_user_sgpr_dispatch_id 0
		.amdhsa_user_sgpr_private_segment_size 0
		.amdhsa_wavefront_size32 1
		.amdhsa_uses_dynamic_stack 0
		.amdhsa_enable_private_segment 0
		.amdhsa_system_sgpr_workgroup_id_x 1
		.amdhsa_system_sgpr_workgroup_id_y 1
		.amdhsa_system_sgpr_workgroup_id_z 0
		.amdhsa_system_sgpr_workgroup_info 0
		.amdhsa_system_vgpr_workitem_id 1
		.amdhsa_next_free_vgpr 217
		.amdhsa_next_free_sgpr 21
		.amdhsa_reserve_vcc 1
		.amdhsa_float_round_mode_32 0
		.amdhsa_float_round_mode_16_64 0
		.amdhsa_float_denorm_mode_32 3
		.amdhsa_float_denorm_mode_16_64 3
		.amdhsa_fp16_overflow 0
		.amdhsa_workgroup_processor_mode 1
		.amdhsa_memory_ordered 1
		.amdhsa_forward_progress 1
		.amdhsa_inst_pref_size 70
		.amdhsa_round_robin_scheduling 0
		.amdhsa_exception_fp_ieee_invalid_op 0
		.amdhsa_exception_fp_denorm_src 0
		.amdhsa_exception_fp_ieee_div_zero 0
		.amdhsa_exception_fp_ieee_overflow 0
		.amdhsa_exception_fp_ieee_underflow 0
		.amdhsa_exception_fp_ieee_inexact 0
		.amdhsa_exception_int_div_zero 0
	.end_amdhsa_kernel
	.section	.text._ZL8moe_q5_1IfLb1EEvPKvS1_PT_PKiS5_S5_iiiiiii,"axG",@progbits,_ZL8moe_q5_1IfLb1EEvPKvS1_PT_PKiS5_S5_iiiiiii,comdat
.Lfunc_end184:
	.size	_ZL8moe_q5_1IfLb1EEvPKvS1_PT_PKiS5_S5_iiiiiii, .Lfunc_end184-_ZL8moe_q5_1IfLb1EEvPKvS1_PT_PKiS5_S5_iiiiiii
                                        ; -- End function
	.set _ZL8moe_q5_1IfLb1EEvPKvS1_PT_PKiS5_S5_iiiiiii.num_vgpr, 180
	.set _ZL8moe_q5_1IfLb1EEvPKvS1_PT_PKiS5_S5_iiiiiii.num_agpr, 0
	.set _ZL8moe_q5_1IfLb1EEvPKvS1_PT_PKiS5_S5_iiiiiii.numbered_sgpr, 21
	.set _ZL8moe_q5_1IfLb1EEvPKvS1_PT_PKiS5_S5_iiiiiii.num_named_barrier, 0
	.set _ZL8moe_q5_1IfLb1EEvPKvS1_PT_PKiS5_S5_iiiiiii.private_seg_size, 0
	.set _ZL8moe_q5_1IfLb1EEvPKvS1_PT_PKiS5_S5_iiiiiii.uses_vcc, 1
	.set _ZL8moe_q5_1IfLb1EEvPKvS1_PT_PKiS5_S5_iiiiiii.uses_flat_scratch, 0
	.set _ZL8moe_q5_1IfLb1EEvPKvS1_PT_PKiS5_S5_iiiiiii.has_dyn_sized_stack, 0
	.set _ZL8moe_q5_1IfLb1EEvPKvS1_PT_PKiS5_S5_iiiiiii.has_recursion, 0
	.set _ZL8moe_q5_1IfLb1EEvPKvS1_PT_PKiS5_S5_iiiiiii.has_indirect_call, 0
	.section	.AMDGPU.csdata,"",@progbits
; Kernel info:
; codeLenInByte = 8908
; TotalNumSgprs: 23
; NumVgprs: 180
; ScratchSize: 0
; MemoryBound: 0
; FloatMode: 240
; IeeeMode: 1
; LDSByteSize: 38656 bytes/workgroup (compile time only)
; SGPRBlocks: 0
; VGPRBlocks: 27
; NumSGPRsForWavesPerEU: 23
; NumVGPRsForWavesPerEU: 217
; Occupancy: 6
; WaveLimiterHint : 1
; COMPUTE_PGM_RSRC2:SCRATCH_EN: 0
; COMPUTE_PGM_RSRC2:USER_SGPR: 2
; COMPUTE_PGM_RSRC2:TRAP_HANDLER: 0
; COMPUTE_PGM_RSRC2:TGID_X_EN: 1
; COMPUTE_PGM_RSRC2:TGID_Y_EN: 1
; COMPUTE_PGM_RSRC2:TGID_Z_EN: 0
; COMPUTE_PGM_RSRC2:TIDIG_COMP_CNT: 1
	.section	.text._ZL8moe_q8_0IfLb0EEvPKvS1_PT_PKiS5_S5_iiiiiii,"axG",@progbits,_ZL8moe_q8_0IfLb0EEvPKvS1_PT_PKiS5_S5_iiiiiii,comdat
	.globl	_ZL8moe_q8_0IfLb0EEvPKvS1_PT_PKiS5_S5_iiiiiii ; -- Begin function _ZL8moe_q8_0IfLb0EEvPKvS1_PT_PKiS5_S5_iiiiiii
	.p2align	8
	.type	_ZL8moe_q8_0IfLb0EEvPKvS1_PT_PKiS5_S5_iiiiiii,@function
_ZL8moe_q8_0IfLb0EEvPKvS1_PT_PKiS5_S5_iiiiiii: ; @_ZL8moe_q8_0IfLb0EEvPKvS1_PT_PKiS5_S5_iiiiiii
; %bb.0:
	s_load_b128 s[4:7], s[0:1], 0x18
	s_mov_b32 s2, ttmp7
	s_mov_b32 s3, 0
	s_delay_alu instid0(SALU_CYCLE_1)
	s_lshl_b64 s[2:3], s[2:3], 2
	s_wait_kmcnt 0x0
	s_add_nc_u64 s[2:3], s[6:7], s[2:3]
	s_load_b32 s12, s[2:3], 0x0
	s_wait_kmcnt 0x0
	s_cmp_gt_u32 s12, 0xff
	s_cbranch_scc1 .LBB185_22
; %bb.1:
	s_load_b64 s[2:3], s[0:1], 0x28
	s_wait_kmcnt 0x0
	s_load_b32 s3, s[2:3], 0x0
	s_lshl_b32 s2, ttmp7, 3
	s_wait_kmcnt 0x0
	s_cmp_gt_u32 s2, s3
	s_cbranch_scc1 .LBB185_22
; %bb.2:
	v_bfe_u32 v40, v0, 10, 10
	v_mov_b32_e32 v2, 0
	s_lshl_b32 s18, ttmp9, 7
	s_delay_alu instid0(VALU_DEP_1) | instskip(SKIP_1) | instid1(VALU_DEP_2)
	v_dual_mov_b32 v20, v2 :: v_dual_add_nc_u32 v1, s2, v40
	v_dual_mov_b32 v32, v2 :: v_dual_mov_b32 v5, v2
	v_lshlrev_b64_e32 v[3:4], 2, v[1:2]
	s_delay_alu instid0(VALU_DEP_1) | instskip(NEXT) | instid1(VALU_DEP_1)
	v_add_co_u32 v3, vcc_lo, s4, v3
	v_add_co_ci_u32_e64 v4, null, s5, v4, vcc_lo
	global_load_b32 v3, v[3:4], off
	s_clause 0x2
	s_load_b64 s[10:11], s[0:1], 0x30
	s_load_b64 s[8:9], s[0:1], 0x10
	s_load_b128 s[4:7], s[0:1], 0x3c
	v_and_b32_e32 v4, 0x3ff, v0
	s_wait_kmcnt 0x0
	s_cmp_lt_i32 s11, 32
	s_cbranch_scc1 .LBB185_13
; %bb.3:
	s_ashr_i32 s13, s11, 31
	s_abs_i32 s16, s7
	s_lshr_b32 s13, s13, 27
	s_mul_i32 s12, s12, s10
	s_add_co_i32 s13, s11, s13
	s_ashr_i32 s14, s5, 31
	s_ashr_i32 s10, s13, 5
	s_cvt_f32_u32 s13, s16
	s_lshr_b32 s14, s14, 27
	s_wait_loadcnt 0x0
	v_sub_nc_u32_e32 v17, 0, v3
	s_add_co_i32 s5, s5, s14
	v_rcp_iflag_f32_e32 v14, s13
	s_sub_co_i32 s19, 0, s16
	v_bfe_u32 v15, v0, 2, 8
	v_max_i32_e32 v33, v3, v17
	v_xor_b32_e32 v16, s7, v3
	v_bfe_u32 v6, v0, 3, 7
	v_dual_mov_b32 v5, 0 :: v_dual_and_b32 v8, 3, v0
	v_mul_lo_u32 v7, s10, v40
	s_delay_alu instid0(VALU_DEP_4) | instskip(NEXT) | instid1(TRANS32_DEP_1)
	v_ashrrev_i32_e32 v41, 31, v16
	v_readfirstlane_b32 s14, v14
	s_lshl_b32 s17, s10, 3
	v_lshlrev_b32_e32 v32, 2, v8
	v_lshlrev_b32_e32 v45, 4, v4
	;; [unrolled: 1-line block ×3, first 2 shown]
	s_mul_f32 s15, s14, 0x4f7ffffe
	v_add_nc_u32_e32 v9, s17, v7
	s_load_b128 s[0:3], s[0:1], 0x0
	s_mul_i32 s14, s10, s18
	s_cvt_u32_f32 s20, s15
	s_ashr_i32 s13, s12, 31
	s_ashr_i32 s15, s14, 31
	s_ashr_i32 s5, s5, 5
	s_mul_i32 s19, s19, s20
	v_lshlrev_b32_e32 v50, 4, v40
	s_mul_hi_u32 s19, s20, s19
	s_mul_u64 s[14:15], s[14:15], 34
	s_add_co_i32 s20, s20, s19
	s_delay_alu instid0(SALU_CYCLE_1) | instskip(SKIP_3) | instid1(VALU_DEP_1)
	v_mul_hi_u32 v35, v33, s20
	s_wait_kmcnt 0x0
	s_wait_alu 0xfffe
	s_add_nc_u64 s[0:1], s[0:1], s[12:13]
	v_mul_lo_u32 v34, v35, s16
	v_add_nc_u32_e32 v38, 1, v35
	s_add_nc_u64 s[12:13], s[0:1], s[14:15]
	v_cmp_gt_u32_e64 s0, 4, v4
	s_mov_b32 s15, 0
	s_delay_alu instid0(SALU_CYCLE_1) | instskip(SKIP_1) | instid1(VALU_DEP_1)
	s_mov_b32 s14, s15
	v_sub_nc_u32_e32 v36, v33, v34
	v_subrev_nc_u32_e32 v39, s16, v36
	v_cmp_le_u32_e32 vcc_lo, s16, v36
	v_lshlrev_b32_e32 v1, 2, v4
	s_wait_alu 0xfffd
	s_delay_alu instid0(VALU_DEP_3) | instskip(SKIP_1) | instid1(VALU_DEP_2)
	v_dual_cndmask_b32 v39, v36, v39 :: v_dual_lshlrev_b32 v2, 3, v40
	v_cndmask_b32_e32 v38, v35, v38, vcc_lo
	v_add_nc_u32_e32 v20, v15, v2
	v_add_nc_u16 v2, v15, v2
	v_and_b32_e32 v12, 28, v1
	v_cmp_le_u32_e32 vcc_lo, s16, v39
	v_add_nc_u32_e32 v42, 1, v38
	v_and_b32_e32 v0, 31, v0
	v_mul_lo_u32 v29, s10, v20
	v_lshlrev_b32_e32 v47, 4, v20
	s_wait_alu 0xfffd
	v_dual_cndmask_b32 v39, v38, v42 :: v_dual_add_nc_u32 v20, 64, v20
	v_lshrrev_b16 v2, 1, v2
	v_lshl_add_u32 v38, v40, 7, 0x4a40
	v_mad_u32_u24 v13, 0x84, v40, v1
	s_delay_alu instid0(VALU_DEP_4)
	v_lshrrev_b32_e32 v37, 1, v20
	v_xor_b32_e32 v42, v39, v41
	v_and_b32_e32 v2, 0x1ffc, v2
	v_add_nc_u32_e32 v49, 0x4e40, v1
	v_lshl_add_u32 v39, v0, 2, v38
	v_and_b32_e32 v43, 0x3ffc, v37
	v_sub_nc_u32_e32 v0, v42, v41
	v_add_nc_u32_e32 v1, 0x60, v4
	v_add_nc_u32_e32 v41, 64, v4
	;; [unrolled: 1-line block ×3, first 2 shown]
	v_add3_u32 v2, v2, v32, 0x4200
	v_add3_u32 v32, v43, v32, 0x4200
	v_lshrrev_b32_e32 v1, 1, v1
	v_lshrrev_b32_e32 v43, 1, v41
	;; [unrolled: 1-line block ×3, first 2 shown]
	v_lshlrev_b32_e32 v20, 4, v20
	v_add_nc_u32_e32 v47, v2, v47
	v_and_b32_e32 v44, 0xfc, v1
	v_and_b32_e32 v43, 0xfc, v43
	;; [unrolled: 1-line block ×3, first 2 shown]
	v_mul_lo_u32 v41, v0, s5
	v_cmp_gt_i32_e32 vcc_lo, s4, v0
	v_add3_u32 v42, v45, v44, 0x4800
	v_add3_u32 v43, v45, v43, 0x4600
	;; [unrolled: 1-line block ×4, first 2 shown]
	v_add_nc_u32_e32 v48, v32, v20
	v_mov_b32_e32 v32, 0
	v_add_nc_u32_e32 v10, s17, v9
	v_mov_b32_e32 v20, 0
	v_add_co_u32 v0, s1, s2, v12
	s_delay_alu instid0(VALU_DEP_3)
	v_dual_mov_b32 v2, 0 :: v_dual_add_nc_u32 v11, s17, v10
	v_add_nc_u32_e32 v17, 0x2100, v13
	v_add_nc_u32_e32 v19, 0x2520, v13
	;; [unrolled: 1-line block ×10, first 2 shown]
	v_lshl_add_u32 v34, s10, 6, v29
	v_mul_u32_u24_e32 v40, 0x84, v4
	v_add_co_ci_u32_e64 v1, null, s3, 0, s1
	s_delay_alu instid0(VALU_DEP_4) | instskip(SKIP_3) | instid1(VALU_DEP_3)
	v_add_nc_u32_e32 v16, s17, v15
	v_add_nc_u32_e32 v46, 0x4e40, v50
	;; [unrolled: 1-line block ×3, first 2 shown]
	s_and_b32 s1, s0, vcc_lo
	v_add_nc_u32_e32 v18, s17, v16
	s_delay_alu instid0(VALU_DEP_1) | instskip(NEXT) | instid1(VALU_DEP_1)
	v_add_nc_u32_e32 v22, s17, v18
	v_add_nc_u32_e32 v26, s17, v22
	s_delay_alu instid0(VALU_DEP_1) | instskip(NEXT) | instid1(VALU_DEP_1)
	v_add_nc_u32_e32 v30, s17, v26
	;; [unrolled: 3-line block ×4, first 2 shown]
	v_add_nc_u32_e32 v37, s17, v36
	s_branch .LBB185_5
.LBB185_4:                              ;   in Loop: Header=BB185_5 Depth=1
	s_add_co_i32 s14, s14, 4
	s_wait_alu 0xfffe
	s_cmp_ge_i32 s14, s10
	s_cbranch_scc1 .LBB185_13
.LBB185_5:                              ; =>This Loop Header: Depth=1
                                        ;     Child Loop BB185_11 Depth 2
	s_mul_u64 s[16:17], s[14:15], 34
	s_wait_alu 0xfffe
	s_add_nc_u64 s[16:17], s[12:13], s[16:17]
	s_wait_alu 0xfffe
	v_mad_co_u64_u32 v[50:51], null, v6, 34, s[16:17]
	s_delay_alu instid0(VALU_DEP_1) | instskip(SKIP_3) | instid1(VALU_DEP_4)
	v_mad_co_u64_u32 v[52:53], null, v7, 34, v[50:51]
	v_mad_co_u64_u32 v[54:55], null, v9, 34, v[50:51]
	;; [unrolled: 1-line block ×4, first 2 shown]
	v_add_co_u32 v52, s0, v52, v12
	v_mad_co_u64_u32 v[60:61], null, v14, 34, v[50:51]
	s_wait_alu 0xf1ff
	v_add_co_ci_u32_e64 v53, null, 0, v53, s0
	v_add_co_u32 v54, s0, v54, v12
	v_mad_co_u64_u32 v[62:63], null, v15, 34, v[50:51]
	s_wait_alu 0xf1ff
	v_add_co_ci_u32_e64 v55, null, 0, v55, s0
	;; [unrolled: 4-line block ×4, first 2 shown]
	v_add_co_u32 v60, s0, v60, v12
	s_wait_alu 0xf1ff
	v_add_co_ci_u32_e64 v61, null, 0, v61, s0
	v_add_co_u32 v62, s0, v62, v12
	s_wait_alu 0xf1ff
	v_add_co_ci_u32_e64 v63, null, 0, v63, s0
	;; [unrolled: 3-line block ×3, first 2 shown]
	v_add_co_u32 v66, s0, v66, v12
	v_mad_co_u64_u32 v[68:69], null, v22, 34, v[50:51]
	s_wait_alu 0xf1ff
	v_add_co_ci_u32_e64 v67, null, 0, v67, s0
	s_clause 0x7
	global_load_b32 v70, v[52:53], off offset:2
	global_load_b32 v71, v[54:55], off offset:2
	;; [unrolled: 1-line block ×8, first 2 shown]
	v_mad_co_u64_u32 v[52:53], null, v26, 34, v[50:51]
	v_mad_co_u64_u32 v[56:57], null, v30, 34, v[50:51]
	;; [unrolled: 1-line block ×4, first 2 shown]
	v_add_co_u32 v54, s0, v68, v12
	v_mad_co_u64_u32 v[60:61], null, v33, 34, v[50:51]
	s_wait_alu 0xf1ff
	v_add_co_ci_u32_e64 v55, null, 0, v69, s0
	v_add_co_u32 v52, s0, v52, v12
	v_mad_co_u64_u32 v[64:65], null, v35, 34, v[50:51]
	s_wait_alu 0xf1ff
	v_add_co_ci_u32_e64 v53, null, 0, v53, s0
	v_add_co_u32 v56, s0, v56, v12
	v_mad_co_u64_u32 v[66:67], null, v36, 34, v[50:51]
	v_mad_co_u64_u32 v[68:69], null, v29, 34, v[62:63]
	;; [unrolled: 1-line block ×3, first 2 shown]
	s_wait_alu 0xf1ff
	v_add_co_ci_u32_e64 v57, null, 0, v57, s0
	v_add_co_u32 v58, s0, v58, v12
	v_mad_co_u64_u32 v[50:51], null, v37, 34, v[50:51]
	s_wait_alu 0xf1ff
	v_add_co_ci_u32_e64 v59, null, 0, v59, s0
	v_add_co_u32 v60, s0, v60, v12
	s_wait_alu 0xf1ff
	v_add_co_ci_u32_e64 v61, null, 0, v61, s0
	v_add_co_u32 v64, s0, v64, v12
	s_wait_alu 0xf1ff
	v_add_co_ci_u32_e64 v65, null, 0, v65, s0
	s_clause 0x1
	global_load_u16 v68, v[68:69], off
	global_load_u16 v69, v[62:63], off
	v_add_co_u32 v62, s0, v66, v12
	s_wait_alu 0xf1ff
	v_add_co_ci_u32_e64 v63, null, 0, v67, s0
	v_add_co_u32 v50, s0, v50, v12
	s_wait_alu 0xf1ff
	v_add_co_ci_u32_e64 v51, null, 0, v51, s0
	s_clause 0x7
	global_load_b32 v54, v[54:55], off offset:2
	global_load_b32 v52, v[52:53], off offset:2
	global_load_b32 v53, v[56:57], off offset:2
	global_load_b32 v55, v[58:59], off offset:2
	global_load_b32 v56, v[60:61], off offset:2
	global_load_b32 v57, v[64:65], off offset:2
	global_load_b32 v58, v[62:63], off offset:2
	global_load_b32 v50, v[50:51], off offset:2
	s_lshl_b32 s0, s14, 5
	v_add_nc_u32_e32 v51, 0x420, v13
	v_add_nc_u32_e32 v59, 0x840, v13
	;; [unrolled: 1-line block ×3, first 2 shown]
	s_wait_alu 0xfffe
	s_cmp_ge_i32 s0, s11
	v_add_nc_u32_e32 v61, 0x1080, v13
	v_add_nc_u32_e32 v62, 0x14a0, v13
	;; [unrolled: 1-line block ×4, first 2 shown]
	s_wait_loadcnt 0x9
	v_cvt_f32_f16_e32 v65, v68
	s_wait_loadcnt 0x8
	v_cvt_f32_f16_e32 v66, v69
	ds_store_b32 v13, v70
	ds_store_b32 v51, v71
	;; [unrolled: 1-line block ×8, first 2 shown]
	s_wait_loadcnt 0x7
	ds_store_b32 v17, v54
	s_wait_loadcnt 0x6
	ds_store_b32 v19, v52
	;; [unrolled: 2-line block ×8, first 2 shown]
	ds_store_b32 v47, v65
	ds_store_b32 v48, v66
	s_cbranch_scc1 .LBB185_4
; %bb.6:                                ;   in Loop: Header=BB185_5 Depth=1
	v_add_nc_u32_e32 v50, s14, v6
	s_delay_alu instid0(VALU_DEP_1)
	v_cmp_gt_i32_e64 s0, s5, v50
	s_and_b32 s16, vcc_lo, s0
	s_wait_alu 0xfffe
	s_and_saveexec_b32 s0, s16
	s_cbranch_execz .LBB185_8
; %bb.7:                                ;   in Loop: Header=BB185_5 Depth=1
	v_add_nc_u32_e32 v50, v41, v50
	s_delay_alu instid0(VALU_DEP_1)
	v_mad_co_i64_i32 v[50:51], null, v50, 36, v[0:1]
	global_load_b32 v50, v[50:51], off offset:4
	s_wait_loadcnt 0x0
	ds_store_b32 v39, v50
.LBB185_8:                              ;   in Loop: Header=BB185_5 Depth=1
	s_wait_alu 0xfffe
	s_or_b32 exec_lo, exec_lo, s0
	v_or_b32_e32 v50, s14, v4
	s_delay_alu instid0(VALU_DEP_1)
	v_cmp_gt_i32_e64 s0, s5, v50
	s_and_b32 s16, s1, s0
	s_wait_alu 0xfffe
	s_and_saveexec_b32 s0, s16
	s_cbranch_execz .LBB185_10
; %bb.9:                                ;   in Loop: Header=BB185_5 Depth=1
	v_add_nc_u32_e32 v50, v41, v50
	s_delay_alu instid0(VALU_DEP_1)
	v_mad_co_i64_i32 v[50:51], null, v50, 36, s[2:3]
	global_load_b32 v50, v[50:51], off
	s_wait_loadcnt 0x0
	v_cvt_f32_f16_e32 v50, v50
	ds_store_b32 v49, v50
.LBB185_10:                             ;   in Loop: Header=BB185_5 Depth=1
	s_wait_alu 0xfffe
	s_or_b32 exec_lo, exec_lo, s0
	v_dual_mov_b32 v50, v38 :: v_dual_mov_b32 v51, v46
	v_dual_mov_b32 v52, v45 :: v_dual_mov_b32 v53, v44
	;; [unrolled: 1-line block ×3, first 2 shown]
	v_mov_b32_e32 v56, v40
	s_mov_b32 s0, -8
	s_wait_dscnt 0x0
	s_barrier_signal -1
	s_barrier_wait -1
	global_inv scope:SCOPE_SE
.LBB185_11:                             ;   Parent Loop BB185_5 Depth=1
                                        ; =>  This Inner Loop Header: Depth=2
	ds_load_2addr_b32 v[65:66], v56 offset0:2 offset1:3
	ds_load_2addr_b32 v[67:68], v56 offset0:4 offset1:5
	;; [unrolled: 1-line block ×3, first 2 shown]
	ds_load_b32 v97, v51
	ds_load_b32 v98, v52
	ds_load_2addr_b32 v[71:72], v56 offset1:1
	ds_load_b32 v99, v53
	ds_load_b32 v100, v54
	;; [unrolled: 1-line block ×3, first 2 shown]
	ds_load_b128 v[57:60], v50
	ds_load_b128 v[61:64], v50 offset:16
	v_add_nc_u32_e32 v73, 0x1080, v56
	v_add_nc_u32_e32 v75, 0x1088, v56
	;; [unrolled: 1-line block ×13, first 2 shown]
	s_wait_dscnt 0x6
	v_mul_f32_e32 v98, v97, v98
	ds_load_2addr_b32 v[73:74], v73 offset1:1
	ds_load_2addr_b32 v[75:76], v75 offset1:1
	;; [unrolled: 1-line block ×12, first 2 shown]
	v_add_nc_u32_e32 v55, 4, v55
	s_wait_dscnt 0x10
	v_dual_mul_f32 v99, v97, v99 :: v_dual_add_nc_u32 v54, 4, v54
	s_wait_dscnt 0xd
	v_dot4_i32_iu8 v71, v57, v71, 0 neg_lo:[1,1,0]
	v_perm_b32 v102, v57, v58, 0xc0c0501
	v_perm_b32 v103, v60, v59, 0x5010c0c
	;; [unrolled: 1-line block ×6, first 2 shown]
	s_wait_dscnt 0xb
	v_dot4_i32_iu8 v73, v57, v73, 0 neg_lo:[1,1,0]
	v_dot4_i32_iu8 v71, v58, v72, v71 neg_lo:[1,1,0]
	s_wait_dscnt 0x7
	v_dot4_i32_iu8 v57, v57, v81, 0 neg_lo:[1,1,0]
	v_or_b32_e32 v72, v103, v102
	v_or_b32_e32 v103, v105, v104
	v_dot4_i32_iu8 v73, v58, v74, v73 neg_lo:[1,1,0]
	s_wait_dscnt 0x3
	v_perm_b32 v81, v89, v90, 0xc0c0501
	s_wait_dscnt 0x2
	v_perm_b32 v102, v92, v91, 0x5010c0c
	v_perm_b32 v104, v89, v90, 0xc0c0703
	;; [unrolled: 1-line block ×3, first 2 shown]
	v_dot4_i32_iu8 v57, v58, v82, v57 neg_lo:[1,1,0]
	v_perm_b32 v107, v60, v59, 0x4000c0c
	v_perm_b32 v109, v60, v59, 0x6020c0c
	;; [unrolled: 1-line block ×8, first 2 shown]
	v_dot4_i32_iu8 v58, v59, v65, v71 neg_lo:[1,1,0]
	v_or_b32_e32 v65, v102, v81
	v_or_b32_e32 v71, v105, v104
	v_dot4_i32_iu8 v73, v59, v75, v73 neg_lo:[1,1,0]
	v_dot4_i32_iu8 v57, v59, v83, v57 neg_lo:[1,1,0]
	v_perm_b32 v116, v62, v61, 0xc0c0501
	v_perm_b32 v117, v64, v63, 0x5010c0c
	v_or_b32_e32 v106, v107, v106
	v_perm_b32 v107, v89, v90, 0xc0c0400
	v_perm_b32 v118, v92, v91, 0x4000c0c
	v_or_b32_e32 v108, v109, v108
	v_perm_b32 v89, v89, v90, 0xc0c0602
	v_perm_b32 v90, v92, v91, 0x6020c0c
	v_or_b32_e32 v91, v111, v110
	s_wait_dscnt 0x1
	v_perm_b32 v92, v94, v93, 0xc0c0602
	s_wait_dscnt 0x0
	v_perm_b32 v109, v96, v95, 0x6020c0c
	v_or_b32_e32 v110, v113, v112
	v_perm_b32 v111, v94, v93, 0xc0c0400
	v_or_b32_e32 v113, v115, v114
	v_perm_b32 v114, v94, v93, 0xc0c0703
	v_perm_b32 v115, v96, v95, 0x7030c0c
	;; [unrolled: 1-line block ×4, first 2 shown]
	v_dot4_i32_iu8 v58, v60, v66, v58 neg_lo:[1,1,0]
	v_dot4_i32_iu8 v59, v65, v72, 0 neg_lo:[1,1,0]
	;; [unrolled: 1-line block ×5, first 2 shown]
	v_perm_b32 v112, v96, v95, 0x4000c0c
	v_or_b32_e32 v116, v117, v116
	v_or_b32_e32 v74, v118, v107
	;; [unrolled: 1-line block ×6, first 2 shown]
	v_dot4_i32_iu8 v58, v61, v67, v58 neg_lo:[1,1,0]
	v_dot4_i32_iu8 v67, v61, v77, v71 neg_lo:[1,1,0]
	;; [unrolled: 1-line block ×3, first 2 shown]
	v_or_b32_e32 v89, v112, v111
	v_dot4_i32_iu8 v66, v81, v108, 0 neg_lo:[1,1,0]
	v_dot4_i32_iu8 v60, v74, v106, 0 neg_lo:[1,1,0]
	;; [unrolled: 1-line block ×9, first 2 shown]
	v_add_nc_u32_e32 v59, v59, v61
	v_dot4_i32_iu8 v58, v63, v69, v58 neg_lo:[1,1,0]
	v_dot4_i32_iu8 v61, v63, v79, v65 neg_lo:[1,1,0]
	v_dot4_i32_iu8 v57, v63, v87, v57 neg_lo:[1,1,0]
	v_mul_f32_e32 v62, v97, v100
	v_add3_u32 v59, v60, v66, v59
	v_dot4_i32_iu8 v58, v64, v70, v58 neg_lo:[1,1,0]
	v_dot4_i32_iu8 v60, v64, v80, v61 neg_lo:[1,1,0]
	;; [unrolled: 1-line block ×3, first 2 shown]
	v_mul_f32_e32 v61, v97, v101
	v_cvt_f32_i32_e32 v59, v59
	v_cvt_f32_i32_e32 v58, v58
	;; [unrolled: 1-line block ×4, first 2 shown]
	v_add_nc_u32_e32 v53, 4, v53
	s_delay_alu instid0(VALU_DEP_4)
	v_dual_fmac_f32 v5, v98, v58 :: v_dual_add_nc_u32 v52, 4, v52
	v_add_nc_u32_e32 v51, 4, v51
	v_add_nc_u32_e32 v50, 32, v50
	v_fmac_f32_e32 v2, v61, v59
	v_fmac_f32_e32 v32, v99, v60
	;; [unrolled: 1-line block ×3, first 2 shown]
	s_wait_alu 0xfffe
	s_add_co_i32 s0, s0, 8
	s_wait_alu 0xfffe
	s_cmp_lt_u32 s0, 24
	s_cbranch_scc1 .LBB185_11
; %bb.12:                               ;   in Loop: Header=BB185_5 Depth=1
	s_wait_loadcnt 0x0
	s_barrier_signal -1
	s_barrier_wait -1
	global_inv scope:SCOPE_SE
	s_branch .LBB185_4
.LBB185_13:
	s_mul_i32 s0, s7, s4
	s_wait_loadcnt 0x0
	s_wait_alu 0xfffe
	v_cmp_gt_i32_e32 vcc_lo, s0, v3
	s_and_saveexec_b32 s0, vcc_lo
	s_cbranch_execz .LBB185_22
; %bb.14:
	v_mul_lo_u32 v0, v3, s6
	v_add_nc_u32_e32 v1, s18, v4
	s_mov_b32 s0, exec_lo
	s_delay_alu instid0(VALU_DEP_1)
	v_cmpx_gt_u32_e64 s6, v1
	s_cbranch_execz .LBB185_16
; %bb.15:
	s_delay_alu instid0(VALU_DEP_3) | instskip(NEXT) | instid1(VALU_DEP_1)
	v_dual_mov_b32 v4, 0 :: v_dual_add_nc_u32 v3, v0, v1
	v_lshlrev_b64_e32 v[3:4], 2, v[3:4]
	s_delay_alu instid0(VALU_DEP_1) | instskip(SKIP_1) | instid1(VALU_DEP_2)
	v_add_co_u32 v3, vcc_lo, s8, v3
	s_wait_alu 0xfffd
	v_add_co_ci_u32_e64 v4, null, s9, v4, vcc_lo
	global_store_b32 v[3:4], v5, off
.LBB185_16:
	s_wait_alu 0xfffe
	s_or_b32 exec_lo, exec_lo, s0
	v_add_nc_u32_e32 v3, 32, v1
	s_mov_b32 s0, exec_lo
	s_delay_alu instid0(VALU_DEP_1)
	v_cmpx_gt_u32_e64 s6, v3
	s_cbranch_execz .LBB185_18
; %bb.17:
	v_dual_mov_b32 v4, 0 :: v_dual_add_nc_u32 v3, v0, v3
	s_delay_alu instid0(VALU_DEP_1) | instskip(NEXT) | instid1(VALU_DEP_1)
	v_lshlrev_b64_e32 v[3:4], 2, v[3:4]
	v_add_co_u32 v3, vcc_lo, s8, v3
	s_wait_alu 0xfffd
	s_delay_alu instid0(VALU_DEP_2)
	v_add_co_ci_u32_e64 v4, null, s9, v4, vcc_lo
	global_store_b32 v[3:4], v32, off
.LBB185_18:
	s_wait_alu 0xfffe
	s_or_b32 exec_lo, exec_lo, s0
	v_add_nc_u32_e32 v3, 64, v1
	s_mov_b32 s0, exec_lo
	s_delay_alu instid0(VALU_DEP_1)
	v_cmpx_gt_u32_e64 s6, v3
	s_cbranch_execz .LBB185_20
; %bb.19:
	v_dual_mov_b32 v4, 0 :: v_dual_add_nc_u32 v3, v0, v3
	s_delay_alu instid0(VALU_DEP_1) | instskip(NEXT) | instid1(VALU_DEP_1)
	v_lshlrev_b64_e32 v[3:4], 2, v[3:4]
	v_add_co_u32 v3, vcc_lo, s8, v3
	s_wait_alu 0xfffd
	s_delay_alu instid0(VALU_DEP_2)
	v_add_co_ci_u32_e64 v4, null, s9, v4, vcc_lo
	global_store_b32 v[3:4], v20, off
.LBB185_20:
	s_wait_alu 0xfffe
	s_or_b32 exec_lo, exec_lo, s0
	v_add_nc_u32_e32 v1, 0x60, v1
	s_delay_alu instid0(VALU_DEP_1)
	v_cmp_gt_u32_e32 vcc_lo, s6, v1
	s_and_b32 exec_lo, exec_lo, vcc_lo
	s_cbranch_execz .LBB185_22
; %bb.21:
	v_dual_mov_b32 v1, 0 :: v_dual_add_nc_u32 v0, v0, v1
	s_delay_alu instid0(VALU_DEP_1) | instskip(NEXT) | instid1(VALU_DEP_1)
	v_lshlrev_b64_e32 v[0:1], 2, v[0:1]
	v_add_co_u32 v0, vcc_lo, s8, v0
	s_wait_alu 0xfffd
	s_delay_alu instid0(VALU_DEP_2)
	v_add_co_ci_u32_e64 v1, null, s9, v1, vcc_lo
	global_store_b32 v[0:1], v2, off
.LBB185_22:
	s_nop 0
	s_sendmsg sendmsg(MSG_DEALLOC_VGPRS)
	s_endpgm
	.section	.rodata,"a",@progbits
	.p2align	6, 0x0
	.amdhsa_kernel _ZL8moe_q8_0IfLb0EEvPKvS1_PT_PKiS5_S5_iiiiiii
		.amdhsa_group_segment_fixed_size 20160
		.amdhsa_private_segment_fixed_size 0
		.amdhsa_kernarg_size 76
		.amdhsa_user_sgpr_count 2
		.amdhsa_user_sgpr_dispatch_ptr 0
		.amdhsa_user_sgpr_queue_ptr 0
		.amdhsa_user_sgpr_kernarg_segment_ptr 1
		.amdhsa_user_sgpr_dispatch_id 0
		.amdhsa_user_sgpr_private_segment_size 0
		.amdhsa_wavefront_size32 1
		.amdhsa_uses_dynamic_stack 0
		.amdhsa_enable_private_segment 0
		.amdhsa_system_sgpr_workgroup_id_x 1
		.amdhsa_system_sgpr_workgroup_id_y 1
		.amdhsa_system_sgpr_workgroup_id_z 0
		.amdhsa_system_sgpr_workgroup_info 0
		.amdhsa_system_vgpr_workitem_id 1
		.amdhsa_next_free_vgpr 119
		.amdhsa_next_free_sgpr 21
		.amdhsa_reserve_vcc 1
		.amdhsa_float_round_mode_32 0
		.amdhsa_float_round_mode_16_64 0
		.amdhsa_float_denorm_mode_32 3
		.amdhsa_float_denorm_mode_16_64 3
		.amdhsa_fp16_overflow 0
		.amdhsa_workgroup_processor_mode 1
		.amdhsa_memory_ordered 1
		.amdhsa_forward_progress 1
		.amdhsa_inst_pref_size 30
		.amdhsa_round_robin_scheduling 0
		.amdhsa_exception_fp_ieee_invalid_op 0
		.amdhsa_exception_fp_denorm_src 0
		.amdhsa_exception_fp_ieee_div_zero 0
		.amdhsa_exception_fp_ieee_overflow 0
		.amdhsa_exception_fp_ieee_underflow 0
		.amdhsa_exception_fp_ieee_inexact 0
		.amdhsa_exception_int_div_zero 0
	.end_amdhsa_kernel
	.section	.text._ZL8moe_q8_0IfLb0EEvPKvS1_PT_PKiS5_S5_iiiiiii,"axG",@progbits,_ZL8moe_q8_0IfLb0EEvPKvS1_PT_PKiS5_S5_iiiiiii,comdat
.Lfunc_end185:
	.size	_ZL8moe_q8_0IfLb0EEvPKvS1_PT_PKiS5_S5_iiiiiii, .Lfunc_end185-_ZL8moe_q8_0IfLb0EEvPKvS1_PT_PKiS5_S5_iiiiiii
                                        ; -- End function
	.set _ZL8moe_q8_0IfLb0EEvPKvS1_PT_PKiS5_S5_iiiiiii.num_vgpr, 119
	.set _ZL8moe_q8_0IfLb0EEvPKvS1_PT_PKiS5_S5_iiiiiii.num_agpr, 0
	.set _ZL8moe_q8_0IfLb0EEvPKvS1_PT_PKiS5_S5_iiiiiii.numbered_sgpr, 21
	.set _ZL8moe_q8_0IfLb0EEvPKvS1_PT_PKiS5_S5_iiiiiii.num_named_barrier, 0
	.set _ZL8moe_q8_0IfLb0EEvPKvS1_PT_PKiS5_S5_iiiiiii.private_seg_size, 0
	.set _ZL8moe_q8_0IfLb0EEvPKvS1_PT_PKiS5_S5_iiiiiii.uses_vcc, 1
	.set _ZL8moe_q8_0IfLb0EEvPKvS1_PT_PKiS5_S5_iiiiiii.uses_flat_scratch, 0
	.set _ZL8moe_q8_0IfLb0EEvPKvS1_PT_PKiS5_S5_iiiiiii.has_dyn_sized_stack, 0
	.set _ZL8moe_q8_0IfLb0EEvPKvS1_PT_PKiS5_S5_iiiiiii.has_recursion, 0
	.set _ZL8moe_q8_0IfLb0EEvPKvS1_PT_PKiS5_S5_iiiiiii.has_indirect_call, 0
	.section	.AMDGPU.csdata,"",@progbits
; Kernel info:
; codeLenInByte = 3740
; TotalNumSgprs: 23
; NumVgprs: 119
; ScratchSize: 0
; MemoryBound: 0
; FloatMode: 240
; IeeeMode: 1
; LDSByteSize: 20160 bytes/workgroup (compile time only)
; SGPRBlocks: 0
; VGPRBlocks: 14
; NumSGPRsForWavesPerEU: 23
; NumVGPRsForWavesPerEU: 119
; Occupancy: 12
; WaveLimiterHint : 1
; COMPUTE_PGM_RSRC2:SCRATCH_EN: 0
; COMPUTE_PGM_RSRC2:USER_SGPR: 2
; COMPUTE_PGM_RSRC2:TRAP_HANDLER: 0
; COMPUTE_PGM_RSRC2:TGID_X_EN: 1
; COMPUTE_PGM_RSRC2:TGID_Y_EN: 1
; COMPUTE_PGM_RSRC2:TGID_Z_EN: 0
; COMPUTE_PGM_RSRC2:TIDIG_COMP_CNT: 1
	.section	.text._ZL8moe_q8_0IfLb1EEvPKvS1_PT_PKiS5_S5_iiiiiii,"axG",@progbits,_ZL8moe_q8_0IfLb1EEvPKvS1_PT_PKiS5_S5_iiiiiii,comdat
	.globl	_ZL8moe_q8_0IfLb1EEvPKvS1_PT_PKiS5_S5_iiiiiii ; -- Begin function _ZL8moe_q8_0IfLb1EEvPKvS1_PT_PKiS5_S5_iiiiiii
	.p2align	8
	.type	_ZL8moe_q8_0IfLb1EEvPKvS1_PT_PKiS5_S5_iiiiiii,@function
_ZL8moe_q8_0IfLb1EEvPKvS1_PT_PKiS5_S5_iiiiiii: ; @_ZL8moe_q8_0IfLb1EEvPKvS1_PT_PKiS5_S5_iiiiiii
; %bb.0:
	s_load_b128 s[4:7], s[0:1], 0x18
	s_mov_b32 s2, ttmp7
	s_mov_b32 s3, 0
	s_delay_alu instid0(SALU_CYCLE_1)
	s_lshl_b64 s[2:3], s[2:3], 2
	s_wait_kmcnt 0x0
	s_add_nc_u64 s[2:3], s[6:7], s[2:3]
	s_load_b32 s14, s[2:3], 0x0
	s_wait_kmcnt 0x0
	s_cmp_gt_u32 s14, 0xff
	s_cbranch_scc1 .LBB186_22
; %bb.1:
	s_load_b64 s[2:3], s[0:1], 0x28
	s_wait_kmcnt 0x0
	s_load_b32 s3, s[2:3], 0x0
	s_lshl_b32 s2, ttmp7, 3
	s_wait_kmcnt 0x0
	s_cmp_gt_u32 s2, s3
	s_cbranch_scc1 .LBB186_22
; %bb.2:
	v_bfe_u32 v19, v0, 10, 10
	v_mov_b32_e32 v11, 0
	s_lshl_b32 s11, ttmp9, 7
	s_delay_alu instid0(VALU_DEP_2) | instskip(NEXT) | instid1(VALU_DEP_2)
	v_add_nc_u32_e32 v10, s2, v19
	v_dual_mov_b32 v40, v11 :: v_dual_and_b32 v21, 0x3ff, v0
	v_mov_b32_e32 v44, v11
	v_mov_b32_e32 v22, v11
	s_delay_alu instid0(VALU_DEP_4) | instskip(NEXT) | instid1(VALU_DEP_1)
	v_lshlrev_b64_e32 v[1:2], 2, v[10:11]
	v_add_co_u32 v1, vcc_lo, s4, v1
	s_delay_alu instid0(VALU_DEP_1)
	v_add_co_ci_u32_e64 v2, null, s5, v2, vcc_lo
	global_load_b32 v20, v[1:2], off
	s_clause 0x2
	s_load_b128 s[4:7], s[0:1], 0x30
	s_load_b64 s[12:13], s[0:1], 0x10
	s_load_b96 s[8:10], s[0:1], 0x40
	s_wait_kmcnt 0x0
	s_cmp_lt_i32 s5, 32
	s_cbranch_scc1 .LBB186_13
; %bb.3:
	s_load_b128 s[0:3], s[0:1], 0x0
	s_ashr_i32 s15, s5, 31
	s_ashr_i32 s16, s8, 31
	s_mul_i32 s14, s14, s4
	s_not_b32 s18, s11
	v_dual_mov_b32 v22, 0 :: v_dual_add_nc_u32 v1, 8, v19
	v_add_nc_u32_e32 v4, 16, v19
	s_lshr_b32 s4, s15, 27
	s_lshr_b32 s19, s16, 27
	s_ashr_i32 s15, s14, 31
	s_add_co_i32 s6, s6, s18
	v_add_nc_u32_e32 v5, 24, v19
	v_add_nc_u32_e32 v6, 32, v19
	v_lshlrev_b32_e32 v40, 2, v21
	s_add_co_i32 s8, s8, s19
	v_min_i32_e32 v2, s6, v19
	v_add_nc_u32_e32 v7, 40, v19
	s_wait_alu 0xfffe
	s_add_co_i32 s4, s5, s4
	v_min_i32_e32 v3, s6, v1
	s_wait_kmcnt 0x0
	s_add_nc_u64 s[14:15], s[0:1], s[14:15]
	s_abs_i32 s0, s10
	v_add_nc_u32_e32 v8, 48, v19
	s_ashr_i32 s1, s8, 5
	v_min_i32_e32 v4, s6, v4
	v_add_nc_u32_e32 v9, 56, v19
	s_cvt_f32_u32 s8, s0
	s_wait_alu 0xfffe
	s_ashr_i32 s4, s4, 5
	v_min_i32_e32 v5, s6, v5
	v_add_nc_u32_e32 v10, 64, v19
	v_min_i32_e32 v6, s6, v6
	v_add_nc_u32_e32 v11, 0x48, v19
	s_wait_alu 0xfffe
	v_mul_lo_u32 v25, v2, s4
	v_mad_co_u64_u32 v[1:2], null, 0x84, v2, v[40:41]
	v_min_i32_e32 v7, s6, v7
	v_mul_lo_u32 v26, v3, s4
	v_mad_co_u64_u32 v[2:3], null, 0x84, v3, v[40:41]
	v_min_i32_e32 v8, s6, v8
	v_rcp_iflag_f32_e32 v15, s8
	v_mul_lo_u32 v27, v4, s4
	v_mad_co_u64_u32 v[3:4], null, 0x84, v4, v[40:41]
	v_min_i32_e32 v9, s6, v9
	v_mul_lo_u32 v28, v5, s4
	v_mad_co_u64_u32 v[4:5], null, 0x84, v5, v[40:41]
	v_min_i32_e32 v10, s6, v10
	v_mul_lo_u32 v29, v6, s4
	v_mad_co_u64_u32 v[5:6], null, 0x84, v6, v[40:41]
	v_add_nc_u32_e32 v12, 0x50, v19
	v_min_i32_e32 v11, s6, v11
	v_mul_lo_u32 v30, v7, s4
	v_mad_co_u64_u32 v[6:7], null, 0x84, v7, v[40:41]
	v_add_nc_u32_e32 v13, 0x58, v19
	v_mul_lo_u32 v31, v8, s4
	v_mad_co_u64_u32 v[7:8], null, 0x84, v8, v[40:41]
	v_mul_lo_u32 v32, v9, s4
	v_mad_co_u64_u32 v[8:9], null, 0x84, v9, v[40:41]
	;; [unrolled: 2-line block ×3, first 2 shown]
	v_min_i32_e32 v12, s6, v12
	v_mul_lo_u32 v34, v11, s4
	v_mad_co_u64_u32 v[10:11], null, 0x84, v11, v[40:41]
	v_add_nc_u32_e32 v14, 0x60, v19
	v_min_i32_e32 v11, s6, v13
	v_add_nc_u32_e32 v17, 0x68, v19
	v_bfe_u32 v18, v0, 2, 8
	v_readfirstlane_b32 s8, v15
	v_mul_lo_u32 v35, v12, s4
	v_mad_co_u64_u32 v[12:13], null, 0x84, v12, v[40:41]
	v_min_i32_e32 v16, s6, v14
	v_mul_lo_u32 v36, v11, s4
	v_mad_co_u64_u32 v[13:14], null, 0x84, v11, v[40:41]
	v_min_i32_e32 v11, s6, v17
	s_mul_i32 s16, s4, s11
	v_lshl_add_u32 v18, v19, 3, v18
	s_mul_f32 s8, s8, 0x4f7ffffe
	s_ashr_i32 s17, s16, 31
	v_mad_co_u64_u32 v[14:15], null, 0x84, v16, v[40:41]
	s_mul_u64 s[16:17], s[16:17], 34
	v_mul_lo_u32 v37, v16, s4
	v_mul_lo_u32 v38, v11, s4
	v_mad_co_u64_u32 v[15:16], null, 0x84, v11, v[40:41]
	s_wait_loadcnt 0x0
	v_sub_nc_u32_e32 v11, 0, v20
	s_wait_alu 0xfffe
	s_cvt_u32_f32 s8, s8
	v_min_i32_e32 v44, s6, v18
	s_add_nc_u64 s[14:15], s[14:15], s[16:17]
	s_sub_co_i32 s16, 0, s0
	v_max_i32_e32 v11, v20, v11
	s_wait_alu 0xfffe
	s_mul_i32 s16, s16, s8
	v_ashrrev_i32_e32 v16, 31, v44
	s_mul_hi_u32 s16, s8, s16
	v_add_nc_u32_e32 v17, 0x70, v19
	v_add_nc_u32_e32 v41, 0x78, v19
	s_add_co_i32 s8, s8, s16
	v_lshrrev_b32_e32 v16, 29, v16
	s_wait_alu 0xfffe
	v_mul_hi_u32 v45, v11, s8
	v_add_nc_u32_e32 v18, 64, v18
	v_min_i32_e32 v17, s6, v17
	v_min_i32_e32 v43, s6, v41
	v_add_nc_u32_e32 v42, v44, v16
	v_xor_b32_e32 v50, s10, v20
	v_min_i32_e32 v46, s6, v18
	v_mul_lo_u32 v39, v17, s4
	v_mad_co_u64_u32 v[16:17], null, 0x84, v17, v[40:41]
	v_mul_lo_u32 v41, v43, s4
	v_mul_lo_u32 v48, v45, s0
	v_ashrrev_i32_e32 v47, 3, v42
	v_and_b32_e32 v42, 3, v0
	v_ashrrev_i32_e32 v49, 31, v46
	v_bfe_u32 v23, v0, 3, 7
	v_ashrrev_i32_e32 v50, 31, v50
	v_lshlrev_b32_e32 v56, 4, v46
	v_mad_co_u64_u32 v[17:18], null, 0x84, v43, v[40:41]
	v_lshlrev_b32_e32 v18, 2, v47
	v_lshlrev_b32_e32 v47, 2, v42
	v_lshrrev_b32_e32 v49, 29, v49
	v_sub_nc_u32_e32 v11, v11, v48
	v_add_nc_u32_e32 v48, 1, v45
	v_lshlrev_b32_e32 v57, 4, v19
	v_add3_u32 v54, v18, v47, 0x4200
	v_add_nc_u32_e32 v18, v46, v49
	v_subrev_nc_u32_e32 v49, s0, v11
	v_cmp_le_u32_e32 vcc_lo, s0, v11
	v_lshlrev_b32_e32 v53, 2, v23
	v_mul_lo_u32 v43, v44, s4
	v_ashrrev_i32_e32 v18, 3, v18
	v_lshlrev_b32_e32 v44, 4, v44
	s_wait_alu 0xfffd
	v_dual_cndmask_b32 v48, v45, v48 :: v_dual_cndmask_b32 v11, v11, v49
	v_mul_lo_u32 v45, v46, s4
	v_lshlrev_b32_e32 v18, 2, v18
	v_add_nc_u32_e32 v54, v54, v44
	s_delay_alu instid0(VALU_DEP_4)
	v_add_nc_u32_e32 v49, 1, v48
	v_cmp_le_u32_e32 vcc_lo, s0, v11
	v_cmp_gt_u32_e64 s0, 4, v21
	v_add3_u32 v55, v18, v47, 0x4200
	v_add_nc_u32_e32 v18, 0x60, v21
	v_mul_u32_u24_e32 v47, 0x84, v21
	s_wait_alu 0xfffd
	v_dual_cndmask_b32 v11, v48, v49 :: v_dual_and_b32 v48, 31, v0
	v_lshl_add_u32 v0, v19, 7, 0x4a40
	v_add_nc_u32_e32 v19, 64, v21
	v_lshrrev_b32_e32 v18, 1, v18
	s_delay_alu instid0(VALU_DEP_4)
	v_xor_b32_e32 v11, v11, v50
	v_add_nc_u32_e32 v55, v55, v56
	v_lshl_add_u32 v46, v48, 2, v0
	v_add_nc_u32_e32 v48, 32, v21
	v_lshrrev_b32_e32 v19, 1, v19
	v_sub_nc_u32_e32 v11, v11, v50
	v_and_b32_e32 v50, 0xfc, v18
	v_mov_b32_e32 v44, 0
	v_lshrrev_b32_e32 v49, 1, v48
	v_and_b32_e32 v51, 0xfc, v19
	v_cmp_gt_i32_e32 vcc_lo, s7, v11
	v_mul_lo_u32 v48, v11, s1
	v_lshlrev_b32_e32 v11, 4, v21
	v_and_b32_e32 v52, 0xfc, v49
	s_mov_b32 s17, 0
	s_delay_alu instid0(SALU_CYCLE_1) | instskip(NEXT) | instid1(VALU_DEP_2)
	s_mov_b32 s16, s17
	v_add3_u32 v49, v11, v50, 0x4800
	v_add3_u32 v50, v11, v51, 0x4600
	;; [unrolled: 1-line block ×4, first 2 shown]
	v_dual_mov_b32 v11, 0 :: v_dual_and_b32 v24, 28, v40
	v_add_nc_u32_e32 v40, 0x4e40, v40
	v_add_nc_u32_e32 v53, 0x4e40, v57
	s_delay_alu instid0(VALU_DEP_3)
	v_add_co_u32 v18, s6, s2, v24
	s_wait_alu 0xf1ff
	v_add_co_ci_u32_e64 v19, null, s3, 0, s6
	v_add_nc_u32_e32 v56, v40, v57
	v_mov_b32_e32 v40, 0
	s_and_b32 s6, s0, vcc_lo
	s_branch .LBB186_5
.LBB186_4:                              ;   in Loop: Header=BB186_5 Depth=1
	s_add_co_i32 s16, s16, 4
	s_wait_alu 0xfffe
	s_cmp_ge_i32 s16, s4
	s_cbranch_scc1 .LBB186_13
.LBB186_5:                              ; =>This Loop Header: Depth=1
                                        ;     Child Loop BB186_11 Depth 2
	s_mul_u64 s[18:19], s[16:17], 34
	s_wait_alu 0xfffe
	s_add_nc_u64 s[18:19], s[14:15], s[18:19]
	s_wait_alu 0xfffe
	v_mad_co_u64_u32 v[57:58], null, v23, 34, s[18:19]
	s_delay_alu instid0(VALU_DEP_1) | instskip(SKIP_3) | instid1(VALU_DEP_4)
	v_mad_co_i64_i32 v[59:60], null, v25, 34, v[57:58]
	v_mad_co_i64_i32 v[61:62], null, v26, 34, v[57:58]
	;; [unrolled: 1-line block ×4, first 2 shown]
	v_add_co_u32 v59, s0, v59, v24
	v_mad_co_i64_i32 v[67:68], null, v29, 34, v[57:58]
	s_wait_alu 0xf1ff
	v_add_co_ci_u32_e64 v60, null, 0, v60, s0
	v_add_co_u32 v61, s0, v61, v24
	v_mad_co_i64_i32 v[69:70], null, v30, 34, v[57:58]
	s_wait_alu 0xf1ff
	v_add_co_ci_u32_e64 v62, null, 0, v62, s0
	;; [unrolled: 4-line block ×4, first 2 shown]
	v_add_co_u32 v67, s0, v67, v24
	s_wait_alu 0xf1ff
	v_add_co_ci_u32_e64 v68, null, 0, v68, s0
	v_add_co_u32 v69, s0, v69, v24
	s_wait_alu 0xf1ff
	v_add_co_ci_u32_e64 v70, null, 0, v70, s0
	;; [unrolled: 3-line block ×3, first 2 shown]
	v_add_co_u32 v73, s0, v73, v24
	v_mad_co_i64_i32 v[75:76], null, v33, 34, v[57:58]
	s_wait_alu 0xf1ff
	v_add_co_ci_u32_e64 v74, null, 0, v74, s0
	s_clause 0x7
	global_load_b32 v77, v[59:60], off offset:2
	global_load_b32 v78, v[61:62], off offset:2
	;; [unrolled: 1-line block ×8, first 2 shown]
	v_mad_co_i64_i32 v[59:60], null, v34, 34, v[57:58]
	v_mad_co_u64_u32 v[69:70], null, v42, 34, s[18:19]
	v_mad_co_i64_i32 v[63:64], null, v35, 34, v[57:58]
	v_mad_co_i64_i32 v[65:66], null, v36, 34, v[57:58]
	v_add_co_u32 v61, s0, v75, v24
	v_mad_co_i64_i32 v[67:68], null, v37, 34, v[57:58]
	s_wait_alu 0xf1ff
	v_add_co_ci_u32_e64 v62, null, 0, v76, s0
	v_add_co_u32 v59, s0, v59, v24
	v_mad_co_i64_i32 v[71:72], null, v43, 34, v[69:70]
	v_mad_co_i64_i32 v[73:74], null, v38, 34, v[57:58]
	;; [unrolled: 1-line block ×3, first 2 shown]
	s_wait_alu 0xf1ff
	v_add_co_ci_u32_e64 v60, null, 0, v60, s0
	v_add_co_u32 v63, s0, v63, v24
	v_mad_co_i64_i32 v[75:76], null, v39, 34, v[57:58]
	s_wait_alu 0xf1ff
	v_add_co_ci_u32_e64 v64, null, 0, v64, s0
	v_add_co_u32 v65, s0, v65, v24
	v_mad_co_i64_i32 v[57:58], null, v41, 34, v[57:58]
	s_wait_alu 0xf1ff
	v_add_co_ci_u32_e64 v66, null, 0, v66, s0
	v_add_co_u32 v67, s0, v67, v24
	s_wait_alu 0xf1ff
	v_add_co_ci_u32_e64 v68, null, 0, v68, s0
	s_clause 0x1
	global_load_u16 v85, v[71:72], off
	global_load_u16 v86, v[69:70], off
	v_add_co_u32 v69, s0, v73, v24
	s_wait_alu 0xf1ff
	v_add_co_ci_u32_e64 v70, null, 0, v74, s0
	v_add_co_u32 v71, s0, v75, v24
	s_wait_alu 0xf1ff
	v_add_co_ci_u32_e64 v72, null, 0, v76, s0
	;; [unrolled: 3-line block ×3, first 2 shown]
	s_clause 0x7
	global_load_b32 v61, v[61:62], off offset:2
	global_load_b32 v59, v[59:60], off offset:2
	;; [unrolled: 1-line block ×8, first 2 shown]
	s_lshl_b32 s0, s16, 5
	s_wait_alu 0xfffe
	s_cmp_ge_i32 s0, s5
	s_wait_loadcnt 0x9
	v_cvt_f32_f16_e32 v58, v85
	s_wait_loadcnt 0x8
	v_cvt_f32_f16_e32 v66, v86
	ds_store_b32 v1, v77
	ds_store_b32 v54, v58
	;; [unrolled: 1-line block ×9, first 2 shown]
	s_wait_loadcnt 0x7
	ds_store_b32 v9, v61
	s_wait_loadcnt 0x6
	ds_store_b32 v10, v59
	;; [unrolled: 2-line block ×8, first 2 shown]
	ds_store_b32 v55, v66
	s_cbranch_scc1 .LBB186_4
; %bb.6:                                ;   in Loop: Header=BB186_5 Depth=1
	v_add_nc_u32_e32 v57, s16, v23
	s_delay_alu instid0(VALU_DEP_1)
	v_cmp_gt_i32_e64 s0, s1, v57
	s_and_b32 s8, vcc_lo, s0
	s_wait_alu 0xfffe
	s_and_saveexec_b32 s0, s8
	s_cbranch_execz .LBB186_8
; %bb.7:                                ;   in Loop: Header=BB186_5 Depth=1
	v_add_nc_u32_e32 v57, v48, v57
	s_delay_alu instid0(VALU_DEP_1)
	v_mad_co_i64_i32 v[57:58], null, v57, 36, v[18:19]
	global_load_b32 v57, v[57:58], off offset:4
	s_wait_loadcnt 0x0
	ds_store_b32 v46, v57
.LBB186_8:                              ;   in Loop: Header=BB186_5 Depth=1
	s_wait_alu 0xfffe
	s_or_b32 exec_lo, exec_lo, s0
	v_or_b32_e32 v57, s16, v21
	s_delay_alu instid0(VALU_DEP_1)
	v_cmp_gt_i32_e64 s0, s1, v57
	s_and_b32 s8, s6, s0
	s_wait_alu 0xfffe
	s_and_saveexec_b32 s0, s8
	s_cbranch_execz .LBB186_10
; %bb.9:                                ;   in Loop: Header=BB186_5 Depth=1
	v_add_nc_u32_e32 v57, v48, v57
	s_delay_alu instid0(VALU_DEP_1)
	v_mad_co_i64_i32 v[57:58], null, v57, 36, s[2:3]
	global_load_b32 v57, v[57:58], off
	s_wait_loadcnt 0x0
	v_cvt_f32_f16_e32 v57, v57
	ds_store_b32 v56, v57
.LBB186_10:                             ;   in Loop: Header=BB186_5 Depth=1
	s_wait_alu 0xfffe
	s_or_b32 exec_lo, exec_lo, s0
	v_dual_mov_b32 v57, v0 :: v_dual_mov_b32 v58, v53
	v_dual_mov_b32 v59, v52 :: v_dual_mov_b32 v60, v51
	;; [unrolled: 1-line block ×3, first 2 shown]
	v_mov_b32_e32 v63, v47
	s_mov_b32 s0, -8
	s_wait_dscnt 0x0
	s_barrier_signal -1
	s_barrier_wait -1
	global_inv scope:SCOPE_SE
.LBB186_11:                             ;   Parent Loop BB186_5 Depth=1
                                        ; =>  This Inner Loop Header: Depth=2
	ds_load_2addr_b32 v[72:73], v63 offset0:2 offset1:3
	ds_load_2addr_b32 v[74:75], v63 offset0:4 offset1:5
	;; [unrolled: 1-line block ×3, first 2 shown]
	ds_load_b32 v104, v58
	ds_load_b32 v105, v59
	ds_load_2addr_b32 v[78:79], v63 offset1:1
	ds_load_b32 v106, v60
	ds_load_b32 v107, v61
	ds_load_b32 v108, v62
	ds_load_b128 v[64:67], v57
	ds_load_b128 v[68:71], v57 offset:16
	v_add_nc_u32_e32 v80, 0x1080, v63
	v_add_nc_u32_e32 v82, 0x1088, v63
	;; [unrolled: 1-line block ×13, first 2 shown]
	s_wait_dscnt 0x6
	v_mul_f32_e32 v105, v104, v105
	ds_load_2addr_b32 v[80:81], v80 offset1:1
	ds_load_2addr_b32 v[82:83], v82 offset1:1
	;; [unrolled: 1-line block ×12, first 2 shown]
	v_add_nc_u32_e32 v62, 4, v62
	s_wait_dscnt 0x10
	v_dual_mul_f32 v106, v104, v106 :: v_dual_add_nc_u32 v61, 4, v61
	s_wait_dscnt 0xd
	v_dot4_i32_iu8 v78, v64, v78, 0 neg_lo:[1,1,0]
	v_perm_b32 v109, v64, v65, 0xc0c0501
	v_perm_b32 v110, v67, v66, 0x5010c0c
	;; [unrolled: 1-line block ×6, first 2 shown]
	s_wait_dscnt 0xb
	v_dot4_i32_iu8 v80, v64, v80, 0 neg_lo:[1,1,0]
	v_dot4_i32_iu8 v78, v65, v79, v78 neg_lo:[1,1,0]
	s_wait_dscnt 0x7
	v_dot4_i32_iu8 v64, v64, v88, 0 neg_lo:[1,1,0]
	v_or_b32_e32 v79, v110, v109
	v_or_b32_e32 v110, v112, v111
	v_dot4_i32_iu8 v80, v65, v81, v80 neg_lo:[1,1,0]
	s_wait_dscnt 0x3
	v_perm_b32 v88, v96, v97, 0xc0c0501
	s_wait_dscnt 0x2
	v_perm_b32 v109, v99, v98, 0x5010c0c
	v_perm_b32 v111, v96, v97, 0xc0c0703
	;; [unrolled: 1-line block ×3, first 2 shown]
	v_dot4_i32_iu8 v64, v65, v89, v64 neg_lo:[1,1,0]
	v_perm_b32 v114, v67, v66, 0x4000c0c
	v_perm_b32 v116, v67, v66, 0x6020c0c
	;; [unrolled: 1-line block ×8, first 2 shown]
	v_dot4_i32_iu8 v65, v66, v72, v78 neg_lo:[1,1,0]
	v_or_b32_e32 v72, v109, v88
	v_or_b32_e32 v78, v112, v111
	v_dot4_i32_iu8 v80, v66, v82, v80 neg_lo:[1,1,0]
	v_dot4_i32_iu8 v64, v66, v90, v64 neg_lo:[1,1,0]
	v_perm_b32 v123, v69, v68, 0xc0c0501
	v_perm_b32 v124, v71, v70, 0x5010c0c
	v_or_b32_e32 v113, v114, v113
	v_perm_b32 v114, v96, v97, 0xc0c0400
	v_perm_b32 v125, v99, v98, 0x4000c0c
	v_or_b32_e32 v115, v116, v115
	;; [unrolled: 3-line block ×3, first 2 shown]
	s_wait_dscnt 0x1
	v_perm_b32 v99, v101, v100, 0xc0c0602
	s_wait_dscnt 0x0
	v_perm_b32 v116, v103, v102, 0x6020c0c
	v_or_b32_e32 v117, v120, v119
	v_perm_b32 v118, v101, v100, 0xc0c0400
	v_or_b32_e32 v120, v122, v121
	v_perm_b32 v121, v101, v100, 0xc0c0703
	v_perm_b32 v122, v103, v102, 0x7030c0c
	v_perm_b32 v100, v101, v100, 0xc0c0501
	v_perm_b32 v101, v103, v102, 0x5010c0c
	v_dot4_i32_iu8 v65, v67, v73, v65 neg_lo:[1,1,0]
	v_dot4_i32_iu8 v66, v72, v79, 0 neg_lo:[1,1,0]
	;; [unrolled: 1-line block ×5, first 2 shown]
	v_perm_b32 v119, v103, v102, 0x4000c0c
	v_or_b32_e32 v123, v124, v123
	v_or_b32_e32 v81, v125, v114
	v_or_b32_e32 v88, v97, v96
	v_or_b32_e32 v89, v116, v99
	v_or_b32_e32 v97, v122, v121
	v_or_b32_e32 v99, v101, v100
	v_dot4_i32_iu8 v65, v68, v74, v65 neg_lo:[1,1,0]
	v_dot4_i32_iu8 v74, v68, v84, v78 neg_lo:[1,1,0]
	;; [unrolled: 1-line block ×3, first 2 shown]
	v_or_b32_e32 v96, v119, v118
	v_dot4_i32_iu8 v73, v88, v115, 0 neg_lo:[1,1,0]
	v_dot4_i32_iu8 v67, v81, v113, 0 neg_lo:[1,1,0]
	;; [unrolled: 1-line block ×9, first 2 shown]
	v_add_nc_u32_e32 v66, v66, v68
	v_dot4_i32_iu8 v65, v70, v76, v65 neg_lo:[1,1,0]
	v_dot4_i32_iu8 v68, v70, v86, v72 neg_lo:[1,1,0]
	;; [unrolled: 1-line block ×3, first 2 shown]
	v_mul_f32_e32 v69, v104, v107
	v_add3_u32 v66, v67, v73, v66
	v_dot4_i32_iu8 v65, v71, v77, v65 neg_lo:[1,1,0]
	v_dot4_i32_iu8 v67, v71, v87, v68 neg_lo:[1,1,0]
	;; [unrolled: 1-line block ×3, first 2 shown]
	v_mul_f32_e32 v68, v104, v108
	v_cvt_f32_i32_e32 v66, v66
	v_cvt_f32_i32_e32 v65, v65
	;; [unrolled: 1-line block ×4, first 2 shown]
	v_add_nc_u32_e32 v60, 4, v60
	s_delay_alu instid0(VALU_DEP_4)
	v_dual_fmac_f32 v22, v105, v65 :: v_dual_add_nc_u32 v59, 4, v59
	v_add_nc_u32_e32 v58, 4, v58
	v_dual_fmac_f32 v44, v106, v67 :: v_dual_add_nc_u32 v57, 32, v57
	v_dual_fmac_f32 v11, v68, v66 :: v_dual_fmac_f32 v40, v69, v64
	s_wait_alu 0xfffe
	s_add_co_i32 s0, s0, 8
	s_wait_alu 0xfffe
	s_cmp_lt_u32 s0, 24
	s_cbranch_scc1 .LBB186_11
; %bb.12:                               ;   in Loop: Header=BB186_5 Depth=1
	s_wait_loadcnt 0x0
	s_barrier_signal -1
	s_barrier_wait -1
	global_inv scope:SCOPE_SE
	s_branch .LBB186_4
.LBB186_13:
	s_mul_i32 s0, s10, s7
	s_wait_loadcnt 0x0
	s_wait_alu 0xfffe
	v_cmp_gt_i32_e32 vcc_lo, s0, v20
	s_and_saveexec_b32 s0, vcc_lo
	s_cbranch_execz .LBB186_22
; %bb.14:
	v_mul_lo_u32 v0, v20, s9
	v_add_nc_u32_e32 v1, s11, v21
	s_mov_b32 s0, exec_lo
	s_delay_alu instid0(VALU_DEP_1)
	v_cmpx_gt_u32_e64 s9, v1
	s_cbranch_execz .LBB186_16
; %bb.15:
	s_delay_alu instid0(VALU_DEP_3) | instskip(NEXT) | instid1(VALU_DEP_1)
	v_dual_mov_b32 v3, 0 :: v_dual_add_nc_u32 v2, v0, v1
	v_lshlrev_b64_e32 v[2:3], 2, v[2:3]
	s_delay_alu instid0(VALU_DEP_1) | instskip(SKIP_1) | instid1(VALU_DEP_2)
	v_add_co_u32 v2, vcc_lo, s12, v2
	s_wait_alu 0xfffd
	v_add_co_ci_u32_e64 v3, null, s13, v3, vcc_lo
	global_store_b32 v[2:3], v22, off
.LBB186_16:
	s_wait_alu 0xfffe
	s_or_b32 exec_lo, exec_lo, s0
	v_add_nc_u32_e32 v2, 32, v1
	s_mov_b32 s0, exec_lo
	s_delay_alu instid0(VALU_DEP_1)
	v_cmpx_gt_u32_e64 s9, v2
	s_cbranch_execz .LBB186_18
; %bb.17:
	v_dual_mov_b32 v3, 0 :: v_dual_add_nc_u32 v2, v0, v2
	s_delay_alu instid0(VALU_DEP_1) | instskip(NEXT) | instid1(VALU_DEP_1)
	v_lshlrev_b64_e32 v[2:3], 2, v[2:3]
	v_add_co_u32 v2, vcc_lo, s12, v2
	s_wait_alu 0xfffd
	s_delay_alu instid0(VALU_DEP_2)
	v_add_co_ci_u32_e64 v3, null, s13, v3, vcc_lo
	global_store_b32 v[2:3], v44, off
.LBB186_18:
	s_wait_alu 0xfffe
	s_or_b32 exec_lo, exec_lo, s0
	v_add_nc_u32_e32 v2, 64, v1
	s_mov_b32 s0, exec_lo
	s_delay_alu instid0(VALU_DEP_1)
	v_cmpx_gt_u32_e64 s9, v2
	s_cbranch_execz .LBB186_20
; %bb.19:
	v_dual_mov_b32 v3, 0 :: v_dual_add_nc_u32 v2, v0, v2
	s_delay_alu instid0(VALU_DEP_1) | instskip(NEXT) | instid1(VALU_DEP_1)
	v_lshlrev_b64_e32 v[2:3], 2, v[2:3]
	v_add_co_u32 v2, vcc_lo, s12, v2
	s_wait_alu 0xfffd
	s_delay_alu instid0(VALU_DEP_2)
	v_add_co_ci_u32_e64 v3, null, s13, v3, vcc_lo
	global_store_b32 v[2:3], v40, off
.LBB186_20:
	s_wait_alu 0xfffe
	s_or_b32 exec_lo, exec_lo, s0
	v_add_nc_u32_e32 v1, 0x60, v1
	s_delay_alu instid0(VALU_DEP_1)
	v_cmp_gt_u32_e32 vcc_lo, s9, v1
	s_and_b32 exec_lo, exec_lo, vcc_lo
	s_cbranch_execz .LBB186_22
; %bb.21:
	v_dual_mov_b32 v1, 0 :: v_dual_add_nc_u32 v0, v0, v1
	s_delay_alu instid0(VALU_DEP_1) | instskip(NEXT) | instid1(VALU_DEP_1)
	v_lshlrev_b64_e32 v[0:1], 2, v[0:1]
	v_add_co_u32 v0, vcc_lo, s12, v0
	s_wait_alu 0xfffd
	s_delay_alu instid0(VALU_DEP_2)
	v_add_co_ci_u32_e64 v1, null, s13, v1, vcc_lo
	global_store_b32 v[0:1], v11, off
.LBB186_22:
	s_nop 0
	s_sendmsg sendmsg(MSG_DEALLOC_VGPRS)
	s_endpgm
	.section	.rodata,"a",@progbits
	.p2align	6, 0x0
	.amdhsa_kernel _ZL8moe_q8_0IfLb1EEvPKvS1_PT_PKiS5_S5_iiiiiii
		.amdhsa_group_segment_fixed_size 20160
		.amdhsa_private_segment_fixed_size 0
		.amdhsa_kernarg_size 76
		.amdhsa_user_sgpr_count 2
		.amdhsa_user_sgpr_dispatch_ptr 0
		.amdhsa_user_sgpr_queue_ptr 0
		.amdhsa_user_sgpr_kernarg_segment_ptr 1
		.amdhsa_user_sgpr_dispatch_id 0
		.amdhsa_user_sgpr_private_segment_size 0
		.amdhsa_wavefront_size32 1
		.amdhsa_uses_dynamic_stack 0
		.amdhsa_enable_private_segment 0
		.amdhsa_system_sgpr_workgroup_id_x 1
		.amdhsa_system_sgpr_workgroup_id_y 1
		.amdhsa_system_sgpr_workgroup_id_z 0
		.amdhsa_system_sgpr_workgroup_info 0
		.amdhsa_system_vgpr_workitem_id 1
		.amdhsa_next_free_vgpr 126
		.amdhsa_next_free_sgpr 20
		.amdhsa_reserve_vcc 1
		.amdhsa_float_round_mode_32 0
		.amdhsa_float_round_mode_16_64 0
		.amdhsa_float_denorm_mode_32 3
		.amdhsa_float_denorm_mode_16_64 3
		.amdhsa_fp16_overflow 0
		.amdhsa_workgroup_processor_mode 1
		.amdhsa_memory_ordered 1
		.amdhsa_forward_progress 1
		.amdhsa_inst_pref_size 32
		.amdhsa_round_robin_scheduling 0
		.amdhsa_exception_fp_ieee_invalid_op 0
		.amdhsa_exception_fp_denorm_src 0
		.amdhsa_exception_fp_ieee_div_zero 0
		.amdhsa_exception_fp_ieee_overflow 0
		.amdhsa_exception_fp_ieee_underflow 0
		.amdhsa_exception_fp_ieee_inexact 0
		.amdhsa_exception_int_div_zero 0
	.end_amdhsa_kernel
	.section	.text._ZL8moe_q8_0IfLb1EEvPKvS1_PT_PKiS5_S5_iiiiiii,"axG",@progbits,_ZL8moe_q8_0IfLb1EEvPKvS1_PT_PKiS5_S5_iiiiiii,comdat
.Lfunc_end186:
	.size	_ZL8moe_q8_0IfLb1EEvPKvS1_PT_PKiS5_S5_iiiiiii, .Lfunc_end186-_ZL8moe_q8_0IfLb1EEvPKvS1_PT_PKiS5_S5_iiiiiii
                                        ; -- End function
	.set _ZL8moe_q8_0IfLb1EEvPKvS1_PT_PKiS5_S5_iiiiiii.num_vgpr, 126
	.set _ZL8moe_q8_0IfLb1EEvPKvS1_PT_PKiS5_S5_iiiiiii.num_agpr, 0
	.set _ZL8moe_q8_0IfLb1EEvPKvS1_PT_PKiS5_S5_iiiiiii.numbered_sgpr, 20
	.set _ZL8moe_q8_0IfLb1EEvPKvS1_PT_PKiS5_S5_iiiiiii.num_named_barrier, 0
	.set _ZL8moe_q8_0IfLb1EEvPKvS1_PT_PKiS5_S5_iiiiiii.private_seg_size, 0
	.set _ZL8moe_q8_0IfLb1EEvPKvS1_PT_PKiS5_S5_iiiiiii.uses_vcc, 1
	.set _ZL8moe_q8_0IfLb1EEvPKvS1_PT_PKiS5_S5_iiiiiii.uses_flat_scratch, 0
	.set _ZL8moe_q8_0IfLb1EEvPKvS1_PT_PKiS5_S5_iiiiiii.has_dyn_sized_stack, 0
	.set _ZL8moe_q8_0IfLb1EEvPKvS1_PT_PKiS5_S5_iiiiiii.has_recursion, 0
	.set _ZL8moe_q8_0IfLb1EEvPKvS1_PT_PKiS5_S5_iiiiiii.has_indirect_call, 0
	.section	.AMDGPU.csdata,"",@progbits
; Kernel info:
; codeLenInByte = 4028
; TotalNumSgprs: 22
; NumVgprs: 126
; ScratchSize: 0
; MemoryBound: 0
; FloatMode: 240
; IeeeMode: 1
; LDSByteSize: 20160 bytes/workgroup (compile time only)
; SGPRBlocks: 0
; VGPRBlocks: 15
; NumSGPRsForWavesPerEU: 22
; NumVGPRsForWavesPerEU: 126
; Occupancy: 10
; WaveLimiterHint : 1
; COMPUTE_PGM_RSRC2:SCRATCH_EN: 0
; COMPUTE_PGM_RSRC2:USER_SGPR: 2
; COMPUTE_PGM_RSRC2:TRAP_HANDLER: 0
; COMPUTE_PGM_RSRC2:TGID_X_EN: 1
; COMPUTE_PGM_RSRC2:TGID_Y_EN: 1
; COMPUTE_PGM_RSRC2:TGID_Z_EN: 0
; COMPUTE_PGM_RSRC2:TIDIG_COMP_CNT: 1
	.section	.text._ZL8moe_q2_KIfLb0EEvPKvS1_PT_PKiS5_S5_iiiiiii,"axG",@progbits,_ZL8moe_q2_KIfLb0EEvPKvS1_PT_PKiS5_S5_iiiiiii,comdat
	.globl	_ZL8moe_q2_KIfLb0EEvPKvS1_PT_PKiS5_S5_iiiiiii ; -- Begin function _ZL8moe_q2_KIfLb0EEvPKvS1_PT_PKiS5_S5_iiiiiii
	.p2align	8
	.type	_ZL8moe_q2_KIfLb0EEvPKvS1_PT_PKiS5_S5_iiiiiii,@function
_ZL8moe_q2_KIfLb0EEvPKvS1_PT_PKiS5_S5_iiiiiii: ; @_ZL8moe_q2_KIfLb0EEvPKvS1_PT_PKiS5_S5_iiiiiii
; %bb.0:
	s_load_b128 s[4:7], s[0:1], 0x18
	s_mov_b32 s2, ttmp7
	s_mov_b32 s3, 0
	s_delay_alu instid0(SALU_CYCLE_1)
	s_lshl_b64 s[2:3], s[2:3], 2
	s_wait_kmcnt 0x0
	s_add_nc_u64 s[2:3], s[6:7], s[2:3]
	s_load_b32 s12, s[2:3], 0x0
	s_wait_kmcnt 0x0
	s_cmp_gt_u32 s12, 0xff
	s_cbranch_scc1 .LBB187_46
; %bb.1:
	s_load_b64 s[2:3], s[0:1], 0x28
	s_wait_kmcnt 0x0
	s_load_b32 s3, s[2:3], 0x0
	s_lshl_b32 s2, ttmp7, 3
	s_wait_kmcnt 0x0
	s_cmp_gt_u32 s2, s3
	s_cbranch_scc1 .LBB187_46
; %bb.2:
	v_bfe_u32 v3, v0, 10, 10
	v_mov_b32_e32 v2, 0
	s_lshl_b32 s18, ttmp9, 7
	s_delay_alu instid0(VALU_DEP_2) | instskip(NEXT) | instid1(VALU_DEP_2)
	v_add_nc_u32_e32 v1, s2, v3
	v_dual_mov_b32 v13, v2 :: v_dual_and_b32 v12, 0x3ff, v0
	v_mov_b32_e32 v44, v2
	v_mov_b32_e32 v48, v2
	s_delay_alu instid0(VALU_DEP_4) | instskip(NEXT) | instid1(VALU_DEP_1)
	v_lshlrev_b64_e32 v[4:5], 2, v[1:2]
	v_add_co_u32 v4, vcc_lo, s4, v4
	s_delay_alu instid0(VALU_DEP_1)
	v_add_co_ci_u32_e64 v5, null, s5, v5, vcc_lo
	global_load_b32 v11, v[4:5], off
	s_clause 0x2
	s_load_b64 s[10:11], s[0:1], 0x30
	s_load_b64 s[8:9], s[0:1], 0x10
	s_load_b128 s[4:7], s[0:1], 0x3c
	s_wait_kmcnt 0x0
	s_cmp_lt_i32 s11, 0x100
	s_cbranch_scc1 .LBB187_37
; %bb.3:
	s_abs_i32 s19, s7
	s_wait_loadcnt 0x0
	v_sub_nc_u32_e32 v6, 0, v11
	s_cvt_f32_u32 s16, s19
	s_sub_co_i32 s20, 0, s19
	s_ashr_i32 s13, s11, 31
	v_lshlrev_b32_e32 v2, 4, v3
	v_rcp_iflag_f32_e32 v9, s16
	v_max_i32_e32 v6, v11, v6
	v_bfe_u32 v4, v0, 1, 9
	v_bfe_u32 v18, v0, 3, 7
	s_lshr_b32 s13, s13, 24
	s_load_b128 s[0:3], s[0:1], 0x0
	s_ashr_i32 s15, s5, 31
	s_add_co_i32 s13, s11, s13
	v_dual_mov_b32 v13, 0 :: v_dual_and_b32 v16, 1, v0
	s_delay_alu instid0(TRANS32_DEP_1)
	v_readfirstlane_b32 s21, v9
	v_add_nc_u32_e32 v4, v4, v2
	v_lshl_add_u32 v8, v3, 2, v18
	s_mul_i32 s12, s12, s10
	s_ashr_i32 s10, s13, 8
	s_mul_f32 s21, s21, 0x4f7ffffe
	s_lshr_b32 s15, s15, 27
	v_and_b32_e32 v5, 7, v0
	s_add_co_i32 s5, s5, s15
	s_cvt_u32_f32 s21, s21
	s_lshl_b32 s15, s10, 5
	v_lshlrev_b32_e32 v7, 2, v16
	v_and_b32_e32 v10, 0x7f, v4
	s_mul_i32 s20, s20, s21
	v_lshrrev_b32_e32 v4, 2, v4
	s_mul_hi_u32 s20, s21, s20
	v_mul_i32_i24_e32 v30, s10, v8
	s_add_co_i32 s21, s21, s20
	v_and_b32_e32 v37, 0x1ffc, v8
	v_mul_hi_u32 v47, v6, s21
	v_lshlrev_b32_e32 v44, 5, v8
	v_add_nc_u32_e32 v41, 32, v8
	v_add_nc_u32_e32 v9, 64, v8
	v_mad_i32_i24 v33, s10, v8, s15
	v_add_nc_u32_e32 v8, 0x60, v8
	v_cmp_lt_u32_e32 vcc_lo, 3, v5
	v_lshlrev_b32_e32 v5, 2, v5
	v_mul_lo_u32 v45, v47, s19
	v_lshl_or_b32 v7, v10, 3, v7
	v_and_b32_e32 v4, 28, v4
	v_and_b32_e32 v40, 0x3ffc, v41
	;; [unrolled: 1-line block ×4, first 2 shown]
	s_mul_i32 s16, s10, s18
	v_mul_i32_i24_e32 v35, s10, v10
	v_add3_u32 v10, v37, v5, 0x4200
	v_add3_u32 v39, v7, v4, 0x5280
	;; [unrolled: 1-line block ×5, first 2 shown]
	v_and_b32_e32 v46, 31, v0
	v_lshl_add_u32 v43, v3, 7, 0x56a0
	v_sub_nc_u32_e32 v6, v6, v45
	s_ashr_i32 s13, s12, 31
	s_wait_alu 0xfffe
	s_ashr_i32 s17, s16, 31
	s_wait_kmcnt 0x0
	s_add_nc_u64 s[0:1], s[0:1], s[12:13]
	s_wait_alu 0xfffe
	s_mul_u64 s[16:17], s[16:17], 0x54
	v_add_nc_u32_e32 v49, 1, v47
	s_wait_alu 0xfffe
	s_add_nc_u64 s[12:13], s[0:1], s[16:17]
	v_lshl_add_u32 v45, v46, 2, v43
	v_add_nc_u32_e32 v46, 0x5aa0, v2
	v_subrev_nc_u32_e32 v2, s19, v6
	v_cmp_le_u32_e64 s0, s19, v6
	s_lshl_b32 s14, s10, 3
	v_add_nc_u32_e32 v54, 32, v12
	s_wait_alu 0xfffe
	v_mad_i32_i24 v15, s10, v3, s14
	v_lshlrev_b32_e32 v58, 5, v12
	v_cndmask_b32_e64 v49, v47, v49, s0
	v_cndmask_b32_e64 v2, v6, v2, s0
	v_and_b32_e32 v57, 0xfc, v0
	v_add_nc_u32_e32 v17, s14, v15
	v_and_b32_e32 v59, 0x1fc, v54
	v_add_nc_u32_e32 v6, 1, v49
	v_cmp_le_u32_e64 s0, s19, v2
	v_lshlrev_b32_e32 v66, 1, v54
	v_lshrrev_b32_e32 v65, 4, v54
	v_lshlrev_b32_e32 v1, 2, v12
	v_lshlrev_b32_e32 v9, 5, v9
	s_wait_alu 0xf1ff
	v_cndmask_b32_e64 v2, v49, v6, s0
	v_lshrrev_b32_e32 v49, 3, v54
	v_add_nc_u32_e32 v54, v58, v57
	v_add_nc_u32_e32 v57, v58, v59
	v_dual_mov_b32 v44, 0 :: v_dual_add_nc_u32 v59, v10, v44
	v_add_nc_u32_e32 v19, s14, v17
	v_mul_i32_i24_e32 v28, s10, v3
	v_dual_mov_b32 v48, 0 :: v_dual_add_nc_u32 v61, v48, v9
	v_and_b32_e32 v21, 60, v1
	s_delay_alu instid0(VALU_DEP_4)
	v_add_nc_u32_e32 v20, s14, v19
	v_mad_u32_u24 v22, 0x84, v3, v1
	v_and_b32_e32 v26, 12, v1
	v_lshlrev_b32_e32 v3, 5, v8
	v_and_b32_e32 v8, 28, v1
	v_add_nc_u32_e32 v23, s14, v20
	v_add_nc_u32_e32 v47, v46, v1
	v_xor_b32_e32 v1, s7, v11
	s_ashr_i32 s5, s5, 5
	v_add_nc_u32_e32 v55, 64, v12
	v_add_nc_u32_e32 v25, s14, v23
	;; [unrolled: 1-line block ×3, first 2 shown]
	v_ashrrev_i32_e32 v1, 31, v1
	v_bfe_u32 v14, v0, 4, 6
	v_lshlrev_b32_e32 v7, 5, v41
	v_add_nc_u32_e32 v27, s14, v25
	v_add_nc_u32_e32 v41, s15, v33
	v_xor_b32_e32 v2, v2, v1
	v_mul_u32_u24_e32 v53, 33, v12
	v_lshlrev_b32_e32 v6, 1, v12
	v_add_nc_u32_e32 v29, s14, v27
	v_lshlrev_b32_e32 v68, 1, v55
	v_sub_nc_u32_e32 v1, v2, v1
	v_lshrrev_b32_e32 v67, 4, v55
	v_lshlrev_b32_e32 v70, 1, v56
	v_add_nc_u32_e32 v31, s14, v29
	v_lshrrev_b32_e32 v2, 4, v56
	s_wait_alu 0xfffe
	v_mul_lo_u32 v52, v1, s5
	v_add_co_u32 v0, s1, s2, v8
	v_add_nc_u32_e32 v32, s14, v31
	v_and_b32_e32 v8, 0x1fc, v56
	v_and_b32_e32 v60, 0x1fc, v55
	s_wait_alu 0xfffd
	v_cndmask_b32_e64 v24, 0, 1, vcc_lo
	v_cmp_gt_u32_e32 vcc_lo, 4, v12
	v_add_nc_u32_e32 v34, s14, v32
	v_cmp_gt_i32_e64 s0, s4, v1
	v_add_nc_u32_e32 v42, s15, v41
	v_lshrrev_b32_e32 v50, 3, v55
	v_lshrrev_b32_e32 v51, 3, v56
	v_add_nc_u32_e32 v36, s14, v34
	s_wait_alu 0xf1ff
	v_add_co_ci_u32_e64 v1, null, s3, 0, s1
	v_lshlrev_b32_e32 v53, 2, v53
	v_ashrrev_i32_e32 v55, 31, v52
	v_add_nc_u32_e32 v37, s14, v36
	v_add_nc_u32_e32 v56, v58, v8
	;; [unrolled: 1-line block ×6, first 2 shown]
	v_lshlrev_b32_e32 v63, 2, v14
	v_lshlrev_b32_e32 v64, 2, v6
	v_lshlrev_b32_e32 v65, 2, v65
	v_lshlrev_b32_e32 v66, 2, v66
	v_add_nc_u32_e32 v40, s14, v38
	v_lshlrev_b32_e32 v67, 2, v67
	v_lshlrev_b32_e32 v68, 2, v68
	;; [unrolled: 1-line block ×4, first 2 shown]
	v_mov_b32_e32 v2, 0
	s_mov_b32 s15, 0
	s_and_b32 s19, vcc_lo, s0
	s_wait_alu 0xfffe
	s_mov_b32 s14, s15
	s_branch .LBB187_5
.LBB187_4:                              ;   in Loop: Header=BB187_5 Depth=1
	s_add_co_i32 s14, s14, 2
	s_wait_alu 0xfffe
	s_cmp_ge_i32 s14, s10
	s_cbranch_scc1 .LBB187_37
.LBB187_5:                              ; =>This Loop Header: Depth=1
                                        ;     Child Loop BB187_11 Depth 2
                                        ;     Child Loop BB187_19 Depth 2
	;; [unrolled: 1-line block ×4, first 2 shown]
	s_wait_alu 0xfffe
	s_mul_u64 s[16:17], s[14:15], 0x54
	v_add_nc_u32_e32 v97, 0x39c0, v22
	s_wait_alu 0xfffe
	s_add_nc_u64 s[16:17], s[12:13], s[16:17]
	v_add_nc_u32_e32 v98, 0x3de0, v22
	s_wait_alu 0xfffe
	v_mad_co_u64_u32 v[3:4], null, 0x54, v14, s[16:17]
	s_delay_alu instid0(VALU_DEP_1) | instskip(SKIP_3) | instid1(VALU_DEP_4)
	v_mad_co_u64_u32 v[5:6], null, 0x54, v28, v[3:4]
	v_mad_co_u64_u32 v[7:8], null, 0x54, v15, v[3:4]
	;; [unrolled: 1-line block ×4, first 2 shown]
	v_add_co_u32 v5, s1, v5, v21
	v_mad_co_u64_u32 v[73:74], null, 0x54, v20, v[3:4]
	s_wait_alu 0xf1ff
	v_add_co_ci_u32_e64 v6, null, 0, v6, s1
	v_add_co_u32 v7, s1, v7, v21
	v_mad_co_u64_u32 v[75:76], null, 0x54, v23, v[3:4]
	s_wait_alu 0xf1ff
	v_add_co_ci_u32_e64 v8, null, 0, v8, s1
	;; [unrolled: 4-line block ×4, first 2 shown]
	v_add_co_u32 v73, s1, v73, v21
	s_wait_alu 0xf1ff
	v_add_co_ci_u32_e64 v74, null, 0, v74, s1
	v_add_co_u32 v75, s1, v75, v21
	s_wait_alu 0xf1ff
	v_add_co_ci_u32_e64 v76, null, 0, v76, s1
	;; [unrolled: 3-line block ×3, first 2 shown]
	v_add_co_u32 v79, s1, v79, v21
	v_mad_co_u64_u32 v[81:82], null, 0x54, v29, v[3:4]
	s_wait_alu 0xf1ff
	v_add_co_ci_u32_e64 v80, null, 0, v80, s1
	s_clause 0x7
	global_load_b32 v89, v[5:6], off offset:16
	global_load_b32 v90, v[7:8], off offset:16
	global_load_b32 v91, v[9:10], off offset:16
	global_load_b32 v92, v[71:72], off offset:16
	global_load_b32 v93, v[73:74], off offset:16
	global_load_b32 v94, v[75:76], off offset:16
	global_load_b32 v95, v[77:78], off offset:16
	global_load_b32 v96, v[79:80], off offset:16
	v_mad_co_u64_u32 v[5:6], null, 0x54, v31, v[3:4]
	v_mad_co_u64_u32 v[9:10], null, 0x54, v32, v[3:4]
	;; [unrolled: 1-line block ×3, first 2 shown]
	v_add_co_u32 v7, s1, v81, v21
	v_mad_co_u64_u32 v[73:74], null, 0x54, v36, v[3:4]
	s_wait_alu 0xf1ff
	v_add_co_ci_u32_e64 v8, null, 0, v82, s1
	v_add_co_u32 v5, s1, v5, v21
	v_mad_co_u64_u32 v[75:76], null, 0x54, v37, v[3:4]
	s_wait_alu 0xf1ff
	v_add_co_ci_u32_e64 v6, null, 0, v6, s1
	;; [unrolled: 4-line block ×4, first 2 shown]
	v_add_co_u32 v73, s1, v73, v21
	s_wait_alu 0xf1ff
	v_add_co_ci_u32_e64 v74, null, 0, v74, s1
	v_add_co_u32 v75, s1, v75, v21
	v_mad_co_u64_u32 v[3:4], null, 0x54, v40, v[3:4]
	s_wait_alu 0xf1ff
	v_add_co_ci_u32_e64 v76, null, 0, v76, s1
	v_add_co_u32 v77, s1, v77, v21
	v_mad_co_u64_u32 v[81:82], null, 0x54, v35, s[16:17]
	s_wait_alu 0xf1ff
	v_add_co_ci_u32_e64 v78, null, 0, v78, s1
	v_add_co_u32 v79, s1, v79, v26
	s_wait_alu 0xf1ff
	v_add_co_ci_u32_e64 v80, null, 0, v80, s1
	v_add_co_u32 v3, s1, v3, v21
	s_wait_alu 0xf1ff
	v_add_co_ci_u32_e64 v4, null, 0, v4, s1
	v_mad_co_u64_u32 v[81:82], null, 0x54, v16, v[81:82]
	v_mad_co_u64_u32 v[83:84], null, 0x54, v30, v[79:80]
	;; [unrolled: 1-line block ×5, first 2 shown]
	s_clause 0xc
	global_load_b32 v7, v[7:8], off offset:16
	global_load_b32 v5, v[5:6], off offset:16
	global_load_b32 v6, v[9:10], off offset:16
	global_load_b32 v8, v[71:72], off offset:16
	global_load_b32 v9, v[73:74], off offset:16
	global_load_b32 v10, v[75:76], off offset:16
	global_load_b32 v71, v[77:78], off offset:16
	global_load_b32 v3, v[3:4], off offset:16
	global_load_b32 v4, v[81:82], off offset:80
	global_load_b32 v72, v[83:84], off
	global_load_b32 v73, v[85:86], off
	;; [unrolled: 1-line block ×4, first 2 shown]
	s_lshl_b32 s16, s14, 8
	v_add_nc_u32_e32 v76, 0x420, v22
	v_add_nc_u32_e32 v77, 0x840, v22
	;; [unrolled: 1-line block ×3, first 2 shown]
	s_wait_alu 0xfffe
	s_cmp_lt_i32 s16, s11
	v_add_nc_u32_e32 v79, 0x1080, v22
	v_add_nc_u32_e32 v80, 0x14a0, v22
	;; [unrolled: 1-line block ×10, first 2 shown]
	s_wait_loadcnt 0x14
	ds_store_b32 v22, v89
	s_wait_loadcnt 0x13
	ds_store_b32 v76, v90
	;; [unrolled: 2-line block ×21, first 2 shown]
	s_cbranch_scc0 .LBB187_4
; %bb.6:                                ;   in Loop: Header=BB187_5 Depth=1
	s_lshl_b32 s17, s14, 3
	s_wait_alu 0xfffe
	v_add_nc_u32_e32 v3, s17, v18
	s_delay_alu instid0(VALU_DEP_1)
	v_cmp_gt_i32_e64 s1, s5, v3
	s_and_b32 s20, s0, s1
	s_wait_alu 0xfffe
	s_and_saveexec_b32 s1, s20
	s_cbranch_execz .LBB187_8
; %bb.7:                                ;   in Loop: Header=BB187_5 Depth=1
	v_add_nc_u32_e32 v3, v52, v3
	s_delay_alu instid0(VALU_DEP_1)
	v_mad_co_i64_i32 v[3:4], null, v3, 36, v[0:1]
	global_load_b32 v3, v[3:4], off offset:4
	s_wait_loadcnt 0x0
	ds_store_b32 v45, v3
.LBB187_8:                              ;   in Loop: Header=BB187_5 Depth=1
	s_wait_alu 0xfffe
	s_or_b32 exec_lo, exec_lo, s1
	v_add_nc_u32_e32 v71, s17, v12
	s_delay_alu instid0(VALU_DEP_1)
	v_cmp_gt_i32_e64 s1, s5, v71
	s_and_b32 s20, s19, s1
	s_wait_alu 0xfffe
	s_and_saveexec_b32 s1, s20
	s_cbranch_execz .LBB187_10
; %bb.9:                                ;   in Loop: Header=BB187_5 Depth=1
	v_add_nc_u32_e32 v3, v52, v71
	s_delay_alu instid0(VALU_DEP_1)
	v_mad_co_i64_i32 v[3:4], null, v3, 36, s[2:3]
	global_load_b32 v3, v[3:4], off
	s_wait_loadcnt 0x0
	v_cvt_f32_f16_e32 v3, v3
	ds_store_b32 v47, v3
.LBB187_10:                             ;   in Loop: Header=BB187_5 Depth=1
	s_wait_alu 0xfffe
	s_or_b32 exec_lo, exec_lo, s1
	v_dual_mov_b32 v72, v46 :: v_dual_mov_b32 v73, v43
	s_mov_b32 s1, 0
	s_wait_dscnt 0x0
	s_barrier_signal -1
	s_barrier_wait -1
	global_inv scope:SCOPE_SE
.LBB187_11:                             ;   Parent Loop BB187_5 Depth=1
                                        ; =>  This Inner Loop Header: Depth=2
	ds_load_b128 v[3:6], v73 offset:16
	ds_load_b128 v[7:10], v73
	s_wait_alu 0xfffe
	s_and_b32 s20, s1, 0x3ffffff8
	v_add_nc_u32_e32 v73, 32, v73
	s_wait_alu 0xfffe
	v_lshl_add_u32 v104, s20, 2, v53
	s_and_b32 s20, s1, -16
	s_wait_alu 0xfffe
	s_add_co_i32 s20, s1, s20
	s_delay_alu instid0(VALU_DEP_1)
	v_add_nc_u32_e32 v111, 0x2108, v104
	v_add_nc_u32_e32 v113, 0x2110, v104
	;; [unrolled: 1-line block ×4, first 2 shown]
	s_wait_dscnt 0x1
	v_lshrrev_b16 v106, 8, v3
	s_wait_dscnt 0x0
	v_ashrrev_i32_e32 v85, 24, v7
	v_bfe_i32 v97, v8, 8, 8
	v_bfe_i32 v99, v7, 0, 8
	;; [unrolled: 1-line block ×3, first 2 shown]
	v_ashrrev_i32_e32 v96, 24, v8
	v_bfe_i32 v93, v7, 8, 8
	v_bfe_i32 v101, v8, 0, 8
	;; [unrolled: 1-line block ×3, first 2 shown]
	v_lshrrev_b16 v100, 8, v9
	v_ashrrev_i32_e32 v81, 24, v9
	v_bfe_i32 v82, v9, 16, 8
	v_bfe_i32 v103, v9, 0, 8
	v_lshrrev_b16 v102, 8, v10
	v_ashrrev_i32_e32 v74, 24, v10
	v_bfe_i32 v75, v10, 16, 8
	v_bfe_i32 v78, v10, 0, 8
	v_ashrrev_i32_e32 v90, 24, v3
	v_bfe_i32 v94, v3, 0, 8
	v_bfe_i32 v88, v3, 16, 8
	v_lshrrev_b16 v105, 8, v4
	v_ashrrev_i32_e32 v91, 24, v4
	v_bfe_i32 v95, v4, 0, 8
	v_bfe_i32 v89, v4, 16, 8
	v_ashrrev_i32_e32 v83, 24, v5
	v_bfe_i32 v84, v5, 16, 8
	v_bfe_i32 v87, v5, 0, 8
	;; [unrolled: 1-line block ×3, first 2 shown]
	v_ashrrev_i32_e32 v76, 24, v6
	v_bfe_i32 v77, v6, 16, 8
	v_bfe_i32 v80, v6, 0, 8
	;; [unrolled: 1-line block ×3, first 2 shown]
	ds_load_2addr_b32 v[9:10], v104 offset1:1
	ds_load_2addr_b32 v[5:6], v104 offset0:2 offset1:3
	ds_load_2addr_b32 v[7:8], v104 offset0:4 offset1:5
	;; [unrolled: 1-line block ×3, first 2 shown]
	v_bfe_i32 v123, v106, 0, 8
	v_bfe_i32 v127, v105, 0, 8
	;; [unrolled: 1-line block ×4, first 2 shown]
	s_wait_dscnt 0x3
	v_ashrrev_i32_e32 v10, s1, v10
	v_ashrrev_i32_e32 v124, s1, v9
	s_wait_dscnt 0x1
	v_ashrrev_i32_e32 v7, s1, v7
	v_ashrrev_i32_e32 v5, s1, v5
	;; [unrolled: 1-line block ×3, first 2 shown]
	v_and_b32_e32 v107, 3, v10
	v_bfe_u32 v108, v10, 8, 2
	v_and_b32_e32 v106, 3, v7
	v_and_b32_e32 v9, 3, v124
	;; [unrolled: 1-line block ×3, first 2 shown]
	v_mul_i32_i24_e32 v107, v107, v101
	s_wait_dscnt 0x0
	v_ashrrev_i32_e32 v3, s1, v3
	v_mul_i32_i24_e32 v106, v106, v94
	v_mul_i32_i24_e32 v9, v99, v9
	;; [unrolled: 1-line block ×3, first 2 shown]
	v_mad_i32_i24 v107, v108, v97, v107
	v_bfe_u32 v108, v10, 16, 2
	v_bfe_u32 v10, v10, 24, 2
	v_ashrrev_i32_e32 v6, s1, v6
	v_ashrrev_i32_e32 v4, s1, v4
	s_delay_alu instid0(VALU_DEP_4) | instskip(NEXT) | instid1(VALU_DEP_4)
	v_mul_i32_i24_e32 v108, v108, v98
	v_mul_i32_i24_e32 v10, v10, v96
	s_delay_alu instid0(VALU_DEP_1) | instskip(SKIP_1) | instid1(VALU_DEP_1)
	v_add3_u32 v10, v107, v108, v10
	v_bfe_u32 v107, v7, 8, 2
	v_mad_i32_i24 v106, v107, v123, v106
	v_bfe_u32 v107, v7, 16, 2
	v_bfe_u32 v7, v7, 24, 2
	s_delay_alu instid0(VALU_DEP_2) | instskip(NEXT) | instid1(VALU_DEP_2)
	v_mul_i32_i24_e32 v107, v107, v88
	v_mul_i32_i24_e32 v7, v7, v90
	s_delay_alu instid0(VALU_DEP_1) | instskip(SKIP_2) | instid1(VALU_DEP_2)
	v_add3_u32 v7, v106, v107, v7
	v_and_b32_e32 v106, 3, v5
	v_add_nc_u32_e32 v107, 0x1098, v104
	v_mul_i32_i24_e32 v106, v106, v103
	s_delay_alu instid0(VALU_DEP_1) | instskip(SKIP_1) | instid1(VALU_DEP_1)
	v_add3_u32 v125, v10, v106, v9
	v_bfe_u32 v9, v126, 8, 2
	v_mul_i32_i24_e32 v9, v9, v127
	s_delay_alu instid0(VALU_DEP_1)
	v_add3_u32 v128, v7, v8, v9
	v_add_nc_u32_e32 v7, 0x1080, v104
	v_add_nc_u32_e32 v9, 0x1088, v104
	ds_load_2addr_b32 v[7:8], v7 offset1:1
	ds_load_2addr_b32 v[9:10], v9 offset1:1
	s_wait_dscnt 0x1
	v_ashrrev_i32_e32 v8, s1, v8
	v_ashrrev_i32_e32 v7, s1, v7
	s_wait_dscnt 0x0
	v_ashrrev_i32_e32 v9, s1, v9
	s_delay_alu instid0(VALU_DEP_3) | instskip(SKIP_1) | instid1(VALU_DEP_2)
	v_and_b32_e32 v105, 3, v8
	v_bfe_u32 v106, v8, 8, 2
	v_mul_i32_i24_e32 v105, v105, v101
	s_delay_alu instid0(VALU_DEP_1) | instskip(SKIP_2) | instid1(VALU_DEP_2)
	v_mad_i32_i24 v105, v106, v97, v105
	v_bfe_u32 v106, v8, 16, 2
	v_bfe_u32 v8, v8, 24, 2
	v_mul_i32_i24_e32 v106, v106, v98
	s_delay_alu instid0(VALU_DEP_2) | instskip(NEXT) | instid1(VALU_DEP_1)
	v_mul_i32_i24_e32 v8, v8, v96
	v_add3_u32 v8, v105, v106, v8
	s_wait_alu 0xfffe
	v_add_nc_u32_e32 v105, s20, v57
	ds_load_u16 v129, v105 offset:17920
	v_add_nc_u32_e32 v105, 0x1090, v104
	ds_load_2addr_b32 v[105:106], v105 offset1:1
	ds_load_2addr_b32 v[107:108], v107 offset1:1
	s_wait_dscnt 0x1
	v_ashrrev_i32_e32 v105, s1, v105
	v_ashrrev_i32_e32 v106, s1, v106
	s_delay_alu instid0(VALU_DEP_2) | instskip(SKIP_1) | instid1(VALU_DEP_2)
	v_and_b32_e32 v109, 3, v105
	v_bfe_u32 v110, v105, 8, 2
	v_mul_i32_i24_e32 v109, v109, v94
	s_delay_alu instid0(VALU_DEP_1) | instskip(SKIP_2) | instid1(VALU_DEP_2)
	v_mad_i32_i24 v109, v110, v123, v109
	v_bfe_u32 v110, v105, 16, 2
	v_bfe_u32 v105, v105, 24, 2
	v_mul_i32_i24_e32 v110, v110, v88
	s_delay_alu instid0(VALU_DEP_2) | instskip(NEXT) | instid1(VALU_DEP_1)
	v_mul_i32_i24_e32 v105, v105, v90
	v_add3_u32 v130, v109, v110, v105
	v_add_nc_u32_e32 v105, 0x2100, v104
	ds_load_2addr_b32 v[109:110], v105 offset1:1
	ds_load_2addr_b32 v[111:112], v111 offset1:1
	;; [unrolled: 1-line block ×4, first 2 shown]
	s_wait_dscnt 0x3
	v_ashrrev_i32_e32 v105, s1, v110
	v_ashrrev_i32_e32 v109, s1, v109
	s_wait_dscnt 0x2
	v_ashrrev_i32_e32 v111, s1, v111
	s_wait_dscnt 0x1
	v_ashrrev_i32_e32 v114, s1, v114
	v_and_b32_e32 v110, 3, v105
	v_bfe_u32 v117, v105, 8, 2
	s_delay_alu instid0(VALU_DEP_2) | instskip(NEXT) | instid1(VALU_DEP_1)
	v_mul_i32_i24_e32 v110, v110, v101
	v_mad_i32_i24 v110, v117, v97, v110
	v_bfe_u32 v117, v105, 16, 2
	v_bfe_u32 v105, v105, 24, 2
	s_delay_alu instid0(VALU_DEP_2) | instskip(NEXT) | instid1(VALU_DEP_2)
	v_mul_i32_i24_e32 v117, v117, v98
	v_mul_i32_i24_e32 v105, v105, v96
	s_delay_alu instid0(VALU_DEP_1) | instskip(SKIP_1) | instid1(VALU_DEP_1)
	v_add3_u32 v110, v110, v117, v105
	v_ashrrev_i32_e32 v105, s1, v113
	v_and_b32_e32 v113, 3, v105
	v_bfe_u32 v117, v105, 8, 2
	s_delay_alu instid0(VALU_DEP_2) | instskip(NEXT) | instid1(VALU_DEP_1)
	v_mul_i32_i24_e32 v113, v113, v94
	v_mad_i32_i24 v113, v117, v123, v113
	v_bfe_u32 v117, v105, 16, 2
	v_bfe_u32 v105, v105, 24, 2
	s_delay_alu instid0(VALU_DEP_2) | instskip(NEXT) | instid1(VALU_DEP_2)
	v_mul_i32_i24_e32 v117, v117, v88
	v_mul_i32_i24_e32 v105, v105, v90
	s_delay_alu instid0(VALU_DEP_1)
	v_add3_u32 v113, v113, v117, v105
	v_add_nc_u32_e32 v105, 0x3180, v104
	ds_load_2addr_b32 v[117:118], v105 offset1:1
	ds_load_2addr_b32 v[119:120], v119 offset1:1
	s_wait_dscnt 0x1
	v_ashrrev_i32_e32 v105, s1, v118
	v_ashrrev_i32_e32 v117, s1, v117
	s_wait_dscnt 0x0
	v_ashrrev_i32_e32 v119, s1, v119
	s_delay_alu instid0(VALU_DEP_3) | instskip(SKIP_1) | instid1(VALU_DEP_2)
	v_and_b32_e32 v118, 3, v105
	v_bfe_u32 v121, v105, 8, 2
	v_mul_i32_i24_e32 v118, v118, v101
	s_delay_alu instid0(VALU_DEP_1) | instskip(SKIP_3) | instid1(VALU_DEP_3)
	v_mad_i32_i24 v118, v121, v97, v118
	v_bfe_u32 v121, v105, 16, 2
	v_bfe_u32 v105, v105, 24, 2
	v_add_nc_u32_e32 v97, v93, v97
	v_mul_i32_i24_e32 v121, v121, v98
	s_delay_alu instid0(VALU_DEP_3) | instskip(NEXT) | instid1(VALU_DEP_3)
	v_mul_i32_i24_e32 v105, v105, v96
	v_add3_u32 v97, v97, v100, v102
	v_add_nc_u32_e32 v96, v96, v85
	v_add_nc_u32_e32 v98, v98, v92
	s_delay_alu instid0(VALU_DEP_4)
	v_add3_u32 v118, v118, v121, v105
	v_add_nc_u32_e32 v105, 0x3190, v104
	v_add_nc_u32_e32 v121, 0x3198, v104
	;; [unrolled: 1-line block ×3, first 2 shown]
	ds_load_u16 v131, v104 offset:19968
	ds_load_2addr_b32 v[104:105], v105 offset1:1
	ds_load_2addr_b32 v[121:122], v121 offset1:1
	v_add3_u32 v96, v96, v81, v74
	v_add3_u32 v98, v98, v82, v75
	s_wait_dscnt 0x1
	v_ashrrev_i32_e32 v104, s1, v104
	v_ashrrev_i32_e32 v105, s1, v105
	s_delay_alu instid0(VALU_DEP_2) | instskip(SKIP_1) | instid1(VALU_DEP_2)
	v_and_b32_e32 v132, 3, v104
	v_bfe_u32 v133, v104, 8, 2
	v_mul_i32_i24_e32 v132, v132, v94
	v_add_nc_u32_e32 v94, v95, v94
	s_delay_alu instid0(VALU_DEP_2) | instskip(SKIP_2) | instid1(VALU_DEP_4)
	v_mad_i32_i24 v132, v133, v123, v132
	v_bfe_u32 v133, v104, 16, 2
	v_bfe_u32 v104, v104, 24, 2
	v_add3_u32 v94, v94, v87, v80
	s_delay_alu instid0(VALU_DEP_3) | instskip(NEXT) | instid1(VALU_DEP_3)
	v_mul_i32_i24_e32 v133, v133, v88
	v_mul_i32_i24_e32 v104, v104, v90
	v_add_nc_u32_e32 v90, v91, v90
	v_add_nc_u32_e32 v88, v89, v88
	s_delay_alu instid0(VALU_DEP_3)
	v_add3_u32 v104, v132, v133, v104
	v_bfe_u32 v132, v124, 8, 2
	v_bfe_u32 v133, v124, 16, 2
	;; [unrolled: 1-line block ×3, first 2 shown]
	v_add3_u32 v90, v90, v83, v76
	v_add3_u32 v88, v88, v84, v77
	v_mul_i32_i24_e32 v132, v93, v132
	v_mul_i32_i24_e32 v133, v92, v133
	;; [unrolled: 1-line block ×3, first 2 shown]
	s_delay_alu instid0(VALU_DEP_2) | instskip(SKIP_2) | instid1(VALU_DEP_2)
	v_add3_u32 v125, v125, v132, v133
	v_bfe_u32 v132, v126, 16, 2
	v_bfe_u32 v126, v126, 24, 2
	v_mul_i32_i24_e32 v132, v132, v89
	s_delay_alu instid0(VALU_DEP_2) | instskip(NEXT) | instid1(VALU_DEP_1)
	v_mul_i32_i24_e32 v126, v126, v91
	v_add3_u32 v126, v128, v132, v126
	v_and_b32_e32 v128, 3, v7
	v_and_b32_e32 v132, 3, v9
	s_delay_alu instid0(VALU_DEP_2) | instskip(NEXT) | instid1(VALU_DEP_2)
	v_mul_i32_i24_e32 v128, v99, v128
	v_mul_i32_i24_e32 v132, v132, v103
	s_delay_alu instid0(VALU_DEP_1) | instskip(SKIP_2) | instid1(VALU_DEP_2)
	v_add3_u32 v8, v8, v132, v128
	v_and_b32_e32 v128, 3, v106
	v_bfe_u32 v132, v106, 8, 2
	v_mul_i32_i24_e32 v128, v128, v95
	s_delay_alu instid0(VALU_DEP_2) | instskip(NEXT) | instid1(VALU_DEP_1)
	v_mul_i32_i24_e32 v132, v132, v127
	v_add3_u32 v128, v130, v128, v132
	v_and_b32_e32 v130, 3, v109
	v_and_b32_e32 v132, 3, v111
	s_delay_alu instid0(VALU_DEP_2) | instskip(NEXT) | instid1(VALU_DEP_2)
	v_mul_i32_i24_e32 v130, v99, v130
	v_mul_i32_i24_e32 v132, v132, v103
	s_delay_alu instid0(VALU_DEP_1) | instskip(SKIP_2) | instid1(VALU_DEP_2)
	v_add3_u32 v110, v110, v132, v130
	v_and_b32_e32 v130, 3, v114
	v_bfe_u32 v132, v114, 8, 2
	v_mul_i32_i24_e32 v130, v130, v95
	s_delay_alu instid0(VALU_DEP_2) | instskip(NEXT) | instid1(VALU_DEP_1)
	v_mul_i32_i24_e32 v132, v132, v127
	v_add3_u32 v113, v113, v130, v132
	v_and_b32_e32 v130, 3, v117
	v_and_b32_e32 v132, 3, v119
	s_delay_alu instid0(VALU_DEP_2) | instskip(SKIP_2) | instid1(VALU_DEP_4)
	v_mul_i32_i24_e32 v130, v99, v130
	v_add_nc_u32_e32 v99, v101, v99
	v_add_nc_u32_e32 v101, 0x4200, v54
	v_mul_i32_i24_e32 v132, v132, v103
	s_delay_alu instid0(VALU_DEP_3) | instskip(NEXT) | instid1(VALU_DEP_3)
	v_add3_u32 v99, v99, v103, v78
	v_add_nc_u32_e32 v101, s20, v101
	s_delay_alu instid0(VALU_DEP_3)
	v_add3_u32 v118, v118, v132, v130
	v_and_b32_e32 v130, 3, v105
	v_bfe_u32 v132, v105, 8, 2
	ds_load_u16 v101, v101
	v_mul_i32_i24_e32 v130, v130, v95
	v_mul_i32_i24_e32 v132, v132, v127
	v_add_nc_u32_e32 v95, v127, v123
	s_delay_alu instid0(VALU_DEP_2) | instskip(NEXT) | instid1(VALU_DEP_2)
	v_add3_u32 v104, v104, v130, v132
	v_add3_u32 v95, v95, v86, v79
	s_wait_dscnt 0x0
	v_bfe_u32 v103, v101, 4, 4
	s_delay_alu instid0(VALU_DEP_1) | instskip(NEXT) | instid1(VALU_DEP_1)
	v_mul_lo_u32 v103, 0x1010101, v103
	v_bfe_i32 v130, v103, 0, 8
	v_bfe_i32 v132, v103, 8, 8
	s_delay_alu instid0(VALU_DEP_2) | instskip(NEXT) | instid1(VALU_DEP_1)
	v_mul_i32_i24_e32 v130, v99, v130
	v_mad_i32_i24 v130, v97, v132, v130
	v_lshrrev_b32_e32 v132, 24, v103
	v_bfe_i32 v103, v103, 16, 8
	s_delay_alu instid0(VALU_DEP_2) | instskip(NEXT) | instid1(VALU_DEP_2)
	v_mul_i32_i24_e32 v132, v96, v132
	v_mul_i32_i24_e32 v103, v98, v103
	s_delay_alu instid0(VALU_DEP_1) | instskip(SKIP_1) | instid1(VALU_DEP_1)
	v_add3_u32 v103, v130, v103, v132
	v_bfe_u32 v130, v129, 4, 4
	v_mul_lo_u32 v130, 0x1010101, v130
	s_delay_alu instid0(VALU_DEP_1) | instskip(SKIP_1) | instid1(VALU_DEP_2)
	v_bfe_i32 v132, v130, 0, 8
	v_bfe_i32 v133, v130, 8, 8
	v_mul_i32_i24_e32 v132, v99, v132
	s_delay_alu instid0(VALU_DEP_1) | instskip(SKIP_2) | instid1(VALU_DEP_2)
	v_mad_i32_i24 v132, v97, v133, v132
	v_lshrrev_b32_e32 v133, 24, v130
	v_bfe_i32 v130, v130, 16, 8
	v_mul_i32_i24_e32 v133, v96, v133
	s_delay_alu instid0(VALU_DEP_2) | instskip(NEXT) | instid1(VALU_DEP_1)
	v_mul_i32_i24_e32 v130, v98, v130
	v_add3_u32 v130, v132, v130, v133
	v_add_nc_u32_e32 v132, s20, v58
	s_lshr_b32 s20, s1, 2
	s_wait_alu 0xfffe
	s_and_b32 s20, s20, 0x3ffffffc
	ds_load_u16 v132, v132 offset:18944
	s_wait_alu 0xfffe
	s_addk_co_i32 s20, 0x5280
	s_wait_dscnt 0x0
	v_bfe_u32 v133, v132, 4, 4
	s_delay_alu instid0(VALU_DEP_1) | instskip(NEXT) | instid1(VALU_DEP_1)
	v_mul_lo_u32 v133, 0x1010101, v133
	v_bfe_i32 v134, v133, 0, 8
	v_bfe_i32 v135, v133, 8, 8
	s_delay_alu instid0(VALU_DEP_2) | instskip(NEXT) | instid1(VALU_DEP_1)
	v_mul_i32_i24_e32 v134, v99, v134
	v_mad_i32_i24 v134, v97, v135, v134
	v_lshrrev_b32_e32 v135, 24, v133
	v_bfe_i32 v133, v133, 16, 8
	s_delay_alu instid0(VALU_DEP_2) | instskip(NEXT) | instid1(VALU_DEP_2)
	v_mul_i32_i24_e32 v135, v96, v135
	v_mul_i32_i24_e32 v133, v98, v133
	s_delay_alu instid0(VALU_DEP_1) | instskip(SKIP_1) | instid1(VALU_DEP_1)
	v_add3_u32 v133, v134, v133, v135
	v_bfe_u32 v134, v5, 8, 2
	v_mul_i32_i24_e32 v134, v134, v100
	s_delay_alu instid0(VALU_DEP_1) | instskip(SKIP_2) | instid1(VALU_DEP_2)
	v_add3_u32 v124, v125, v124, v134
	v_and_b32_e32 v125, 3, v3
	v_bfe_u32 v134, v3, 8, 2
	v_mul_i32_i24_e32 v125, v125, v87
	s_delay_alu instid0(VALU_DEP_2) | instskip(NEXT) | instid1(VALU_DEP_1)
	v_mul_i32_i24_e32 v134, v134, v86
	v_add3_u32 v125, v126, v125, v134
	v_bfe_u32 v126, v7, 8, 2
	v_bfe_u32 v134, v7, 16, 2
	;; [unrolled: 1-line block ×3, first 2 shown]
	s_delay_alu instid0(VALU_DEP_3) | instskip(NEXT) | instid1(VALU_DEP_3)
	v_mul_i32_i24_e32 v126, v93, v126
	v_mul_i32_i24_e32 v134, v92, v134
	s_delay_alu instid0(VALU_DEP_3) | instskip(NEXT) | instid1(VALU_DEP_2)
	v_mul_i32_i24_e32 v7, v85, v7
	v_add3_u32 v8, v8, v126, v134
	v_bfe_u32 v126, v106, 16, 2
	v_bfe_u32 v106, v106, 24, 2
	s_delay_alu instid0(VALU_DEP_2) | instskip(NEXT) | instid1(VALU_DEP_2)
	v_mul_i32_i24_e32 v126, v126, v89
	v_mul_i32_i24_e32 v106, v106, v91
	s_delay_alu instid0(VALU_DEP_1) | instskip(SKIP_2) | instid1(VALU_DEP_2)
	v_add3_u32 v106, v128, v126, v106
	v_bfe_u32 v126, v109, 8, 2
	v_bfe_u32 v128, v109, 16, 2
	v_mul_i32_i24_e32 v126, v93, v126
	s_delay_alu instid0(VALU_DEP_2) | instskip(NEXT) | instid1(VALU_DEP_1)
	v_mul_i32_i24_e32 v128, v92, v128
	v_add3_u32 v110, v110, v126, v128
	v_bfe_u32 v126, v114, 16, 2
	v_bfe_u32 v114, v114, 24, 2
	s_delay_alu instid0(VALU_DEP_2) | instskip(NEXT) | instid1(VALU_DEP_2)
	v_mul_i32_i24_e32 v126, v126, v89
	v_mul_i32_i24_e32 v114, v114, v91
	s_delay_alu instid0(VALU_DEP_1) | instskip(SKIP_1) | instid1(VALU_DEP_1)
	v_add3_u32 v113, v113, v126, v114
	v_bfe_u32 v114, v117, 8, 2
	v_mul_i32_i24_e32 v93, v93, v114
	v_bfe_u32 v114, v117, 16, 2
	s_delay_alu instid0(VALU_DEP_1) | instskip(NEXT) | instid1(VALU_DEP_1)
	v_mul_i32_i24_e32 v92, v92, v114
	v_add3_u32 v92, v118, v93, v92
	v_bfe_u32 v93, v105, 16, 2
	v_bfe_u32 v105, v105, 24, 2
	s_delay_alu instid0(VALU_DEP_2) | instskip(NEXT) | instid1(VALU_DEP_2)
	v_mul_i32_i24_e32 v93, v93, v89
	v_mul_i32_i24_e32 v105, v105, v91
	v_lshrrev_b16 v91, 8, v131
	s_delay_alu instid0(VALU_DEP_2) | instskip(SKIP_1) | instid1(VALU_DEP_3)
	v_add3_u32 v93, v104, v93, v105
	v_lshrrev_b16 v104, 8, v101
	v_and_b32_e32 v91, 0xffff, v91
	s_delay_alu instid0(VALU_DEP_2) | instskip(NEXT) | instid1(VALU_DEP_1)
	v_and_b32_e32 v104, 0xffff, v104
	v_lshrrev_b32_e32 v105, 4, v104
	s_delay_alu instid0(VALU_DEP_1) | instskip(NEXT) | instid1(VALU_DEP_1)
	v_mul_lo_u32 v105, 0x1010101, v105
	v_bfe_i32 v114, v105, 0, 8
	v_bfe_i32 v118, v105, 8, 8
	s_delay_alu instid0(VALU_DEP_2) | instskip(NEXT) | instid1(VALU_DEP_2)
	v_mul_i32_i24_e32 v114, v94, v114
	v_mul_i32_i24_e32 v118, v95, v118
	s_delay_alu instid0(VALU_DEP_1) | instskip(SKIP_1) | instid1(VALU_DEP_1)
	v_add3_u32 v103, v103, v114, v118
	v_lshrrev_b16 v114, 8, v129
	v_and_b32_e32 v114, 0xffff, v114
	s_delay_alu instid0(VALU_DEP_1) | instskip(NEXT) | instid1(VALU_DEP_1)
	v_lshrrev_b32_e32 v118, 4, v114
	v_mul_lo_u32 v118, 0x1010101, v118
	s_delay_alu instid0(VALU_DEP_1) | instskip(SKIP_1) | instid1(VALU_DEP_2)
	v_bfe_i32 v123, v118, 0, 8
	v_bfe_i32 v126, v118, 8, 8
	v_mul_i32_i24_e32 v123, v94, v123
	s_delay_alu instid0(VALU_DEP_2) | instskip(NEXT) | instid1(VALU_DEP_1)
	v_mul_i32_i24_e32 v126, v95, v126
	v_add3_u32 v123, v130, v123, v126
	v_lshrrev_b16 v126, 8, v132
	s_delay_alu instid0(VALU_DEP_1) | instskip(NEXT) | instid1(VALU_DEP_1)
	v_and_b32_e32 v126, 0xffff, v126
	v_lshrrev_b32_e32 v127, 4, v126
	s_delay_alu instid0(VALU_DEP_1) | instskip(NEXT) | instid1(VALU_DEP_1)
	v_mul_lo_u32 v127, 0x1010101, v127
	v_bfe_i32 v128, v127, 0, 8
	v_bfe_i32 v130, v127, 8, 8
	s_delay_alu instid0(VALU_DEP_2) | instskip(NEXT) | instid1(VALU_DEP_2)
	v_mul_i32_i24_e32 v128, v94, v128
	v_mul_i32_i24_e32 v130, v95, v130
	s_delay_alu instid0(VALU_DEP_1) | instskip(SKIP_2) | instid1(VALU_DEP_2)
	v_add3_u32 v128, v133, v128, v130
	v_lshrrev_b32_e32 v133, 4, v91
	v_bfe_u32 v130, v131, 4, 4
	v_mul_lo_u32 v133, 0x1010101, v133
	s_delay_alu instid0(VALU_DEP_2) | instskip(NEXT) | instid1(VALU_DEP_2)
	v_mul_lo_u32 v130, 0x1010101, v130
	v_lshrrev_b32_e32 v134, 24, v133
	s_delay_alu instid0(VALU_DEP_2) | instskip(SKIP_1) | instid1(VALU_DEP_3)
	v_lshrrev_b32_e32 v135, 24, v130
	v_bfe_i32 v89, v133, 16, 8
	v_mul_i32_i24_e32 v134, v90, v134
	s_delay_alu instid0(VALU_DEP_2) | instskip(NEXT) | instid1(VALU_DEP_2)
	v_mul_i32_i24_e32 v89, v88, v89
	v_mad_i32_i24 v96, v96, v135, v134
	v_bfe_i32 v134, v130, 16, 8
	s_delay_alu instid0(VALU_DEP_1) | instskip(SKIP_1) | instid1(VALU_DEP_1)
	v_mad_i32_i24 v89, v98, v134, v89
	v_bfe_i32 v98, v133, 0, 8
	v_mul_i32_i24_e32 v94, v94, v98
	v_bfe_i32 v98, v130, 0, 8
	s_delay_alu instid0(VALU_DEP_1) | instskip(SKIP_2) | instid1(VALU_DEP_2)
	v_mad_i32_i24 v94, v99, v98, v94
	v_bfe_u32 v98, v5, 16, 2
	v_bfe_u32 v5, v5, 24, 2
	v_mul_i32_i24_e32 v98, v98, v82
	s_delay_alu instid0(VALU_DEP_2) | instskip(NEXT) | instid1(VALU_DEP_1)
	v_mul_i32_i24_e32 v5, v5, v81
	v_add3_u32 v5, v124, v98, v5
	v_bfe_u32 v98, v3, 16, 2
	v_bfe_u32 v3, v3, 24, 2
	s_delay_alu instid0(VALU_DEP_2) | instskip(NEXT) | instid1(VALU_DEP_2)
	v_mul_i32_i24_e32 v98, v98, v84
	v_mul_i32_i24_e32 v3, v3, v83
	s_delay_alu instid0(VALU_DEP_1) | instskip(SKIP_1) | instid1(VALU_DEP_1)
	v_add3_u32 v3, v125, v98, v3
	v_bfe_u32 v98, v9, 8, 2
	v_mul_i32_i24_e32 v98, v98, v100
	s_delay_alu instid0(VALU_DEP_1) | instskip(SKIP_1) | instid1(VALU_DEP_1)
	v_add3_u32 v7, v8, v7, v98
	v_ashrrev_i32_e32 v8, s1, v107
	v_and_b32_e32 v98, 3, v8
	v_bfe_u32 v99, v8, 8, 2
	s_delay_alu instid0(VALU_DEP_2) | instskip(NEXT) | instid1(VALU_DEP_2)
	v_mul_i32_i24_e32 v98, v98, v87
	v_mul_i32_i24_e32 v99, v99, v86
	s_delay_alu instid0(VALU_DEP_1) | instskip(SKIP_2) | instid1(VALU_DEP_2)
	v_add3_u32 v98, v106, v98, v99
	v_bfe_u32 v99, v109, 24, 2
	v_bfe_u32 v106, v111, 8, 2
	v_mul_i32_i24_e32 v99, v85, v99
	s_delay_alu instid0(VALU_DEP_2) | instskip(NEXT) | instid1(VALU_DEP_1)
	v_mul_i32_i24_e32 v106, v106, v100
	v_add3_u32 v99, v110, v99, v106
	v_ashrrev_i32_e32 v106, s1, v115
	s_delay_alu instid0(VALU_DEP_1) | instskip(SKIP_1) | instid1(VALU_DEP_2)
	v_and_b32_e32 v107, 3, v106
	v_bfe_u32 v109, v106, 8, 2
	v_mul_i32_i24_e32 v107, v107, v87
	s_delay_alu instid0(VALU_DEP_2) | instskip(NEXT) | instid1(VALU_DEP_1)
	v_mul_i32_i24_e32 v109, v109, v86
	v_add3_u32 v107, v113, v107, v109
	v_bfe_u32 v109, v117, 24, 2
	s_delay_alu instid0(VALU_DEP_1) | instskip(SKIP_1) | instid1(VALU_DEP_1)
	v_mul_i32_i24_e32 v85, v85, v109
	v_bfe_u32 v109, v119, 8, 2
	v_mul_i32_i24_e32 v100, v109, v100
	s_delay_alu instid0(VALU_DEP_1) | instskip(SKIP_1) | instid1(VALU_DEP_1)
	v_add3_u32 v85, v92, v85, v100
	v_ashrrev_i32_e32 v92, s1, v121
	v_and_b32_e32 v100, 3, v92
	s_delay_alu instid0(VALU_DEP_1) | instskip(SKIP_1) | instid1(VALU_DEP_1)
	v_mul_i32_i24_e32 v87, v100, v87
	v_bfe_u32 v100, v92, 8, 2
	v_mul_i32_i24_e32 v86, v100, v86
	v_lshrrev_b32_e32 v100, 24, v118
	s_delay_alu instid0(VALU_DEP_2) | instskip(SKIP_2) | instid1(VALU_DEP_4)
	v_add3_u32 v86, v93, v87, v86
	v_bfe_i32 v87, v105, 16, 8
	v_lshrrev_b32_e32 v93, 24, v105
	v_mul_i32_i24_e32 v100, v90, v100
	s_delay_alu instid0(VALU_DEP_3) | instskip(NEXT) | instid1(VALU_DEP_3)
	v_mul_i32_i24_e32 v87, v88, v87
	v_mul_i32_i24_e32 v93, v90, v93
	s_delay_alu instid0(VALU_DEP_1) | instskip(SKIP_1) | instid1(VALU_DEP_1)
	v_add3_u32 v87, v103, v87, v93
	v_bfe_i32 v93, v118, 16, 8
	v_mul_i32_i24_e32 v93, v88, v93
	s_delay_alu instid0(VALU_DEP_1) | instskip(SKIP_1) | instid1(VALU_DEP_1)
	v_add3_u32 v93, v123, v93, v100
	v_bfe_i32 v100, v127, 16, 8
	v_mul_i32_i24_e32 v88, v88, v100
	v_lshrrev_b32_e32 v100, 24, v127
	s_delay_alu instid0(VALU_DEP_1) | instskip(NEXT) | instid1(VALU_DEP_1)
	v_mul_i32_i24_e32 v90, v90, v100
	v_add3_u32 v88, v128, v88, v90
	v_lshrrev_b16 v90, 8, v130
	s_delay_alu instid0(VALU_DEP_1) | instskip(NEXT) | instid1(VALU_DEP_1)
	v_bfe_i32 v90, v90, 0, 8
	v_mul_i32_i24_e32 v90, v97, v90
	v_bfe_i32 v97, v133, 8, 8
	s_delay_alu instid0(VALU_DEP_1) | instskip(NEXT) | instid1(VALU_DEP_1)
	v_mul_i32_i24_e32 v95, v95, v97
	v_add3_u32 v90, v90, v95, v96
	v_and_b32_e32 v95, 3, v6
	v_bfe_u32 v96, v6, 8, 2
	s_delay_alu instid0(VALU_DEP_2) | instskip(NEXT) | instid1(VALU_DEP_2)
	v_mul_i32_i24_e32 v95, v95, v78
	v_mul_i32_i24_e32 v96, v96, v102
	s_delay_alu instid0(VALU_DEP_1) | instskip(SKIP_2) | instid1(VALU_DEP_2)
	v_add3_u32 v5, v5, v95, v96
	v_and_b32_e32 v95, 3, v4
	v_bfe_u32 v96, v4, 8, 2
	v_mul_i32_i24_e32 v95, v95, v80
	s_delay_alu instid0(VALU_DEP_2) | instskip(NEXT) | instid1(VALU_DEP_1)
	v_mul_i32_i24_e32 v96, v96, v79
	v_add3_u32 v3, v3, v95, v96
	v_bfe_u32 v95, v9, 16, 2
	v_bfe_u32 v9, v9, 24, 2
	;; [unrolled: 1-line block ×3, first 2 shown]
	s_delay_alu instid0(VALU_DEP_3) | instskip(NEXT) | instid1(VALU_DEP_3)
	v_mul_i32_i24_e32 v95, v95, v82
	v_mul_i32_i24_e32 v9, v9, v81
	s_delay_alu instid0(VALU_DEP_3) | instskip(NEXT) | instid1(VALU_DEP_2)
	v_mul_i32_i24_e32 v96, v96, v83
	v_add3_u32 v7, v7, v95, v9
	v_bfe_u32 v9, v8, 16, 2
	v_bfe_u32 v8, v8, 24, 2
	;; [unrolled: 1-line block ×3, first 2 shown]
	s_delay_alu instid0(VALU_DEP_3) | instskip(NEXT) | instid1(VALU_DEP_3)
	v_mul_i32_i24_e32 v9, v9, v84
	v_mul_i32_i24_e32 v8, v8, v83
	s_delay_alu instid0(VALU_DEP_3) | instskip(NEXT) | instid1(VALU_DEP_2)
	v_mul_i32_i24_e32 v95, v95, v81
	v_add3_u32 v8, v98, v9, v8
	v_bfe_u32 v9, v111, 16, 2
	s_delay_alu instid0(VALU_DEP_1) | instskip(NEXT) | instid1(VALU_DEP_1)
	v_mul_i32_i24_e32 v9, v9, v82
	v_add3_u32 v9, v99, v9, v95
	v_bfe_u32 v95, v106, 16, 2
	s_delay_alu instid0(VALU_DEP_1) | instskip(NEXT) | instid1(VALU_DEP_1)
	v_mul_i32_i24_e32 v95, v95, v84
	v_add3_u32 v95, v107, v95, v96
	v_bfe_u32 v96, v119, 16, 2
	s_delay_alu instid0(VALU_DEP_1) | instskip(SKIP_1) | instid1(VALU_DEP_1)
	v_mul_i32_i24_e32 v82, v96, v82
	v_bfe_u32 v96, v119, 24, 2
	v_mul_i32_i24_e32 v81, v96, v81
	s_delay_alu instid0(VALU_DEP_1) | instskip(SKIP_1) | instid1(VALU_DEP_1)
	v_add3_u32 v81, v85, v82, v81
	v_bfe_u32 v82, v92, 16, 2
	v_mul_i32_i24_e32 v82, v82, v84
	v_bfe_u32 v84, v92, 24, 2
	s_delay_alu instid0(VALU_DEP_1) | instskip(SKIP_2) | instid1(VALU_DEP_3)
	v_mul_i32_i24_e32 v83, v84, v83
	v_bfe_u32 v84, v6, 16, 2
	v_bfe_u32 v6, v6, 24, 2
	v_add3_u32 v82, v86, v82, v83
	s_delay_alu instid0(VALU_DEP_3) | instskip(NEXT) | instid1(VALU_DEP_3)
	v_mul_i32_i24_e32 v84, v84, v75
	v_mul_i32_i24_e32 v6, v6, v74
	v_add3_u32 v83, v94, v89, v90
	s_delay_alu instid0(VALU_DEP_2) | instskip(SKIP_2) | instid1(VALU_DEP_4)
	v_add3_u32 v5, v5, v84, v6
	v_bfe_u32 v6, v4, 16, 2
	v_bfe_u32 v4, v4, 24, 2
	v_cvt_f32_i32_e32 v83, v83
	s_delay_alu instid0(VALU_DEP_3) | instskip(NEXT) | instid1(VALU_DEP_3)
	v_mul_i32_i24_e32 v6, v6, v77
	v_mul_i32_i24_e32 v4, v4, v76
	s_delay_alu instid0(VALU_DEP_1) | instskip(SKIP_1) | instid1(VALU_DEP_1)
	v_add3_u32 v4, v3, v6, v4
	v_ashrrev_i32_e32 v3, s1, v10
	v_and_b32_e32 v6, 3, v3
	v_bfe_u32 v10, v3, 8, 2
	s_delay_alu instid0(VALU_DEP_2) | instskip(NEXT) | instid1(VALU_DEP_2)
	v_mul_i32_i24_e32 v6, v6, v78
	v_mul_i32_i24_e32 v10, v10, v102
	s_delay_alu instid0(VALU_DEP_1) | instskip(SKIP_1) | instid1(VALU_DEP_1)
	v_add3_u32 v6, v7, v6, v10
	v_ashrrev_i32_e32 v7, s1, v108
	v_and_b32_e32 v10, 3, v7
	v_bfe_u32 v84, v7, 8, 2
	s_delay_alu instid0(VALU_DEP_2) | instskip(NEXT) | instid1(VALU_DEP_2)
	;; [unrolled: 8-line block ×4, first 2 shown]
	v_mul_i32_i24_e32 v85, v85, v80
	v_mul_i32_i24_e32 v86, v86, v79
	s_delay_alu instid0(VALU_DEP_1) | instskip(SKIP_1) | instid1(VALU_DEP_1)
	v_add3_u32 v85, v95, v85, v86
	v_ashrrev_i32_e32 v86, s1, v120
	v_and_b32_e32 v89, 3, v86
	s_delay_alu instid0(VALU_DEP_1) | instskip(SKIP_1) | instid1(VALU_DEP_1)
	v_mul_i32_i24_e32 v78, v89, v78
	v_bfe_u32 v89, v86, 8, 2
	v_mul_i32_i24_e32 v89, v89, v102
	s_delay_alu instid0(VALU_DEP_1) | instskip(SKIP_1) | instid1(VALU_DEP_1)
	v_add3_u32 v78, v81, v78, v89
	v_ashrrev_i32_e32 v81, s1, v122
	v_and_b32_e32 v89, 3, v81
	s_delay_alu instid0(VALU_DEP_1) | instskip(SKIP_1) | instid1(VALU_DEP_1)
	v_mul_i32_i24_e32 v80, v89, v80
	v_bfe_u32 v89, v81, 8, 2
	v_mul_i32_i24_e32 v79, v89, v79
	s_delay_alu instid0(VALU_DEP_1) | instskip(SKIP_3) | instid1(VALU_DEP_3)
	v_add3_u32 v79, v82, v80, v79
	v_bfe_u32 v80, v3, 16, 2
	v_bfe_u32 v3, v3, 24, 2
	v_and_b32_e32 v82, 15, v131
	v_mul_i32_i24_e32 v80, v80, v75
	s_delay_alu instid0(VALU_DEP_3) | instskip(NEXT) | instid1(VALU_DEP_1)
	v_mul_i32_i24_e32 v3, v3, v74
	v_add3_u32 v6, v6, v80, v3
	v_bfe_u32 v3, v7, 16, 2
	v_bfe_u32 v7, v7, 24, 2
	s_delay_alu instid0(VALU_DEP_2) | instskip(NEXT) | instid1(VALU_DEP_2)
	v_mul_i32_i24_e32 v3, v3, v77
	v_mul_i32_i24_e32 v7, v7, v76
	s_delay_alu instid0(VALU_DEP_1) | instskip(SKIP_3) | instid1(VALU_DEP_3)
	v_add3_u32 v7, v8, v3, v7
	v_bfe_u32 v3, v10, 16, 2
	v_bfe_u32 v8, v10, 24, 2
	;; [unrolled: 1-line block ×3, first 2 shown]
	v_mul_i32_i24_e32 v3, v3, v75
	s_delay_alu instid0(VALU_DEP_3) | instskip(NEXT) | instid1(VALU_DEP_3)
	v_mul_i32_i24_e32 v8, v8, v74
	v_mul_i32_i24_e32 v10, v10, v74
	s_wait_alu 0xfffe
	v_add3_u32 v74, s20, v67, v68
	s_delay_alu instid0(VALU_DEP_3) | instskip(SKIP_3) | instid1(VALU_DEP_3)
	v_add3_u32 v8, v9, v3, v8
	v_bfe_u32 v3, v84, 16, 2
	v_bfe_u32 v9, v84, 24, 2
	v_cvt_f32_i32_e32 v84, v88
	v_mul_i32_i24_e32 v3, v3, v77
	s_delay_alu instid0(VALU_DEP_3) | instskip(NEXT) | instid1(VALU_DEP_1)
	v_mul_i32_i24_e32 v9, v9, v76
	v_add3_u32 v9, v85, v3, v9
	v_bfe_u32 v3, v86, 16, 2
	s_delay_alu instid0(VALU_DEP_1) | instskip(SKIP_1) | instid1(VALU_DEP_2)
	v_mul_i32_i24_e32 v3, v3, v75
	v_bfe_u32 v75, v81, 24, 2
	v_add3_u32 v10, v78, v3, v10
	v_bfe_u32 v3, v81, 16, 2
	s_delay_alu instid0(VALU_DEP_3)
	v_mul_i32_i24_e32 v75, v75, v76
	v_add3_u32 v78, s20, v69, v70
	v_add3_u32 v76, s20, v63, v64
	ds_load_b32 v74, v74
	ds_load_b32 v76, v76
	v_mul_i32_i24_e32 v3, v3, v77
	ds_load_b32 v77, v72
	v_add_nc_u32_e32 v72, 4, v72
	v_add3_u32 v75, v79, v3, v75
	v_and_b32_e32 v3, 15, v101
	v_and_b32_e32 v79, 15, v104
	s_delay_alu instid0(VALU_DEP_2) | instskip(SKIP_3) | instid1(VALU_DEP_3)
	v_mul_lo_u32 v3, v5, v3
	v_and_b32_e32 v5, 15, v114
	s_wait_dscnt 0x2
	v_lshrrev_b32_e32 v81, 16, v74
	v_mad_co_u64_u32 v[3:4], null, v4, v79, v[3:4]
	v_add3_u32 v4, s20, v65, v66
	ds_load_b32 v78, v78
	ds_load_b32 v79, v4
	v_and_b32_e32 v4, 15, v129
	s_wait_dscnt 0x3
	v_lshrrev_b32_e32 v80, 16, v76
	v_cvt_f32_f16_e32 v81, v81
	v_cvt_f32_i32_e32 v3, v3
	s_add_co_i32 s20, s1, 2
	v_mul_lo_u32 v4, v6, v4
	v_and_b32_e32 v6, 15, v126
	s_cmp_lt_u32 s1, 6
	s_wait_alu 0xfffe
	s_mov_b32 s1, s20
	s_delay_alu instid0(VALU_DEP_2) | instskip(SKIP_3) | instid1(VALU_DEP_2)
	v_mad_co_u64_u32 v[4:5], null, v7, v5, v[4:5]
	v_and_b32_e32 v5, 15, v132
	s_wait_dscnt 0x0
	v_lshrrev_b32_e32 v7, 16, v79
	v_mul_lo_u32 v5, v8, v5
	v_lshrrev_b32_e32 v8, 16, v78
	v_cvt_f32_i32_e32 v4, v4
	s_delay_alu instid0(VALU_DEP_2) | instskip(NEXT) | instid1(VALU_DEP_4)
	v_cvt_f32_f16_e32 v8, v8
	v_mad_co_u64_u32 v[5:6], null, v9, v6, v[5:6]
	v_mul_lo_u32 v6, v10, v82
	v_cvt_f32_f16_e32 v9, v80
	v_cvt_f32_f16_e32 v80, v7
	v_and_b32_e32 v7, 15, v91
	v_cvt_f32_i32_e32 v10, v87
	v_cvt_f32_i32_e32 v82, v93
	v_mul_f32_e32 v8, v8, v83
	v_cvt_f32_i32_e32 v5, v5
	v_mad_co_u64_u32 v[6:7], null, v75, v7, v[6:7]
	v_mul_f32_e32 v7, v9, v10
	v_dual_mul_f32 v9, v80, v82 :: v_dual_mul_f32 v10, v81, v84
	s_delay_alu instid0(VALU_DEP_2) | instskip(NEXT) | instid1(VALU_DEP_4)
	v_fma_mix_f32 v3, v76, v3, -v7 op_sel_hi:[1,0,0]
	v_cvt_f32_i32_e32 v6, v6
	s_delay_alu instid0(VALU_DEP_3) | instskip(NEXT) | instid1(VALU_DEP_4)
	v_fma_mix_f32 v4, v79, v4, -v9 op_sel_hi:[1,0,0]
	v_fma_mix_f32 v5, v74, v5, -v10 op_sel_hi:[1,0,0]
	s_delay_alu instid0(VALU_DEP_4) | instskip(NEXT) | instid1(VALU_DEP_4)
	v_fmac_f32_e32 v13, v77, v3
	v_fma_mix_f32 v6, v78, v6, -v8 op_sel_hi:[1,0,0]
	s_delay_alu instid0(VALU_DEP_4) | instskip(NEXT) | instid1(VALU_DEP_4)
	v_fmac_f32_e32 v48, v77, v4
	v_fmac_f32_e32 v44, v77, v5
	s_delay_alu instid0(VALU_DEP_3)
	v_fmac_f32_e32 v2, v77, v6
	s_cbranch_scc1 .LBB187_11
; %bb.12:                               ;   in Loop: Header=BB187_5 Depth=1
	s_or_b32 s1, s16, 0x80
	s_wait_loadcnt 0x0
	s_wait_alu 0xfffe
	s_cmp_ge_i32 s1, s11
	s_barrier_signal -1
	s_barrier_wait -1
	global_inv scope:SCOPE_SE
	s_cbranch_scc1 .LBB187_4
; %bb.13:                               ;   in Loop: Header=BB187_5 Depth=1
	v_add_nc_u32_e32 v3, s17, v49
	s_delay_alu instid0(VALU_DEP_1)
	v_cmp_gt_i32_e64 s1, s5, v3
	s_and_b32 s20, s0, s1
	s_wait_alu 0xfffe
	s_and_saveexec_b32 s1, s20
	s_cbranch_execz .LBB187_15
; %bb.14:                               ;   in Loop: Header=BB187_5 Depth=1
	v_add_nc_u32_e32 v3, v52, v3
	s_delay_alu instid0(VALU_DEP_1)
	v_mad_co_i64_i32 v[3:4], null, v3, 36, v[0:1]
	global_load_b32 v3, v[3:4], off offset:4
	s_wait_loadcnt 0x0
	ds_store_b32 v45, v3
.LBB187_15:                             ;   in Loop: Header=BB187_5 Depth=1
	s_wait_alu 0xfffe
	s_or_b32 exec_lo, exec_lo, s1
	s_and_saveexec_b32 s20, vcc_lo
	s_cbranch_execz .LBB187_18
; %bb.16:                               ;   in Loop: Header=BB187_5 Depth=1
	v_or_b32_e32 v3, 4, v71
	s_delay_alu instid0(VALU_DEP_1)
	v_cmp_gt_i32_e64 s1, s5, v3
	s_and_b32 s1, s0, s1
	s_wait_alu 0xfffe
	s_and_b32 exec_lo, exec_lo, s1
	s_cbranch_execz .LBB187_18
; %bb.17:                               ;   in Loop: Header=BB187_5 Depth=1
	v_ashrrev_i32_e32 v3, 31, v71
	v_add_co_u32 v4, s1, v52, v71
	s_wait_alu 0xf1ff
	s_delay_alu instid0(VALU_DEP_2) | instskip(NEXT) | instid1(VALU_DEP_2)
	v_add_co_ci_u32_e64 v5, null, v55, v3, s1
	v_mad_co_u64_u32 v[3:4], null, v4, 36, s[2:3]
	s_delay_alu instid0(VALU_DEP_1)
	v_mad_i32_i24 v4, v5, 36, v4
	global_load_b32 v3, v[3:4], off offset:144
	s_wait_loadcnt 0x0
	v_cvt_f32_f16_e32 v3, v3
	ds_store_b32 v47, v3
.LBB187_18:                             ;   in Loop: Header=BB187_5 Depth=1
	s_wait_alu 0xfffe
	s_or_b32 exec_lo, exec_lo, s20
	v_dual_mov_b32 v7, v43 :: v_dual_mov_b32 v8, v46
	s_mov_b32 s1, 8
	s_wait_loadcnt_dscnt 0x0
	s_barrier_signal -1
	s_barrier_wait -1
	global_inv scope:SCOPE_SE
.LBB187_19:                             ;   Parent Loop BB187_5 Depth=1
                                        ; =>  This Inner Loop Header: Depth=2
	ds_load_b128 v[3:6], v7
	ds_load_b128 v[102:105], v7 offset:16
	s_wait_alu 0xfffe
	s_and_b32 s21, s1, 0x3ffffff8
	s_add_co_i32 s20, s1, -8
	s_wait_alu 0xfffe
	v_lshl_add_u32 v84, s21, 2, v53
	s_and_b32 s21, s1, -16
	s_wait_alu 0xfffe
	s_add_co_i32 s21, s1, s21
	s_delay_alu instid0(VALU_DEP_1)
	v_add_nc_u32_e32 v109, 0x1098, v84
	v_add_nc_u32_e32 v113, 0x2108, v84
	;; [unrolled: 1-line block ×3, first 2 shown]
	s_wait_dscnt 0x1
	v_ashrrev_i32_e32 v81, 24, v3
	v_bfe_i32 v95, v4, 8, 8
	v_bfe_i32 v96, v3, 0, 8
	;; [unrolled: 1-line block ×3, first 2 shown]
	v_ashrrev_i32_e32 v93, 24, v4
	v_bfe_i32 v90, v3, 8, 8
	v_bfe_i32 v98, v4, 0, 8
	;; [unrolled: 1-line block ×3, first 2 shown]
	v_lshrrev_b16 v97, 8, v5
	v_ashrrev_i32_e32 v77, 24, v5
	v_bfe_i32 v78, v5, 16, 8
	v_bfe_i32 v100, v5, 0, 8
	v_lshrrev_b16 v99, 8, v6
	v_ashrrev_i32_e32 v9, 24, v6
	v_bfe_i32 v10, v6, 16, 8
	v_bfe_i32 v74, v6, 0, 8
	s_wait_dscnt 0x0
	v_ashrrev_i32_e32 v79, 24, v104
	v_bfe_i32 v80, v104, 16, 8
	v_bfe_i32 v83, v104, 0, 8
	;; [unrolled: 1-line block ×3, first 2 shown]
	v_ashrrev_i32_e32 v72, 24, v105
	v_bfe_i32 v73, v105, 16, 8
	v_bfe_i32 v76, v105, 0, 8
	;; [unrolled: 1-line block ×3, first 2 shown]
	ds_load_2addr_b32 v[5:6], v84 offset1:1
	ds_load_2addr_b32 v[3:4], v84 offset0:2 offset1:3
	ds_load_2addr_b32 v[104:105], v84 offset0:4 offset1:5
	v_lshrrev_b16 v101, 8, v102
	v_ashrrev_i32_e32 v87, 24, v102
	v_bfe_i32 v91, v102, 0, 8
	v_bfe_i32 v85, v102, 16, 8
	v_lshrrev_b16 v102, 8, v103
	v_ashrrev_i32_e32 v88, 24, v103
	v_bfe_i32 v92, v103, 0, 8
	v_bfe_i32 v86, v103, 16, 8
	;; [unrolled: 1-line block ×4, first 2 shown]
	s_wait_dscnt 0x2
	v_ashrrev_i32_e32 v6, s20, v6
	s_wait_dscnt 0x1
	v_ashrrev_i32_e32 v3, s20, v3
	v_ashrrev_i32_e32 v4, s20, v4
	s_delay_alu instid0(VALU_DEP_3) | instskip(SKIP_1) | instid1(VALU_DEP_2)
	v_and_b32_e32 v103, 3, v6
	v_bfe_u32 v106, v6, 8, 2
	v_mul_i32_i24_e32 v103, v103, v98
	s_delay_alu instid0(VALU_DEP_1) | instskip(SKIP_2) | instid1(VALU_DEP_2)
	v_mad_i32_i24 v103, v106, v95, v103
	v_bfe_u32 v106, v6, 16, 2
	v_bfe_u32 v6, v6, 24, 2
	v_mul_i32_i24_e32 v106, v106, v94
	s_delay_alu instid0(VALU_DEP_2) | instskip(NEXT) | instid1(VALU_DEP_1)
	v_mul_i32_i24_e32 v6, v6, v93
	v_add3_u32 v103, v103, v106, v6
	v_bfe_i32 v6, v101, 0, 8
	s_wait_dscnt 0x0
	v_ashrrev_i32_e32 v101, s20, v104
	s_delay_alu instid0(VALU_DEP_1) | instskip(SKIP_1) | instid1(VALU_DEP_2)
	v_and_b32_e32 v104, 3, v101
	v_bfe_u32 v106, v101, 8, 2
	v_mul_i32_i24_e32 v104, v104, v91
	s_delay_alu instid0(VALU_DEP_1) | instskip(SKIP_2) | instid1(VALU_DEP_2)
	v_mad_i32_i24 v104, v106, v6, v104
	v_bfe_u32 v106, v101, 16, 2
	v_bfe_u32 v101, v101, 24, 2
	v_mul_i32_i24_e32 v106, v106, v85
	s_delay_alu instid0(VALU_DEP_2) | instskip(NEXT) | instid1(VALU_DEP_1)
	v_mul_i32_i24_e32 v101, v101, v87
	v_add3_u32 v106, v104, v106, v101
	v_ashrrev_i32_e32 v101, s20, v5
	v_and_b32_e32 v104, 3, v3
	s_delay_alu instid0(VALU_DEP_2) | instskip(NEXT) | instid1(VALU_DEP_2)
	v_and_b32_e32 v5, 3, v101
	v_mul_i32_i24_e32 v104, v104, v100
	s_delay_alu instid0(VALU_DEP_2) | instskip(NEXT) | instid1(VALU_DEP_1)
	v_mul_i32_i24_e32 v5, v96, v5
	v_add3_u32 v104, v103, v104, v5
	v_ashrrev_i32_e32 v103, s20, v105
	v_bfe_i32 v5, v102, 0, 8
	s_delay_alu instid0(VALU_DEP_2) | instskip(SKIP_1) | instid1(VALU_DEP_2)
	v_and_b32_e32 v102, 3, v103
	v_bfe_u32 v105, v103, 8, 2
	v_mul_i32_i24_e32 v102, v102, v92
	s_delay_alu instid0(VALU_DEP_2) | instskip(NEXT) | instid1(VALU_DEP_1)
	v_mul_i32_i24_e32 v105, v105, v5
	v_add3_u32 v102, v106, v102, v105
	v_add_nc_u32_e32 v105, 0x1080, v84
	ds_load_2addr_b32 v[106:107], v105 offset1:1
	s_wait_dscnt 0x0
	v_ashrrev_i32_e32 v105, s20, v107
	s_delay_alu instid0(VALU_DEP_1) | instskip(SKIP_1) | instid1(VALU_DEP_2)
	v_and_b32_e32 v107, 3, v105
	v_bfe_u32 v108, v105, 8, 2
	v_mul_i32_i24_e32 v107, v107, v98
	s_delay_alu instid0(VALU_DEP_1) | instskip(SKIP_2) | instid1(VALU_DEP_2)
	v_mad_i32_i24 v107, v108, v95, v107
	v_bfe_u32 v108, v105, 16, 2
	v_bfe_u32 v105, v105, 24, 2
	v_mul_i32_i24_e32 v108, v108, v94
	s_delay_alu instid0(VALU_DEP_2) | instskip(NEXT) | instid1(VALU_DEP_1)
	v_mul_i32_i24_e32 v105, v105, v93
	v_add3_u32 v122, v107, v108, v105
	s_wait_alu 0xfffe
	v_add_nc_u32_e32 v105, s21, v57
	v_add_nc_u32_e32 v107, 0x1090, v84
	ds_load_u16 v105, v105 offset:17920
	ds_load_2addr_b32 v[107:108], v107 offset1:1
	ds_load_2addr_b32 v[109:110], v109 offset1:1
	s_wait_dscnt 0x1
	v_ashrrev_i32_e32 v107, s20, v107
	v_ashrrev_i32_e32 v108, s20, v108
	s_delay_alu instid0(VALU_DEP_2) | instskip(SKIP_1) | instid1(VALU_DEP_2)
	v_and_b32_e32 v111, 3, v107
	v_bfe_u32 v112, v107, 8, 2
	v_mul_i32_i24_e32 v111, v111, v91
	s_delay_alu instid0(VALU_DEP_1) | instskip(SKIP_2) | instid1(VALU_DEP_2)
	v_mad_i32_i24 v111, v112, v6, v111
	v_bfe_u32 v112, v107, 16, 2
	v_bfe_u32 v107, v107, 24, 2
	v_mul_i32_i24_e32 v112, v112, v85
	s_delay_alu instid0(VALU_DEP_2) | instskip(NEXT) | instid1(VALU_DEP_1)
	v_mul_i32_i24_e32 v107, v107, v87
	v_add3_u32 v107, v111, v112, v107
	v_add_nc_u32_e32 v111, 0x2100, v84
	ds_load_2addr_b32 v[111:112], v111 offset1:1
	ds_load_2addr_b32 v[113:114], v113 offset1:1
	;; [unrolled: 1-line block ×3, first 2 shown]
	s_wait_dscnt 0x2
	v_ashrrev_i32_e32 v112, s20, v112
	v_ashrrev_i32_e32 v111, s20, v111
	s_wait_dscnt 0x0
	v_ashrrev_i32_e32 v115, s20, v115
	v_ashrrev_i32_e32 v113, s20, v113
	;; [unrolled: 1-line block ×3, first 2 shown]
	v_and_b32_e32 v117, 3, v112
	v_bfe_u32 v118, v112, 8, 2
	s_delay_alu instid0(VALU_DEP_2) | instskip(NEXT) | instid1(VALU_DEP_1)
	v_mul_i32_i24_e32 v117, v117, v98
	v_mad_i32_i24 v117, v118, v95, v117
	v_bfe_u32 v118, v112, 16, 2
	v_bfe_u32 v112, v112, 24, 2
	s_delay_alu instid0(VALU_DEP_2) | instskip(NEXT) | instid1(VALU_DEP_2)
	v_mul_i32_i24_e32 v118, v118, v94
	v_mul_i32_i24_e32 v112, v112, v93
	s_delay_alu instid0(VALU_DEP_1) | instskip(SKIP_2) | instid1(VALU_DEP_2)
	v_add3_u32 v112, v117, v118, v112
	v_and_b32_e32 v117, 3, v115
	v_bfe_u32 v118, v115, 8, 2
	v_mul_i32_i24_e32 v117, v117, v91
	s_delay_alu instid0(VALU_DEP_1) | instskip(SKIP_2) | instid1(VALU_DEP_2)
	v_mad_i32_i24 v117, v118, v6, v117
	v_bfe_u32 v118, v115, 16, 2
	v_bfe_u32 v115, v115, 24, 2
	v_mul_i32_i24_e32 v118, v118, v85
	s_delay_alu instid0(VALU_DEP_2) | instskip(NEXT) | instid1(VALU_DEP_1)
	v_mul_i32_i24_e32 v115, v115, v87
	v_add3_u32 v115, v117, v118, v115
	v_add_nc_u32_e32 v117, 0x3180, v84
	ds_load_2addr_b32 v[117:118], v117 offset1:1
	s_wait_dscnt 0x0
	v_ashrrev_i32_e32 v118, s20, v118
	v_ashrrev_i32_e32 v117, s20, v117
	s_delay_alu instid0(VALU_DEP_2) | instskip(SKIP_1) | instid1(VALU_DEP_2)
	v_and_b32_e32 v119, 3, v118
	v_bfe_u32 v120, v118, 8, 2
	v_mul_i32_i24_e32 v119, v119, v98
	s_delay_alu instid0(VALU_DEP_1) | instskip(SKIP_3) | instid1(VALU_DEP_3)
	v_mad_i32_i24 v119, v120, v95, v119
	v_bfe_u32 v120, v118, 16, 2
	v_bfe_u32 v118, v118, 24, 2
	v_add_nc_u32_e32 v95, v90, v95
	v_mul_i32_i24_e32 v120, v120, v94
	s_delay_alu instid0(VALU_DEP_3) | instskip(NEXT) | instid1(VALU_DEP_3)
	v_mul_i32_i24_e32 v118, v118, v93
	v_add3_u32 v95, v95, v97, v99
	v_add_nc_u32_e32 v93, v93, v81
	v_add_nc_u32_e32 v94, v94, v89
	s_delay_alu instid0(VALU_DEP_4) | instskip(SKIP_2) | instid1(VALU_DEP_4)
	v_add3_u32 v123, v119, v120, v118
	v_add_nc_u32_e32 v118, s21, v56
	v_add_nc_u32_e32 v120, 0x3198, v84
	v_add3_u32 v130, v94, v78, v10
	ds_load_u16 v124, v118 offset:19968
	v_add_nc_u32_e32 v118, 0x3190, v84
	ds_load_2addr_b32 v[118:119], v118 offset1:1
	ds_load_2addr_b32 v[120:121], v120 offset1:1
	s_wait_dscnt 0x1
	v_ashrrev_i32_e32 v118, s20, v118
	v_ashrrev_i32_e32 v119, s20, v119
	s_delay_alu instid0(VALU_DEP_2) | instskip(SKIP_1) | instid1(VALU_DEP_2)
	v_and_b32_e32 v125, 3, v118
	v_bfe_u32 v126, v118, 8, 2
	v_mul_i32_i24_e32 v125, v125, v91
	v_add_nc_u32_e32 v91, v92, v91
	s_delay_alu instid0(VALU_DEP_2) | instskip(SKIP_2) | instid1(VALU_DEP_2)
	v_mad_i32_i24 v125, v126, v6, v125
	v_bfe_u32 v126, v118, 16, 2
	v_bfe_u32 v118, v118, 24, 2
	v_mul_i32_i24_e32 v126, v126, v85
	s_delay_alu instid0(VALU_DEP_2) | instskip(NEXT) | instid1(VALU_DEP_1)
	v_mul_i32_i24_e32 v118, v118, v87
	v_add3_u32 v118, v125, v126, v118
	v_bfe_u32 v125, v101, 8, 2
	v_bfe_u32 v126, v101, 16, 2
	s_delay_alu instid0(VALU_DEP_2) | instskip(NEXT) | instid1(VALU_DEP_2)
	v_mul_i32_i24_e32 v125, v90, v125
	v_mul_i32_i24_e32 v126, v89, v126
	s_delay_alu instid0(VALU_DEP_1) | instskip(SKIP_3) | instid1(VALU_DEP_3)
	v_add3_u32 v104, v104, v125, v126
	v_bfe_u32 v125, v103, 16, 2
	v_bfe_u32 v103, v103, 24, 2
	v_ashrrev_i32_e32 v126, s20, v106
	v_mul_i32_i24_e32 v125, v125, v86
	s_delay_alu instid0(VALU_DEP_3) | instskip(NEXT) | instid1(VALU_DEP_1)
	v_mul_i32_i24_e32 v103, v103, v88
	v_add3_u32 v125, v102, v125, v103
	s_delay_alu instid0(VALU_DEP_4) | instskip(NEXT) | instid1(VALU_DEP_1)
	v_and_b32_e32 v102, 3, v126
	v_mul_i32_i24_e32 v106, v96, v102
	v_add_nc_u32_e32 v102, 0x1088, v84
	ds_load_2addr_b32 v[102:103], v102 offset1:1
	s_wait_dscnt 0x0
	v_ashrrev_i32_e32 v102, s20, v102
	s_delay_alu instid0(VALU_DEP_1) | instskip(NEXT) | instid1(VALU_DEP_1)
	v_and_b32_e32 v127, 3, v102
	v_mul_i32_i24_e32 v127, v127, v100
	s_delay_alu instid0(VALU_DEP_1) | instskip(SKIP_2) | instid1(VALU_DEP_2)
	v_add3_u32 v122, v122, v127, v106
	v_and_b32_e32 v106, 3, v108
	v_bfe_u32 v127, v108, 8, 2
	v_mul_i32_i24_e32 v106, v106, v92
	s_delay_alu instid0(VALU_DEP_2) | instskip(NEXT) | instid1(VALU_DEP_1)
	v_mul_i32_i24_e32 v127, v127, v5
	v_add3_u32 v127, v107, v106, v127
	v_and_b32_e32 v106, 3, v111
	v_and_b32_e32 v107, 3, v113
	s_delay_alu instid0(VALU_DEP_2) | instskip(NEXT) | instid1(VALU_DEP_2)
	v_mul_i32_i24_e32 v106, v96, v106
	v_mul_i32_i24_e32 v107, v107, v100
	s_delay_alu instid0(VALU_DEP_1) | instskip(SKIP_2) | instid1(VALU_DEP_2)
	v_add3_u32 v112, v112, v107, v106
	v_and_b32_e32 v106, 3, v116
	v_bfe_u32 v107, v116, 8, 2
	v_mul_i32_i24_e32 v106, v106, v92
	s_delay_alu instid0(VALU_DEP_2) | instskip(NEXT) | instid1(VALU_DEP_1)
	v_mul_i32_i24_e32 v107, v107, v5
	v_add3_u32 v115, v115, v106, v107
	v_and_b32_e32 v106, 3, v117
	s_delay_alu instid0(VALU_DEP_1)
	v_mul_i32_i24_e32 v128, v96, v106
	v_add_nc_u32_e32 v106, 0x3188, v84
	v_add_nc_u32_e32 v96, v98, v96
	;; [unrolled: 1-line block ×3, first 2 shown]
	ds_load_2addr_b32 v[106:107], v106 offset1:1
	v_add3_u32 v96, v96, v100, v74
	ds_load_u16 v98, v98 offset:16896
	s_wait_dscnt 0x1
	v_ashrrev_i32_e32 v106, s20, v106
	s_delay_alu instid0(VALU_DEP_1) | instskip(NEXT) | instid1(VALU_DEP_1)
	v_and_b32_e32 v129, 3, v106
	v_mul_i32_i24_e32 v129, v129, v100
	s_wait_dscnt 0x0
	v_bfe_u32 v100, v98, 4, 4
	s_delay_alu instid0(VALU_DEP_2) | instskip(SKIP_2) | instid1(VALU_DEP_4)
	v_add3_u32 v123, v123, v129, v128
	v_and_b32_e32 v128, 3, v119
	v_bfe_u32 v129, v119, 8, 2
	v_mul_lo_u32 v100, 0x1010101, v100
	s_delay_alu instid0(VALU_DEP_3) | instskip(NEXT) | instid1(VALU_DEP_3)
	v_mul_i32_i24_e32 v128, v128, v92
	v_mul_i32_i24_e32 v129, v129, v5
	v_add_nc_u32_e32 v5, v5, v6
	v_add3_u32 v6, v91, v83, v76
	v_bfe_i32 v94, v100, 16, 8
	s_delay_alu instid0(VALU_DEP_4)
	v_add3_u32 v118, v118, v128, v129
	v_bfe_i32 v128, v100, 0, 8
	v_bfe_i32 v129, v100, 8, 8
	v_add3_u32 v91, v5, v82, v75
	v_mul_i32_i24_e32 v94, v130, v94
	v_lshrrev_b16 v5, 8, v98
	v_mul_i32_i24_e32 v128, v96, v128
	s_delay_alu instid0(VALU_DEP_2) | instskip(NEXT) | instid1(VALU_DEP_2)
	v_and_b32_e32 v92, 0xffff, v5
	v_mad_i32_i24 v128, v95, v129, v128
	v_add3_u32 v129, v93, v77, v9
	v_lshrrev_b32_e32 v93, 24, v100
	s_delay_alu instid0(VALU_DEP_4) | instskip(NEXT) | instid1(VALU_DEP_2)
	v_lshrrev_b32_e32 v5, 4, v92
	v_mul_i32_i24_e32 v93, v129, v93
	s_delay_alu instid0(VALU_DEP_1) | instskip(SKIP_1) | instid1(VALU_DEP_1)
	v_add3_u32 v100, v128, v94, v93
	v_bfe_u32 v93, v105, 4, 4
	v_mul_lo_u32 v93, 0x1010101, v93
	s_delay_alu instid0(VALU_DEP_1) | instskip(SKIP_1) | instid1(VALU_DEP_2)
	v_bfe_i32 v94, v93, 0, 8
	v_bfe_i32 v128, v93, 8, 8
	v_mul_i32_i24_e32 v94, v96, v94
	s_delay_alu instid0(VALU_DEP_1) | instskip(SKIP_2) | instid1(VALU_DEP_2)
	v_mad_i32_i24 v94, v95, v128, v94
	v_lshrrev_b32_e32 v128, 24, v93
	v_bfe_i32 v93, v93, 16, 8
	v_mul_i32_i24_e32 v128, v129, v128
	s_delay_alu instid0(VALU_DEP_2) | instskip(NEXT) | instid1(VALU_DEP_1)
	v_mul_i32_i24_e32 v93, v130, v93
	v_add3_u32 v128, v94, v93, v128
	v_add_nc_u32_e32 v93, s21, v58
	ds_load_u16 v131, v93 offset:18944
	s_wait_dscnt 0x0
	v_bfe_u32 v93, v131, 4, 4
	s_delay_alu instid0(VALU_DEP_1) | instskip(NEXT) | instid1(VALU_DEP_1)
	v_mul_lo_u32 v93, 0x1010101, v93
	v_bfe_i32 v94, v93, 0, 8
	v_bfe_i32 v132, v93, 8, 8
	s_delay_alu instid0(VALU_DEP_2) | instskip(NEXT) | instid1(VALU_DEP_1)
	v_mul_i32_i24_e32 v94, v96, v94
	v_mad_i32_i24 v94, v95, v132, v94
	v_lshrrev_b32_e32 v132, 24, v93
	v_bfe_i32 v93, v93, 16, 8
	s_delay_alu instid0(VALU_DEP_2) | instskip(NEXT) | instid1(VALU_DEP_2)
	v_mul_i32_i24_e32 v132, v129, v132
	v_mul_i32_i24_e32 v93, v130, v93
	s_delay_alu instid0(VALU_DEP_1) | instskip(SKIP_2) | instid1(VALU_DEP_2)
	v_add3_u32 v132, v94, v93, v132
	v_bfe_u32 v93, v101, 24, 2
	v_bfe_u32 v94, v3, 8, 2
	v_mul_i32_i24_e32 v93, v81, v93
	s_delay_alu instid0(VALU_DEP_2) | instskip(NEXT) | instid1(VALU_DEP_1)
	v_mul_i32_i24_e32 v94, v94, v97
	v_add3_u32 v101, v104, v93, v94
	ds_load_2addr_b32 v[93:94], v84 offset0:6 offset1:7
	s_wait_dscnt 0x0
	v_ashrrev_i32_e32 v93, s20, v93
	s_delay_alu instid0(VALU_DEP_1) | instskip(SKIP_1) | instid1(VALU_DEP_2)
	v_and_b32_e32 v104, 3, v93
	v_bfe_u32 v133, v93, 8, 2
	v_mul_i32_i24_e32 v104, v104, v83
	s_delay_alu instid0(VALU_DEP_2) | instskip(NEXT) | instid1(VALU_DEP_1)
	v_mul_i32_i24_e32 v133, v133, v82
	v_add3_u32 v104, v125, v104, v133
	v_bfe_u32 v125, v126, 8, 2
	v_bfe_u32 v133, v126, 16, 2
	s_delay_alu instid0(VALU_DEP_2) | instskip(NEXT) | instid1(VALU_DEP_2)
	v_mul_i32_i24_e32 v125, v90, v125
	v_mul_i32_i24_e32 v133, v89, v133
	s_delay_alu instid0(VALU_DEP_1) | instskip(SKIP_2) | instid1(VALU_DEP_2)
	v_add3_u32 v122, v122, v125, v133
	v_bfe_u32 v125, v108, 16, 2
	v_bfe_u32 v108, v108, 24, 2
	v_mul_i32_i24_e32 v125, v125, v86
	s_delay_alu instid0(VALU_DEP_2) | instskip(NEXT) | instid1(VALU_DEP_1)
	v_mul_i32_i24_e32 v108, v108, v88
	v_add3_u32 v108, v127, v125, v108
	v_bfe_u32 v125, v111, 8, 2
	v_bfe_u32 v127, v111, 16, 2
	s_delay_alu instid0(VALU_DEP_2) | instskip(NEXT) | instid1(VALU_DEP_2)
	v_mul_i32_i24_e32 v125, v90, v125
	v_mul_i32_i24_e32 v127, v89, v127
	s_delay_alu instid0(VALU_DEP_1) | instskip(SKIP_2) | instid1(VALU_DEP_2)
	v_add3_u32 v112, v112, v125, v127
	v_bfe_u32 v125, v116, 16, 2
	v_bfe_u32 v116, v116, 24, 2
	v_mul_i32_i24_e32 v125, v125, v86
	s_delay_alu instid0(VALU_DEP_2) | instskip(NEXT) | instid1(VALU_DEP_1)
	v_mul_i32_i24_e32 v116, v116, v88
	v_add3_u32 v115, v115, v125, v116
	v_bfe_u32 v116, v117, 8, 2
	s_delay_alu instid0(VALU_DEP_1) | instskip(SKIP_1) | instid1(VALU_DEP_1)
	v_mul_i32_i24_e32 v90, v90, v116
	v_bfe_u32 v116, v117, 16, 2
	v_mul_i32_i24_e32 v89, v89, v116
	v_bfe_u32 v116, v119, 24, 2
	s_delay_alu instid0(VALU_DEP_2) | instskip(SKIP_1) | instid1(VALU_DEP_3)
	v_add3_u32 v89, v123, v90, v89
	v_bfe_u32 v90, v119, 16, 2
	v_mul_i32_i24_e32 v116, v116, v88
	s_delay_alu instid0(VALU_DEP_2) | instskip(NEXT) | instid1(VALU_DEP_1)
	v_mul_i32_i24_e32 v90, v90, v86
	v_add3_u32 v90, v118, v90, v116
	v_mul_lo_u32 v116, 0x1010101, v5
	s_delay_alu instid0(VALU_DEP_1) | instskip(SKIP_1) | instid1(VALU_DEP_2)
	v_bfe_i32 v5, v116, 0, 8
	v_bfe_i32 v118, v116, 8, 8
	v_mul_i32_i24_e32 v5, v6, v5
	s_delay_alu instid0(VALU_DEP_2) | instskip(NEXT) | instid1(VALU_DEP_1)
	v_mul_i32_i24_e32 v118, v91, v118
	v_add3_u32 v100, v100, v5, v118
	v_lshrrev_b16 v5, 8, v105
	s_delay_alu instid0(VALU_DEP_1) | instskip(NEXT) | instid1(VALU_DEP_1)
	v_and_b32_e32 v118, 0xffff, v5
	v_lshrrev_b32_e32 v5, 4, v118
	s_delay_alu instid0(VALU_DEP_1) | instskip(NEXT) | instid1(VALU_DEP_1)
	v_mul_lo_u32 v119, 0x1010101, v5
	v_bfe_i32 v5, v119, 0, 8
	v_bfe_i32 v123, v119, 8, 8
	s_delay_alu instid0(VALU_DEP_2) | instskip(NEXT) | instid1(VALU_DEP_2)
	v_mul_i32_i24_e32 v5, v6, v5
	v_mul_i32_i24_e32 v123, v91, v123
	s_delay_alu instid0(VALU_DEP_1) | instskip(SKIP_1) | instid1(VALU_DEP_1)
	v_add3_u32 v123, v128, v5, v123
	v_lshrrev_b16 v5, 8, v131
	v_and_b32_e32 v125, 0xffff, v5
	s_delay_alu instid0(VALU_DEP_1) | instskip(NEXT) | instid1(VALU_DEP_1)
	v_lshrrev_b32_e32 v5, 4, v125
	v_mul_lo_u32 v127, 0x1010101, v5
	s_delay_alu instid0(VALU_DEP_1) | instskip(SKIP_1) | instid1(VALU_DEP_2)
	v_bfe_i32 v5, v127, 0, 8
	v_bfe_i32 v128, v127, 8, 8
	v_mul_i32_i24_e32 v5, v6, v5
	s_delay_alu instid0(VALU_DEP_2) | instskip(NEXT) | instid1(VALU_DEP_1)
	v_mul_i32_i24_e32 v128, v91, v128
	v_add3_u32 v128, v132, v5, v128
	v_add_nc_u32_e32 v5, v88, v87
	s_delay_alu instid0(VALU_DEP_1) | instskip(SKIP_1) | instid1(VALU_DEP_1)
	v_add3_u32 v87, v5, v79, v72
	v_lshrrev_b16 v5, 8, v124
	v_and_b32_e32 v88, 0xffff, v5
	v_bfe_u32 v5, v124, 4, 4
	s_delay_alu instid0(VALU_DEP_1) | instskip(NEXT) | instid1(VALU_DEP_3)
	v_mul_lo_u32 v132, 0x1010101, v5
	v_lshrrev_b32_e32 v5, 4, v88
	s_delay_alu instid0(VALU_DEP_1) | instskip(NEXT) | instid1(VALU_DEP_3)
	v_mul_lo_u32 v133, 0x1010101, v5
	v_lshrrev_b32_e32 v134, 24, v132
	s_delay_alu instid0(VALU_DEP_2) | instskip(NEXT) | instid1(VALU_DEP_1)
	v_lshrrev_b32_e32 v5, 24, v133
	v_mul_i32_i24_e32 v5, v87, v5
	s_delay_alu instid0(VALU_DEP_1) | instskip(SKIP_2) | instid1(VALU_DEP_2)
	v_mad_i32_i24 v129, v129, v134, v5
	v_add_nc_u32_e32 v5, v86, v85
	v_bfe_i32 v86, v132, 16, 8
	v_add3_u32 v85, v5, v80, v73
	v_bfe_i32 v5, v133, 16, 8
	s_delay_alu instid0(VALU_DEP_1) | instskip(NEXT) | instid1(VALU_DEP_1)
	v_mul_i32_i24_e32 v5, v85, v5
	v_mad_i32_i24 v86, v130, v86, v5
	v_bfe_i32 v5, v133, 0, 8
	s_delay_alu instid0(VALU_DEP_1) | instskip(SKIP_1) | instid1(VALU_DEP_1)
	v_mul_i32_i24_e32 v5, v6, v5
	v_bfe_i32 v6, v132, 0, 8
	v_mad_i32_i24 v96, v96, v6, v5
	v_bfe_u32 v5, v3, 16, 2
	v_bfe_u32 v3, v3, 24, 2
	;; [unrolled: 1-line block ×3, first 2 shown]
	s_delay_alu instid0(VALU_DEP_3) | instskip(NEXT) | instid1(VALU_DEP_3)
	v_mul_i32_i24_e32 v5, v5, v78
	v_mul_i32_i24_e32 v3, v3, v77
	s_delay_alu instid0(VALU_DEP_3) | instskip(NEXT) | instid1(VALU_DEP_2)
	v_mul_i32_i24_e32 v6, v6, v79
	v_add3_u32 v3, v101, v5, v3
	v_bfe_u32 v5, v93, 16, 2
	s_delay_alu instid0(VALU_DEP_1) | instskip(NEXT) | instid1(VALU_DEP_1)
	v_mul_i32_i24_e32 v5, v5, v80
	v_add3_u32 v93, v104, v5, v6
	v_bfe_u32 v5, v126, 24, 2
	v_bfe_u32 v6, v102, 8, 2
	v_ashrrev_i32_e32 v104, s20, v109
	s_delay_alu instid0(VALU_DEP_3) | instskip(NEXT) | instid1(VALU_DEP_3)
	v_mul_i32_i24_e32 v5, v81, v5
	v_mul_i32_i24_e32 v6, v6, v97
	s_delay_alu instid0(VALU_DEP_1) | instskip(NEXT) | instid1(VALU_DEP_4)
	v_add3_u32 v101, v122, v5, v6
	v_and_b32_e32 v5, 3, v104
	v_bfe_u32 v6, v104, 8, 2
	s_delay_alu instid0(VALU_DEP_2) | instskip(NEXT) | instid1(VALU_DEP_2)
	v_mul_i32_i24_e32 v5, v5, v83
	v_mul_i32_i24_e32 v6, v6, v82
	s_delay_alu instid0(VALU_DEP_1) | instskip(SKIP_2) | instid1(VALU_DEP_2)
	v_add3_u32 v108, v108, v5, v6
	v_bfe_u32 v5, v111, 24, 2
	v_bfe_u32 v6, v113, 8, 2
	v_mul_i32_i24_e32 v5, v81, v5
	s_delay_alu instid0(VALU_DEP_2) | instskip(NEXT) | instid1(VALU_DEP_1)
	v_mul_i32_i24_e32 v6, v6, v97
	v_add3_u32 v109, v112, v5, v6
	v_add_nc_u32_e32 v5, 0x2118, v84
	ds_load_2addr_b32 v[5:6], v5 offset1:1
	s_wait_dscnt 0x0
	v_ashrrev_i32_e32 v5, s20, v5
	v_ashrrev_i32_e32 v6, s20, v6
	s_delay_alu instid0(VALU_DEP_2) | instskip(SKIP_1) | instid1(VALU_DEP_2)
	v_and_b32_e32 v84, 3, v5
	v_bfe_u32 v111, v5, 8, 2
	v_mul_i32_i24_e32 v84, v84, v83
	s_delay_alu instid0(VALU_DEP_2) | instskip(NEXT) | instid1(VALU_DEP_1)
	v_mul_i32_i24_e32 v111, v111, v82
	v_add3_u32 v84, v115, v84, v111
	v_bfe_u32 v111, v117, 24, 2
	s_delay_alu instid0(VALU_DEP_1) | instskip(SKIP_1) | instid1(VALU_DEP_1)
	v_mul_i32_i24_e32 v81, v81, v111
	v_bfe_u32 v111, v106, 8, 2
	v_mul_i32_i24_e32 v97, v111, v97
	s_delay_alu instid0(VALU_DEP_1) | instskip(SKIP_1) | instid1(VALU_DEP_1)
	v_add3_u32 v81, v89, v81, v97
	v_ashrrev_i32_e32 v89, s20, v120
	v_and_b32_e32 v97, 3, v89
	s_delay_alu instid0(VALU_DEP_1) | instskip(SKIP_1) | instid1(VALU_DEP_1)
	v_mul_i32_i24_e32 v83, v97, v83
	v_bfe_u32 v97, v89, 8, 2
	v_mul_i32_i24_e32 v82, v97, v82
	v_bfe_i32 v97, v119, 16, 8
	s_delay_alu instid0(VALU_DEP_2) | instskip(SKIP_2) | instid1(VALU_DEP_4)
	v_add3_u32 v82, v90, v83, v82
	v_lshrrev_b32_e32 v83, 24, v116
	v_bfe_i32 v90, v116, 16, 8
	v_mul_i32_i24_e32 v97, v85, v97
	s_delay_alu instid0(VALU_DEP_3) | instskip(NEXT) | instid1(VALU_DEP_3)
	v_mul_i32_i24_e32 v83, v87, v83
	v_mul_i32_i24_e32 v90, v85, v90
	s_delay_alu instid0(VALU_DEP_1) | instskip(SKIP_2) | instid1(VALU_DEP_2)
	v_add3_u32 v83, v100, v90, v83
	v_lshrrev_b32_e32 v90, 24, v119
	v_bfe_u32 v100, v113, 24, 2
	v_mul_i32_i24_e32 v90, v87, v90
	s_delay_alu instid0(VALU_DEP_2) | instskip(NEXT) | instid1(VALU_DEP_2)
	v_mul_i32_i24_e32 v100, v100, v77
	v_add3_u32 v90, v123, v97, v90
	v_lshrrev_b32_e32 v97, 24, v127
	s_delay_alu instid0(VALU_DEP_1) | instskip(SKIP_1) | instid1(VALU_DEP_1)
	v_mul_i32_i24_e32 v87, v87, v97
	v_bfe_i32 v97, v127, 16, 8
	v_mul_i32_i24_e32 v85, v85, v97
	v_bfe_u32 v97, v104, 24, 2
	s_delay_alu instid0(VALU_DEP_2) | instskip(SKIP_1) | instid1(VALU_DEP_3)
	v_add3_u32 v85, v128, v85, v87
	v_lshrrev_b16 v87, 8, v132
	v_mul_i32_i24_e32 v97, v97, v79
	s_delay_alu instid0(VALU_DEP_2) | instskip(NEXT) | instid1(VALU_DEP_1)
	v_bfe_i32 v87, v87, 0, 8
	v_mul_i32_i24_e32 v87, v95, v87
	v_bfe_i32 v95, v133, 8, 8
	s_delay_alu instid0(VALU_DEP_1) | instskip(SKIP_1) | instid1(VALU_DEP_2)
	v_mul_i32_i24_e32 v91, v91, v95
	v_bfe_u32 v95, v4, 8, 2
	v_add3_u32 v87, v87, v91, v129
	v_and_b32_e32 v91, 3, v4
	s_delay_alu instid0(VALU_DEP_3) | instskip(NEXT) | instid1(VALU_DEP_2)
	v_mul_i32_i24_e32 v95, v95, v99
	v_mul_i32_i24_e32 v91, v91, v74
	s_delay_alu instid0(VALU_DEP_1) | instskip(SKIP_1) | instid1(VALU_DEP_1)
	v_add3_u32 v3, v3, v91, v95
	v_ashrrev_i32_e32 v91, s20, v94
	v_and_b32_e32 v94, 3, v91
	v_bfe_u32 v95, v91, 8, 2
	s_delay_alu instid0(VALU_DEP_2) | instskip(NEXT) | instid1(VALU_DEP_2)
	v_mul_i32_i24_e32 v94, v94, v76
	v_mul_i32_i24_e32 v95, v95, v75
	s_delay_alu instid0(VALU_DEP_1) | instskip(SKIP_2) | instid1(VALU_DEP_2)
	v_add3_u32 v93, v93, v94, v95
	v_bfe_u32 v94, v102, 16, 2
	v_bfe_u32 v95, v102, 24, 2
	v_mul_i32_i24_e32 v94, v94, v78
	s_delay_alu instid0(VALU_DEP_2) | instskip(NEXT) | instid1(VALU_DEP_1)
	v_mul_i32_i24_e32 v95, v95, v77
	v_add3_u32 v94, v101, v94, v95
	v_bfe_u32 v95, v104, 16, 2
	s_delay_alu instid0(VALU_DEP_1) | instskip(NEXT) | instid1(VALU_DEP_1)
	v_mul_i32_i24_e32 v95, v95, v80
	v_add3_u32 v95, v108, v95, v97
	v_bfe_u32 v97, v113, 16, 2
	s_delay_alu instid0(VALU_DEP_1) | instskip(NEXT) | instid1(VALU_DEP_1)
	v_mul_i32_i24_e32 v97, v97, v78
	v_add3_u32 v97, v109, v97, v100
	v_bfe_u32 v100, v5, 16, 2
	v_bfe_u32 v5, v5, 24, 2
	s_delay_alu instid0(VALU_DEP_2) | instskip(NEXT) | instid1(VALU_DEP_2)
	v_mul_i32_i24_e32 v100, v100, v80
	v_mul_i32_i24_e32 v5, v5, v79
	s_delay_alu instid0(VALU_DEP_1) | instskip(SKIP_1) | instid1(VALU_DEP_1)
	v_add3_u32 v5, v84, v100, v5
	v_bfe_u32 v84, v106, 16, 2
	v_mul_i32_i24_e32 v78, v84, v78
	v_bfe_u32 v84, v106, 24, 2
	s_delay_alu instid0(VALU_DEP_1) | instskip(NEXT) | instid1(VALU_DEP_1)
	v_mul_i32_i24_e32 v77, v84, v77
	v_add3_u32 v77, v81, v78, v77
	v_bfe_u32 v78, v89, 16, 2
	s_delay_alu instid0(VALU_DEP_1) | instskip(SKIP_1) | instid1(VALU_DEP_1)
	v_mul_i32_i24_e32 v78, v78, v80
	v_bfe_u32 v80, v89, 24, 2
	v_mul_i32_i24_e32 v79, v80, v79
	v_bfe_u32 v80, v4, 16, 2
	v_bfe_u32 v4, v4, 24, 2
	s_delay_alu instid0(VALU_DEP_3) | instskip(NEXT) | instid1(VALU_DEP_3)
	v_add3_u32 v78, v82, v78, v79
	v_mul_i32_i24_e32 v80, v80, v10
	s_delay_alu instid0(VALU_DEP_3) | instskip(SKIP_1) | instid1(VALU_DEP_2)
	v_mul_i32_i24_e32 v4, v4, v9
	v_add3_u32 v79, v96, v86, v87
	v_add3_u32 v3, v3, v80, v4
	v_bfe_u32 v4, v91, 16, 2
	v_bfe_u32 v80, v91, 24, 2
	;; [unrolled: 1-line block ×3, first 2 shown]
	v_cvt_f32_i32_e32 v79, v79
	s_delay_alu instid0(VALU_DEP_4) | instskip(NEXT) | instid1(VALU_DEP_4)
	v_mul_i32_i24_e32 v4, v4, v73
	v_mul_i32_i24_e32 v80, v80, v72
	s_delay_alu instid0(VALU_DEP_4) | instskip(NEXT) | instid1(VALU_DEP_2)
	v_mul_i32_i24_e32 v91, v91, v75
	v_add3_u32 v4, v93, v4, v80
	v_ashrrev_i32_e32 v80, s20, v103
	s_delay_alu instid0(VALU_DEP_1) | instskip(SKIP_1) | instid1(VALU_DEP_2)
	v_and_b32_e32 v81, 3, v80
	v_bfe_u32 v82, v80, 8, 2
	v_mul_i32_i24_e32 v81, v81, v74
	s_delay_alu instid0(VALU_DEP_2) | instskip(NEXT) | instid1(VALU_DEP_1)
	v_mul_i32_i24_e32 v82, v82, v99
	v_add3_u32 v81, v94, v81, v82
	v_ashrrev_i32_e32 v82, s20, v110
	s_delay_alu instid0(VALU_DEP_1) | instskip(SKIP_1) | instid1(VALU_DEP_2)
	v_and_b32_e32 v84, 3, v82
	v_bfe_u32 v86, v82, 8, 2
	v_mul_i32_i24_e32 v84, v84, v76
	s_delay_alu instid0(VALU_DEP_2) | instskip(NEXT) | instid1(VALU_DEP_1)
	;; [unrolled: 8-line block ×3, first 2 shown]
	v_mul_i32_i24_e32 v89, v89, v99
	v_add3_u32 v87, v97, v87, v89
	v_and_b32_e32 v89, 3, v6
	s_delay_alu instid0(VALU_DEP_1) | instskip(NEXT) | instid1(VALU_DEP_1)
	v_mul_i32_i24_e32 v89, v89, v76
	v_add3_u32 v5, v5, v89, v91
	v_ashrrev_i32_e32 v89, s20, v107
	s_delay_alu instid0(VALU_DEP_1) | instskip(NEXT) | instid1(VALU_DEP_1)
	v_and_b32_e32 v91, 3, v89
	v_mul_i32_i24_e32 v74, v91, v74
	v_bfe_u32 v91, v89, 8, 2
	s_delay_alu instid0(VALU_DEP_1) | instskip(NEXT) | instid1(VALU_DEP_1)
	v_mul_i32_i24_e32 v91, v91, v99
	v_add3_u32 v74, v77, v74, v91
	v_ashrrev_i32_e32 v77, s20, v121
	s_lshr_b32 s20, s1, 2
	s_wait_alu 0xfffe
	s_and_b32 s20, s20, 0x3ffffffc
	s_delay_alu instid0(VALU_DEP_1) | instskip(SKIP_2) | instid1(VALU_DEP_1)
	v_and_b32_e32 v91, 3, v77
	s_wait_alu 0xfffe
	s_addk_co_i32 s20, 0x5280
	v_mul_i32_i24_e32 v76, v91, v76
	v_bfe_u32 v91, v77, 8, 2
	s_delay_alu instid0(VALU_DEP_1) | instskip(NEXT) | instid1(VALU_DEP_1)
	v_mul_i32_i24_e32 v75, v91, v75
	v_add3_u32 v75, v78, v76, v75
	v_bfe_u32 v76, v80, 16, 2
	v_bfe_u32 v78, v80, 24, 2
	;; [unrolled: 1-line block ×3, first 2 shown]
	s_delay_alu instid0(VALU_DEP_3) | instskip(NEXT) | instid1(VALU_DEP_3)
	v_mul_i32_i24_e32 v76, v76, v10
	v_mul_i32_i24_e32 v78, v78, v9
	s_delay_alu instid0(VALU_DEP_3) | instskip(NEXT) | instid1(VALU_DEP_2)
	v_mul_i32_i24_e32 v80, v80, v72
	v_add3_u32 v76, v81, v76, v78
	v_bfe_u32 v78, v82, 16, 2
	v_bfe_u32 v81, v86, 24, 2
	v_and_b32_e32 v82, 15, v124
	s_delay_alu instid0(VALU_DEP_3) | instskip(NEXT) | instid1(VALU_DEP_3)
	v_mul_i32_i24_e32 v78, v78, v73
	v_mul_i32_i24_e32 v81, v81, v9
	s_delay_alu instid0(VALU_DEP_2) | instskip(SKIP_2) | instid1(VALU_DEP_2)
	v_add3_u32 v78, v84, v78, v80
	v_bfe_u32 v80, v86, 16, 2
	v_and_b32_e32 v84, 15, v125
	v_mul_i32_i24_e32 v80, v80, v10
	s_delay_alu instid0(VALU_DEP_1) | instskip(SKIP_2) | instid1(VALU_DEP_2)
	v_add3_u32 v80, v87, v80, v81
	v_bfe_u32 v81, v6, 16, 2
	v_bfe_u32 v6, v6, 24, 2
	v_mul_i32_i24_e32 v81, v81, v73
	s_delay_alu instid0(VALU_DEP_2) | instskip(NEXT) | instid1(VALU_DEP_1)
	v_mul_i32_i24_e32 v6, v6, v72
	v_add3_u32 v6, v5, v81, v6
	v_bfe_u32 v5, v89, 16, 2
	s_delay_alu instid0(VALU_DEP_1) | instskip(SKIP_1) | instid1(VALU_DEP_1)
	v_mul_i32_i24_e32 v5, v5, v10
	v_bfe_u32 v10, v89, 24, 2
	v_mul_i32_i24_e32 v9, v10, v9
	s_wait_alu 0xfffe
	v_add3_u32 v10, s20, v63, v64
	s_delay_alu instid0(VALU_DEP_2) | instskip(SKIP_1) | instid1(VALU_DEP_1)
	v_add3_u32 v9, v74, v5, v9
	v_bfe_u32 v5, v77, 16, 2
	v_mul_i32_i24_e32 v5, v5, v73
	v_bfe_u32 v73, v77, 24, 2
	v_and_b32_e32 v77, 15, v92
	s_delay_alu instid0(VALU_DEP_2)
	v_mul_i32_i24_e32 v72, v73, v72
	v_add3_u32 v73, s20, v67, v68
	ds_load_b32 v74, v10
	ds_load_b32 v73, v73
	v_add3_u32 v10, v75, v5, v72
	v_add3_u32 v5, s20, v69, v70
	;; [unrolled: 1-line block ×3, first 2 shown]
	ds_load_b32 v75, v5
	ds_load_b32 v72, v72
	v_and_b32_e32 v5, 15, v98
	s_add_co_i32 s20, s1, 2
	s_cmp_lt_u32 s1, 14
	s_wait_alu 0xfffe
	s_mov_b32 s1, s20
	v_mul_lo_u32 v3, v3, v5
	v_and_b32_e32 v5, 15, v118
	s_delay_alu instid0(VALU_DEP_2)
	v_mad_co_u64_u32 v[3:4], null, v4, v77, v[3:4]
	v_and_b32_e32 v4, 15, v105
	ds_load_b32 v77, v8
	v_add_nc_u32_e32 v8, 4, v8
	s_wait_dscnt 0x1
	v_lshrrev_b32_e32 v81, 16, v72
	v_mul_lo_u32 v4, v76, v4
	v_lshrrev_b32_e32 v76, 16, v75
	v_cvt_f32_i32_e32 v3, v3
	s_delay_alu instid0(VALU_DEP_4) | instskip(NEXT) | instid1(VALU_DEP_3)
	v_cvt_f32_f16_e32 v81, v81
	v_cvt_f32_f16_e32 v76, v76
	v_mad_co_u64_u32 v[4:5], null, v78, v5, v[4:5]
	v_and_b32_e32 v5, 15, v131
	v_lshrrev_b32_e32 v78, 16, v74
	s_delay_alu instid0(VALU_DEP_4) | instskip(NEXT) | instid1(VALU_DEP_3)
	v_mul_f32_e32 v76, v76, v79
	v_mul_lo_u32 v5, v80, v5
	v_lshrrev_b32_e32 v80, 16, v73
	s_delay_alu instid0(VALU_DEP_4) | instskip(SKIP_1) | instid1(VALU_DEP_3)
	v_cvt_f32_f16_e32 v78, v78
	v_cvt_f32_i32_e32 v4, v4
	v_cvt_f32_f16_e32 v80, v80
	v_mad_co_u64_u32 v[5:6], null, v6, v84, v[5:6]
	v_mul_lo_u32 v6, v9, v82
	v_and_b32_e32 v9, 15, v88
	v_cvt_f32_i32_e32 v82, v83
	v_cvt_f32_i32_e32 v83, v90
	;; [unrolled: 1-line block ×4, first 2 shown]
	v_mad_co_u64_u32 v[9:10], null, v10, v9, v[6:7]
	v_mul_f32_e32 v6, v78, v82
	v_mul_f32_e32 v10, v81, v83
	v_dual_mul_f32 v78, v80, v84 :: v_dual_add_nc_u32 v7, 32, v7
	s_delay_alu instid0(VALU_DEP_3) | instskip(SKIP_1) | instid1(VALU_DEP_4)
	v_fma_mix_f32 v3, v74, v3, -v6 op_sel_hi:[1,0,0]
	v_cvt_f32_i32_e32 v9, v9
	v_fma_mix_f32 v4, v72, v4, -v10 op_sel_hi:[1,0,0]
	s_delay_alu instid0(VALU_DEP_4)
	v_fma_mix_f32 v5, v73, v5, -v78 op_sel_hi:[1,0,0]
	s_wait_dscnt 0x0
	v_fmac_f32_e32 v13, v77, v3
	v_fma_mix_f32 v6, v75, v9, -v76 op_sel_hi:[1,0,0]
	v_fmac_f32_e32 v48, v77, v4
	v_fmac_f32_e32 v44, v77, v5
	s_delay_alu instid0(VALU_DEP_3)
	v_fmac_f32_e32 v2, v77, v6
	s_cbranch_scc1 .LBB187_19
; %bb.20:                               ;   in Loop: Header=BB187_5 Depth=1
	s_or_b32 s1, s16, 0x100
	s_wait_loadcnt 0x0
	s_wait_alu 0xfffe
	s_cmp_ge_i32 s1, s11
	s_barrier_signal -1
	s_barrier_wait -1
	global_inv scope:SCOPE_SE
	s_cbranch_scc1 .LBB187_4
; %bb.21:                               ;   in Loop: Header=BB187_5 Depth=1
	v_add_nc_u32_e32 v3, s17, v50
	s_delay_alu instid0(VALU_DEP_1)
	v_cmp_gt_i32_e64 s1, s5, v3
	s_and_b32 s20, s0, s1
	s_wait_alu 0xfffe
	s_and_saveexec_b32 s1, s20
	s_cbranch_execz .LBB187_23
; %bb.22:                               ;   in Loop: Header=BB187_5 Depth=1
	v_add_nc_u32_e32 v3, v52, v3
	s_delay_alu instid0(VALU_DEP_1)
	v_mad_co_i64_i32 v[3:4], null, v3, 36, v[0:1]
	global_load_b32 v3, v[3:4], off offset:4
	s_wait_loadcnt 0x0
	ds_store_b32 v45, v3
.LBB187_23:                             ;   in Loop: Header=BB187_5 Depth=1
	s_wait_alu 0xfffe
	s_or_b32 exec_lo, exec_lo, s1
	s_and_saveexec_b32 s20, vcc_lo
	s_cbranch_execz .LBB187_26
; %bb.24:                               ;   in Loop: Header=BB187_5 Depth=1
	v_or_b32_e32 v3, 8, v71
	s_delay_alu instid0(VALU_DEP_1)
	v_cmp_gt_i32_e64 s1, s5, v3
	s_and_b32 s1, s0, s1
	s_wait_alu 0xfffe
	s_and_b32 exec_lo, exec_lo, s1
	s_cbranch_execz .LBB187_26
; %bb.25:                               ;   in Loop: Header=BB187_5 Depth=1
	v_ashrrev_i32_e32 v3, 31, v71
	v_add_co_u32 v4, s1, v52, v71
	s_wait_alu 0xf1ff
	s_delay_alu instid0(VALU_DEP_2) | instskip(NEXT) | instid1(VALU_DEP_2)
	v_add_co_ci_u32_e64 v5, null, v55, v3, s1
	v_mad_co_u64_u32 v[3:4], null, v4, 36, s[2:3]
	s_delay_alu instid0(VALU_DEP_1)
	v_mad_i32_i24 v4, v5, 36, v4
	global_load_b32 v3, v[3:4], off offset:288
	s_wait_loadcnt 0x0
	v_cvt_f32_f16_e32 v3, v3
	ds_store_b32 v47, v3
.LBB187_26:                             ;   in Loop: Header=BB187_5 Depth=1
	s_wait_alu 0xfffe
	s_or_b32 exec_lo, exec_lo, s20
	v_dual_mov_b32 v7, v43 :: v_dual_mov_b32 v8, v46
	s_mov_b32 s1, 16
	s_wait_loadcnt_dscnt 0x0
	s_barrier_signal -1
	s_barrier_wait -1
	global_inv scope:SCOPE_SE
.LBB187_27:                             ;   Parent Loop BB187_5 Depth=1
                                        ; =>  This Inner Loop Header: Depth=2
	ds_load_b128 v[3:6], v7
	ds_load_b128 v[102:105], v7 offset:16
	s_wait_alu 0xfffe
	s_and_b32 s21, s1, 0x3ffffff8
	s_add_co_i32 s20, s1, -16
	s_wait_alu 0xfffe
	v_lshl_add_u32 v84, s21, 2, v53
	s_and_b32 s21, s1, -16
	s_wait_alu 0xfffe
	s_add_co_i32 s21, s1, s21
	s_delay_alu instid0(VALU_DEP_1)
	v_add_nc_u32_e32 v109, 0x1098, v84
	v_add_nc_u32_e32 v113, 0x2108, v84
	;; [unrolled: 1-line block ×3, first 2 shown]
	s_wait_dscnt 0x1
	v_ashrrev_i32_e32 v81, 24, v3
	v_bfe_i32 v95, v4, 8, 8
	v_bfe_i32 v96, v3, 0, 8
	v_bfe_i32 v89, v3, 16, 8
	v_ashrrev_i32_e32 v93, 24, v4
	v_bfe_i32 v90, v3, 8, 8
	v_bfe_i32 v98, v4, 0, 8
	;; [unrolled: 1-line block ×3, first 2 shown]
	v_lshrrev_b16 v97, 8, v5
	v_ashrrev_i32_e32 v77, 24, v5
	v_bfe_i32 v78, v5, 16, 8
	v_bfe_i32 v100, v5, 0, 8
	v_lshrrev_b16 v99, 8, v6
	v_ashrrev_i32_e32 v9, 24, v6
	v_bfe_i32 v10, v6, 16, 8
	v_bfe_i32 v74, v6, 0, 8
	s_wait_dscnt 0x0
	v_ashrrev_i32_e32 v79, 24, v104
	v_bfe_i32 v80, v104, 16, 8
	v_bfe_i32 v83, v104, 0, 8
	;; [unrolled: 1-line block ×3, first 2 shown]
	v_ashrrev_i32_e32 v72, 24, v105
	v_bfe_i32 v73, v105, 16, 8
	v_bfe_i32 v76, v105, 0, 8
	;; [unrolled: 1-line block ×3, first 2 shown]
	ds_load_2addr_b32 v[5:6], v84 offset1:1
	ds_load_2addr_b32 v[3:4], v84 offset0:2 offset1:3
	ds_load_2addr_b32 v[104:105], v84 offset0:4 offset1:5
	v_lshrrev_b16 v101, 8, v102
	v_ashrrev_i32_e32 v87, 24, v102
	v_bfe_i32 v91, v102, 0, 8
	v_bfe_i32 v85, v102, 16, 8
	v_lshrrev_b16 v102, 8, v103
	v_ashrrev_i32_e32 v88, 24, v103
	v_bfe_i32 v92, v103, 0, 8
	v_bfe_i32 v86, v103, 16, 8
	;; [unrolled: 1-line block ×4, first 2 shown]
	s_wait_dscnt 0x2
	v_ashrrev_i32_e32 v6, s20, v6
	s_wait_dscnt 0x1
	v_ashrrev_i32_e32 v3, s20, v3
	v_ashrrev_i32_e32 v4, s20, v4
	s_delay_alu instid0(VALU_DEP_3) | instskip(SKIP_1) | instid1(VALU_DEP_2)
	v_and_b32_e32 v103, 3, v6
	v_bfe_u32 v106, v6, 8, 2
	v_mul_i32_i24_e32 v103, v103, v98
	s_delay_alu instid0(VALU_DEP_1) | instskip(SKIP_2) | instid1(VALU_DEP_2)
	v_mad_i32_i24 v103, v106, v95, v103
	v_bfe_u32 v106, v6, 16, 2
	v_bfe_u32 v6, v6, 24, 2
	v_mul_i32_i24_e32 v106, v106, v94
	s_delay_alu instid0(VALU_DEP_2) | instskip(NEXT) | instid1(VALU_DEP_1)
	v_mul_i32_i24_e32 v6, v6, v93
	v_add3_u32 v103, v103, v106, v6
	v_bfe_i32 v6, v101, 0, 8
	s_wait_dscnt 0x0
	v_ashrrev_i32_e32 v101, s20, v104
	s_delay_alu instid0(VALU_DEP_1) | instskip(SKIP_1) | instid1(VALU_DEP_2)
	v_and_b32_e32 v104, 3, v101
	v_bfe_u32 v106, v101, 8, 2
	v_mul_i32_i24_e32 v104, v104, v91
	s_delay_alu instid0(VALU_DEP_1) | instskip(SKIP_2) | instid1(VALU_DEP_2)
	v_mad_i32_i24 v104, v106, v6, v104
	v_bfe_u32 v106, v101, 16, 2
	v_bfe_u32 v101, v101, 24, 2
	v_mul_i32_i24_e32 v106, v106, v85
	s_delay_alu instid0(VALU_DEP_2) | instskip(NEXT) | instid1(VALU_DEP_1)
	v_mul_i32_i24_e32 v101, v101, v87
	v_add3_u32 v106, v104, v106, v101
	v_ashrrev_i32_e32 v101, s20, v5
	v_and_b32_e32 v104, 3, v3
	s_delay_alu instid0(VALU_DEP_2) | instskip(NEXT) | instid1(VALU_DEP_2)
	v_and_b32_e32 v5, 3, v101
	v_mul_i32_i24_e32 v104, v104, v100
	s_delay_alu instid0(VALU_DEP_2) | instskip(NEXT) | instid1(VALU_DEP_1)
	v_mul_i32_i24_e32 v5, v96, v5
	v_add3_u32 v104, v103, v104, v5
	v_ashrrev_i32_e32 v103, s20, v105
	v_bfe_i32 v5, v102, 0, 8
	s_delay_alu instid0(VALU_DEP_2) | instskip(SKIP_1) | instid1(VALU_DEP_2)
	v_and_b32_e32 v102, 3, v103
	v_bfe_u32 v105, v103, 8, 2
	v_mul_i32_i24_e32 v102, v102, v92
	s_delay_alu instid0(VALU_DEP_2) | instskip(NEXT) | instid1(VALU_DEP_1)
	v_mul_i32_i24_e32 v105, v105, v5
	v_add3_u32 v102, v106, v102, v105
	v_add_nc_u32_e32 v105, 0x1080, v84
	ds_load_2addr_b32 v[106:107], v105 offset1:1
	s_wait_dscnt 0x0
	v_ashrrev_i32_e32 v105, s20, v107
	s_delay_alu instid0(VALU_DEP_1) | instskip(SKIP_1) | instid1(VALU_DEP_2)
	v_and_b32_e32 v107, 3, v105
	v_bfe_u32 v108, v105, 8, 2
	v_mul_i32_i24_e32 v107, v107, v98
	s_delay_alu instid0(VALU_DEP_1) | instskip(SKIP_2) | instid1(VALU_DEP_2)
	v_mad_i32_i24 v107, v108, v95, v107
	v_bfe_u32 v108, v105, 16, 2
	v_bfe_u32 v105, v105, 24, 2
	v_mul_i32_i24_e32 v108, v108, v94
	s_delay_alu instid0(VALU_DEP_2) | instskip(NEXT) | instid1(VALU_DEP_1)
	v_mul_i32_i24_e32 v105, v105, v93
	v_add3_u32 v122, v107, v108, v105
	s_wait_alu 0xfffe
	v_add_nc_u32_e32 v105, s21, v57
	v_add_nc_u32_e32 v107, 0x1090, v84
	ds_load_u16 v105, v105 offset:17904
	ds_load_2addr_b32 v[107:108], v107 offset1:1
	ds_load_2addr_b32 v[109:110], v109 offset1:1
	s_wait_dscnt 0x1
	v_ashrrev_i32_e32 v107, s20, v107
	v_ashrrev_i32_e32 v108, s20, v108
	s_delay_alu instid0(VALU_DEP_2) | instskip(SKIP_1) | instid1(VALU_DEP_2)
	v_and_b32_e32 v111, 3, v107
	v_bfe_u32 v112, v107, 8, 2
	v_mul_i32_i24_e32 v111, v111, v91
	s_delay_alu instid0(VALU_DEP_1) | instskip(SKIP_2) | instid1(VALU_DEP_2)
	v_mad_i32_i24 v111, v112, v6, v111
	v_bfe_u32 v112, v107, 16, 2
	v_bfe_u32 v107, v107, 24, 2
	v_mul_i32_i24_e32 v112, v112, v85
	s_delay_alu instid0(VALU_DEP_2) | instskip(NEXT) | instid1(VALU_DEP_1)
	v_mul_i32_i24_e32 v107, v107, v87
	v_add3_u32 v107, v111, v112, v107
	v_add_nc_u32_e32 v111, 0x2100, v84
	ds_load_2addr_b32 v[111:112], v111 offset1:1
	ds_load_2addr_b32 v[113:114], v113 offset1:1
	;; [unrolled: 1-line block ×3, first 2 shown]
	s_wait_dscnt 0x2
	v_ashrrev_i32_e32 v112, s20, v112
	v_ashrrev_i32_e32 v111, s20, v111
	s_wait_dscnt 0x0
	v_ashrrev_i32_e32 v115, s20, v115
	v_ashrrev_i32_e32 v113, s20, v113
	;; [unrolled: 1-line block ×3, first 2 shown]
	v_and_b32_e32 v117, 3, v112
	v_bfe_u32 v118, v112, 8, 2
	s_delay_alu instid0(VALU_DEP_2) | instskip(NEXT) | instid1(VALU_DEP_1)
	v_mul_i32_i24_e32 v117, v117, v98
	v_mad_i32_i24 v117, v118, v95, v117
	v_bfe_u32 v118, v112, 16, 2
	v_bfe_u32 v112, v112, 24, 2
	s_delay_alu instid0(VALU_DEP_2) | instskip(NEXT) | instid1(VALU_DEP_2)
	v_mul_i32_i24_e32 v118, v118, v94
	v_mul_i32_i24_e32 v112, v112, v93
	s_delay_alu instid0(VALU_DEP_1) | instskip(SKIP_2) | instid1(VALU_DEP_2)
	v_add3_u32 v112, v117, v118, v112
	v_and_b32_e32 v117, 3, v115
	v_bfe_u32 v118, v115, 8, 2
	v_mul_i32_i24_e32 v117, v117, v91
	s_delay_alu instid0(VALU_DEP_1) | instskip(SKIP_2) | instid1(VALU_DEP_2)
	v_mad_i32_i24 v117, v118, v6, v117
	v_bfe_u32 v118, v115, 16, 2
	v_bfe_u32 v115, v115, 24, 2
	v_mul_i32_i24_e32 v118, v118, v85
	s_delay_alu instid0(VALU_DEP_2) | instskip(NEXT) | instid1(VALU_DEP_1)
	v_mul_i32_i24_e32 v115, v115, v87
	v_add3_u32 v115, v117, v118, v115
	v_add_nc_u32_e32 v117, 0x3180, v84
	ds_load_2addr_b32 v[117:118], v117 offset1:1
	s_wait_dscnt 0x0
	v_ashrrev_i32_e32 v118, s20, v118
	v_ashrrev_i32_e32 v117, s20, v117
	s_delay_alu instid0(VALU_DEP_2) | instskip(SKIP_1) | instid1(VALU_DEP_2)
	v_and_b32_e32 v119, 3, v118
	v_bfe_u32 v120, v118, 8, 2
	v_mul_i32_i24_e32 v119, v119, v98
	s_delay_alu instid0(VALU_DEP_1) | instskip(SKIP_3) | instid1(VALU_DEP_3)
	v_mad_i32_i24 v119, v120, v95, v119
	v_bfe_u32 v120, v118, 16, 2
	v_bfe_u32 v118, v118, 24, 2
	v_add_nc_u32_e32 v95, v90, v95
	v_mul_i32_i24_e32 v120, v120, v94
	s_delay_alu instid0(VALU_DEP_3) | instskip(NEXT) | instid1(VALU_DEP_3)
	v_mul_i32_i24_e32 v118, v118, v93
	v_add3_u32 v95, v95, v97, v99
	v_add_nc_u32_e32 v93, v93, v81
	v_add_nc_u32_e32 v94, v94, v89
	s_delay_alu instid0(VALU_DEP_4) | instskip(SKIP_2) | instid1(VALU_DEP_4)
	v_add3_u32 v123, v119, v120, v118
	v_add_nc_u32_e32 v118, s21, v56
	v_add_nc_u32_e32 v120, 0x3198, v84
	v_add3_u32 v130, v94, v78, v10
	ds_load_u16 v124, v118 offset:19952
	v_add_nc_u32_e32 v118, 0x3190, v84
	ds_load_2addr_b32 v[118:119], v118 offset1:1
	ds_load_2addr_b32 v[120:121], v120 offset1:1
	s_wait_dscnt 0x1
	v_ashrrev_i32_e32 v118, s20, v118
	v_ashrrev_i32_e32 v119, s20, v119
	s_delay_alu instid0(VALU_DEP_2) | instskip(SKIP_1) | instid1(VALU_DEP_2)
	v_and_b32_e32 v125, 3, v118
	v_bfe_u32 v126, v118, 8, 2
	v_mul_i32_i24_e32 v125, v125, v91
	v_add_nc_u32_e32 v91, v92, v91
	s_delay_alu instid0(VALU_DEP_2) | instskip(SKIP_2) | instid1(VALU_DEP_2)
	v_mad_i32_i24 v125, v126, v6, v125
	v_bfe_u32 v126, v118, 16, 2
	v_bfe_u32 v118, v118, 24, 2
	v_mul_i32_i24_e32 v126, v126, v85
	s_delay_alu instid0(VALU_DEP_2) | instskip(NEXT) | instid1(VALU_DEP_1)
	v_mul_i32_i24_e32 v118, v118, v87
	v_add3_u32 v118, v125, v126, v118
	v_bfe_u32 v125, v101, 8, 2
	v_bfe_u32 v126, v101, 16, 2
	s_delay_alu instid0(VALU_DEP_2) | instskip(NEXT) | instid1(VALU_DEP_2)
	v_mul_i32_i24_e32 v125, v90, v125
	v_mul_i32_i24_e32 v126, v89, v126
	s_delay_alu instid0(VALU_DEP_1) | instskip(SKIP_3) | instid1(VALU_DEP_3)
	v_add3_u32 v104, v104, v125, v126
	v_bfe_u32 v125, v103, 16, 2
	v_bfe_u32 v103, v103, 24, 2
	v_ashrrev_i32_e32 v126, s20, v106
	v_mul_i32_i24_e32 v125, v125, v86
	s_delay_alu instid0(VALU_DEP_3) | instskip(NEXT) | instid1(VALU_DEP_1)
	v_mul_i32_i24_e32 v103, v103, v88
	v_add3_u32 v125, v102, v125, v103
	s_delay_alu instid0(VALU_DEP_4) | instskip(NEXT) | instid1(VALU_DEP_1)
	v_and_b32_e32 v102, 3, v126
	v_mul_i32_i24_e32 v106, v96, v102
	v_add_nc_u32_e32 v102, 0x1088, v84
	ds_load_2addr_b32 v[102:103], v102 offset1:1
	s_wait_dscnt 0x0
	v_ashrrev_i32_e32 v102, s20, v102
	s_delay_alu instid0(VALU_DEP_1) | instskip(NEXT) | instid1(VALU_DEP_1)
	v_and_b32_e32 v127, 3, v102
	v_mul_i32_i24_e32 v127, v127, v100
	s_delay_alu instid0(VALU_DEP_1) | instskip(SKIP_2) | instid1(VALU_DEP_2)
	v_add3_u32 v122, v122, v127, v106
	v_and_b32_e32 v106, 3, v108
	v_bfe_u32 v127, v108, 8, 2
	v_mul_i32_i24_e32 v106, v106, v92
	s_delay_alu instid0(VALU_DEP_2) | instskip(NEXT) | instid1(VALU_DEP_1)
	v_mul_i32_i24_e32 v127, v127, v5
	v_add3_u32 v127, v107, v106, v127
	v_and_b32_e32 v106, 3, v111
	v_and_b32_e32 v107, 3, v113
	s_delay_alu instid0(VALU_DEP_2) | instskip(NEXT) | instid1(VALU_DEP_2)
	v_mul_i32_i24_e32 v106, v96, v106
	v_mul_i32_i24_e32 v107, v107, v100
	s_delay_alu instid0(VALU_DEP_1) | instskip(SKIP_2) | instid1(VALU_DEP_2)
	v_add3_u32 v112, v112, v107, v106
	v_and_b32_e32 v106, 3, v116
	v_bfe_u32 v107, v116, 8, 2
	v_mul_i32_i24_e32 v106, v106, v92
	s_delay_alu instid0(VALU_DEP_2) | instskip(NEXT) | instid1(VALU_DEP_1)
	v_mul_i32_i24_e32 v107, v107, v5
	v_add3_u32 v115, v115, v106, v107
	v_and_b32_e32 v106, 3, v117
	s_delay_alu instid0(VALU_DEP_1)
	v_mul_i32_i24_e32 v128, v96, v106
	v_add_nc_u32_e32 v106, 0x3188, v84
	v_add_nc_u32_e32 v96, v98, v96
	;; [unrolled: 1-line block ×3, first 2 shown]
	ds_load_2addr_b32 v[106:107], v106 offset1:1
	v_add3_u32 v96, v96, v100, v74
	ds_load_u16 v98, v98 offset:16880
	s_wait_dscnt 0x1
	v_ashrrev_i32_e32 v106, s20, v106
	s_delay_alu instid0(VALU_DEP_1) | instskip(NEXT) | instid1(VALU_DEP_1)
	v_and_b32_e32 v129, 3, v106
	v_mul_i32_i24_e32 v129, v129, v100
	s_wait_dscnt 0x0
	v_bfe_u32 v100, v98, 4, 4
	s_delay_alu instid0(VALU_DEP_2) | instskip(SKIP_2) | instid1(VALU_DEP_4)
	v_add3_u32 v123, v123, v129, v128
	v_and_b32_e32 v128, 3, v119
	v_bfe_u32 v129, v119, 8, 2
	v_mul_lo_u32 v100, 0x1010101, v100
	s_delay_alu instid0(VALU_DEP_3) | instskip(NEXT) | instid1(VALU_DEP_3)
	v_mul_i32_i24_e32 v128, v128, v92
	v_mul_i32_i24_e32 v129, v129, v5
	v_add_nc_u32_e32 v5, v5, v6
	v_add3_u32 v6, v91, v83, v76
	v_bfe_i32 v94, v100, 16, 8
	s_delay_alu instid0(VALU_DEP_4)
	v_add3_u32 v118, v118, v128, v129
	v_bfe_i32 v128, v100, 0, 8
	v_bfe_i32 v129, v100, 8, 8
	v_add3_u32 v91, v5, v82, v75
	v_mul_i32_i24_e32 v94, v130, v94
	v_lshrrev_b16 v5, 8, v98
	v_mul_i32_i24_e32 v128, v96, v128
	s_delay_alu instid0(VALU_DEP_2) | instskip(NEXT) | instid1(VALU_DEP_2)
	v_and_b32_e32 v92, 0xffff, v5
	v_mad_i32_i24 v128, v95, v129, v128
	v_add3_u32 v129, v93, v77, v9
	v_lshrrev_b32_e32 v93, 24, v100
	s_delay_alu instid0(VALU_DEP_4) | instskip(NEXT) | instid1(VALU_DEP_2)
	v_lshrrev_b32_e32 v5, 4, v92
	v_mul_i32_i24_e32 v93, v129, v93
	s_delay_alu instid0(VALU_DEP_1) | instskip(SKIP_1) | instid1(VALU_DEP_1)
	v_add3_u32 v100, v128, v94, v93
	v_bfe_u32 v93, v105, 4, 4
	v_mul_lo_u32 v93, 0x1010101, v93
	s_delay_alu instid0(VALU_DEP_1) | instskip(SKIP_1) | instid1(VALU_DEP_2)
	v_bfe_i32 v94, v93, 0, 8
	v_bfe_i32 v128, v93, 8, 8
	v_mul_i32_i24_e32 v94, v96, v94
	s_delay_alu instid0(VALU_DEP_1) | instskip(SKIP_2) | instid1(VALU_DEP_2)
	v_mad_i32_i24 v94, v95, v128, v94
	v_lshrrev_b32_e32 v128, 24, v93
	v_bfe_i32 v93, v93, 16, 8
	v_mul_i32_i24_e32 v128, v129, v128
	s_delay_alu instid0(VALU_DEP_2) | instskip(NEXT) | instid1(VALU_DEP_1)
	v_mul_i32_i24_e32 v93, v130, v93
	v_add3_u32 v128, v94, v93, v128
	v_add_nc_u32_e32 v93, s21, v58
	ds_load_u16 v131, v93 offset:18928
	s_wait_dscnt 0x0
	v_bfe_u32 v93, v131, 4, 4
	s_delay_alu instid0(VALU_DEP_1) | instskip(NEXT) | instid1(VALU_DEP_1)
	v_mul_lo_u32 v93, 0x1010101, v93
	v_bfe_i32 v94, v93, 0, 8
	v_bfe_i32 v132, v93, 8, 8
	s_delay_alu instid0(VALU_DEP_2) | instskip(NEXT) | instid1(VALU_DEP_1)
	v_mul_i32_i24_e32 v94, v96, v94
	v_mad_i32_i24 v94, v95, v132, v94
	v_lshrrev_b32_e32 v132, 24, v93
	v_bfe_i32 v93, v93, 16, 8
	s_delay_alu instid0(VALU_DEP_2) | instskip(NEXT) | instid1(VALU_DEP_2)
	v_mul_i32_i24_e32 v132, v129, v132
	v_mul_i32_i24_e32 v93, v130, v93
	s_delay_alu instid0(VALU_DEP_1) | instskip(SKIP_2) | instid1(VALU_DEP_2)
	v_add3_u32 v132, v94, v93, v132
	v_bfe_u32 v93, v101, 24, 2
	v_bfe_u32 v94, v3, 8, 2
	v_mul_i32_i24_e32 v93, v81, v93
	s_delay_alu instid0(VALU_DEP_2) | instskip(NEXT) | instid1(VALU_DEP_1)
	v_mul_i32_i24_e32 v94, v94, v97
	v_add3_u32 v101, v104, v93, v94
	ds_load_2addr_b32 v[93:94], v84 offset0:6 offset1:7
	s_wait_dscnt 0x0
	v_ashrrev_i32_e32 v93, s20, v93
	s_delay_alu instid0(VALU_DEP_1) | instskip(SKIP_1) | instid1(VALU_DEP_2)
	v_and_b32_e32 v104, 3, v93
	v_bfe_u32 v133, v93, 8, 2
	v_mul_i32_i24_e32 v104, v104, v83
	s_delay_alu instid0(VALU_DEP_2) | instskip(NEXT) | instid1(VALU_DEP_1)
	v_mul_i32_i24_e32 v133, v133, v82
	v_add3_u32 v104, v125, v104, v133
	v_bfe_u32 v125, v126, 8, 2
	v_bfe_u32 v133, v126, 16, 2
	s_delay_alu instid0(VALU_DEP_2) | instskip(NEXT) | instid1(VALU_DEP_2)
	v_mul_i32_i24_e32 v125, v90, v125
	v_mul_i32_i24_e32 v133, v89, v133
	s_delay_alu instid0(VALU_DEP_1) | instskip(SKIP_2) | instid1(VALU_DEP_2)
	v_add3_u32 v122, v122, v125, v133
	v_bfe_u32 v125, v108, 16, 2
	v_bfe_u32 v108, v108, 24, 2
	v_mul_i32_i24_e32 v125, v125, v86
	s_delay_alu instid0(VALU_DEP_2) | instskip(NEXT) | instid1(VALU_DEP_1)
	v_mul_i32_i24_e32 v108, v108, v88
	v_add3_u32 v108, v127, v125, v108
	v_bfe_u32 v125, v111, 8, 2
	v_bfe_u32 v127, v111, 16, 2
	s_delay_alu instid0(VALU_DEP_2) | instskip(NEXT) | instid1(VALU_DEP_2)
	v_mul_i32_i24_e32 v125, v90, v125
	v_mul_i32_i24_e32 v127, v89, v127
	s_delay_alu instid0(VALU_DEP_1) | instskip(SKIP_2) | instid1(VALU_DEP_2)
	v_add3_u32 v112, v112, v125, v127
	v_bfe_u32 v125, v116, 16, 2
	v_bfe_u32 v116, v116, 24, 2
	v_mul_i32_i24_e32 v125, v125, v86
	s_delay_alu instid0(VALU_DEP_2) | instskip(NEXT) | instid1(VALU_DEP_1)
	v_mul_i32_i24_e32 v116, v116, v88
	v_add3_u32 v115, v115, v125, v116
	v_bfe_u32 v116, v117, 8, 2
	s_delay_alu instid0(VALU_DEP_1) | instskip(SKIP_1) | instid1(VALU_DEP_1)
	v_mul_i32_i24_e32 v90, v90, v116
	v_bfe_u32 v116, v117, 16, 2
	v_mul_i32_i24_e32 v89, v89, v116
	v_bfe_u32 v116, v119, 24, 2
	s_delay_alu instid0(VALU_DEP_2) | instskip(SKIP_1) | instid1(VALU_DEP_3)
	v_add3_u32 v89, v123, v90, v89
	v_bfe_u32 v90, v119, 16, 2
	v_mul_i32_i24_e32 v116, v116, v88
	s_delay_alu instid0(VALU_DEP_2) | instskip(NEXT) | instid1(VALU_DEP_1)
	v_mul_i32_i24_e32 v90, v90, v86
	v_add3_u32 v90, v118, v90, v116
	v_mul_lo_u32 v116, 0x1010101, v5
	s_delay_alu instid0(VALU_DEP_1) | instskip(SKIP_1) | instid1(VALU_DEP_2)
	v_bfe_i32 v5, v116, 0, 8
	v_bfe_i32 v118, v116, 8, 8
	v_mul_i32_i24_e32 v5, v6, v5
	s_delay_alu instid0(VALU_DEP_2) | instskip(NEXT) | instid1(VALU_DEP_1)
	v_mul_i32_i24_e32 v118, v91, v118
	v_add3_u32 v100, v100, v5, v118
	v_lshrrev_b16 v5, 8, v105
	s_delay_alu instid0(VALU_DEP_1) | instskip(NEXT) | instid1(VALU_DEP_1)
	v_and_b32_e32 v118, 0xffff, v5
	v_lshrrev_b32_e32 v5, 4, v118
	s_delay_alu instid0(VALU_DEP_1) | instskip(NEXT) | instid1(VALU_DEP_1)
	v_mul_lo_u32 v119, 0x1010101, v5
	v_bfe_i32 v5, v119, 0, 8
	v_bfe_i32 v123, v119, 8, 8
	s_delay_alu instid0(VALU_DEP_2) | instskip(NEXT) | instid1(VALU_DEP_2)
	v_mul_i32_i24_e32 v5, v6, v5
	v_mul_i32_i24_e32 v123, v91, v123
	s_delay_alu instid0(VALU_DEP_1) | instskip(SKIP_1) | instid1(VALU_DEP_1)
	v_add3_u32 v123, v128, v5, v123
	v_lshrrev_b16 v5, 8, v131
	v_and_b32_e32 v125, 0xffff, v5
	s_delay_alu instid0(VALU_DEP_1) | instskip(NEXT) | instid1(VALU_DEP_1)
	v_lshrrev_b32_e32 v5, 4, v125
	v_mul_lo_u32 v127, 0x1010101, v5
	s_delay_alu instid0(VALU_DEP_1) | instskip(SKIP_1) | instid1(VALU_DEP_2)
	v_bfe_i32 v5, v127, 0, 8
	v_bfe_i32 v128, v127, 8, 8
	v_mul_i32_i24_e32 v5, v6, v5
	s_delay_alu instid0(VALU_DEP_2) | instskip(NEXT) | instid1(VALU_DEP_1)
	v_mul_i32_i24_e32 v128, v91, v128
	v_add3_u32 v128, v132, v5, v128
	v_add_nc_u32_e32 v5, v88, v87
	s_delay_alu instid0(VALU_DEP_1) | instskip(SKIP_1) | instid1(VALU_DEP_1)
	v_add3_u32 v87, v5, v79, v72
	v_lshrrev_b16 v5, 8, v124
	v_and_b32_e32 v88, 0xffff, v5
	v_bfe_u32 v5, v124, 4, 4
	s_delay_alu instid0(VALU_DEP_1) | instskip(NEXT) | instid1(VALU_DEP_3)
	v_mul_lo_u32 v132, 0x1010101, v5
	v_lshrrev_b32_e32 v5, 4, v88
	s_delay_alu instid0(VALU_DEP_1) | instskip(NEXT) | instid1(VALU_DEP_3)
	v_mul_lo_u32 v133, 0x1010101, v5
	v_lshrrev_b32_e32 v134, 24, v132
	s_delay_alu instid0(VALU_DEP_2) | instskip(NEXT) | instid1(VALU_DEP_1)
	v_lshrrev_b32_e32 v5, 24, v133
	v_mul_i32_i24_e32 v5, v87, v5
	s_delay_alu instid0(VALU_DEP_1) | instskip(SKIP_2) | instid1(VALU_DEP_2)
	v_mad_i32_i24 v129, v129, v134, v5
	v_add_nc_u32_e32 v5, v86, v85
	v_bfe_i32 v86, v132, 16, 8
	v_add3_u32 v85, v5, v80, v73
	v_bfe_i32 v5, v133, 16, 8
	s_delay_alu instid0(VALU_DEP_1) | instskip(NEXT) | instid1(VALU_DEP_1)
	v_mul_i32_i24_e32 v5, v85, v5
	v_mad_i32_i24 v86, v130, v86, v5
	v_bfe_i32 v5, v133, 0, 8
	s_delay_alu instid0(VALU_DEP_1) | instskip(SKIP_1) | instid1(VALU_DEP_1)
	v_mul_i32_i24_e32 v5, v6, v5
	v_bfe_i32 v6, v132, 0, 8
	v_mad_i32_i24 v96, v96, v6, v5
	v_bfe_u32 v5, v3, 16, 2
	v_bfe_u32 v3, v3, 24, 2
	;; [unrolled: 1-line block ×3, first 2 shown]
	s_delay_alu instid0(VALU_DEP_3) | instskip(NEXT) | instid1(VALU_DEP_3)
	v_mul_i32_i24_e32 v5, v5, v78
	v_mul_i32_i24_e32 v3, v3, v77
	s_delay_alu instid0(VALU_DEP_3) | instskip(NEXT) | instid1(VALU_DEP_2)
	v_mul_i32_i24_e32 v6, v6, v79
	v_add3_u32 v3, v101, v5, v3
	v_bfe_u32 v5, v93, 16, 2
	s_delay_alu instid0(VALU_DEP_1) | instskip(NEXT) | instid1(VALU_DEP_1)
	v_mul_i32_i24_e32 v5, v5, v80
	v_add3_u32 v93, v104, v5, v6
	v_bfe_u32 v5, v126, 24, 2
	v_bfe_u32 v6, v102, 8, 2
	v_ashrrev_i32_e32 v104, s20, v109
	s_delay_alu instid0(VALU_DEP_3) | instskip(NEXT) | instid1(VALU_DEP_3)
	v_mul_i32_i24_e32 v5, v81, v5
	v_mul_i32_i24_e32 v6, v6, v97
	s_delay_alu instid0(VALU_DEP_1) | instskip(NEXT) | instid1(VALU_DEP_4)
	v_add3_u32 v101, v122, v5, v6
	v_and_b32_e32 v5, 3, v104
	v_bfe_u32 v6, v104, 8, 2
	s_delay_alu instid0(VALU_DEP_2) | instskip(NEXT) | instid1(VALU_DEP_2)
	v_mul_i32_i24_e32 v5, v5, v83
	v_mul_i32_i24_e32 v6, v6, v82
	s_delay_alu instid0(VALU_DEP_1) | instskip(SKIP_2) | instid1(VALU_DEP_2)
	v_add3_u32 v108, v108, v5, v6
	v_bfe_u32 v5, v111, 24, 2
	v_bfe_u32 v6, v113, 8, 2
	v_mul_i32_i24_e32 v5, v81, v5
	s_delay_alu instid0(VALU_DEP_2) | instskip(NEXT) | instid1(VALU_DEP_1)
	v_mul_i32_i24_e32 v6, v6, v97
	v_add3_u32 v109, v112, v5, v6
	v_add_nc_u32_e32 v5, 0x2118, v84
	ds_load_2addr_b32 v[5:6], v5 offset1:1
	s_wait_dscnt 0x0
	v_ashrrev_i32_e32 v5, s20, v5
	v_ashrrev_i32_e32 v6, s20, v6
	s_delay_alu instid0(VALU_DEP_2) | instskip(SKIP_1) | instid1(VALU_DEP_2)
	v_and_b32_e32 v84, 3, v5
	v_bfe_u32 v111, v5, 8, 2
	v_mul_i32_i24_e32 v84, v84, v83
	s_delay_alu instid0(VALU_DEP_2) | instskip(NEXT) | instid1(VALU_DEP_1)
	v_mul_i32_i24_e32 v111, v111, v82
	v_add3_u32 v84, v115, v84, v111
	v_bfe_u32 v111, v117, 24, 2
	s_delay_alu instid0(VALU_DEP_1) | instskip(SKIP_1) | instid1(VALU_DEP_1)
	v_mul_i32_i24_e32 v81, v81, v111
	v_bfe_u32 v111, v106, 8, 2
	v_mul_i32_i24_e32 v97, v111, v97
	s_delay_alu instid0(VALU_DEP_1) | instskip(SKIP_1) | instid1(VALU_DEP_1)
	v_add3_u32 v81, v89, v81, v97
	v_ashrrev_i32_e32 v89, s20, v120
	v_and_b32_e32 v97, 3, v89
	s_delay_alu instid0(VALU_DEP_1) | instskip(SKIP_1) | instid1(VALU_DEP_1)
	v_mul_i32_i24_e32 v83, v97, v83
	v_bfe_u32 v97, v89, 8, 2
	v_mul_i32_i24_e32 v82, v97, v82
	v_bfe_i32 v97, v119, 16, 8
	s_delay_alu instid0(VALU_DEP_2) | instskip(SKIP_2) | instid1(VALU_DEP_4)
	v_add3_u32 v82, v90, v83, v82
	v_lshrrev_b32_e32 v83, 24, v116
	v_bfe_i32 v90, v116, 16, 8
	v_mul_i32_i24_e32 v97, v85, v97
	s_delay_alu instid0(VALU_DEP_3) | instskip(NEXT) | instid1(VALU_DEP_3)
	v_mul_i32_i24_e32 v83, v87, v83
	v_mul_i32_i24_e32 v90, v85, v90
	s_delay_alu instid0(VALU_DEP_1) | instskip(SKIP_2) | instid1(VALU_DEP_2)
	v_add3_u32 v83, v100, v90, v83
	v_lshrrev_b32_e32 v90, 24, v119
	v_bfe_u32 v100, v113, 24, 2
	v_mul_i32_i24_e32 v90, v87, v90
	s_delay_alu instid0(VALU_DEP_2) | instskip(NEXT) | instid1(VALU_DEP_2)
	v_mul_i32_i24_e32 v100, v100, v77
	v_add3_u32 v90, v123, v97, v90
	v_lshrrev_b32_e32 v97, 24, v127
	s_delay_alu instid0(VALU_DEP_1) | instskip(SKIP_1) | instid1(VALU_DEP_1)
	v_mul_i32_i24_e32 v87, v87, v97
	v_bfe_i32 v97, v127, 16, 8
	v_mul_i32_i24_e32 v85, v85, v97
	v_bfe_u32 v97, v104, 24, 2
	s_delay_alu instid0(VALU_DEP_2) | instskip(SKIP_1) | instid1(VALU_DEP_3)
	v_add3_u32 v85, v128, v85, v87
	v_lshrrev_b16 v87, 8, v132
	v_mul_i32_i24_e32 v97, v97, v79
	s_delay_alu instid0(VALU_DEP_2) | instskip(NEXT) | instid1(VALU_DEP_1)
	v_bfe_i32 v87, v87, 0, 8
	v_mul_i32_i24_e32 v87, v95, v87
	v_bfe_i32 v95, v133, 8, 8
	s_delay_alu instid0(VALU_DEP_1) | instskip(SKIP_1) | instid1(VALU_DEP_2)
	v_mul_i32_i24_e32 v91, v91, v95
	v_bfe_u32 v95, v4, 8, 2
	v_add3_u32 v87, v87, v91, v129
	v_and_b32_e32 v91, 3, v4
	s_delay_alu instid0(VALU_DEP_3) | instskip(NEXT) | instid1(VALU_DEP_2)
	v_mul_i32_i24_e32 v95, v95, v99
	v_mul_i32_i24_e32 v91, v91, v74
	s_delay_alu instid0(VALU_DEP_1) | instskip(SKIP_1) | instid1(VALU_DEP_1)
	v_add3_u32 v3, v3, v91, v95
	v_ashrrev_i32_e32 v91, s20, v94
	v_and_b32_e32 v94, 3, v91
	v_bfe_u32 v95, v91, 8, 2
	s_delay_alu instid0(VALU_DEP_2) | instskip(NEXT) | instid1(VALU_DEP_2)
	v_mul_i32_i24_e32 v94, v94, v76
	v_mul_i32_i24_e32 v95, v95, v75
	s_delay_alu instid0(VALU_DEP_1) | instskip(SKIP_2) | instid1(VALU_DEP_2)
	v_add3_u32 v93, v93, v94, v95
	v_bfe_u32 v94, v102, 16, 2
	v_bfe_u32 v95, v102, 24, 2
	v_mul_i32_i24_e32 v94, v94, v78
	s_delay_alu instid0(VALU_DEP_2) | instskip(NEXT) | instid1(VALU_DEP_1)
	v_mul_i32_i24_e32 v95, v95, v77
	v_add3_u32 v94, v101, v94, v95
	v_bfe_u32 v95, v104, 16, 2
	s_delay_alu instid0(VALU_DEP_1) | instskip(NEXT) | instid1(VALU_DEP_1)
	v_mul_i32_i24_e32 v95, v95, v80
	v_add3_u32 v95, v108, v95, v97
	v_bfe_u32 v97, v113, 16, 2
	s_delay_alu instid0(VALU_DEP_1) | instskip(NEXT) | instid1(VALU_DEP_1)
	v_mul_i32_i24_e32 v97, v97, v78
	v_add3_u32 v97, v109, v97, v100
	v_bfe_u32 v100, v5, 16, 2
	v_bfe_u32 v5, v5, 24, 2
	s_delay_alu instid0(VALU_DEP_2) | instskip(NEXT) | instid1(VALU_DEP_2)
	v_mul_i32_i24_e32 v100, v100, v80
	v_mul_i32_i24_e32 v5, v5, v79
	s_delay_alu instid0(VALU_DEP_1) | instskip(SKIP_1) | instid1(VALU_DEP_1)
	v_add3_u32 v5, v84, v100, v5
	v_bfe_u32 v84, v106, 16, 2
	v_mul_i32_i24_e32 v78, v84, v78
	v_bfe_u32 v84, v106, 24, 2
	s_delay_alu instid0(VALU_DEP_1) | instskip(NEXT) | instid1(VALU_DEP_1)
	v_mul_i32_i24_e32 v77, v84, v77
	v_add3_u32 v77, v81, v78, v77
	v_bfe_u32 v78, v89, 16, 2
	s_delay_alu instid0(VALU_DEP_1) | instskip(SKIP_1) | instid1(VALU_DEP_1)
	v_mul_i32_i24_e32 v78, v78, v80
	v_bfe_u32 v80, v89, 24, 2
	v_mul_i32_i24_e32 v79, v80, v79
	v_bfe_u32 v80, v4, 16, 2
	v_bfe_u32 v4, v4, 24, 2
	s_delay_alu instid0(VALU_DEP_3) | instskip(NEXT) | instid1(VALU_DEP_3)
	v_add3_u32 v78, v82, v78, v79
	v_mul_i32_i24_e32 v80, v80, v10
	s_delay_alu instid0(VALU_DEP_3) | instskip(SKIP_1) | instid1(VALU_DEP_2)
	v_mul_i32_i24_e32 v4, v4, v9
	v_add3_u32 v79, v96, v86, v87
	v_add3_u32 v3, v3, v80, v4
	v_bfe_u32 v4, v91, 16, 2
	v_bfe_u32 v80, v91, 24, 2
	;; [unrolled: 1-line block ×3, first 2 shown]
	v_cvt_f32_i32_e32 v79, v79
	s_delay_alu instid0(VALU_DEP_4) | instskip(NEXT) | instid1(VALU_DEP_4)
	v_mul_i32_i24_e32 v4, v4, v73
	v_mul_i32_i24_e32 v80, v80, v72
	s_delay_alu instid0(VALU_DEP_4) | instskip(NEXT) | instid1(VALU_DEP_2)
	v_mul_i32_i24_e32 v91, v91, v75
	v_add3_u32 v4, v93, v4, v80
	v_ashrrev_i32_e32 v80, s20, v103
	s_delay_alu instid0(VALU_DEP_1) | instskip(SKIP_1) | instid1(VALU_DEP_2)
	v_and_b32_e32 v81, 3, v80
	v_bfe_u32 v82, v80, 8, 2
	v_mul_i32_i24_e32 v81, v81, v74
	s_delay_alu instid0(VALU_DEP_2) | instskip(NEXT) | instid1(VALU_DEP_1)
	v_mul_i32_i24_e32 v82, v82, v99
	v_add3_u32 v81, v94, v81, v82
	v_ashrrev_i32_e32 v82, s20, v110
	s_delay_alu instid0(VALU_DEP_1) | instskip(SKIP_1) | instid1(VALU_DEP_2)
	v_and_b32_e32 v84, 3, v82
	v_bfe_u32 v86, v82, 8, 2
	v_mul_i32_i24_e32 v84, v84, v76
	s_delay_alu instid0(VALU_DEP_2) | instskip(NEXT) | instid1(VALU_DEP_1)
	;; [unrolled: 8-line block ×3, first 2 shown]
	v_mul_i32_i24_e32 v89, v89, v99
	v_add3_u32 v87, v97, v87, v89
	v_and_b32_e32 v89, 3, v6
	s_delay_alu instid0(VALU_DEP_1) | instskip(NEXT) | instid1(VALU_DEP_1)
	v_mul_i32_i24_e32 v89, v89, v76
	v_add3_u32 v5, v5, v89, v91
	v_ashrrev_i32_e32 v89, s20, v107
	s_delay_alu instid0(VALU_DEP_1) | instskip(NEXT) | instid1(VALU_DEP_1)
	v_and_b32_e32 v91, 3, v89
	v_mul_i32_i24_e32 v74, v91, v74
	v_bfe_u32 v91, v89, 8, 2
	s_delay_alu instid0(VALU_DEP_1) | instskip(NEXT) | instid1(VALU_DEP_1)
	v_mul_i32_i24_e32 v91, v91, v99
	v_add3_u32 v74, v77, v74, v91
	v_ashrrev_i32_e32 v77, s20, v121
	s_lshr_b32 s20, s1, 2
	s_wait_alu 0xfffe
	s_and_b32 s20, s20, 0x3ffffffc
	s_delay_alu instid0(VALU_DEP_1) | instskip(SKIP_2) | instid1(VALU_DEP_1)
	v_and_b32_e32 v91, 3, v77
	s_wait_alu 0xfffe
	s_addk_co_i32 s20, 0x5280
	v_mul_i32_i24_e32 v76, v91, v76
	v_bfe_u32 v91, v77, 8, 2
	s_delay_alu instid0(VALU_DEP_1) | instskip(NEXT) | instid1(VALU_DEP_1)
	v_mul_i32_i24_e32 v75, v91, v75
	v_add3_u32 v75, v78, v76, v75
	v_bfe_u32 v76, v80, 16, 2
	v_bfe_u32 v78, v80, 24, 2
	;; [unrolled: 1-line block ×3, first 2 shown]
	s_delay_alu instid0(VALU_DEP_3) | instskip(NEXT) | instid1(VALU_DEP_3)
	v_mul_i32_i24_e32 v76, v76, v10
	v_mul_i32_i24_e32 v78, v78, v9
	s_delay_alu instid0(VALU_DEP_3) | instskip(NEXT) | instid1(VALU_DEP_2)
	v_mul_i32_i24_e32 v80, v80, v72
	v_add3_u32 v76, v81, v76, v78
	v_bfe_u32 v78, v82, 16, 2
	v_bfe_u32 v81, v86, 24, 2
	v_and_b32_e32 v82, 15, v124
	s_delay_alu instid0(VALU_DEP_3) | instskip(NEXT) | instid1(VALU_DEP_3)
	v_mul_i32_i24_e32 v78, v78, v73
	v_mul_i32_i24_e32 v81, v81, v9
	s_delay_alu instid0(VALU_DEP_2) | instskip(SKIP_2) | instid1(VALU_DEP_2)
	v_add3_u32 v78, v84, v78, v80
	v_bfe_u32 v80, v86, 16, 2
	v_and_b32_e32 v84, 15, v125
	v_mul_i32_i24_e32 v80, v80, v10
	s_delay_alu instid0(VALU_DEP_1) | instskip(SKIP_2) | instid1(VALU_DEP_2)
	v_add3_u32 v80, v87, v80, v81
	v_bfe_u32 v81, v6, 16, 2
	v_bfe_u32 v6, v6, 24, 2
	v_mul_i32_i24_e32 v81, v81, v73
	s_delay_alu instid0(VALU_DEP_2) | instskip(NEXT) | instid1(VALU_DEP_1)
	v_mul_i32_i24_e32 v6, v6, v72
	v_add3_u32 v6, v5, v81, v6
	v_bfe_u32 v5, v89, 16, 2
	s_delay_alu instid0(VALU_DEP_1) | instskip(SKIP_1) | instid1(VALU_DEP_1)
	v_mul_i32_i24_e32 v5, v5, v10
	v_bfe_u32 v10, v89, 24, 2
	v_mul_i32_i24_e32 v9, v10, v9
	s_wait_alu 0xfffe
	v_add3_u32 v10, s20, v63, v64
	s_delay_alu instid0(VALU_DEP_2) | instskip(SKIP_1) | instid1(VALU_DEP_1)
	v_add3_u32 v9, v74, v5, v9
	v_bfe_u32 v5, v77, 16, 2
	v_mul_i32_i24_e32 v5, v5, v73
	v_bfe_u32 v73, v77, 24, 2
	v_and_b32_e32 v77, 15, v92
	s_delay_alu instid0(VALU_DEP_2)
	v_mul_i32_i24_e32 v72, v73, v72
	v_add3_u32 v73, s20, v67, v68
	ds_load_b32 v74, v10
	ds_load_b32 v73, v73
	v_add3_u32 v10, v75, v5, v72
	v_add3_u32 v5, s20, v69, v70
	;; [unrolled: 1-line block ×3, first 2 shown]
	ds_load_b32 v75, v5
	ds_load_b32 v72, v72
	v_and_b32_e32 v5, 15, v98
	s_add_co_i32 s20, s1, 2
	s_cmp_lt_u32 s1, 22
	s_wait_alu 0xfffe
	s_mov_b32 s1, s20
	v_mul_lo_u32 v3, v3, v5
	v_and_b32_e32 v5, 15, v118
	s_delay_alu instid0(VALU_DEP_2)
	v_mad_co_u64_u32 v[3:4], null, v4, v77, v[3:4]
	v_and_b32_e32 v4, 15, v105
	ds_load_b32 v77, v8
	v_add_nc_u32_e32 v8, 4, v8
	s_wait_dscnt 0x1
	v_lshrrev_b32_e32 v81, 16, v72
	v_mul_lo_u32 v4, v76, v4
	v_lshrrev_b32_e32 v76, 16, v75
	v_cvt_f32_i32_e32 v3, v3
	s_delay_alu instid0(VALU_DEP_4) | instskip(NEXT) | instid1(VALU_DEP_3)
	v_cvt_f32_f16_e32 v81, v81
	v_cvt_f32_f16_e32 v76, v76
	v_mad_co_u64_u32 v[4:5], null, v78, v5, v[4:5]
	v_and_b32_e32 v5, 15, v131
	v_lshrrev_b32_e32 v78, 16, v74
	s_delay_alu instid0(VALU_DEP_4) | instskip(NEXT) | instid1(VALU_DEP_3)
	v_mul_f32_e32 v76, v76, v79
	v_mul_lo_u32 v5, v80, v5
	v_lshrrev_b32_e32 v80, 16, v73
	s_delay_alu instid0(VALU_DEP_4) | instskip(SKIP_1) | instid1(VALU_DEP_3)
	v_cvt_f32_f16_e32 v78, v78
	v_cvt_f32_i32_e32 v4, v4
	v_cvt_f32_f16_e32 v80, v80
	v_mad_co_u64_u32 v[5:6], null, v6, v84, v[5:6]
	v_mul_lo_u32 v6, v9, v82
	v_and_b32_e32 v9, 15, v88
	v_cvt_f32_i32_e32 v82, v83
	v_cvt_f32_i32_e32 v83, v90
	;; [unrolled: 1-line block ×4, first 2 shown]
	v_mad_co_u64_u32 v[9:10], null, v10, v9, v[6:7]
	v_mul_f32_e32 v6, v78, v82
	v_mul_f32_e32 v10, v81, v83
	v_dual_mul_f32 v78, v80, v84 :: v_dual_add_nc_u32 v7, 32, v7
	s_delay_alu instid0(VALU_DEP_3) | instskip(SKIP_1) | instid1(VALU_DEP_4)
	v_fma_mix_f32 v3, v74, v3, -v6 op_sel_hi:[1,0,0]
	v_cvt_f32_i32_e32 v9, v9
	v_fma_mix_f32 v4, v72, v4, -v10 op_sel_hi:[1,0,0]
	s_delay_alu instid0(VALU_DEP_4)
	v_fma_mix_f32 v5, v73, v5, -v78 op_sel_hi:[1,0,0]
	s_wait_dscnt 0x0
	v_fmac_f32_e32 v13, v77, v3
	v_fma_mix_f32 v6, v75, v9, -v76 op_sel_hi:[1,0,0]
	v_fmac_f32_e32 v48, v77, v4
	v_fmac_f32_e32 v44, v77, v5
	s_delay_alu instid0(VALU_DEP_3)
	v_fmac_f32_e32 v2, v77, v6
	s_cbranch_scc1 .LBB187_27
; %bb.28:                               ;   in Loop: Header=BB187_5 Depth=1
	s_or_b32 s1, s16, 0x180
	s_wait_loadcnt 0x0
	s_wait_alu 0xfffe
	s_cmp_ge_i32 s1, s11
	s_barrier_signal -1
	s_barrier_wait -1
	global_inv scope:SCOPE_SE
	s_cbranch_scc1 .LBB187_4
; %bb.29:                               ;   in Loop: Header=BB187_5 Depth=1
	v_add_nc_u32_e32 v3, s17, v51
	s_delay_alu instid0(VALU_DEP_1)
	v_cmp_gt_i32_e64 s1, s5, v3
	s_and_b32 s16, s0, s1
	s_wait_alu 0xfffe
	s_and_saveexec_b32 s1, s16
	s_cbranch_execz .LBB187_31
; %bb.30:                               ;   in Loop: Header=BB187_5 Depth=1
	v_add_nc_u32_e32 v3, v52, v3
	s_delay_alu instid0(VALU_DEP_1)
	v_mad_co_i64_i32 v[3:4], null, v3, 36, v[0:1]
	global_load_b32 v3, v[3:4], off offset:4
	s_wait_loadcnt 0x0
	ds_store_b32 v45, v3
.LBB187_31:                             ;   in Loop: Header=BB187_5 Depth=1
	s_wait_alu 0xfffe
	s_or_b32 exec_lo, exec_lo, s1
	s_and_saveexec_b32 s16, vcc_lo
	s_cbranch_execz .LBB187_34
; %bb.32:                               ;   in Loop: Header=BB187_5 Depth=1
	v_or_b32_e32 v3, 12, v71
	s_delay_alu instid0(VALU_DEP_1)
	v_cmp_gt_i32_e64 s1, s5, v3
	s_and_b32 s1, s0, s1
	s_wait_alu 0xfffe
	s_and_b32 exec_lo, exec_lo, s1
	s_cbranch_execz .LBB187_34
; %bb.33:                               ;   in Loop: Header=BB187_5 Depth=1
	v_ashrrev_i32_e32 v3, 31, v71
	v_add_co_u32 v4, s1, v52, v71
	s_wait_alu 0xf1ff
	s_delay_alu instid0(VALU_DEP_2) | instskip(NEXT) | instid1(VALU_DEP_2)
	v_add_co_ci_u32_e64 v5, null, v55, v3, s1
	v_mad_co_u64_u32 v[3:4], null, v4, 36, s[2:3]
	s_delay_alu instid0(VALU_DEP_1)
	v_mad_i32_i24 v4, v5, 36, v4
	global_load_b32 v3, v[3:4], off offset:432
	s_wait_loadcnt 0x0
	v_cvt_f32_f16_e32 v3, v3
	ds_store_b32 v47, v3
.LBB187_34:                             ;   in Loop: Header=BB187_5 Depth=1
	s_wait_alu 0xfffe
	s_or_b32 exec_lo, exec_lo, s16
	v_dual_mov_b32 v7, v43 :: v_dual_mov_b32 v8, v46
	s_mov_b32 s1, 24
	s_wait_loadcnt_dscnt 0x0
	s_barrier_signal -1
	s_barrier_wait -1
	global_inv scope:SCOPE_SE
.LBB187_35:                             ;   Parent Loop BB187_5 Depth=1
                                        ; =>  This Inner Loop Header: Depth=2
	ds_load_b128 v[3:6], v7
	ds_load_b128 v[101:104], v7 offset:16
	s_wait_alu 0xfffe
	s_and_b32 s17, s1, 0x3ffffff8
	s_sub_co_i32 s16, s1, 24
	s_wait_alu 0xfffe
	v_lshl_add_u32 v83, s17, 2, v53
	s_and_b32 s17, s1, -16
	s_wait_alu 0xfffe
	s_add_co_i32 s17, s1, s17
	s_delay_alu instid0(VALU_DEP_1)
	v_add_nc_u32_e32 v108, 0x1098, v83
	v_add_nc_u32_e32 v112, 0x2108, v83
	;; [unrolled: 1-line block ×3, first 2 shown]
	s_wait_dscnt 0x1
	v_ashrrev_i32_e32 v80, 24, v3
	v_bfe_i32 v94, v4, 8, 8
	v_bfe_i32 v95, v3, 0, 8
	;; [unrolled: 1-line block ×3, first 2 shown]
	v_ashrrev_i32_e32 v92, 24, v4
	v_bfe_i32 v89, v3, 8, 8
	v_bfe_i32 v97, v4, 0, 8
	;; [unrolled: 1-line block ×3, first 2 shown]
	v_lshrrev_b16 v96, 8, v5
	v_ashrrev_i32_e32 v76, 24, v5
	v_bfe_i32 v77, v5, 16, 8
	v_bfe_i32 v99, v5, 0, 8
	v_lshrrev_b16 v98, 8, v6
	v_ashrrev_i32_e32 v9, 24, v6
	v_bfe_i32 v10, v6, 16, 8
	v_bfe_i32 v73, v6, 0, 8
	s_wait_dscnt 0x0
	v_ashrrev_i32_e32 v78, 24, v103
	v_bfe_i32 v79, v103, 16, 8
	v_bfe_i32 v82, v103, 0, 8
	;; [unrolled: 1-line block ×3, first 2 shown]
	v_ashrrev_i32_e32 v71, 24, v104
	v_bfe_i32 v72, v104, 16, 8
	v_bfe_i32 v75, v104, 0, 8
	;; [unrolled: 1-line block ×3, first 2 shown]
	ds_load_2addr_b32 v[5:6], v83 offset1:1
	ds_load_2addr_b32 v[3:4], v83 offset0:2 offset1:3
	ds_load_2addr_b32 v[103:104], v83 offset0:4 offset1:5
	v_lshrrev_b16 v100, 8, v101
	v_ashrrev_i32_e32 v86, 24, v101
	v_bfe_i32 v90, v101, 0, 8
	v_bfe_i32 v84, v101, 16, 8
	v_lshrrev_b16 v101, 8, v102
	v_ashrrev_i32_e32 v87, 24, v102
	v_bfe_i32 v91, v102, 0, 8
	v_bfe_i32 v85, v102, 16, 8
	;; [unrolled: 1-line block ×4, first 2 shown]
	s_wait_dscnt 0x2
	v_ashrrev_i32_e32 v6, s16, v6
	s_wait_dscnt 0x1
	v_ashrrev_i32_e32 v3, s16, v3
	v_ashrrev_i32_e32 v4, s16, v4
	s_delay_alu instid0(VALU_DEP_3) | instskip(SKIP_1) | instid1(VALU_DEP_2)
	v_and_b32_e32 v102, 3, v6
	v_bfe_u32 v105, v6, 8, 2
	v_mul_i32_i24_e32 v102, v102, v97
	s_delay_alu instid0(VALU_DEP_1) | instskip(SKIP_2) | instid1(VALU_DEP_2)
	v_mad_i32_i24 v102, v105, v94, v102
	v_bfe_u32 v105, v6, 16, 2
	v_bfe_u32 v6, v6, 24, 2
	v_mul_i32_i24_e32 v105, v105, v93
	s_delay_alu instid0(VALU_DEP_2) | instskip(NEXT) | instid1(VALU_DEP_1)
	v_mul_i32_i24_e32 v6, v6, v92
	v_add3_u32 v102, v102, v105, v6
	v_bfe_i32 v6, v100, 0, 8
	s_wait_dscnt 0x0
	v_ashrrev_i32_e32 v100, s16, v103
	s_delay_alu instid0(VALU_DEP_1) | instskip(SKIP_1) | instid1(VALU_DEP_2)
	v_and_b32_e32 v103, 3, v100
	v_bfe_u32 v105, v100, 8, 2
	v_mul_i32_i24_e32 v103, v103, v90
	s_delay_alu instid0(VALU_DEP_1) | instskip(SKIP_2) | instid1(VALU_DEP_2)
	v_mad_i32_i24 v103, v105, v6, v103
	v_bfe_u32 v105, v100, 16, 2
	v_bfe_u32 v100, v100, 24, 2
	v_mul_i32_i24_e32 v105, v105, v84
	s_delay_alu instid0(VALU_DEP_2) | instskip(NEXT) | instid1(VALU_DEP_1)
	v_mul_i32_i24_e32 v100, v100, v86
	v_add3_u32 v105, v103, v105, v100
	v_ashrrev_i32_e32 v100, s16, v5
	v_and_b32_e32 v103, 3, v3
	s_delay_alu instid0(VALU_DEP_2) | instskip(NEXT) | instid1(VALU_DEP_2)
	v_and_b32_e32 v5, 3, v100
	v_mul_i32_i24_e32 v103, v103, v99
	s_delay_alu instid0(VALU_DEP_2) | instskip(NEXT) | instid1(VALU_DEP_1)
	v_mul_i32_i24_e32 v5, v95, v5
	v_add3_u32 v103, v102, v103, v5
	v_ashrrev_i32_e32 v102, s16, v104
	v_bfe_i32 v5, v101, 0, 8
	s_delay_alu instid0(VALU_DEP_2) | instskip(SKIP_1) | instid1(VALU_DEP_2)
	v_and_b32_e32 v101, 3, v102
	v_bfe_u32 v104, v102, 8, 2
	v_mul_i32_i24_e32 v101, v101, v91
	s_delay_alu instid0(VALU_DEP_2) | instskip(NEXT) | instid1(VALU_DEP_1)
	v_mul_i32_i24_e32 v104, v104, v5
	v_add3_u32 v101, v105, v101, v104
	v_add_nc_u32_e32 v104, 0x1080, v83
	ds_load_2addr_b32 v[105:106], v104 offset1:1
	s_wait_dscnt 0x0
	v_ashrrev_i32_e32 v104, s16, v106
	s_delay_alu instid0(VALU_DEP_1) | instskip(SKIP_1) | instid1(VALU_DEP_2)
	v_and_b32_e32 v106, 3, v104
	v_bfe_u32 v107, v104, 8, 2
	v_mul_i32_i24_e32 v106, v106, v97
	s_delay_alu instid0(VALU_DEP_1) | instskip(SKIP_2) | instid1(VALU_DEP_2)
	v_mad_i32_i24 v106, v107, v94, v106
	v_bfe_u32 v107, v104, 16, 2
	v_bfe_u32 v104, v104, 24, 2
	v_mul_i32_i24_e32 v107, v107, v93
	s_delay_alu instid0(VALU_DEP_2) | instskip(NEXT) | instid1(VALU_DEP_1)
	v_mul_i32_i24_e32 v104, v104, v92
	v_add3_u32 v121, v106, v107, v104
	s_wait_alu 0xfffe
	v_add_nc_u32_e32 v104, s17, v57
	v_add_nc_u32_e32 v106, 0x1090, v83
	ds_load_u16 v104, v104 offset:17904
	ds_load_2addr_b32 v[106:107], v106 offset1:1
	ds_load_2addr_b32 v[108:109], v108 offset1:1
	s_wait_dscnt 0x1
	v_ashrrev_i32_e32 v106, s16, v106
	v_ashrrev_i32_e32 v107, s16, v107
	s_delay_alu instid0(VALU_DEP_2) | instskip(SKIP_1) | instid1(VALU_DEP_2)
	v_and_b32_e32 v110, 3, v106
	v_bfe_u32 v111, v106, 8, 2
	v_mul_i32_i24_e32 v110, v110, v90
	s_delay_alu instid0(VALU_DEP_1) | instskip(SKIP_2) | instid1(VALU_DEP_2)
	v_mad_i32_i24 v110, v111, v6, v110
	v_bfe_u32 v111, v106, 16, 2
	v_bfe_u32 v106, v106, 24, 2
	v_mul_i32_i24_e32 v111, v111, v84
	s_delay_alu instid0(VALU_DEP_2) | instskip(NEXT) | instid1(VALU_DEP_1)
	v_mul_i32_i24_e32 v106, v106, v86
	v_add3_u32 v106, v110, v111, v106
	v_add_nc_u32_e32 v110, 0x2100, v83
	ds_load_2addr_b32 v[110:111], v110 offset1:1
	ds_load_2addr_b32 v[112:113], v112 offset1:1
	;; [unrolled: 1-line block ×3, first 2 shown]
	s_wait_dscnt 0x2
	v_ashrrev_i32_e32 v111, s16, v111
	v_ashrrev_i32_e32 v110, s16, v110
	s_wait_dscnt 0x0
	v_ashrrev_i32_e32 v114, s16, v114
	v_ashrrev_i32_e32 v112, s16, v112
	;; [unrolled: 1-line block ×3, first 2 shown]
	v_and_b32_e32 v116, 3, v111
	v_bfe_u32 v117, v111, 8, 2
	s_delay_alu instid0(VALU_DEP_2) | instskip(NEXT) | instid1(VALU_DEP_1)
	v_mul_i32_i24_e32 v116, v116, v97
	v_mad_i32_i24 v116, v117, v94, v116
	v_bfe_u32 v117, v111, 16, 2
	v_bfe_u32 v111, v111, 24, 2
	s_delay_alu instid0(VALU_DEP_2) | instskip(NEXT) | instid1(VALU_DEP_2)
	v_mul_i32_i24_e32 v117, v117, v93
	v_mul_i32_i24_e32 v111, v111, v92
	s_delay_alu instid0(VALU_DEP_1) | instskip(SKIP_2) | instid1(VALU_DEP_2)
	v_add3_u32 v111, v116, v117, v111
	v_and_b32_e32 v116, 3, v114
	v_bfe_u32 v117, v114, 8, 2
	v_mul_i32_i24_e32 v116, v116, v90
	s_delay_alu instid0(VALU_DEP_1) | instskip(SKIP_2) | instid1(VALU_DEP_2)
	v_mad_i32_i24 v116, v117, v6, v116
	v_bfe_u32 v117, v114, 16, 2
	v_bfe_u32 v114, v114, 24, 2
	v_mul_i32_i24_e32 v117, v117, v84
	s_delay_alu instid0(VALU_DEP_2) | instskip(NEXT) | instid1(VALU_DEP_1)
	v_mul_i32_i24_e32 v114, v114, v86
	v_add3_u32 v114, v116, v117, v114
	v_add_nc_u32_e32 v116, 0x3180, v83
	ds_load_2addr_b32 v[116:117], v116 offset1:1
	s_wait_dscnt 0x0
	v_ashrrev_i32_e32 v117, s16, v117
	v_ashrrev_i32_e32 v116, s16, v116
	s_delay_alu instid0(VALU_DEP_2) | instskip(SKIP_1) | instid1(VALU_DEP_2)
	v_and_b32_e32 v118, 3, v117
	v_bfe_u32 v119, v117, 8, 2
	v_mul_i32_i24_e32 v118, v118, v97
	s_delay_alu instid0(VALU_DEP_1) | instskip(SKIP_3) | instid1(VALU_DEP_3)
	v_mad_i32_i24 v118, v119, v94, v118
	v_bfe_u32 v119, v117, 16, 2
	v_bfe_u32 v117, v117, 24, 2
	v_add_nc_u32_e32 v94, v89, v94
	v_mul_i32_i24_e32 v119, v119, v93
	s_delay_alu instid0(VALU_DEP_3) | instskip(NEXT) | instid1(VALU_DEP_3)
	v_mul_i32_i24_e32 v117, v117, v92
	v_add3_u32 v94, v94, v96, v98
	v_add_nc_u32_e32 v92, v92, v80
	v_add_nc_u32_e32 v93, v93, v88
	s_delay_alu instid0(VALU_DEP_4) | instskip(SKIP_2) | instid1(VALU_DEP_4)
	v_add3_u32 v122, v118, v119, v117
	v_add_nc_u32_e32 v117, s17, v56
	v_add_nc_u32_e32 v119, 0x3198, v83
	v_add3_u32 v129, v93, v77, v10
	ds_load_u16 v123, v117 offset:19952
	v_add_nc_u32_e32 v117, 0x3190, v83
	ds_load_2addr_b32 v[117:118], v117 offset1:1
	ds_load_2addr_b32 v[119:120], v119 offset1:1
	s_wait_dscnt 0x1
	v_ashrrev_i32_e32 v117, s16, v117
	v_ashrrev_i32_e32 v118, s16, v118
	s_delay_alu instid0(VALU_DEP_2) | instskip(SKIP_1) | instid1(VALU_DEP_2)
	v_and_b32_e32 v124, 3, v117
	v_bfe_u32 v125, v117, 8, 2
	v_mul_i32_i24_e32 v124, v124, v90
	v_add_nc_u32_e32 v90, v91, v90
	s_delay_alu instid0(VALU_DEP_2) | instskip(SKIP_2) | instid1(VALU_DEP_2)
	v_mad_i32_i24 v124, v125, v6, v124
	v_bfe_u32 v125, v117, 16, 2
	v_bfe_u32 v117, v117, 24, 2
	v_mul_i32_i24_e32 v125, v125, v84
	s_delay_alu instid0(VALU_DEP_2) | instskip(NEXT) | instid1(VALU_DEP_1)
	v_mul_i32_i24_e32 v117, v117, v86
	v_add3_u32 v117, v124, v125, v117
	v_bfe_u32 v124, v100, 8, 2
	v_bfe_u32 v125, v100, 16, 2
	s_delay_alu instid0(VALU_DEP_2) | instskip(NEXT) | instid1(VALU_DEP_2)
	v_mul_i32_i24_e32 v124, v89, v124
	v_mul_i32_i24_e32 v125, v88, v125
	s_delay_alu instid0(VALU_DEP_1) | instskip(SKIP_3) | instid1(VALU_DEP_3)
	v_add3_u32 v103, v103, v124, v125
	v_bfe_u32 v124, v102, 16, 2
	v_bfe_u32 v102, v102, 24, 2
	v_ashrrev_i32_e32 v125, s16, v105
	v_mul_i32_i24_e32 v124, v124, v85
	s_delay_alu instid0(VALU_DEP_3) | instskip(NEXT) | instid1(VALU_DEP_1)
	v_mul_i32_i24_e32 v102, v102, v87
	v_add3_u32 v124, v101, v124, v102
	s_delay_alu instid0(VALU_DEP_4) | instskip(NEXT) | instid1(VALU_DEP_1)
	v_and_b32_e32 v101, 3, v125
	v_mul_i32_i24_e32 v105, v95, v101
	v_add_nc_u32_e32 v101, 0x1088, v83
	ds_load_2addr_b32 v[101:102], v101 offset1:1
	s_wait_dscnt 0x0
	v_ashrrev_i32_e32 v101, s16, v101
	s_delay_alu instid0(VALU_DEP_1) | instskip(NEXT) | instid1(VALU_DEP_1)
	v_and_b32_e32 v126, 3, v101
	v_mul_i32_i24_e32 v126, v126, v99
	s_delay_alu instid0(VALU_DEP_1) | instskip(SKIP_2) | instid1(VALU_DEP_2)
	v_add3_u32 v121, v121, v126, v105
	v_and_b32_e32 v105, 3, v107
	v_bfe_u32 v126, v107, 8, 2
	v_mul_i32_i24_e32 v105, v105, v91
	s_delay_alu instid0(VALU_DEP_2) | instskip(NEXT) | instid1(VALU_DEP_1)
	v_mul_i32_i24_e32 v126, v126, v5
	v_add3_u32 v126, v106, v105, v126
	v_and_b32_e32 v105, 3, v110
	v_and_b32_e32 v106, 3, v112
	s_delay_alu instid0(VALU_DEP_2) | instskip(NEXT) | instid1(VALU_DEP_2)
	v_mul_i32_i24_e32 v105, v95, v105
	v_mul_i32_i24_e32 v106, v106, v99
	s_delay_alu instid0(VALU_DEP_1) | instskip(SKIP_2) | instid1(VALU_DEP_2)
	v_add3_u32 v111, v111, v106, v105
	v_and_b32_e32 v105, 3, v115
	v_bfe_u32 v106, v115, 8, 2
	v_mul_i32_i24_e32 v105, v105, v91
	s_delay_alu instid0(VALU_DEP_2) | instskip(NEXT) | instid1(VALU_DEP_1)
	v_mul_i32_i24_e32 v106, v106, v5
	v_add3_u32 v114, v114, v105, v106
	v_and_b32_e32 v105, 3, v116
	s_delay_alu instid0(VALU_DEP_1)
	v_mul_i32_i24_e32 v127, v95, v105
	v_add_nc_u32_e32 v105, 0x3188, v83
	v_add_nc_u32_e32 v95, v97, v95
	;; [unrolled: 1-line block ×3, first 2 shown]
	ds_load_2addr_b32 v[105:106], v105 offset1:1
	v_add3_u32 v95, v95, v99, v73
	ds_load_u16 v97, v97 offset:16880
	s_wait_dscnt 0x1
	v_ashrrev_i32_e32 v105, s16, v105
	s_delay_alu instid0(VALU_DEP_1) | instskip(NEXT) | instid1(VALU_DEP_1)
	v_and_b32_e32 v128, 3, v105
	v_mul_i32_i24_e32 v128, v128, v99
	s_wait_dscnt 0x0
	v_bfe_u32 v99, v97, 4, 4
	s_delay_alu instid0(VALU_DEP_2) | instskip(SKIP_2) | instid1(VALU_DEP_4)
	v_add3_u32 v122, v122, v128, v127
	v_and_b32_e32 v127, 3, v118
	v_bfe_u32 v128, v118, 8, 2
	v_mul_lo_u32 v99, 0x1010101, v99
	s_delay_alu instid0(VALU_DEP_3) | instskip(NEXT) | instid1(VALU_DEP_3)
	v_mul_i32_i24_e32 v127, v127, v91
	v_mul_i32_i24_e32 v128, v128, v5
	v_add_nc_u32_e32 v5, v5, v6
	v_add3_u32 v6, v90, v82, v75
	v_bfe_i32 v93, v99, 16, 8
	s_delay_alu instid0(VALU_DEP_4)
	v_add3_u32 v117, v117, v127, v128
	v_bfe_i32 v127, v99, 0, 8
	v_bfe_i32 v128, v99, 8, 8
	v_add3_u32 v90, v5, v81, v74
	v_mul_i32_i24_e32 v93, v129, v93
	v_lshrrev_b16 v5, 8, v97
	v_mul_i32_i24_e32 v127, v95, v127
	s_delay_alu instid0(VALU_DEP_2) | instskip(NEXT) | instid1(VALU_DEP_2)
	v_and_b32_e32 v91, 0xffff, v5
	v_mad_i32_i24 v127, v94, v128, v127
	v_add3_u32 v128, v92, v76, v9
	v_lshrrev_b32_e32 v92, 24, v99
	s_delay_alu instid0(VALU_DEP_4) | instskip(NEXT) | instid1(VALU_DEP_2)
	v_lshrrev_b32_e32 v5, 4, v91
	v_mul_i32_i24_e32 v92, v128, v92
	s_delay_alu instid0(VALU_DEP_1) | instskip(SKIP_1) | instid1(VALU_DEP_1)
	v_add3_u32 v99, v127, v93, v92
	v_bfe_u32 v92, v104, 4, 4
	v_mul_lo_u32 v92, 0x1010101, v92
	s_delay_alu instid0(VALU_DEP_1) | instskip(SKIP_1) | instid1(VALU_DEP_2)
	v_bfe_i32 v93, v92, 0, 8
	v_bfe_i32 v127, v92, 8, 8
	v_mul_i32_i24_e32 v93, v95, v93
	s_delay_alu instid0(VALU_DEP_1) | instskip(SKIP_2) | instid1(VALU_DEP_2)
	v_mad_i32_i24 v93, v94, v127, v93
	v_lshrrev_b32_e32 v127, 24, v92
	v_bfe_i32 v92, v92, 16, 8
	v_mul_i32_i24_e32 v127, v128, v127
	s_delay_alu instid0(VALU_DEP_2) | instskip(NEXT) | instid1(VALU_DEP_1)
	v_mul_i32_i24_e32 v92, v129, v92
	v_add3_u32 v127, v93, v92, v127
	v_add_nc_u32_e32 v92, s17, v58
	ds_load_u16 v130, v92 offset:18928
	s_wait_dscnt 0x0
	v_bfe_u32 v92, v130, 4, 4
	s_delay_alu instid0(VALU_DEP_1) | instskip(NEXT) | instid1(VALU_DEP_1)
	v_mul_lo_u32 v92, 0x1010101, v92
	v_bfe_i32 v93, v92, 0, 8
	v_bfe_i32 v131, v92, 8, 8
	s_delay_alu instid0(VALU_DEP_2) | instskip(NEXT) | instid1(VALU_DEP_1)
	v_mul_i32_i24_e32 v93, v95, v93
	v_mad_i32_i24 v93, v94, v131, v93
	v_lshrrev_b32_e32 v131, 24, v92
	v_bfe_i32 v92, v92, 16, 8
	s_delay_alu instid0(VALU_DEP_2) | instskip(NEXT) | instid1(VALU_DEP_2)
	v_mul_i32_i24_e32 v131, v128, v131
	v_mul_i32_i24_e32 v92, v129, v92
	s_delay_alu instid0(VALU_DEP_1) | instskip(SKIP_2) | instid1(VALU_DEP_2)
	v_add3_u32 v131, v93, v92, v131
	v_bfe_u32 v92, v100, 24, 2
	v_bfe_u32 v93, v3, 8, 2
	v_mul_i32_i24_e32 v92, v80, v92
	s_delay_alu instid0(VALU_DEP_2) | instskip(NEXT) | instid1(VALU_DEP_1)
	v_mul_i32_i24_e32 v93, v93, v96
	v_add3_u32 v100, v103, v92, v93
	ds_load_2addr_b32 v[92:93], v83 offset0:6 offset1:7
	s_wait_dscnt 0x0
	v_ashrrev_i32_e32 v92, s16, v92
	s_delay_alu instid0(VALU_DEP_1) | instskip(SKIP_1) | instid1(VALU_DEP_2)
	v_and_b32_e32 v103, 3, v92
	v_bfe_u32 v132, v92, 8, 2
	v_mul_i32_i24_e32 v103, v103, v82
	s_delay_alu instid0(VALU_DEP_2) | instskip(NEXT) | instid1(VALU_DEP_1)
	v_mul_i32_i24_e32 v132, v132, v81
	v_add3_u32 v103, v124, v103, v132
	v_bfe_u32 v124, v125, 8, 2
	v_bfe_u32 v132, v125, 16, 2
	s_delay_alu instid0(VALU_DEP_2) | instskip(NEXT) | instid1(VALU_DEP_2)
	v_mul_i32_i24_e32 v124, v89, v124
	v_mul_i32_i24_e32 v132, v88, v132
	s_delay_alu instid0(VALU_DEP_1) | instskip(SKIP_2) | instid1(VALU_DEP_2)
	v_add3_u32 v121, v121, v124, v132
	v_bfe_u32 v124, v107, 16, 2
	v_bfe_u32 v107, v107, 24, 2
	v_mul_i32_i24_e32 v124, v124, v85
	s_delay_alu instid0(VALU_DEP_2) | instskip(NEXT) | instid1(VALU_DEP_1)
	v_mul_i32_i24_e32 v107, v107, v87
	v_add3_u32 v107, v126, v124, v107
	v_bfe_u32 v124, v110, 8, 2
	v_bfe_u32 v126, v110, 16, 2
	s_delay_alu instid0(VALU_DEP_2) | instskip(NEXT) | instid1(VALU_DEP_2)
	v_mul_i32_i24_e32 v124, v89, v124
	v_mul_i32_i24_e32 v126, v88, v126
	s_delay_alu instid0(VALU_DEP_1) | instskip(SKIP_2) | instid1(VALU_DEP_2)
	v_add3_u32 v111, v111, v124, v126
	v_bfe_u32 v124, v115, 16, 2
	v_bfe_u32 v115, v115, 24, 2
	v_mul_i32_i24_e32 v124, v124, v85
	s_delay_alu instid0(VALU_DEP_2) | instskip(NEXT) | instid1(VALU_DEP_1)
	v_mul_i32_i24_e32 v115, v115, v87
	v_add3_u32 v114, v114, v124, v115
	v_bfe_u32 v115, v116, 8, 2
	s_delay_alu instid0(VALU_DEP_1) | instskip(SKIP_1) | instid1(VALU_DEP_1)
	v_mul_i32_i24_e32 v89, v89, v115
	v_bfe_u32 v115, v116, 16, 2
	v_mul_i32_i24_e32 v88, v88, v115
	v_bfe_u32 v115, v118, 24, 2
	s_delay_alu instid0(VALU_DEP_2) | instskip(SKIP_1) | instid1(VALU_DEP_3)
	v_add3_u32 v88, v122, v89, v88
	v_bfe_u32 v89, v118, 16, 2
	v_mul_i32_i24_e32 v115, v115, v87
	s_delay_alu instid0(VALU_DEP_2) | instskip(NEXT) | instid1(VALU_DEP_1)
	v_mul_i32_i24_e32 v89, v89, v85
	v_add3_u32 v89, v117, v89, v115
	v_mul_lo_u32 v115, 0x1010101, v5
	s_delay_alu instid0(VALU_DEP_1) | instskip(SKIP_1) | instid1(VALU_DEP_2)
	v_bfe_i32 v5, v115, 0, 8
	v_bfe_i32 v117, v115, 8, 8
	v_mul_i32_i24_e32 v5, v6, v5
	s_delay_alu instid0(VALU_DEP_2) | instskip(NEXT) | instid1(VALU_DEP_1)
	v_mul_i32_i24_e32 v117, v90, v117
	v_add3_u32 v99, v99, v5, v117
	v_lshrrev_b16 v5, 8, v104
	s_delay_alu instid0(VALU_DEP_1) | instskip(NEXT) | instid1(VALU_DEP_1)
	v_and_b32_e32 v117, 0xffff, v5
	v_lshrrev_b32_e32 v5, 4, v117
	s_delay_alu instid0(VALU_DEP_1) | instskip(NEXT) | instid1(VALU_DEP_1)
	v_mul_lo_u32 v118, 0x1010101, v5
	v_bfe_i32 v5, v118, 0, 8
	v_bfe_i32 v122, v118, 8, 8
	s_delay_alu instid0(VALU_DEP_2) | instskip(NEXT) | instid1(VALU_DEP_2)
	v_mul_i32_i24_e32 v5, v6, v5
	v_mul_i32_i24_e32 v122, v90, v122
	s_delay_alu instid0(VALU_DEP_1) | instskip(SKIP_1) | instid1(VALU_DEP_1)
	v_add3_u32 v122, v127, v5, v122
	v_lshrrev_b16 v5, 8, v130
	v_and_b32_e32 v124, 0xffff, v5
	s_delay_alu instid0(VALU_DEP_1) | instskip(NEXT) | instid1(VALU_DEP_1)
	v_lshrrev_b32_e32 v5, 4, v124
	v_mul_lo_u32 v126, 0x1010101, v5
	s_delay_alu instid0(VALU_DEP_1) | instskip(SKIP_1) | instid1(VALU_DEP_2)
	v_bfe_i32 v5, v126, 0, 8
	v_bfe_i32 v127, v126, 8, 8
	v_mul_i32_i24_e32 v5, v6, v5
	s_delay_alu instid0(VALU_DEP_2) | instskip(NEXT) | instid1(VALU_DEP_1)
	v_mul_i32_i24_e32 v127, v90, v127
	v_add3_u32 v127, v131, v5, v127
	v_add_nc_u32_e32 v5, v87, v86
	s_delay_alu instid0(VALU_DEP_1) | instskip(SKIP_1) | instid1(VALU_DEP_1)
	v_add3_u32 v86, v5, v78, v71
	v_lshrrev_b16 v5, 8, v123
	v_and_b32_e32 v87, 0xffff, v5
	v_bfe_u32 v5, v123, 4, 4
	s_delay_alu instid0(VALU_DEP_1) | instskip(NEXT) | instid1(VALU_DEP_3)
	v_mul_lo_u32 v131, 0x1010101, v5
	v_lshrrev_b32_e32 v5, 4, v87
	s_delay_alu instid0(VALU_DEP_1) | instskip(NEXT) | instid1(VALU_DEP_3)
	v_mul_lo_u32 v132, 0x1010101, v5
	v_lshrrev_b32_e32 v133, 24, v131
	s_delay_alu instid0(VALU_DEP_2) | instskip(NEXT) | instid1(VALU_DEP_1)
	v_lshrrev_b32_e32 v5, 24, v132
	v_mul_i32_i24_e32 v5, v86, v5
	s_delay_alu instid0(VALU_DEP_1) | instskip(SKIP_2) | instid1(VALU_DEP_2)
	v_mad_i32_i24 v128, v128, v133, v5
	v_add_nc_u32_e32 v5, v85, v84
	v_bfe_i32 v85, v131, 16, 8
	v_add3_u32 v84, v5, v79, v72
	v_bfe_i32 v5, v132, 16, 8
	s_delay_alu instid0(VALU_DEP_1) | instskip(NEXT) | instid1(VALU_DEP_1)
	v_mul_i32_i24_e32 v5, v84, v5
	v_mad_i32_i24 v85, v129, v85, v5
	v_bfe_i32 v5, v132, 0, 8
	s_delay_alu instid0(VALU_DEP_1) | instskip(SKIP_1) | instid1(VALU_DEP_1)
	v_mul_i32_i24_e32 v5, v6, v5
	v_bfe_i32 v6, v131, 0, 8
	v_mad_i32_i24 v95, v95, v6, v5
	v_bfe_u32 v5, v3, 16, 2
	v_bfe_u32 v3, v3, 24, 2
	;; [unrolled: 1-line block ×3, first 2 shown]
	s_delay_alu instid0(VALU_DEP_3) | instskip(NEXT) | instid1(VALU_DEP_3)
	v_mul_i32_i24_e32 v5, v5, v77
	v_mul_i32_i24_e32 v3, v3, v76
	s_delay_alu instid0(VALU_DEP_3) | instskip(NEXT) | instid1(VALU_DEP_2)
	v_mul_i32_i24_e32 v6, v6, v78
	v_add3_u32 v3, v100, v5, v3
	v_bfe_u32 v5, v92, 16, 2
	s_delay_alu instid0(VALU_DEP_1) | instskip(NEXT) | instid1(VALU_DEP_1)
	v_mul_i32_i24_e32 v5, v5, v79
	v_add3_u32 v92, v103, v5, v6
	v_bfe_u32 v5, v125, 24, 2
	v_bfe_u32 v6, v101, 8, 2
	v_ashrrev_i32_e32 v103, s16, v108
	s_delay_alu instid0(VALU_DEP_3) | instskip(NEXT) | instid1(VALU_DEP_3)
	v_mul_i32_i24_e32 v5, v80, v5
	v_mul_i32_i24_e32 v6, v6, v96
	s_delay_alu instid0(VALU_DEP_1) | instskip(NEXT) | instid1(VALU_DEP_4)
	v_add3_u32 v100, v121, v5, v6
	v_and_b32_e32 v5, 3, v103
	v_bfe_u32 v6, v103, 8, 2
	s_delay_alu instid0(VALU_DEP_2) | instskip(NEXT) | instid1(VALU_DEP_2)
	v_mul_i32_i24_e32 v5, v5, v82
	v_mul_i32_i24_e32 v6, v6, v81
	s_delay_alu instid0(VALU_DEP_1) | instskip(SKIP_2) | instid1(VALU_DEP_2)
	v_add3_u32 v107, v107, v5, v6
	v_bfe_u32 v5, v110, 24, 2
	v_bfe_u32 v6, v112, 8, 2
	v_mul_i32_i24_e32 v5, v80, v5
	s_delay_alu instid0(VALU_DEP_2) | instskip(NEXT) | instid1(VALU_DEP_1)
	v_mul_i32_i24_e32 v6, v6, v96
	v_add3_u32 v108, v111, v5, v6
	v_add_nc_u32_e32 v5, 0x2118, v83
	ds_load_2addr_b32 v[5:6], v5 offset1:1
	s_wait_dscnt 0x0
	v_ashrrev_i32_e32 v5, s16, v5
	v_ashrrev_i32_e32 v6, s16, v6
	s_delay_alu instid0(VALU_DEP_2) | instskip(SKIP_1) | instid1(VALU_DEP_2)
	v_and_b32_e32 v83, 3, v5
	v_bfe_u32 v110, v5, 8, 2
	v_mul_i32_i24_e32 v83, v83, v82
	s_delay_alu instid0(VALU_DEP_2) | instskip(NEXT) | instid1(VALU_DEP_1)
	v_mul_i32_i24_e32 v110, v110, v81
	v_add3_u32 v83, v114, v83, v110
	v_bfe_u32 v110, v116, 24, 2
	s_delay_alu instid0(VALU_DEP_1) | instskip(SKIP_1) | instid1(VALU_DEP_1)
	v_mul_i32_i24_e32 v80, v80, v110
	v_bfe_u32 v110, v105, 8, 2
	v_mul_i32_i24_e32 v96, v110, v96
	s_delay_alu instid0(VALU_DEP_1) | instskip(SKIP_1) | instid1(VALU_DEP_1)
	v_add3_u32 v80, v88, v80, v96
	v_ashrrev_i32_e32 v88, s16, v119
	v_and_b32_e32 v96, 3, v88
	s_delay_alu instid0(VALU_DEP_1) | instskip(SKIP_1) | instid1(VALU_DEP_1)
	v_mul_i32_i24_e32 v82, v96, v82
	v_bfe_u32 v96, v88, 8, 2
	v_mul_i32_i24_e32 v81, v96, v81
	v_bfe_i32 v96, v118, 16, 8
	s_delay_alu instid0(VALU_DEP_2) | instskip(SKIP_2) | instid1(VALU_DEP_4)
	v_add3_u32 v81, v89, v82, v81
	v_lshrrev_b32_e32 v82, 24, v115
	v_bfe_i32 v89, v115, 16, 8
	v_mul_i32_i24_e32 v96, v84, v96
	s_delay_alu instid0(VALU_DEP_3) | instskip(NEXT) | instid1(VALU_DEP_3)
	v_mul_i32_i24_e32 v82, v86, v82
	v_mul_i32_i24_e32 v89, v84, v89
	s_delay_alu instid0(VALU_DEP_1) | instskip(SKIP_2) | instid1(VALU_DEP_2)
	v_add3_u32 v82, v99, v89, v82
	v_lshrrev_b32_e32 v89, 24, v118
	v_bfe_u32 v99, v112, 24, 2
	v_mul_i32_i24_e32 v89, v86, v89
	s_delay_alu instid0(VALU_DEP_2) | instskip(NEXT) | instid1(VALU_DEP_2)
	v_mul_i32_i24_e32 v99, v99, v76
	v_add3_u32 v89, v122, v96, v89
	v_lshrrev_b32_e32 v96, 24, v126
	s_delay_alu instid0(VALU_DEP_1) | instskip(SKIP_1) | instid1(VALU_DEP_1)
	v_mul_i32_i24_e32 v86, v86, v96
	v_bfe_i32 v96, v126, 16, 8
	v_mul_i32_i24_e32 v84, v84, v96
	v_bfe_u32 v96, v103, 24, 2
	s_delay_alu instid0(VALU_DEP_2) | instskip(SKIP_1) | instid1(VALU_DEP_3)
	v_add3_u32 v84, v127, v84, v86
	v_lshrrev_b16 v86, 8, v131
	v_mul_i32_i24_e32 v96, v96, v78
	s_delay_alu instid0(VALU_DEP_2) | instskip(NEXT) | instid1(VALU_DEP_1)
	v_bfe_i32 v86, v86, 0, 8
	v_mul_i32_i24_e32 v86, v94, v86
	v_bfe_i32 v94, v132, 8, 8
	s_delay_alu instid0(VALU_DEP_1) | instskip(SKIP_1) | instid1(VALU_DEP_2)
	v_mul_i32_i24_e32 v90, v90, v94
	v_bfe_u32 v94, v4, 8, 2
	v_add3_u32 v86, v86, v90, v128
	v_and_b32_e32 v90, 3, v4
	s_delay_alu instid0(VALU_DEP_3) | instskip(NEXT) | instid1(VALU_DEP_2)
	v_mul_i32_i24_e32 v94, v94, v98
	v_mul_i32_i24_e32 v90, v90, v73
	s_delay_alu instid0(VALU_DEP_1) | instskip(SKIP_1) | instid1(VALU_DEP_1)
	v_add3_u32 v3, v3, v90, v94
	v_ashrrev_i32_e32 v90, s16, v93
	v_and_b32_e32 v93, 3, v90
	v_bfe_u32 v94, v90, 8, 2
	s_delay_alu instid0(VALU_DEP_2) | instskip(NEXT) | instid1(VALU_DEP_2)
	v_mul_i32_i24_e32 v93, v93, v75
	v_mul_i32_i24_e32 v94, v94, v74
	s_delay_alu instid0(VALU_DEP_1) | instskip(SKIP_2) | instid1(VALU_DEP_2)
	v_add3_u32 v92, v92, v93, v94
	v_bfe_u32 v93, v101, 16, 2
	v_bfe_u32 v94, v101, 24, 2
	v_mul_i32_i24_e32 v93, v93, v77
	s_delay_alu instid0(VALU_DEP_2) | instskip(NEXT) | instid1(VALU_DEP_1)
	v_mul_i32_i24_e32 v94, v94, v76
	v_add3_u32 v93, v100, v93, v94
	v_bfe_u32 v94, v103, 16, 2
	s_delay_alu instid0(VALU_DEP_1) | instskip(NEXT) | instid1(VALU_DEP_1)
	v_mul_i32_i24_e32 v94, v94, v79
	v_add3_u32 v94, v107, v94, v96
	v_bfe_u32 v96, v112, 16, 2
	s_delay_alu instid0(VALU_DEP_1) | instskip(NEXT) | instid1(VALU_DEP_1)
	v_mul_i32_i24_e32 v96, v96, v77
	v_add3_u32 v96, v108, v96, v99
	v_bfe_u32 v99, v5, 16, 2
	v_bfe_u32 v5, v5, 24, 2
	s_delay_alu instid0(VALU_DEP_2) | instskip(NEXT) | instid1(VALU_DEP_2)
	v_mul_i32_i24_e32 v99, v99, v79
	v_mul_i32_i24_e32 v5, v5, v78
	s_delay_alu instid0(VALU_DEP_1) | instskip(SKIP_1) | instid1(VALU_DEP_1)
	v_add3_u32 v5, v83, v99, v5
	v_bfe_u32 v83, v105, 16, 2
	v_mul_i32_i24_e32 v77, v83, v77
	v_bfe_u32 v83, v105, 24, 2
	s_delay_alu instid0(VALU_DEP_1) | instskip(NEXT) | instid1(VALU_DEP_1)
	v_mul_i32_i24_e32 v76, v83, v76
	v_add3_u32 v76, v80, v77, v76
	v_bfe_u32 v77, v88, 16, 2
	s_delay_alu instid0(VALU_DEP_1) | instskip(SKIP_1) | instid1(VALU_DEP_1)
	v_mul_i32_i24_e32 v77, v77, v79
	v_bfe_u32 v79, v88, 24, 2
	v_mul_i32_i24_e32 v78, v79, v78
	v_bfe_u32 v79, v4, 16, 2
	v_bfe_u32 v4, v4, 24, 2
	s_delay_alu instid0(VALU_DEP_3) | instskip(NEXT) | instid1(VALU_DEP_3)
	v_add3_u32 v77, v81, v77, v78
	v_mul_i32_i24_e32 v79, v79, v10
	s_delay_alu instid0(VALU_DEP_3) | instskip(SKIP_1) | instid1(VALU_DEP_2)
	v_mul_i32_i24_e32 v4, v4, v9
	v_add3_u32 v78, v95, v85, v86
	v_add3_u32 v3, v3, v79, v4
	v_bfe_u32 v4, v90, 16, 2
	v_bfe_u32 v79, v90, 24, 2
	;; [unrolled: 1-line block ×3, first 2 shown]
	v_cvt_f32_i32_e32 v78, v78
	s_delay_alu instid0(VALU_DEP_4) | instskip(NEXT) | instid1(VALU_DEP_4)
	v_mul_i32_i24_e32 v4, v4, v72
	v_mul_i32_i24_e32 v79, v79, v71
	s_delay_alu instid0(VALU_DEP_4) | instskip(NEXT) | instid1(VALU_DEP_2)
	v_mul_i32_i24_e32 v90, v90, v74
	v_add3_u32 v4, v92, v4, v79
	v_ashrrev_i32_e32 v79, s16, v102
	s_delay_alu instid0(VALU_DEP_1) | instskip(SKIP_1) | instid1(VALU_DEP_2)
	v_and_b32_e32 v80, 3, v79
	v_bfe_u32 v81, v79, 8, 2
	v_mul_i32_i24_e32 v80, v80, v73
	s_delay_alu instid0(VALU_DEP_2) | instskip(NEXT) | instid1(VALU_DEP_1)
	v_mul_i32_i24_e32 v81, v81, v98
	v_add3_u32 v80, v93, v80, v81
	v_ashrrev_i32_e32 v81, s16, v109
	s_delay_alu instid0(VALU_DEP_1) | instskip(SKIP_1) | instid1(VALU_DEP_2)
	v_and_b32_e32 v83, 3, v81
	v_bfe_u32 v85, v81, 8, 2
	v_mul_i32_i24_e32 v83, v83, v75
	s_delay_alu instid0(VALU_DEP_2) | instskip(NEXT) | instid1(VALU_DEP_1)
	;; [unrolled: 8-line block ×3, first 2 shown]
	v_mul_i32_i24_e32 v88, v88, v98
	v_add3_u32 v86, v96, v86, v88
	v_and_b32_e32 v88, 3, v6
	s_delay_alu instid0(VALU_DEP_1) | instskip(NEXT) | instid1(VALU_DEP_1)
	v_mul_i32_i24_e32 v88, v88, v75
	v_add3_u32 v5, v5, v88, v90
	v_ashrrev_i32_e32 v88, s16, v106
	s_delay_alu instid0(VALU_DEP_1) | instskip(NEXT) | instid1(VALU_DEP_1)
	v_and_b32_e32 v90, 3, v88
	v_mul_i32_i24_e32 v73, v90, v73
	v_bfe_u32 v90, v88, 8, 2
	s_delay_alu instid0(VALU_DEP_1) | instskip(NEXT) | instid1(VALU_DEP_1)
	v_mul_i32_i24_e32 v90, v90, v98
	v_add3_u32 v73, v76, v73, v90
	v_ashrrev_i32_e32 v76, s16, v120
	s_lshr_b32 s16, s1, 2
	s_wait_alu 0xfffe
	s_and_b32 s16, s16, 0x3ffffffc
	s_delay_alu instid0(VALU_DEP_1) | instskip(SKIP_2) | instid1(VALU_DEP_1)
	v_and_b32_e32 v90, 3, v76
	s_wait_alu 0xfffe
	s_addk_co_i32 s16, 0x5280
	v_mul_i32_i24_e32 v75, v90, v75
	v_bfe_u32 v90, v76, 8, 2
	s_delay_alu instid0(VALU_DEP_1) | instskip(NEXT) | instid1(VALU_DEP_1)
	v_mul_i32_i24_e32 v74, v90, v74
	v_add3_u32 v74, v77, v75, v74
	v_bfe_u32 v75, v79, 16, 2
	v_bfe_u32 v77, v79, 24, 2
	;; [unrolled: 1-line block ×3, first 2 shown]
	s_delay_alu instid0(VALU_DEP_3) | instskip(NEXT) | instid1(VALU_DEP_3)
	v_mul_i32_i24_e32 v75, v75, v10
	v_mul_i32_i24_e32 v77, v77, v9
	s_delay_alu instid0(VALU_DEP_3) | instskip(NEXT) | instid1(VALU_DEP_2)
	v_mul_i32_i24_e32 v79, v79, v71
	v_add3_u32 v75, v80, v75, v77
	v_bfe_u32 v77, v81, 16, 2
	v_bfe_u32 v80, v85, 24, 2
	v_and_b32_e32 v81, 15, v123
	s_delay_alu instid0(VALU_DEP_3) | instskip(NEXT) | instid1(VALU_DEP_3)
	v_mul_i32_i24_e32 v77, v77, v72
	v_mul_i32_i24_e32 v80, v80, v9
	s_delay_alu instid0(VALU_DEP_2) | instskip(SKIP_2) | instid1(VALU_DEP_2)
	v_add3_u32 v77, v83, v77, v79
	v_bfe_u32 v79, v85, 16, 2
	v_and_b32_e32 v83, 15, v124
	v_mul_i32_i24_e32 v79, v79, v10
	s_delay_alu instid0(VALU_DEP_1) | instskip(SKIP_2) | instid1(VALU_DEP_2)
	v_add3_u32 v79, v86, v79, v80
	v_bfe_u32 v80, v6, 16, 2
	v_bfe_u32 v6, v6, 24, 2
	v_mul_i32_i24_e32 v80, v80, v72
	s_delay_alu instid0(VALU_DEP_2) | instskip(NEXT) | instid1(VALU_DEP_1)
	v_mul_i32_i24_e32 v6, v6, v71
	v_add3_u32 v6, v5, v80, v6
	v_bfe_u32 v5, v88, 16, 2
	s_delay_alu instid0(VALU_DEP_1) | instskip(SKIP_1) | instid1(VALU_DEP_1)
	v_mul_i32_i24_e32 v5, v5, v10
	v_bfe_u32 v10, v88, 24, 2
	v_mul_i32_i24_e32 v9, v10, v9
	s_wait_alu 0xfffe
	v_add3_u32 v10, s16, v63, v64
	s_delay_alu instid0(VALU_DEP_2) | instskip(SKIP_1) | instid1(VALU_DEP_1)
	v_add3_u32 v9, v73, v5, v9
	v_bfe_u32 v5, v76, 16, 2
	v_mul_i32_i24_e32 v5, v5, v72
	v_bfe_u32 v72, v76, 24, 2
	v_and_b32_e32 v76, 15, v91
	s_delay_alu instid0(VALU_DEP_2)
	v_mul_i32_i24_e32 v71, v72, v71
	v_add3_u32 v72, s16, v67, v68
	ds_load_b32 v73, v10
	ds_load_b32 v72, v72
	v_add3_u32 v10, v74, v5, v71
	v_add3_u32 v5, s16, v69, v70
	v_add3_u32 v71, s16, v65, v66
	ds_load_b32 v74, v5
	ds_load_b32 v71, v71
	v_and_b32_e32 v5, 15, v97
	s_add_co_i32 s16, s1, 2
	s_cmp_lt_u32 s1, 30
	s_wait_alu 0xfffe
	s_mov_b32 s1, s16
	v_mul_lo_u32 v3, v3, v5
	v_and_b32_e32 v5, 15, v117
	s_delay_alu instid0(VALU_DEP_2)
	v_mad_co_u64_u32 v[3:4], null, v4, v76, v[3:4]
	v_and_b32_e32 v4, 15, v104
	ds_load_b32 v76, v8
	v_add_nc_u32_e32 v8, 4, v8
	s_wait_dscnt 0x1
	v_lshrrev_b32_e32 v80, 16, v71
	v_mul_lo_u32 v4, v75, v4
	v_lshrrev_b32_e32 v75, 16, v74
	v_cvt_f32_i32_e32 v3, v3
	s_delay_alu instid0(VALU_DEP_4) | instskip(NEXT) | instid1(VALU_DEP_3)
	v_cvt_f32_f16_e32 v80, v80
	v_cvt_f32_f16_e32 v75, v75
	v_mad_co_u64_u32 v[4:5], null, v77, v5, v[4:5]
	v_and_b32_e32 v5, 15, v130
	v_lshrrev_b32_e32 v77, 16, v73
	s_delay_alu instid0(VALU_DEP_4) | instskip(NEXT) | instid1(VALU_DEP_3)
	v_mul_f32_e32 v75, v75, v78
	v_mul_lo_u32 v5, v79, v5
	v_lshrrev_b32_e32 v79, 16, v72
	s_delay_alu instid0(VALU_DEP_4) | instskip(SKIP_1) | instid1(VALU_DEP_3)
	v_cvt_f32_f16_e32 v77, v77
	v_cvt_f32_i32_e32 v4, v4
	v_cvt_f32_f16_e32 v79, v79
	v_mad_co_u64_u32 v[5:6], null, v6, v83, v[5:6]
	v_mul_lo_u32 v6, v9, v81
	v_and_b32_e32 v9, 15, v87
	v_cvt_f32_i32_e32 v81, v82
	v_cvt_f32_i32_e32 v82, v89
	;; [unrolled: 1-line block ×4, first 2 shown]
	v_mad_co_u64_u32 v[9:10], null, v10, v9, v[6:7]
	v_mul_f32_e32 v6, v77, v81
	s_delay_alu instid0(VALU_DEP_4) | instskip(SKIP_1) | instid1(VALU_DEP_3)
	v_dual_mul_f32 v10, v80, v82 :: v_dual_mul_f32 v77, v79, v83
	v_add_nc_u32_e32 v7, 32, v7
	v_fma_mix_f32 v3, v73, v3, -v6 op_sel_hi:[1,0,0]
	v_cvt_f32_i32_e32 v9, v9
	s_delay_alu instid0(VALU_DEP_4)
	v_fma_mix_f32 v4, v71, v4, -v10 op_sel_hi:[1,0,0]
	v_fma_mix_f32 v5, v72, v5, -v77 op_sel_hi:[1,0,0]
	s_wait_dscnt 0x0
	v_fmac_f32_e32 v13, v76, v3
	v_fma_mix_f32 v6, v74, v9, -v75 op_sel_hi:[1,0,0]
	v_fmac_f32_e32 v48, v76, v4
	v_fmac_f32_e32 v44, v76, v5
	s_delay_alu instid0(VALU_DEP_3)
	v_fmac_f32_e32 v2, v76, v6
	s_cbranch_scc1 .LBB187_35
; %bb.36:                               ;   in Loop: Header=BB187_5 Depth=1
	s_wait_loadcnt 0x0
	s_barrier_signal -1
	s_barrier_wait -1
	global_inv scope:SCOPE_SE
	s_branch .LBB187_4
.LBB187_37:
	s_mul_i32 s0, s7, s4
	s_wait_loadcnt 0x0
	s_wait_alu 0xfffe
	v_cmp_gt_i32_e32 vcc_lo, s0, v11
	s_and_saveexec_b32 s0, vcc_lo
	s_cbranch_execz .LBB187_46
; %bb.38:
	v_mul_lo_u32 v0, v11, s6
	v_add_nc_u32_e32 v1, s18, v12
	s_mov_b32 s0, exec_lo
	s_delay_alu instid0(VALU_DEP_1)
	v_cmpx_gt_u32_e64 s6, v1
	s_cbranch_execz .LBB187_40
; %bb.39:
	s_delay_alu instid0(VALU_DEP_3) | instskip(NEXT) | instid1(VALU_DEP_1)
	v_dual_mov_b32 v4, 0 :: v_dual_add_nc_u32 v3, v0, v1
	v_lshlrev_b64_e32 v[3:4], 2, v[3:4]
	s_delay_alu instid0(VALU_DEP_1) | instskip(SKIP_1) | instid1(VALU_DEP_2)
	v_add_co_u32 v3, vcc_lo, s8, v3
	s_wait_alu 0xfffd
	v_add_co_ci_u32_e64 v4, null, s9, v4, vcc_lo
	global_store_b32 v[3:4], v13, off
.LBB187_40:
	s_wait_alu 0xfffe
	s_or_b32 exec_lo, exec_lo, s0
	v_add_nc_u32_e32 v3, 32, v1
	s_mov_b32 s0, exec_lo
	s_delay_alu instid0(VALU_DEP_1)
	v_cmpx_gt_u32_e64 s6, v3
	s_cbranch_execz .LBB187_42
; %bb.41:
	v_dual_mov_b32 v4, 0 :: v_dual_add_nc_u32 v3, v0, v3
	s_delay_alu instid0(VALU_DEP_1) | instskip(NEXT) | instid1(VALU_DEP_1)
	v_lshlrev_b64_e32 v[3:4], 2, v[3:4]
	v_add_co_u32 v3, vcc_lo, s8, v3
	s_wait_alu 0xfffd
	s_delay_alu instid0(VALU_DEP_2)
	v_add_co_ci_u32_e64 v4, null, s9, v4, vcc_lo
	global_store_b32 v[3:4], v48, off
.LBB187_42:
	s_wait_alu 0xfffe
	s_or_b32 exec_lo, exec_lo, s0
	v_add_nc_u32_e32 v3, 64, v1
	s_mov_b32 s0, exec_lo
	s_delay_alu instid0(VALU_DEP_1)
	v_cmpx_gt_u32_e64 s6, v3
	s_cbranch_execz .LBB187_44
; %bb.43:
	v_dual_mov_b32 v4, 0 :: v_dual_add_nc_u32 v3, v0, v3
	s_delay_alu instid0(VALU_DEP_1) | instskip(NEXT) | instid1(VALU_DEP_1)
	v_lshlrev_b64_e32 v[3:4], 2, v[3:4]
	v_add_co_u32 v3, vcc_lo, s8, v3
	s_wait_alu 0xfffd
	s_delay_alu instid0(VALU_DEP_2)
	v_add_co_ci_u32_e64 v4, null, s9, v4, vcc_lo
	global_store_b32 v[3:4], v44, off
.LBB187_44:
	s_wait_alu 0xfffe
	s_or_b32 exec_lo, exec_lo, s0
	v_add_nc_u32_e32 v1, 0x60, v1
	s_delay_alu instid0(VALU_DEP_1)
	v_cmp_gt_u32_e32 vcc_lo, s6, v1
	s_and_b32 exec_lo, exec_lo, vcc_lo
	s_cbranch_execz .LBB187_46
; %bb.45:
	v_dual_mov_b32 v1, 0 :: v_dual_add_nc_u32 v0, v0, v1
	s_delay_alu instid0(VALU_DEP_1) | instskip(NEXT) | instid1(VALU_DEP_1)
	v_lshlrev_b64_e32 v[0:1], 2, v[0:1]
	v_add_co_u32 v0, vcc_lo, s8, v0
	s_wait_alu 0xfffd
	s_delay_alu instid0(VALU_DEP_2)
	v_add_co_ci_u32_e64 v1, null, s9, v1, vcc_lo
	global_store_b32 v[0:1], v2, off
.LBB187_46:
	s_nop 0
	s_sendmsg sendmsg(MSG_DEALLOC_VGPRS)
	s_endpgm
	.section	.rodata,"a",@progbits
	.p2align	6, 0x0
	.amdhsa_kernel _ZL8moe_q2_KIfLb0EEvPKvS1_PT_PKiS5_S5_iiiiiii
		.amdhsa_group_segment_fixed_size 23328
		.amdhsa_private_segment_fixed_size 0
		.amdhsa_kernarg_size 76
		.amdhsa_user_sgpr_count 2
		.amdhsa_user_sgpr_dispatch_ptr 0
		.amdhsa_user_sgpr_queue_ptr 0
		.amdhsa_user_sgpr_kernarg_segment_ptr 1
		.amdhsa_user_sgpr_dispatch_id 0
		.amdhsa_user_sgpr_private_segment_size 0
		.amdhsa_wavefront_size32 1
		.amdhsa_uses_dynamic_stack 0
		.amdhsa_enable_private_segment 0
		.amdhsa_system_sgpr_workgroup_id_x 1
		.amdhsa_system_sgpr_workgroup_id_y 1
		.amdhsa_system_sgpr_workgroup_id_z 0
		.amdhsa_system_sgpr_workgroup_info 0
		.amdhsa_system_vgpr_workitem_id 1
		.amdhsa_next_free_vgpr 136
		.amdhsa_next_free_sgpr 22
		.amdhsa_reserve_vcc 1
		.amdhsa_float_round_mode_32 0
		.amdhsa_float_round_mode_16_64 0
		.amdhsa_float_denorm_mode_32 3
		.amdhsa_float_denorm_mode_16_64 3
		.amdhsa_fp16_overflow 0
		.amdhsa_workgroup_processor_mode 1
		.amdhsa_memory_ordered 1
		.amdhsa_forward_progress 1
		.amdhsa_inst_pref_size 168
		.amdhsa_round_robin_scheduling 0
		.amdhsa_exception_fp_ieee_invalid_op 0
		.amdhsa_exception_fp_denorm_src 0
		.amdhsa_exception_fp_ieee_div_zero 0
		.amdhsa_exception_fp_ieee_overflow 0
		.amdhsa_exception_fp_ieee_underflow 0
		.amdhsa_exception_fp_ieee_inexact 0
		.amdhsa_exception_int_div_zero 0
	.end_amdhsa_kernel
	.section	.text._ZL8moe_q2_KIfLb0EEvPKvS1_PT_PKiS5_S5_iiiiiii,"axG",@progbits,_ZL8moe_q2_KIfLb0EEvPKvS1_PT_PKiS5_S5_iiiiiii,comdat
.Lfunc_end187:
	.size	_ZL8moe_q2_KIfLb0EEvPKvS1_PT_PKiS5_S5_iiiiiii, .Lfunc_end187-_ZL8moe_q2_KIfLb0EEvPKvS1_PT_PKiS5_S5_iiiiiii
                                        ; -- End function
	.set _ZL8moe_q2_KIfLb0EEvPKvS1_PT_PKiS5_S5_iiiiiii.num_vgpr, 136
	.set _ZL8moe_q2_KIfLb0EEvPKvS1_PT_PKiS5_S5_iiiiiii.num_agpr, 0
	.set _ZL8moe_q2_KIfLb0EEvPKvS1_PT_PKiS5_S5_iiiiiii.numbered_sgpr, 22
	.set _ZL8moe_q2_KIfLb0EEvPKvS1_PT_PKiS5_S5_iiiiiii.num_named_barrier, 0
	.set _ZL8moe_q2_KIfLb0EEvPKvS1_PT_PKiS5_S5_iiiiiii.private_seg_size, 0
	.set _ZL8moe_q2_KIfLb0EEvPKvS1_PT_PKiS5_S5_iiiiiii.uses_vcc, 1
	.set _ZL8moe_q2_KIfLb0EEvPKvS1_PT_PKiS5_S5_iiiiiii.uses_flat_scratch, 0
	.set _ZL8moe_q2_KIfLb0EEvPKvS1_PT_PKiS5_S5_iiiiiii.has_dyn_sized_stack, 0
	.set _ZL8moe_q2_KIfLb0EEvPKvS1_PT_PKiS5_S5_iiiiiii.has_recursion, 0
	.set _ZL8moe_q2_KIfLb0EEvPKvS1_PT_PKiS5_S5_iiiiiii.has_indirect_call, 0
	.section	.AMDGPU.csdata,"",@progbits
; Kernel info:
; codeLenInByte = 21420
; TotalNumSgprs: 24
; NumVgprs: 136
; ScratchSize: 0
; MemoryBound: 0
; FloatMode: 240
; IeeeMode: 1
; LDSByteSize: 23328 bytes/workgroup (compile time only)
; SGPRBlocks: 0
; VGPRBlocks: 16
; NumSGPRsForWavesPerEU: 24
; NumVGPRsForWavesPerEU: 136
; Occupancy: 10
; WaveLimiterHint : 1
; COMPUTE_PGM_RSRC2:SCRATCH_EN: 0
; COMPUTE_PGM_RSRC2:USER_SGPR: 2
; COMPUTE_PGM_RSRC2:TRAP_HANDLER: 0
; COMPUTE_PGM_RSRC2:TGID_X_EN: 1
; COMPUTE_PGM_RSRC2:TGID_Y_EN: 1
; COMPUTE_PGM_RSRC2:TGID_Z_EN: 0
; COMPUTE_PGM_RSRC2:TIDIG_COMP_CNT: 1
	.section	.text._ZL8moe_q2_KIfLb1EEvPKvS1_PT_PKiS5_S5_iiiiiii,"axG",@progbits,_ZL8moe_q2_KIfLb1EEvPKvS1_PT_PKiS5_S5_iiiiiii,comdat
	.globl	_ZL8moe_q2_KIfLb1EEvPKvS1_PT_PKiS5_S5_iiiiiii ; -- Begin function _ZL8moe_q2_KIfLb1EEvPKvS1_PT_PKiS5_S5_iiiiiii
	.p2align	8
	.type	_ZL8moe_q2_KIfLb1EEvPKvS1_PT_PKiS5_S5_iiiiiii,@function
_ZL8moe_q2_KIfLb1EEvPKvS1_PT_PKiS5_S5_iiiiiii: ; @_ZL8moe_q2_KIfLb1EEvPKvS1_PT_PKiS5_S5_iiiiiii
; %bb.0:
	s_load_b128 s[4:7], s[0:1], 0x18
	s_mov_b32 s2, ttmp7
	s_mov_b32 s3, 0
	s_delay_alu instid0(SALU_CYCLE_1)
	s_lshl_b64 s[2:3], s[2:3], 2
	s_wait_kmcnt 0x0
	s_add_nc_u64 s[2:3], s[6:7], s[2:3]
	s_load_b32 s14, s[2:3], 0x0
	s_wait_kmcnt 0x0
	s_cmp_gt_u32 s14, 0xff
	s_cbranch_scc1 .LBB188_46
; %bb.1:
	s_load_b64 s[2:3], s[0:1], 0x28
	s_wait_kmcnt 0x0
	s_load_b32 s3, s[2:3], 0x0
	s_lshl_b32 s2, ttmp7, 3
	s_wait_kmcnt 0x0
	s_cmp_gt_u32 s2, s3
	s_cbranch_scc1 .LBB188_46
; %bb.2:
	v_bfe_u32 v18, v0, 10, 10
	v_mov_b32_e32 v17, 0
	s_lshl_b32 s11, ttmp9, 7
	s_delay_alu instid0(VALU_DEP_2) | instskip(NEXT) | instid1(VALU_DEP_2)
	v_add_nc_u32_e32 v16, s2, v18
	v_dual_mov_b32 v30, v17 :: v_dual_and_b32 v29, 0x3ff, v0
	v_mov_b32_e32 v59, v17
	v_mov_b32_e32 v63, v17
	s_delay_alu instid0(VALU_DEP_4) | instskip(NEXT) | instid1(VALU_DEP_1)
	v_lshlrev_b64_e32 v[1:2], 2, v[16:17]
	v_add_co_u32 v1, vcc_lo, s4, v1
	s_delay_alu instid0(VALU_DEP_1)
	v_add_co_ci_u32_e64 v2, null, s5, v2, vcc_lo
	global_load_b32 v28, v[1:2], off
	s_clause 0x2
	s_load_b128 s[4:7], s[0:1], 0x30
	s_load_b64 s[12:13], s[0:1], 0x10
	s_load_b96 s[8:10], s[0:1], 0x40
	s_wait_kmcnt 0x0
	s_cmp_lt_i32 s5, 0x100
	s_cbranch_scc1 .LBB188_37
; %bb.3:
	s_ashr_i32 s16, s8, 31
	s_not_b32 s17, s11
	v_add_nc_u32_e32 v1, 8, v18
	s_ashr_i32 s15, s5, 31
	v_add_nc_u32_e32 v3, 16, v18
	s_lshr_b32 s20, s16, 27
	s_add_co_i32 s16, s6, s17
	v_add_nc_u32_e32 v6, 24, v18
	s_mul_i32 s14, s14, s4
	s_lshr_b32 s4, s15, 24
	v_dual_mov_b32 v30, 0 :: v_dual_add_nc_u32 v7, 32, v18
	v_lshlrev_b32_e32 v19, 2, v29
	v_min_i32_e32 v2, s16, v18
	v_add_nc_u32_e32 v8, 40, v18
	s_wait_alu 0xfffe
	s_add_co_i32 s4, s5, s4
	v_min_i32_e32 v4, s16, v1
	v_add_nc_u32_e32 v9, 48, v18
	v_min_i32_e32 v5, s16, v3
	v_add_nc_u32_e32 v10, 56, v18
	s_wait_alu 0xfffe
	s_ashr_i32 s4, s4, 8
	v_min_i32_e32 v6, s16, v6
	v_min_i32_e32 v7, s16, v7
	s_wait_alu 0xfffe
	v_mul_lo_u32 v33, v2, s4
	v_mad_co_u64_u32 v[1:2], null, 0x84, v2, v[19:20]
	v_min_i32_e32 v8, s16, v8
	v_mad_co_u64_u32 v[2:3], null, 0x84, v4, v[19:20]
	v_min_i32_e32 v9, s16, v9
	v_mul_lo_u32 v34, v4, s4
	v_mad_co_u64_u32 v[3:4], null, 0x84, v5, v[19:20]
	v_min_i32_e32 v10, s16, v10
	v_mul_lo_u32 v35, v5, s4
	v_mad_co_u64_u32 v[4:5], null, 0x84, v6, v[19:20]
	v_mul_lo_u32 v36, v6, s4
	v_mad_co_u64_u32 v[5:6], null, 0x84, v7, v[19:20]
	;; [unrolled: 2-line block ×5, first 2 shown]
	v_lshlrev_b32_e32 v20, 4, v18
	v_bfe_u32 v14, v0, 1, 9
	v_add_nc_u32_e32 v11, 64, v18
	v_add_nc_u32_e32 v12, 0x48, v18
	;; [unrolled: 1-line block ×5, first 2 shown]
	s_load_b128 s[0:3], s[0:1], 0x0
	v_min_i32_e32 v11, s16, v11
	v_min_i32_e32 v12, s16, v12
	;; [unrolled: 1-line block ×3, first 2 shown]
	v_and_b32_e32 v14, 0x7f, v14
	v_min_i32_e32 v15, s16, v15
	v_add_nc_u32_e32 v16, 0x60, v18
	v_add_nc_u32_e32 v17, 0x68, v18
	v_mul_lo_u32 v40, v10, s4
	v_min_i32_e32 v21, s16, v14
	v_mad_co_u64_u32 v[9:10], null, 0x84, v11, v[19:20]
	v_mul_lo_u32 v41, v11, s4
	v_mad_co_u64_u32 v[10:11], null, 0x84, v12, v[19:20]
	v_mul_lo_u32 v42, v12, s4
	;; [unrolled: 2-line block ×3, first 2 shown]
	v_mul_lo_u32 v44, v15, s4
	v_min_i32_e32 v16, s16, v16
	v_mad_co_u64_u32 v[12:13], null, 0x84, v15, v[19:20]
	v_min_i32_e32 v15, s16, v17
	v_add_nc_u32_e32 v17, 0x70, v18
	v_ashrrev_i32_e32 v22, 31, v21
	v_mul_lo_u32 v45, v16, s4
	v_mad_co_u64_u32 v[13:14], null, 0x84, v16, v[19:20]
	s_delay_alu instid0(VALU_DEP_4) | instskip(NEXT) | instid1(VALU_DEP_4)
	v_min_i32_e32 v16, s16, v17
	v_lshrrev_b32_e32 v17, 28, v22
	s_mul_i32 s18, s4, s11
	v_mul_lo_u32 v46, v15, s4
	v_mad_co_u64_u32 v[14:15], null, 0x84, v15, v[19:20]
	s_ashr_i32 s15, s14, 31
	s_ashr_i32 s19, s18, 31
	v_add_nc_u32_e32 v15, v21, v17
	s_mul_u64 s[18:19], s[18:19], 0x54
	s_wait_kmcnt 0x0
	s_add_nc_u64 s[0:1], s[0:1], s[14:15]
	v_add_nc_u32_e32 v22, 0x78, v18
	s_add_nc_u64 s[14:15], s[0:1], s[18:19]
	s_abs_i32 s1, s10
	v_bfe_u32 v47, v0, 3, 7
	v_and_b32_e32 v49, 1, v0
	v_ashrrev_i32_e32 v23, 4, v15
	s_cvt_f32_u32 s0, s1
	v_min_i32_e32 v17, s16, v22
	v_lshl_add_u32 v22, v18, 2, v47
	v_lshlrev_b32_e32 v25, 2, v49
	v_lshlrev_b32_e32 v23, 2, v23
	v_rcp_iflag_f32_e32 v27, s0
	s_add_co_i32 s6, s8, s20
	v_add_nc_u32_e32 v56, 64, v22
	v_min_i32_e32 v24, s16, v22
	v_add3_u32 v23, v23, v25, 0x5280
	v_add_nc_u32_e32 v25, 32, v22
	v_add_nc_u32_e32 v22, 0x60, v22
	v_min_i32_e32 v57, s16, v56
	s_wait_loadcnt 0x0
	v_sub_nc_u32_e32 v56, 0, v28
	s_sub_co_i32 s8, 0, s1
	v_min_i32_e32 v25, s16, v25
	v_readfirstlane_b32 s0, v27
	v_min_i32_e32 v22, s16, v22
	v_max_i32_e32 v59, v28, v56
	v_and_b32_e32 v26, 7, v0
	v_ashrrev_i32_e32 v55, 31, v25
	s_mul_f32 s0, s0, 0x4f7ffffe
	v_ashrrev_i32_e32 v58, 31, v22
	v_mul_lo_u32 v48, v16, s4
	v_cmp_lt_u32_e32 vcc_lo, 3, v26
	s_wait_alu 0xfffe
	s_cvt_u32_f32 s0, s0
	v_lshrrev_b32_e32 v55, 30, v55
	v_lshrrev_b32_e32 v56, 30, v58
	v_lshlrev_b32_e32 v26, 2, v26
	s_wait_alu 0xfffe
	s_mul_i32 s8, s8, s0
	v_mad_co_u64_u32 v[15:16], null, 0x84, v16, v[19:20]
	v_add_nc_u32_e32 v27, v25, v55
	v_ashrrev_i32_e32 v55, 31, v57
	s_mul_hi_u32 s8, s0, s8
	v_mul_lo_u32 v50, v17, s4
	s_add_co_i32 s0, s0, s8
	v_mad_co_u64_u32 v[16:17], null, 0x84, v17, v[19:20]
	s_wait_alu 0xfffe
	v_mul_hi_u32 v62, v59, s0
	v_lshrrev_b32_e32 v55, 30, v55
	v_and_b32_e32 v32, 60, v19
	v_and_b32_e32 v53, 12, v19
	v_ashrrev_i32_e32 v17, 31, v24
	v_add_nc_u32_e32 v60, v22, v56
	v_add_nc_u32_e32 v58, v57, v55
	s_ashr_i32 s6, s6, 5
	v_mul_lo_u32 v61, v62, s1
	v_add_nc_u32_e32 v64, 1, v62
	v_lshrrev_b32_e32 v17, 30, v17
	v_and_b32_e32 v58, -4, v58
	v_and_b32_e32 v27, -4, v27
	;; [unrolled: 1-line block ×3, first 2 shown]
	v_add_nc_u32_e32 v69, 32, v29
	v_add_nc_u32_e32 v17, v24, v17
	v_add3_u32 v63, v58, v26, 0x4200
	v_lshl_add_u32 v58, v18, 7, 0x56a0
	v_sub_nc_u32_e32 v18, v59, v61
	v_add_nc_u32_e32 v61, 0x5aa0, v20
	v_and_b32_e32 v59, 28, v19
	v_and_b32_e32 v17, -4, v17
	v_add_nc_u32_e32 v70, 64, v29
	v_subrev_nc_u32_e32 v20, s1, v18
	v_cmp_le_u32_e64 s0, s1, v18
	v_add_nc_u32_e32 v71, 0x60, v29
	v_bfe_u32 v31, v0, 4, 6
	v_mul_lo_u32 v51, v21, s4
	v_lshlrev_b32_e32 v21, 3, v21
	s_wait_alu 0xf1ff
	v_cndmask_b32_e64 v64, v62, v64, s0
	v_cndmask_b32_e64 v18, v18, v20, s0
	v_add_nc_u32_e32 v62, v61, v19
	v_xor_b32_e32 v19, s10, v28
	v_mul_lo_u32 v54, v24, s4
	v_add_nc_u32_e32 v20, 1, v64
	v_cmp_le_u32_e64 s0, s1, v18
	v_add3_u32 v17, v17, v26, 0x4200
	v_ashrrev_i32_e32 v19, 31, v19
	v_lshlrev_b32_e32 v24, 5, v24
	v_mul_lo_u32 v55, v25, s4
	s_wait_alu 0xf1ff
	v_cndmask_b32_e64 v18, v64, v20, s0
	v_add3_u32 v27, v27, v26, 0x4200
	v_lshlrev_b32_e32 v25, 5, v25
	v_mul_lo_u32 v56, v57, s4
	v_lshlrev_b32_e32 v76, 5, v57
	v_xor_b32_e32 v18, v18, v19
	v_mul_lo_u32 v57, v22, s4
	v_add3_u32 v26, v60, v26, 0x4200
	v_and_b32_e32 v60, 31, v0
	v_lshlrev_b32_e32 v22, 5, v22
	v_sub_nc_u32_e32 v18, v18, v19
	v_mul_u32_u24_e32 v68, 33, v29
	v_lshlrev_b32_e32 v20, 1, v29
	v_lshlrev_b32_e32 v81, 1, v69
	v_lshrrev_b32_e32 v80, 4, v69
	v_mul_lo_u32 v67, v18, s6
	v_lshlrev_b32_e32 v83, 1, v70
	v_lshrrev_b32_e32 v82, 4, v70
	v_lshlrev_b32_e32 v85, 1, v71
	v_lshrrev_b32_e32 v84, 4, v71
	v_lshrrev_b32_e32 v66, 3, v71
	v_cmp_gt_i32_e64 s0, s7, v18
	v_lshlrev_b32_e32 v72, 5, v29
	v_and_b32_e32 v73, 0xfc, v0
	v_add_co_u32 v18, s1, s2, v59
	v_and_b32_e32 v59, 0x1fc, v71
	v_and_b32_e32 v71, 0x1fc, v69
	;; [unrolled: 1-line block ×3, first 2 shown]
	s_wait_alu 0xfffd
	v_cndmask_b32_e64 v52, 0, 1, vcc_lo
	v_cmp_gt_u32_e32 vcc_lo, 4, v29
	v_lshl_add_u32 v60, v60, 2, v58
	v_lshrrev_b32_e32 v64, 3, v69
	v_lshrrev_b32_e32 v65, 3, v70
	s_wait_alu 0xf1ff
	v_add_co_ci_u32_e64 v19, null, s3, 0, s1
	v_lshlrev_b32_e32 v0, 2, v68
	v_add_nc_u32_e32 v68, v72, v73
	v_ashrrev_i32_e32 v69, 31, v67
	v_add_nc_u32_e32 v70, v72, v59
	v_add_nc_u32_e32 v71, v72, v71
	;; [unrolled: 1-line block ×8, first 2 shown]
	v_lshlrev_b32_e32 v78, 2, v31
	v_lshlrev_b32_e32 v79, 2, v20
	;; [unrolled: 1-line block ×8, first 2 shown]
	v_mov_b32_e32 v63, 0
	v_mov_b32_e32 v59, 0
	v_mov_b32_e32 v17, 0
	s_mov_b32 s17, 0
	s_and_b32 s8, vcc_lo, s0
	s_wait_alu 0xfffe
	s_mov_b32 s16, s17
	s_branch .LBB188_5
.LBB188_4:                              ;   in Loop: Header=BB188_5 Depth=1
	s_add_co_i32 s16, s16, 2
	s_wait_alu 0xfffe
	s_cmp_ge_i32 s16, s4
	s_cbranch_scc1 .LBB188_37
.LBB188_5:                              ; =>This Loop Header: Depth=1
                                        ;     Child Loop BB188_11 Depth 2
                                        ;     Child Loop BB188_19 Depth 2
	;; [unrolled: 1-line block ×4, first 2 shown]
	s_wait_alu 0xfffe
	s_mul_u64 s[18:19], s[16:17], 0x54
	s_wait_alu 0xfffe
	s_add_nc_u64 s[18:19], s[14:15], s[18:19]
	s_wait_alu 0xfffe
	v_mad_co_u64_u32 v[20:21], null, 0x54, v31, s[18:19]
	s_delay_alu instid0(VALU_DEP_1) | instskip(SKIP_3) | instid1(VALU_DEP_4)
	v_mad_co_i64_i32 v[22:23], null, 0x54, v33, v[20:21]
	v_mad_co_i64_i32 v[24:25], null, 0x54, v34, v[20:21]
	;; [unrolled: 1-line block ×4, first 2 shown]
	v_add_co_u32 v22, s1, v22, v32
	v_mad_co_i64_i32 v[88:89], null, 0x54, v37, v[20:21]
	s_wait_alu 0xf1ff
	v_add_co_ci_u32_e64 v23, null, 0, v23, s1
	v_add_co_u32 v24, s1, v24, v32
	v_mad_co_i64_i32 v[90:91], null, 0x54, v38, v[20:21]
	s_wait_alu 0xf1ff
	v_add_co_ci_u32_e64 v25, null, 0, v25, s1
	;; [unrolled: 4-line block ×4, first 2 shown]
	v_add_co_u32 v88, s1, v88, v32
	s_wait_alu 0xf1ff
	v_add_co_ci_u32_e64 v89, null, 0, v89, s1
	v_add_co_u32 v90, s1, v90, v32
	s_wait_alu 0xf1ff
	v_add_co_ci_u32_e64 v91, null, 0, v91, s1
	;; [unrolled: 3-line block ×3, first 2 shown]
	v_add_co_u32 v94, s1, v94, v32
	v_mad_co_i64_i32 v[96:97], null, 0x54, v41, v[20:21]
	s_wait_alu 0xf1ff
	v_add_co_ci_u32_e64 v95, null, 0, v95, s1
	s_clause 0x7
	global_load_b32 v104, v[22:23], off offset:16
	global_load_b32 v105, v[24:25], off offset:16
	;; [unrolled: 1-line block ×8, first 2 shown]
	v_mad_co_i64_i32 v[22:23], null, 0x54, v42, v[20:21]
	v_mad_co_i64_i32 v[26:27], null, 0x54, v43, v[20:21]
	;; [unrolled: 1-line block ×3, first 2 shown]
	v_add_co_u32 v24, s1, v96, v32
	v_mad_co_i64_i32 v[88:89], null, 0x54, v45, v[20:21]
	s_wait_alu 0xf1ff
	v_add_co_ci_u32_e64 v25, null, 0, v97, s1
	v_add_co_u32 v22, s1, v22, v32
	v_mad_co_i64_i32 v[90:91], null, 0x54, v46, v[20:21]
	s_wait_alu 0xf1ff
	v_add_co_ci_u32_e64 v23, null, 0, v23, s1
	;; [unrolled: 4-line block ×3, first 2 shown]
	v_add_co_u32 v86, s1, v86, v32
	v_mad_co_u64_u32 v[94:95], null, 0x54, v52, s[18:19]
	s_wait_alu 0xf1ff
	v_add_co_ci_u32_e64 v87, null, 0, v87, s1
	v_add_co_u32 v88, s1, v88, v32
	s_wait_alu 0xf1ff
	v_add_co_ci_u32_e64 v89, null, 0, v89, s1
	v_add_co_u32 v90, s1, v90, v32
	v_mad_co_i64_i32 v[20:21], null, 0x54, v50, v[20:21]
	s_wait_alu 0xf1ff
	v_add_co_ci_u32_e64 v91, null, 0, v91, s1
	v_add_co_u32 v92, s1, v92, v32
	v_mad_co_i64_i32 v[96:97], null, 0x54, v51, s[18:19]
	s_wait_alu 0xf1ff
	v_add_co_ci_u32_e64 v93, null, 0, v93, s1
	v_add_co_u32 v94, s1, v94, v53
	s_wait_alu 0xf1ff
	v_add_co_ci_u32_e64 v95, null, 0, v95, s1
	v_add_co_u32 v20, s1, v20, v32
	s_wait_alu 0xf1ff
	v_add_co_ci_u32_e64 v21, null, 0, v21, s1
	v_mad_co_u64_u32 v[96:97], null, 0x54, v49, v[96:97]
	v_mad_co_i64_i32 v[98:99], null, 0x54, v54, v[94:95]
	v_mad_co_i64_i32 v[100:101], null, 0x54, v55, v[94:95]
	;; [unrolled: 1-line block ×4, first 2 shown]
	s_clause 0xc
	global_load_b32 v24, v[24:25], off offset:16
	global_load_b32 v22, v[22:23], off offset:16
	;; [unrolled: 1-line block ×9, first 2 shown]
	global_load_b32 v87, v[98:99], off
	global_load_b32 v88, v[100:101], off
	;; [unrolled: 1-line block ×4, first 2 shown]
	s_lshl_b32 s18, s16, 8
	s_wait_loadcnt 0x14
	ds_store_b32 v1, v104
	s_wait_loadcnt 0x13
	ds_store_b32 v2, v105
	;; [unrolled: 2-line block ×21, first 2 shown]
	s_wait_alu 0xfffe
	s_cmp_lt_i32 s18, s5
	s_cbranch_scc0 .LBB188_4
; %bb.6:                                ;   in Loop: Header=BB188_5 Depth=1
	s_lshl_b32 s19, s16, 3
	s_wait_alu 0xfffe
	v_add_nc_u32_e32 v20, s19, v47
	s_delay_alu instid0(VALU_DEP_1)
	v_cmp_gt_i32_e64 s1, s6, v20
	s_and_b32 s20, s0, s1
	s_wait_alu 0xfffe
	s_and_saveexec_b32 s1, s20
	s_cbranch_execz .LBB188_8
; %bb.7:                                ;   in Loop: Header=BB188_5 Depth=1
	v_add_nc_u32_e32 v20, v67, v20
	s_delay_alu instid0(VALU_DEP_1)
	v_mad_co_i64_i32 v[20:21], null, v20, 36, v[18:19]
	global_load_b32 v20, v[20:21], off offset:4
	s_wait_loadcnt 0x0
	ds_store_b32 v60, v20
.LBB188_8:                              ;   in Loop: Header=BB188_5 Depth=1
	s_wait_alu 0xfffe
	s_or_b32 exec_lo, exec_lo, s1
	v_add_nc_u32_e32 v86, s19, v29
	s_delay_alu instid0(VALU_DEP_1)
	v_cmp_gt_i32_e64 s1, s6, v86
	s_and_b32 s20, s8, s1
	s_wait_alu 0xfffe
	s_and_saveexec_b32 s1, s20
	s_cbranch_execz .LBB188_10
; %bb.9:                                ;   in Loop: Header=BB188_5 Depth=1
	v_add_nc_u32_e32 v20, v67, v86
	s_delay_alu instid0(VALU_DEP_1)
	v_mad_co_i64_i32 v[20:21], null, v20, 36, s[2:3]
	global_load_b32 v20, v[20:21], off
	s_wait_loadcnt 0x0
	v_cvt_f32_f16_e32 v20, v20
	ds_store_b32 v62, v20
.LBB188_10:                             ;   in Loop: Header=BB188_5 Depth=1
	s_wait_alu 0xfffe
	s_or_b32 exec_lo, exec_lo, s1
	v_dual_mov_b32 v87, v61 :: v_dual_mov_b32 v88, v58
	s_mov_b32 s1, 0
	s_wait_dscnt 0x0
	s_barrier_signal -1
	s_barrier_wait -1
	global_inv scope:SCOPE_SE
.LBB188_11:                             ;   Parent Loop BB188_5 Depth=1
                                        ; =>  This Inner Loop Header: Depth=2
	ds_load_b128 v[20:23], v88 offset:16
	ds_load_b128 v[24:27], v88
	s_wait_alu 0xfffe
	s_and_b32 s20, s1, 0x3ffffff8
	v_add_nc_u32_e32 v88, 32, v88
	s_wait_alu 0xfffe
	v_lshl_add_u32 v119, s20, 2, v0
	s_and_b32 s20, s1, -16
	s_wait_alu 0xfffe
	s_add_co_i32 s20, s1, s20
	s_delay_alu instid0(VALU_DEP_1)
	v_add_nc_u32_e32 v126, 0x2108, v119
	v_add_nc_u32_e32 v128, 0x2110, v119
	;; [unrolled: 1-line block ×4, first 2 shown]
	s_wait_dscnt 0x1
	v_lshrrev_b16 v121, 8, v20
	s_wait_dscnt 0x0
	v_ashrrev_i32_e32 v100, 24, v24
	v_bfe_i32 v112, v25, 8, 8
	v_bfe_i32 v114, v24, 0, 8
	;; [unrolled: 1-line block ×3, first 2 shown]
	v_ashrrev_i32_e32 v111, 24, v25
	v_bfe_i32 v108, v24, 8, 8
	v_bfe_i32 v116, v25, 0, 8
	;; [unrolled: 1-line block ×3, first 2 shown]
	v_lshrrev_b16 v115, 8, v26
	v_ashrrev_i32_e32 v96, 24, v26
	v_bfe_i32 v97, v26, 16, 8
	v_bfe_i32 v118, v26, 0, 8
	v_lshrrev_b16 v117, 8, v27
	v_ashrrev_i32_e32 v89, 24, v27
	v_bfe_i32 v90, v27, 16, 8
	v_bfe_i32 v93, v27, 0, 8
	v_ashrrev_i32_e32 v105, 24, v20
	v_bfe_i32 v109, v20, 0, 8
	v_bfe_i32 v103, v20, 16, 8
	v_lshrrev_b16 v120, 8, v21
	v_ashrrev_i32_e32 v106, 24, v21
	v_bfe_i32 v110, v21, 0, 8
	v_bfe_i32 v104, v21, 16, 8
	v_ashrrev_i32_e32 v98, 24, v22
	v_bfe_i32 v99, v22, 16, 8
	v_bfe_i32 v102, v22, 0, 8
	;; [unrolled: 1-line block ×3, first 2 shown]
	v_ashrrev_i32_e32 v91, 24, v23
	v_bfe_i32 v92, v23, 16, 8
	v_bfe_i32 v95, v23, 0, 8
	v_bfe_i32 v94, v23, 8, 8
	ds_load_2addr_b32 v[26:27], v119 offset1:1
	ds_load_2addr_b32 v[22:23], v119 offset0:2 offset1:3
	ds_load_2addr_b32 v[24:25], v119 offset0:4 offset1:5
	;; [unrolled: 1-line block ×3, first 2 shown]
	v_bfe_i32 v138, v121, 0, 8
	v_bfe_i32 v142, v120, 0, 8
	;; [unrolled: 1-line block ×4, first 2 shown]
	s_wait_dscnt 0x3
	v_ashrrev_i32_e32 v27, s1, v27
	v_ashrrev_i32_e32 v139, s1, v26
	s_wait_dscnt 0x1
	v_ashrrev_i32_e32 v24, s1, v24
	v_ashrrev_i32_e32 v22, s1, v22
	;; [unrolled: 1-line block ×3, first 2 shown]
	v_and_b32_e32 v122, 3, v27
	v_bfe_u32 v123, v27, 8, 2
	v_and_b32_e32 v121, 3, v24
	v_and_b32_e32 v26, 3, v139
	;; [unrolled: 1-line block ×3, first 2 shown]
	v_mul_i32_i24_e32 v122, v122, v116
	s_wait_dscnt 0x0
	v_ashrrev_i32_e32 v20, s1, v20
	v_mul_i32_i24_e32 v121, v121, v109
	v_mul_i32_i24_e32 v26, v114, v26
	v_mul_i32_i24_e32 v25, v25, v110
	v_mad_i32_i24 v122, v123, v112, v122
	v_bfe_u32 v123, v27, 16, 2
	v_bfe_u32 v27, v27, 24, 2
	v_ashrrev_i32_e32 v23, s1, v23
	v_ashrrev_i32_e32 v21, s1, v21
	s_delay_alu instid0(VALU_DEP_4) | instskip(NEXT) | instid1(VALU_DEP_4)
	v_mul_i32_i24_e32 v123, v123, v113
	v_mul_i32_i24_e32 v27, v27, v111
	s_delay_alu instid0(VALU_DEP_1) | instskip(SKIP_1) | instid1(VALU_DEP_1)
	v_add3_u32 v27, v122, v123, v27
	v_bfe_u32 v122, v24, 8, 2
	v_mad_i32_i24 v121, v122, v138, v121
	v_bfe_u32 v122, v24, 16, 2
	v_bfe_u32 v24, v24, 24, 2
	s_delay_alu instid0(VALU_DEP_2) | instskip(NEXT) | instid1(VALU_DEP_2)
	v_mul_i32_i24_e32 v122, v122, v103
	v_mul_i32_i24_e32 v24, v24, v105
	s_delay_alu instid0(VALU_DEP_1) | instskip(SKIP_2) | instid1(VALU_DEP_2)
	v_add3_u32 v24, v121, v122, v24
	v_and_b32_e32 v121, 3, v22
	v_add_nc_u32_e32 v122, 0x1098, v119
	v_mul_i32_i24_e32 v121, v121, v118
	s_delay_alu instid0(VALU_DEP_1) | instskip(SKIP_1) | instid1(VALU_DEP_1)
	v_add3_u32 v140, v27, v121, v26
	v_bfe_u32 v26, v141, 8, 2
	v_mul_i32_i24_e32 v26, v26, v142
	s_delay_alu instid0(VALU_DEP_1)
	v_add3_u32 v143, v24, v25, v26
	v_add_nc_u32_e32 v24, 0x1080, v119
	v_add_nc_u32_e32 v26, 0x1088, v119
	ds_load_2addr_b32 v[24:25], v24 offset1:1
	ds_load_2addr_b32 v[26:27], v26 offset1:1
	s_wait_dscnt 0x1
	v_ashrrev_i32_e32 v25, s1, v25
	v_ashrrev_i32_e32 v24, s1, v24
	s_wait_dscnt 0x0
	v_ashrrev_i32_e32 v26, s1, v26
	s_delay_alu instid0(VALU_DEP_3) | instskip(SKIP_1) | instid1(VALU_DEP_2)
	v_and_b32_e32 v120, 3, v25
	v_bfe_u32 v121, v25, 8, 2
	v_mul_i32_i24_e32 v120, v120, v116
	s_delay_alu instid0(VALU_DEP_1) | instskip(SKIP_2) | instid1(VALU_DEP_2)
	v_mad_i32_i24 v120, v121, v112, v120
	v_bfe_u32 v121, v25, 16, 2
	v_bfe_u32 v25, v25, 24, 2
	v_mul_i32_i24_e32 v121, v121, v113
	s_delay_alu instid0(VALU_DEP_2) | instskip(NEXT) | instid1(VALU_DEP_1)
	v_mul_i32_i24_e32 v25, v25, v111
	v_add3_u32 v25, v120, v121, v25
	s_wait_alu 0xfffe
	v_add_nc_u32_e32 v120, s20, v71
	ds_load_u16 v144, v120 offset:17920
	v_add_nc_u32_e32 v120, 0x1090, v119
	ds_load_2addr_b32 v[120:121], v120 offset1:1
	ds_load_2addr_b32 v[122:123], v122 offset1:1
	s_wait_dscnt 0x1
	v_ashrrev_i32_e32 v120, s1, v120
	v_ashrrev_i32_e32 v121, s1, v121
	s_delay_alu instid0(VALU_DEP_2) | instskip(SKIP_1) | instid1(VALU_DEP_2)
	v_and_b32_e32 v124, 3, v120
	v_bfe_u32 v125, v120, 8, 2
	v_mul_i32_i24_e32 v124, v124, v109
	s_delay_alu instid0(VALU_DEP_1) | instskip(SKIP_2) | instid1(VALU_DEP_2)
	v_mad_i32_i24 v124, v125, v138, v124
	v_bfe_u32 v125, v120, 16, 2
	v_bfe_u32 v120, v120, 24, 2
	v_mul_i32_i24_e32 v125, v125, v103
	s_delay_alu instid0(VALU_DEP_2) | instskip(NEXT) | instid1(VALU_DEP_1)
	v_mul_i32_i24_e32 v120, v120, v105
	v_add3_u32 v145, v124, v125, v120
	v_add_nc_u32_e32 v120, 0x2100, v119
	ds_load_2addr_b32 v[124:125], v120 offset1:1
	ds_load_2addr_b32 v[126:127], v126 offset1:1
	;; [unrolled: 1-line block ×4, first 2 shown]
	s_wait_dscnt 0x3
	v_ashrrev_i32_e32 v120, s1, v125
	v_ashrrev_i32_e32 v124, s1, v124
	s_wait_dscnt 0x2
	v_ashrrev_i32_e32 v126, s1, v126
	s_wait_dscnt 0x1
	v_ashrrev_i32_e32 v129, s1, v129
	v_and_b32_e32 v125, 3, v120
	v_bfe_u32 v132, v120, 8, 2
	s_delay_alu instid0(VALU_DEP_2) | instskip(NEXT) | instid1(VALU_DEP_1)
	v_mul_i32_i24_e32 v125, v125, v116
	v_mad_i32_i24 v125, v132, v112, v125
	v_bfe_u32 v132, v120, 16, 2
	v_bfe_u32 v120, v120, 24, 2
	s_delay_alu instid0(VALU_DEP_2) | instskip(NEXT) | instid1(VALU_DEP_2)
	v_mul_i32_i24_e32 v132, v132, v113
	v_mul_i32_i24_e32 v120, v120, v111
	s_delay_alu instid0(VALU_DEP_1) | instskip(SKIP_1) | instid1(VALU_DEP_1)
	v_add3_u32 v125, v125, v132, v120
	v_ashrrev_i32_e32 v120, s1, v128
	v_and_b32_e32 v128, 3, v120
	v_bfe_u32 v132, v120, 8, 2
	s_delay_alu instid0(VALU_DEP_2) | instskip(NEXT) | instid1(VALU_DEP_1)
	v_mul_i32_i24_e32 v128, v128, v109
	v_mad_i32_i24 v128, v132, v138, v128
	v_bfe_u32 v132, v120, 16, 2
	v_bfe_u32 v120, v120, 24, 2
	s_delay_alu instid0(VALU_DEP_2) | instskip(NEXT) | instid1(VALU_DEP_2)
	v_mul_i32_i24_e32 v132, v132, v103
	v_mul_i32_i24_e32 v120, v120, v105
	s_delay_alu instid0(VALU_DEP_1)
	v_add3_u32 v128, v128, v132, v120
	v_add_nc_u32_e32 v120, 0x3180, v119
	ds_load_2addr_b32 v[132:133], v120 offset1:1
	ds_load_2addr_b32 v[134:135], v134 offset1:1
	s_wait_dscnt 0x1
	v_ashrrev_i32_e32 v120, s1, v133
	v_ashrrev_i32_e32 v132, s1, v132
	s_wait_dscnt 0x0
	v_ashrrev_i32_e32 v134, s1, v134
	s_delay_alu instid0(VALU_DEP_3) | instskip(SKIP_1) | instid1(VALU_DEP_2)
	v_and_b32_e32 v133, 3, v120
	v_bfe_u32 v136, v120, 8, 2
	v_mul_i32_i24_e32 v133, v133, v116
	s_delay_alu instid0(VALU_DEP_1) | instskip(SKIP_3) | instid1(VALU_DEP_3)
	v_mad_i32_i24 v133, v136, v112, v133
	v_bfe_u32 v136, v120, 16, 2
	v_bfe_u32 v120, v120, 24, 2
	v_add_nc_u32_e32 v112, v108, v112
	v_mul_i32_i24_e32 v136, v136, v113
	s_delay_alu instid0(VALU_DEP_3) | instskip(NEXT) | instid1(VALU_DEP_3)
	v_mul_i32_i24_e32 v120, v120, v111
	v_add3_u32 v112, v112, v115, v117
	v_add_nc_u32_e32 v111, v111, v100
	v_add_nc_u32_e32 v113, v113, v107
	s_delay_alu instid0(VALU_DEP_4)
	v_add3_u32 v133, v133, v136, v120
	v_add_nc_u32_e32 v120, 0x3190, v119
	v_add_nc_u32_e32 v136, 0x3198, v119
	;; [unrolled: 1-line block ×3, first 2 shown]
	ds_load_u16 v146, v119 offset:19968
	ds_load_2addr_b32 v[119:120], v120 offset1:1
	ds_load_2addr_b32 v[136:137], v136 offset1:1
	v_add3_u32 v111, v111, v96, v89
	v_add3_u32 v113, v113, v97, v90
	s_wait_dscnt 0x1
	v_ashrrev_i32_e32 v119, s1, v119
	v_ashrrev_i32_e32 v120, s1, v120
	s_delay_alu instid0(VALU_DEP_2) | instskip(SKIP_1) | instid1(VALU_DEP_2)
	v_and_b32_e32 v147, 3, v119
	v_bfe_u32 v148, v119, 8, 2
	v_mul_i32_i24_e32 v147, v147, v109
	v_add_nc_u32_e32 v109, v110, v109
	s_delay_alu instid0(VALU_DEP_2) | instskip(SKIP_2) | instid1(VALU_DEP_4)
	v_mad_i32_i24 v147, v148, v138, v147
	v_bfe_u32 v148, v119, 16, 2
	v_bfe_u32 v119, v119, 24, 2
	v_add3_u32 v109, v109, v102, v95
	s_delay_alu instid0(VALU_DEP_3) | instskip(NEXT) | instid1(VALU_DEP_3)
	v_mul_i32_i24_e32 v148, v148, v103
	v_mul_i32_i24_e32 v119, v119, v105
	v_add_nc_u32_e32 v105, v106, v105
	v_add_nc_u32_e32 v103, v104, v103
	s_delay_alu instid0(VALU_DEP_3)
	v_add3_u32 v119, v147, v148, v119
	v_bfe_u32 v147, v139, 8, 2
	v_bfe_u32 v148, v139, 16, 2
	v_bfe_u32 v139, v139, 24, 2
	v_add3_u32 v105, v105, v98, v91
	v_add3_u32 v103, v103, v99, v92
	v_mul_i32_i24_e32 v147, v108, v147
	v_mul_i32_i24_e32 v148, v107, v148
	;; [unrolled: 1-line block ×3, first 2 shown]
	s_delay_alu instid0(VALU_DEP_2) | instskip(SKIP_2) | instid1(VALU_DEP_2)
	v_add3_u32 v140, v140, v147, v148
	v_bfe_u32 v147, v141, 16, 2
	v_bfe_u32 v141, v141, 24, 2
	v_mul_i32_i24_e32 v147, v147, v104
	s_delay_alu instid0(VALU_DEP_2) | instskip(NEXT) | instid1(VALU_DEP_1)
	v_mul_i32_i24_e32 v141, v141, v106
	v_add3_u32 v141, v143, v147, v141
	v_and_b32_e32 v143, 3, v24
	v_and_b32_e32 v147, 3, v26
	s_delay_alu instid0(VALU_DEP_2) | instskip(NEXT) | instid1(VALU_DEP_2)
	v_mul_i32_i24_e32 v143, v114, v143
	v_mul_i32_i24_e32 v147, v147, v118
	s_delay_alu instid0(VALU_DEP_1) | instskip(SKIP_2) | instid1(VALU_DEP_2)
	v_add3_u32 v25, v25, v147, v143
	v_and_b32_e32 v143, 3, v121
	v_bfe_u32 v147, v121, 8, 2
	v_mul_i32_i24_e32 v143, v143, v110
	s_delay_alu instid0(VALU_DEP_2) | instskip(NEXT) | instid1(VALU_DEP_1)
	v_mul_i32_i24_e32 v147, v147, v142
	v_add3_u32 v143, v145, v143, v147
	v_and_b32_e32 v145, 3, v124
	v_and_b32_e32 v147, 3, v126
	s_delay_alu instid0(VALU_DEP_2) | instskip(NEXT) | instid1(VALU_DEP_2)
	v_mul_i32_i24_e32 v145, v114, v145
	v_mul_i32_i24_e32 v147, v147, v118
	s_delay_alu instid0(VALU_DEP_1) | instskip(SKIP_2) | instid1(VALU_DEP_2)
	v_add3_u32 v125, v125, v147, v145
	v_and_b32_e32 v145, 3, v129
	v_bfe_u32 v147, v129, 8, 2
	v_mul_i32_i24_e32 v145, v145, v110
	s_delay_alu instid0(VALU_DEP_2) | instskip(NEXT) | instid1(VALU_DEP_1)
	v_mul_i32_i24_e32 v147, v147, v142
	v_add3_u32 v128, v128, v145, v147
	v_and_b32_e32 v145, 3, v132
	v_and_b32_e32 v147, 3, v134
	s_delay_alu instid0(VALU_DEP_2) | instskip(SKIP_2) | instid1(VALU_DEP_4)
	v_mul_i32_i24_e32 v145, v114, v145
	v_add_nc_u32_e32 v114, v116, v114
	v_add_nc_u32_e32 v116, 0x4200, v68
	v_mul_i32_i24_e32 v147, v147, v118
	s_delay_alu instid0(VALU_DEP_3) | instskip(NEXT) | instid1(VALU_DEP_3)
	v_add3_u32 v114, v114, v118, v93
	v_add_nc_u32_e32 v116, s20, v116
	s_delay_alu instid0(VALU_DEP_3)
	v_add3_u32 v133, v133, v147, v145
	v_and_b32_e32 v145, 3, v120
	v_bfe_u32 v147, v120, 8, 2
	ds_load_u16 v116, v116
	v_mul_i32_i24_e32 v145, v145, v110
	v_mul_i32_i24_e32 v147, v147, v142
	v_add_nc_u32_e32 v110, v142, v138
	s_delay_alu instid0(VALU_DEP_2) | instskip(NEXT) | instid1(VALU_DEP_2)
	v_add3_u32 v119, v119, v145, v147
	v_add3_u32 v110, v110, v101, v94
	s_wait_dscnt 0x0
	v_bfe_u32 v118, v116, 4, 4
	s_delay_alu instid0(VALU_DEP_1) | instskip(NEXT) | instid1(VALU_DEP_1)
	v_mul_lo_u32 v118, 0x1010101, v118
	v_bfe_i32 v145, v118, 0, 8
	v_bfe_i32 v147, v118, 8, 8
	s_delay_alu instid0(VALU_DEP_2) | instskip(NEXT) | instid1(VALU_DEP_1)
	v_mul_i32_i24_e32 v145, v114, v145
	v_mad_i32_i24 v145, v112, v147, v145
	v_lshrrev_b32_e32 v147, 24, v118
	v_bfe_i32 v118, v118, 16, 8
	s_delay_alu instid0(VALU_DEP_2) | instskip(NEXT) | instid1(VALU_DEP_2)
	v_mul_i32_i24_e32 v147, v111, v147
	v_mul_i32_i24_e32 v118, v113, v118
	s_delay_alu instid0(VALU_DEP_1) | instskip(SKIP_1) | instid1(VALU_DEP_1)
	v_add3_u32 v118, v145, v118, v147
	v_bfe_u32 v145, v144, 4, 4
	v_mul_lo_u32 v145, 0x1010101, v145
	s_delay_alu instid0(VALU_DEP_1) | instskip(SKIP_1) | instid1(VALU_DEP_2)
	v_bfe_i32 v147, v145, 0, 8
	v_bfe_i32 v148, v145, 8, 8
	v_mul_i32_i24_e32 v147, v114, v147
	s_delay_alu instid0(VALU_DEP_1) | instskip(SKIP_2) | instid1(VALU_DEP_2)
	v_mad_i32_i24 v147, v112, v148, v147
	v_lshrrev_b32_e32 v148, 24, v145
	v_bfe_i32 v145, v145, 16, 8
	v_mul_i32_i24_e32 v148, v111, v148
	s_delay_alu instid0(VALU_DEP_2) | instskip(NEXT) | instid1(VALU_DEP_1)
	v_mul_i32_i24_e32 v145, v113, v145
	v_add3_u32 v145, v147, v145, v148
	v_add_nc_u32_e32 v147, s20, v72
	s_lshr_b32 s20, s1, 2
	s_wait_alu 0xfffe
	s_and_b32 s20, s20, 0x3ffffffc
	ds_load_u16 v147, v147 offset:18944
	s_wait_alu 0xfffe
	s_addk_co_i32 s20, 0x5280
	s_wait_dscnt 0x0
	v_bfe_u32 v148, v147, 4, 4
	s_delay_alu instid0(VALU_DEP_1) | instskip(NEXT) | instid1(VALU_DEP_1)
	v_mul_lo_u32 v148, 0x1010101, v148
	v_bfe_i32 v149, v148, 0, 8
	v_bfe_i32 v150, v148, 8, 8
	s_delay_alu instid0(VALU_DEP_2) | instskip(NEXT) | instid1(VALU_DEP_1)
	v_mul_i32_i24_e32 v149, v114, v149
	v_mad_i32_i24 v149, v112, v150, v149
	v_lshrrev_b32_e32 v150, 24, v148
	v_bfe_i32 v148, v148, 16, 8
	s_delay_alu instid0(VALU_DEP_2) | instskip(NEXT) | instid1(VALU_DEP_2)
	v_mul_i32_i24_e32 v150, v111, v150
	v_mul_i32_i24_e32 v148, v113, v148
	s_delay_alu instid0(VALU_DEP_1) | instskip(SKIP_1) | instid1(VALU_DEP_1)
	v_add3_u32 v148, v149, v148, v150
	v_bfe_u32 v149, v22, 8, 2
	v_mul_i32_i24_e32 v149, v149, v115
	s_delay_alu instid0(VALU_DEP_1) | instskip(SKIP_2) | instid1(VALU_DEP_2)
	v_add3_u32 v139, v140, v139, v149
	v_and_b32_e32 v140, 3, v20
	v_bfe_u32 v149, v20, 8, 2
	v_mul_i32_i24_e32 v140, v140, v102
	s_delay_alu instid0(VALU_DEP_2) | instskip(NEXT) | instid1(VALU_DEP_1)
	v_mul_i32_i24_e32 v149, v149, v101
	v_add3_u32 v140, v141, v140, v149
	v_bfe_u32 v141, v24, 8, 2
	v_bfe_u32 v149, v24, 16, 2
	v_bfe_u32 v24, v24, 24, 2
	s_delay_alu instid0(VALU_DEP_3) | instskip(NEXT) | instid1(VALU_DEP_3)
	v_mul_i32_i24_e32 v141, v108, v141
	v_mul_i32_i24_e32 v149, v107, v149
	s_delay_alu instid0(VALU_DEP_3) | instskip(NEXT) | instid1(VALU_DEP_2)
	v_mul_i32_i24_e32 v24, v100, v24
	v_add3_u32 v25, v25, v141, v149
	v_bfe_u32 v141, v121, 16, 2
	v_bfe_u32 v121, v121, 24, 2
	s_delay_alu instid0(VALU_DEP_2) | instskip(NEXT) | instid1(VALU_DEP_2)
	v_mul_i32_i24_e32 v141, v141, v104
	v_mul_i32_i24_e32 v121, v121, v106
	s_delay_alu instid0(VALU_DEP_1) | instskip(SKIP_2) | instid1(VALU_DEP_2)
	v_add3_u32 v121, v143, v141, v121
	v_bfe_u32 v141, v124, 8, 2
	v_bfe_u32 v143, v124, 16, 2
	v_mul_i32_i24_e32 v141, v108, v141
	s_delay_alu instid0(VALU_DEP_2) | instskip(NEXT) | instid1(VALU_DEP_1)
	v_mul_i32_i24_e32 v143, v107, v143
	v_add3_u32 v125, v125, v141, v143
	v_bfe_u32 v141, v129, 16, 2
	v_bfe_u32 v129, v129, 24, 2
	s_delay_alu instid0(VALU_DEP_2) | instskip(NEXT) | instid1(VALU_DEP_2)
	v_mul_i32_i24_e32 v141, v141, v104
	v_mul_i32_i24_e32 v129, v129, v106
	s_delay_alu instid0(VALU_DEP_1) | instskip(SKIP_1) | instid1(VALU_DEP_1)
	v_add3_u32 v128, v128, v141, v129
	v_bfe_u32 v129, v132, 8, 2
	v_mul_i32_i24_e32 v108, v108, v129
	v_bfe_u32 v129, v132, 16, 2
	s_delay_alu instid0(VALU_DEP_1) | instskip(NEXT) | instid1(VALU_DEP_1)
	v_mul_i32_i24_e32 v107, v107, v129
	v_add3_u32 v107, v133, v108, v107
	v_bfe_u32 v108, v120, 16, 2
	v_bfe_u32 v120, v120, 24, 2
	s_delay_alu instid0(VALU_DEP_2) | instskip(NEXT) | instid1(VALU_DEP_2)
	v_mul_i32_i24_e32 v108, v108, v104
	v_mul_i32_i24_e32 v120, v120, v106
	v_lshrrev_b16 v106, 8, v146
	s_delay_alu instid0(VALU_DEP_2) | instskip(SKIP_1) | instid1(VALU_DEP_3)
	v_add3_u32 v108, v119, v108, v120
	v_lshrrev_b16 v119, 8, v116
	v_and_b32_e32 v106, 0xffff, v106
	s_delay_alu instid0(VALU_DEP_2) | instskip(NEXT) | instid1(VALU_DEP_1)
	v_and_b32_e32 v119, 0xffff, v119
	v_lshrrev_b32_e32 v120, 4, v119
	s_delay_alu instid0(VALU_DEP_1) | instskip(NEXT) | instid1(VALU_DEP_1)
	v_mul_lo_u32 v120, 0x1010101, v120
	v_bfe_i32 v129, v120, 0, 8
	v_bfe_i32 v133, v120, 8, 8
	s_delay_alu instid0(VALU_DEP_2) | instskip(NEXT) | instid1(VALU_DEP_2)
	v_mul_i32_i24_e32 v129, v109, v129
	v_mul_i32_i24_e32 v133, v110, v133
	s_delay_alu instid0(VALU_DEP_1) | instskip(SKIP_1) | instid1(VALU_DEP_1)
	v_add3_u32 v118, v118, v129, v133
	v_lshrrev_b16 v129, 8, v144
	v_and_b32_e32 v129, 0xffff, v129
	s_delay_alu instid0(VALU_DEP_1) | instskip(NEXT) | instid1(VALU_DEP_1)
	v_lshrrev_b32_e32 v133, 4, v129
	v_mul_lo_u32 v133, 0x1010101, v133
	s_delay_alu instid0(VALU_DEP_1) | instskip(SKIP_1) | instid1(VALU_DEP_2)
	v_bfe_i32 v138, v133, 0, 8
	v_bfe_i32 v141, v133, 8, 8
	v_mul_i32_i24_e32 v138, v109, v138
	s_delay_alu instid0(VALU_DEP_2) | instskip(NEXT) | instid1(VALU_DEP_1)
	v_mul_i32_i24_e32 v141, v110, v141
	v_add3_u32 v138, v145, v138, v141
	v_lshrrev_b16 v141, 8, v147
	s_delay_alu instid0(VALU_DEP_1) | instskip(NEXT) | instid1(VALU_DEP_1)
	v_and_b32_e32 v141, 0xffff, v141
	v_lshrrev_b32_e32 v142, 4, v141
	s_delay_alu instid0(VALU_DEP_1) | instskip(NEXT) | instid1(VALU_DEP_1)
	v_mul_lo_u32 v142, 0x1010101, v142
	v_bfe_i32 v143, v142, 0, 8
	v_bfe_i32 v145, v142, 8, 8
	s_delay_alu instid0(VALU_DEP_2) | instskip(NEXT) | instid1(VALU_DEP_2)
	v_mul_i32_i24_e32 v143, v109, v143
	v_mul_i32_i24_e32 v145, v110, v145
	s_delay_alu instid0(VALU_DEP_1) | instskip(SKIP_2) | instid1(VALU_DEP_2)
	v_add3_u32 v143, v148, v143, v145
	v_lshrrev_b32_e32 v148, 4, v106
	v_bfe_u32 v145, v146, 4, 4
	v_mul_lo_u32 v148, 0x1010101, v148
	s_delay_alu instid0(VALU_DEP_2) | instskip(NEXT) | instid1(VALU_DEP_2)
	v_mul_lo_u32 v145, 0x1010101, v145
	v_lshrrev_b32_e32 v149, 24, v148
	s_delay_alu instid0(VALU_DEP_2) | instskip(SKIP_1) | instid1(VALU_DEP_3)
	v_lshrrev_b32_e32 v150, 24, v145
	v_bfe_i32 v104, v148, 16, 8
	v_mul_i32_i24_e32 v149, v105, v149
	s_delay_alu instid0(VALU_DEP_2) | instskip(NEXT) | instid1(VALU_DEP_2)
	v_mul_i32_i24_e32 v104, v103, v104
	v_mad_i32_i24 v111, v111, v150, v149
	v_bfe_i32 v149, v145, 16, 8
	s_delay_alu instid0(VALU_DEP_1) | instskip(SKIP_1) | instid1(VALU_DEP_1)
	v_mad_i32_i24 v104, v113, v149, v104
	v_bfe_i32 v113, v148, 0, 8
	v_mul_i32_i24_e32 v109, v109, v113
	v_bfe_i32 v113, v145, 0, 8
	s_delay_alu instid0(VALU_DEP_1) | instskip(SKIP_2) | instid1(VALU_DEP_2)
	v_mad_i32_i24 v109, v114, v113, v109
	v_bfe_u32 v113, v22, 16, 2
	v_bfe_u32 v22, v22, 24, 2
	v_mul_i32_i24_e32 v113, v113, v97
	s_delay_alu instid0(VALU_DEP_2) | instskip(NEXT) | instid1(VALU_DEP_1)
	v_mul_i32_i24_e32 v22, v22, v96
	v_add3_u32 v22, v139, v113, v22
	v_bfe_u32 v113, v20, 16, 2
	v_bfe_u32 v20, v20, 24, 2
	s_delay_alu instid0(VALU_DEP_2) | instskip(NEXT) | instid1(VALU_DEP_2)
	v_mul_i32_i24_e32 v113, v113, v99
	v_mul_i32_i24_e32 v20, v20, v98
	s_delay_alu instid0(VALU_DEP_1) | instskip(SKIP_1) | instid1(VALU_DEP_1)
	v_add3_u32 v20, v140, v113, v20
	v_bfe_u32 v113, v26, 8, 2
	v_mul_i32_i24_e32 v113, v113, v115
	s_delay_alu instid0(VALU_DEP_1) | instskip(SKIP_1) | instid1(VALU_DEP_1)
	v_add3_u32 v24, v25, v24, v113
	v_ashrrev_i32_e32 v25, s1, v122
	v_and_b32_e32 v113, 3, v25
	v_bfe_u32 v114, v25, 8, 2
	s_delay_alu instid0(VALU_DEP_2) | instskip(NEXT) | instid1(VALU_DEP_2)
	v_mul_i32_i24_e32 v113, v113, v102
	v_mul_i32_i24_e32 v114, v114, v101
	s_delay_alu instid0(VALU_DEP_1) | instskip(SKIP_2) | instid1(VALU_DEP_2)
	v_add3_u32 v113, v121, v113, v114
	v_bfe_u32 v114, v124, 24, 2
	v_bfe_u32 v121, v126, 8, 2
	v_mul_i32_i24_e32 v114, v100, v114
	s_delay_alu instid0(VALU_DEP_2) | instskip(NEXT) | instid1(VALU_DEP_1)
	v_mul_i32_i24_e32 v121, v121, v115
	v_add3_u32 v114, v125, v114, v121
	v_ashrrev_i32_e32 v121, s1, v130
	s_delay_alu instid0(VALU_DEP_1) | instskip(SKIP_1) | instid1(VALU_DEP_2)
	v_and_b32_e32 v122, 3, v121
	v_bfe_u32 v124, v121, 8, 2
	v_mul_i32_i24_e32 v122, v122, v102
	s_delay_alu instid0(VALU_DEP_2) | instskip(NEXT) | instid1(VALU_DEP_1)
	v_mul_i32_i24_e32 v124, v124, v101
	v_add3_u32 v122, v128, v122, v124
	v_bfe_u32 v124, v132, 24, 2
	s_delay_alu instid0(VALU_DEP_1) | instskip(SKIP_1) | instid1(VALU_DEP_1)
	v_mul_i32_i24_e32 v100, v100, v124
	v_bfe_u32 v124, v134, 8, 2
	v_mul_i32_i24_e32 v115, v124, v115
	s_delay_alu instid0(VALU_DEP_1) | instskip(SKIP_1) | instid1(VALU_DEP_1)
	v_add3_u32 v100, v107, v100, v115
	v_ashrrev_i32_e32 v107, s1, v136
	v_and_b32_e32 v115, 3, v107
	s_delay_alu instid0(VALU_DEP_1) | instskip(SKIP_1) | instid1(VALU_DEP_1)
	v_mul_i32_i24_e32 v102, v115, v102
	v_bfe_u32 v115, v107, 8, 2
	v_mul_i32_i24_e32 v101, v115, v101
	v_lshrrev_b32_e32 v115, 24, v133
	s_delay_alu instid0(VALU_DEP_2) | instskip(SKIP_2) | instid1(VALU_DEP_4)
	v_add3_u32 v101, v108, v102, v101
	v_bfe_i32 v102, v120, 16, 8
	v_lshrrev_b32_e32 v108, 24, v120
	v_mul_i32_i24_e32 v115, v105, v115
	s_delay_alu instid0(VALU_DEP_3) | instskip(NEXT) | instid1(VALU_DEP_3)
	v_mul_i32_i24_e32 v102, v103, v102
	v_mul_i32_i24_e32 v108, v105, v108
	s_delay_alu instid0(VALU_DEP_1) | instskip(SKIP_1) | instid1(VALU_DEP_1)
	v_add3_u32 v102, v118, v102, v108
	v_bfe_i32 v108, v133, 16, 8
	v_mul_i32_i24_e32 v108, v103, v108
	s_delay_alu instid0(VALU_DEP_1) | instskip(SKIP_1) | instid1(VALU_DEP_1)
	v_add3_u32 v108, v138, v108, v115
	v_bfe_i32 v115, v142, 16, 8
	v_mul_i32_i24_e32 v103, v103, v115
	v_lshrrev_b32_e32 v115, 24, v142
	s_delay_alu instid0(VALU_DEP_1) | instskip(NEXT) | instid1(VALU_DEP_1)
	v_mul_i32_i24_e32 v105, v105, v115
	v_add3_u32 v103, v143, v103, v105
	v_lshrrev_b16 v105, 8, v145
	s_delay_alu instid0(VALU_DEP_1) | instskip(NEXT) | instid1(VALU_DEP_1)
	v_bfe_i32 v105, v105, 0, 8
	v_mul_i32_i24_e32 v105, v112, v105
	v_bfe_i32 v112, v148, 8, 8
	s_delay_alu instid0(VALU_DEP_1) | instskip(NEXT) | instid1(VALU_DEP_1)
	v_mul_i32_i24_e32 v110, v110, v112
	v_add3_u32 v105, v105, v110, v111
	v_and_b32_e32 v110, 3, v23
	v_bfe_u32 v111, v23, 8, 2
	s_delay_alu instid0(VALU_DEP_2) | instskip(NEXT) | instid1(VALU_DEP_2)
	v_mul_i32_i24_e32 v110, v110, v93
	v_mul_i32_i24_e32 v111, v111, v117
	s_delay_alu instid0(VALU_DEP_1) | instskip(SKIP_2) | instid1(VALU_DEP_2)
	v_add3_u32 v22, v22, v110, v111
	v_and_b32_e32 v110, 3, v21
	v_bfe_u32 v111, v21, 8, 2
	v_mul_i32_i24_e32 v110, v110, v95
	s_delay_alu instid0(VALU_DEP_2) | instskip(NEXT) | instid1(VALU_DEP_1)
	v_mul_i32_i24_e32 v111, v111, v94
	v_add3_u32 v20, v20, v110, v111
	v_bfe_u32 v110, v26, 16, 2
	v_bfe_u32 v26, v26, 24, 2
	;; [unrolled: 1-line block ×3, first 2 shown]
	s_delay_alu instid0(VALU_DEP_3) | instskip(NEXT) | instid1(VALU_DEP_3)
	v_mul_i32_i24_e32 v110, v110, v97
	v_mul_i32_i24_e32 v26, v26, v96
	s_delay_alu instid0(VALU_DEP_3) | instskip(NEXT) | instid1(VALU_DEP_2)
	v_mul_i32_i24_e32 v111, v111, v98
	v_add3_u32 v24, v24, v110, v26
	v_bfe_u32 v26, v25, 16, 2
	v_bfe_u32 v25, v25, 24, 2
	;; [unrolled: 1-line block ×3, first 2 shown]
	s_delay_alu instid0(VALU_DEP_3) | instskip(NEXT) | instid1(VALU_DEP_3)
	v_mul_i32_i24_e32 v26, v26, v99
	v_mul_i32_i24_e32 v25, v25, v98
	s_delay_alu instid0(VALU_DEP_3) | instskip(NEXT) | instid1(VALU_DEP_2)
	v_mul_i32_i24_e32 v110, v110, v96
	v_add3_u32 v25, v113, v26, v25
	v_bfe_u32 v26, v126, 16, 2
	s_delay_alu instid0(VALU_DEP_1) | instskip(NEXT) | instid1(VALU_DEP_1)
	v_mul_i32_i24_e32 v26, v26, v97
	v_add3_u32 v26, v114, v26, v110
	v_bfe_u32 v110, v121, 16, 2
	s_delay_alu instid0(VALU_DEP_1) | instskip(NEXT) | instid1(VALU_DEP_1)
	v_mul_i32_i24_e32 v110, v110, v99
	v_add3_u32 v110, v122, v110, v111
	v_bfe_u32 v111, v134, 16, 2
	s_delay_alu instid0(VALU_DEP_1) | instskip(SKIP_1) | instid1(VALU_DEP_1)
	v_mul_i32_i24_e32 v97, v111, v97
	v_bfe_u32 v111, v134, 24, 2
	v_mul_i32_i24_e32 v96, v111, v96
	s_delay_alu instid0(VALU_DEP_1) | instskip(SKIP_1) | instid1(VALU_DEP_1)
	v_add3_u32 v96, v100, v97, v96
	v_bfe_u32 v97, v107, 16, 2
	v_mul_i32_i24_e32 v97, v97, v99
	v_bfe_u32 v99, v107, 24, 2
	s_delay_alu instid0(VALU_DEP_1) | instskip(SKIP_2) | instid1(VALU_DEP_3)
	v_mul_i32_i24_e32 v98, v99, v98
	v_bfe_u32 v99, v23, 16, 2
	v_bfe_u32 v23, v23, 24, 2
	v_add3_u32 v97, v101, v97, v98
	s_delay_alu instid0(VALU_DEP_3) | instskip(NEXT) | instid1(VALU_DEP_3)
	v_mul_i32_i24_e32 v99, v99, v90
	v_mul_i32_i24_e32 v23, v23, v89
	v_add3_u32 v98, v109, v104, v105
	s_delay_alu instid0(VALU_DEP_2) | instskip(SKIP_2) | instid1(VALU_DEP_4)
	v_add3_u32 v22, v22, v99, v23
	v_bfe_u32 v23, v21, 16, 2
	v_bfe_u32 v21, v21, 24, 2
	v_cvt_f32_i32_e32 v98, v98
	s_delay_alu instid0(VALU_DEP_3) | instskip(NEXT) | instid1(VALU_DEP_3)
	v_mul_i32_i24_e32 v23, v23, v92
	v_mul_i32_i24_e32 v21, v21, v91
	s_delay_alu instid0(VALU_DEP_1) | instskip(SKIP_1) | instid1(VALU_DEP_1)
	v_add3_u32 v21, v20, v23, v21
	v_ashrrev_i32_e32 v20, s1, v27
	v_and_b32_e32 v23, 3, v20
	v_bfe_u32 v27, v20, 8, 2
	s_delay_alu instid0(VALU_DEP_2) | instskip(NEXT) | instid1(VALU_DEP_2)
	v_mul_i32_i24_e32 v23, v23, v93
	v_mul_i32_i24_e32 v27, v27, v117
	s_delay_alu instid0(VALU_DEP_1) | instskip(SKIP_1) | instid1(VALU_DEP_1)
	v_add3_u32 v23, v24, v23, v27
	v_ashrrev_i32_e32 v24, s1, v123
	v_and_b32_e32 v27, 3, v24
	v_bfe_u32 v99, v24, 8, 2
	s_delay_alu instid0(VALU_DEP_2) | instskip(NEXT) | instid1(VALU_DEP_2)
	v_mul_i32_i24_e32 v27, v27, v95
	v_mul_i32_i24_e32 v99, v99, v94
	s_delay_alu instid0(VALU_DEP_1) | instskip(SKIP_1) | instid1(VALU_DEP_1)
	v_add3_u32 v25, v25, v27, v99
	v_ashrrev_i32_e32 v27, s1, v127
	v_and_b32_e32 v99, 3, v27
	v_bfe_u32 v100, v27, 8, 2
	s_delay_alu instid0(VALU_DEP_2) | instskip(NEXT) | instid1(VALU_DEP_2)
	v_mul_i32_i24_e32 v99, v99, v93
	v_mul_i32_i24_e32 v100, v100, v117
	s_delay_alu instid0(VALU_DEP_1) | instskip(SKIP_1) | instid1(VALU_DEP_1)
	v_add3_u32 v26, v26, v99, v100
	v_ashrrev_i32_e32 v99, s1, v131
	v_and_b32_e32 v100, 3, v99
	v_bfe_u32 v101, v99, 8, 2
	s_delay_alu instid0(VALU_DEP_2) | instskip(NEXT) | instid1(VALU_DEP_2)
	v_mul_i32_i24_e32 v100, v100, v95
	v_mul_i32_i24_e32 v101, v101, v94
	s_delay_alu instid0(VALU_DEP_1) | instskip(SKIP_1) | instid1(VALU_DEP_1)
	v_add3_u32 v100, v110, v100, v101
	v_ashrrev_i32_e32 v101, s1, v135
	v_and_b32_e32 v104, 3, v101
	s_delay_alu instid0(VALU_DEP_1) | instskip(SKIP_1) | instid1(VALU_DEP_1)
	v_mul_i32_i24_e32 v93, v104, v93
	v_bfe_u32 v104, v101, 8, 2
	v_mul_i32_i24_e32 v104, v104, v117
	s_delay_alu instid0(VALU_DEP_1) | instskip(SKIP_1) | instid1(VALU_DEP_1)
	v_add3_u32 v93, v96, v93, v104
	v_ashrrev_i32_e32 v96, s1, v137
	v_and_b32_e32 v104, 3, v96
	s_delay_alu instid0(VALU_DEP_1) | instskip(SKIP_1) | instid1(VALU_DEP_1)
	v_mul_i32_i24_e32 v95, v104, v95
	v_bfe_u32 v104, v96, 8, 2
	v_mul_i32_i24_e32 v94, v104, v94
	s_delay_alu instid0(VALU_DEP_1) | instskip(SKIP_3) | instid1(VALU_DEP_3)
	v_add3_u32 v94, v97, v95, v94
	v_bfe_u32 v95, v20, 16, 2
	v_bfe_u32 v20, v20, 24, 2
	v_and_b32_e32 v97, 15, v146
	v_mul_i32_i24_e32 v95, v95, v90
	s_delay_alu instid0(VALU_DEP_3) | instskip(NEXT) | instid1(VALU_DEP_1)
	v_mul_i32_i24_e32 v20, v20, v89
	v_add3_u32 v23, v23, v95, v20
	v_bfe_u32 v20, v24, 16, 2
	v_bfe_u32 v24, v24, 24, 2
	s_delay_alu instid0(VALU_DEP_2) | instskip(NEXT) | instid1(VALU_DEP_2)
	v_mul_i32_i24_e32 v20, v20, v92
	v_mul_i32_i24_e32 v24, v24, v91
	s_delay_alu instid0(VALU_DEP_1) | instskip(SKIP_3) | instid1(VALU_DEP_3)
	v_add3_u32 v24, v25, v20, v24
	v_bfe_u32 v20, v27, 16, 2
	v_bfe_u32 v25, v27, 24, 2
	;; [unrolled: 1-line block ×3, first 2 shown]
	v_mul_i32_i24_e32 v20, v20, v90
	s_delay_alu instid0(VALU_DEP_3) | instskip(NEXT) | instid1(VALU_DEP_3)
	v_mul_i32_i24_e32 v25, v25, v89
	v_mul_i32_i24_e32 v27, v27, v89
	s_wait_alu 0xfffe
	v_add3_u32 v89, s20, v82, v83
	s_delay_alu instid0(VALU_DEP_3) | instskip(SKIP_3) | instid1(VALU_DEP_3)
	v_add3_u32 v25, v26, v20, v25
	v_bfe_u32 v20, v99, 16, 2
	v_bfe_u32 v26, v99, 24, 2
	v_cvt_f32_i32_e32 v99, v103
	v_mul_i32_i24_e32 v20, v20, v92
	s_delay_alu instid0(VALU_DEP_3) | instskip(NEXT) | instid1(VALU_DEP_1)
	v_mul_i32_i24_e32 v26, v26, v91
	v_add3_u32 v26, v100, v20, v26
	v_bfe_u32 v20, v101, 16, 2
	s_delay_alu instid0(VALU_DEP_1) | instskip(SKIP_1) | instid1(VALU_DEP_2)
	v_mul_i32_i24_e32 v20, v20, v90
	v_bfe_u32 v90, v96, 24, 2
	v_add3_u32 v27, v93, v20, v27
	v_bfe_u32 v20, v96, 16, 2
	s_delay_alu instid0(VALU_DEP_3)
	v_mul_i32_i24_e32 v90, v90, v91
	v_add3_u32 v93, s20, v84, v85
	v_add3_u32 v91, s20, v78, v79
	ds_load_b32 v89, v89
	ds_load_b32 v91, v91
	v_mul_i32_i24_e32 v20, v20, v92
	ds_load_b32 v92, v87
	v_add_nc_u32_e32 v87, 4, v87
	v_add3_u32 v90, v94, v20, v90
	v_and_b32_e32 v20, 15, v116
	v_and_b32_e32 v94, 15, v119
	s_delay_alu instid0(VALU_DEP_2) | instskip(SKIP_3) | instid1(VALU_DEP_3)
	v_mul_lo_u32 v20, v22, v20
	v_and_b32_e32 v22, 15, v129
	s_wait_dscnt 0x2
	v_lshrrev_b32_e32 v96, 16, v89
	v_mad_co_u64_u32 v[20:21], null, v21, v94, v[20:21]
	v_add3_u32 v21, s20, v80, v81
	ds_load_b32 v93, v93
	ds_load_b32 v94, v21
	v_and_b32_e32 v21, 15, v144
	s_wait_dscnt 0x3
	v_lshrrev_b32_e32 v95, 16, v91
	v_cvt_f32_f16_e32 v96, v96
	v_cvt_f32_i32_e32 v20, v20
	s_add_co_i32 s20, s1, 2
	v_mul_lo_u32 v21, v23, v21
	v_and_b32_e32 v23, 15, v141
	s_cmp_lt_u32 s1, 6
	s_wait_alu 0xfffe
	s_mov_b32 s1, s20
	s_delay_alu instid0(VALU_DEP_2) | instskip(SKIP_3) | instid1(VALU_DEP_2)
	v_mad_co_u64_u32 v[21:22], null, v24, v22, v[21:22]
	v_and_b32_e32 v22, 15, v147
	s_wait_dscnt 0x0
	v_lshrrev_b32_e32 v24, 16, v94
	v_mul_lo_u32 v22, v25, v22
	v_lshrrev_b32_e32 v25, 16, v93
	v_cvt_f32_i32_e32 v21, v21
	s_delay_alu instid0(VALU_DEP_2) | instskip(NEXT) | instid1(VALU_DEP_4)
	v_cvt_f32_f16_e32 v25, v25
	v_mad_co_u64_u32 v[22:23], null, v26, v23, v[22:23]
	v_mul_lo_u32 v23, v27, v97
	v_cvt_f32_f16_e32 v26, v95
	v_cvt_f32_f16_e32 v95, v24
	v_and_b32_e32 v24, 15, v106
	v_cvt_f32_i32_e32 v27, v102
	v_cvt_f32_i32_e32 v97, v108
	v_mul_f32_e32 v25, v25, v98
	v_cvt_f32_i32_e32 v22, v22
	v_mad_co_u64_u32 v[23:24], null, v90, v24, v[23:24]
	v_mul_f32_e32 v24, v26, v27
	v_dual_mul_f32 v26, v95, v97 :: v_dual_mul_f32 v27, v96, v99
	s_delay_alu instid0(VALU_DEP_2) | instskip(NEXT) | instid1(VALU_DEP_4)
	v_fma_mix_f32 v20, v91, v20, -v24 op_sel_hi:[1,0,0]
	v_cvt_f32_i32_e32 v23, v23
	s_delay_alu instid0(VALU_DEP_3) | instskip(NEXT) | instid1(VALU_DEP_4)
	v_fma_mix_f32 v21, v94, v21, -v26 op_sel_hi:[1,0,0]
	v_fma_mix_f32 v22, v89, v22, -v27 op_sel_hi:[1,0,0]
	s_delay_alu instid0(VALU_DEP_4) | instskip(NEXT) | instid1(VALU_DEP_4)
	v_fmac_f32_e32 v30, v92, v20
	v_fma_mix_f32 v23, v93, v23, -v25 op_sel_hi:[1,0,0]
	s_delay_alu instid0(VALU_DEP_4) | instskip(NEXT) | instid1(VALU_DEP_4)
	v_fmac_f32_e32 v63, v92, v21
	v_fmac_f32_e32 v59, v92, v22
	s_delay_alu instid0(VALU_DEP_3)
	v_fmac_f32_e32 v17, v92, v23
	s_cbranch_scc1 .LBB188_11
; %bb.12:                               ;   in Loop: Header=BB188_5 Depth=1
	s_or_b32 s1, s18, 0x80
	s_wait_loadcnt 0x0
	s_wait_alu 0xfffe
	s_cmp_ge_i32 s1, s5
	s_barrier_signal -1
	s_barrier_wait -1
	global_inv scope:SCOPE_SE
	s_cbranch_scc1 .LBB188_4
; %bb.13:                               ;   in Loop: Header=BB188_5 Depth=1
	v_add_nc_u32_e32 v20, s19, v64
	s_delay_alu instid0(VALU_DEP_1)
	v_cmp_gt_i32_e64 s1, s6, v20
	s_and_b32 s20, s0, s1
	s_wait_alu 0xfffe
	s_and_saveexec_b32 s1, s20
	s_cbranch_execz .LBB188_15
; %bb.14:                               ;   in Loop: Header=BB188_5 Depth=1
	v_add_nc_u32_e32 v20, v67, v20
	s_delay_alu instid0(VALU_DEP_1)
	v_mad_co_i64_i32 v[20:21], null, v20, 36, v[18:19]
	global_load_b32 v20, v[20:21], off offset:4
	s_wait_loadcnt 0x0
	ds_store_b32 v60, v20
.LBB188_15:                             ;   in Loop: Header=BB188_5 Depth=1
	s_wait_alu 0xfffe
	s_or_b32 exec_lo, exec_lo, s1
	s_and_saveexec_b32 s20, vcc_lo
	s_cbranch_execz .LBB188_18
; %bb.16:                               ;   in Loop: Header=BB188_5 Depth=1
	v_or_b32_e32 v20, 4, v86
	s_delay_alu instid0(VALU_DEP_1)
	v_cmp_gt_i32_e64 s1, s6, v20
	s_and_b32 s1, s0, s1
	s_wait_alu 0xfffe
	s_and_b32 exec_lo, exec_lo, s1
	s_cbranch_execz .LBB188_18
; %bb.17:                               ;   in Loop: Header=BB188_5 Depth=1
	v_ashrrev_i32_e32 v20, 31, v86
	v_add_co_u32 v21, s1, v67, v86
	s_wait_alu 0xf1ff
	s_delay_alu instid0(VALU_DEP_2) | instskip(NEXT) | instid1(VALU_DEP_2)
	v_add_co_ci_u32_e64 v22, null, v69, v20, s1
	v_mad_co_u64_u32 v[20:21], null, v21, 36, s[2:3]
	s_delay_alu instid0(VALU_DEP_1)
	v_mad_i32_i24 v21, v22, 36, v21
	global_load_b32 v20, v[20:21], off offset:144
	s_wait_loadcnt 0x0
	v_cvt_f32_f16_e32 v20, v20
	ds_store_b32 v62, v20
.LBB188_18:                             ;   in Loop: Header=BB188_5 Depth=1
	s_wait_alu 0xfffe
	s_or_b32 exec_lo, exec_lo, s20
	v_dual_mov_b32 v24, v58 :: v_dual_mov_b32 v25, v61
	s_mov_b32 s1, 8
	s_wait_loadcnt_dscnt 0x0
	s_barrier_signal -1
	s_barrier_wait -1
	global_inv scope:SCOPE_SE
.LBB188_19:                             ;   Parent Loop BB188_5 Depth=1
                                        ; =>  This Inner Loop Header: Depth=2
	ds_load_b128 v[20:23], v24
	ds_load_b128 v[117:120], v24 offset:16
	s_wait_alu 0xfffe
	s_and_b32 s21, s1, 0x3ffffff8
	s_add_co_i32 s20, s1, -8
	s_wait_alu 0xfffe
	v_lshl_add_u32 v99, s21, 2, v0
	s_and_b32 s21, s1, -16
	s_wait_alu 0xfffe
	s_add_co_i32 s21, s1, s21
	s_delay_alu instid0(VALU_DEP_1)
	v_add_nc_u32_e32 v124, 0x1098, v99
	v_add_nc_u32_e32 v128, 0x2108, v99
	;; [unrolled: 1-line block ×3, first 2 shown]
	s_wait_dscnt 0x1
	v_ashrrev_i32_e32 v96, 24, v20
	v_bfe_i32 v110, v21, 8, 8
	v_bfe_i32 v111, v20, 0, 8
	;; [unrolled: 1-line block ×3, first 2 shown]
	v_ashrrev_i32_e32 v108, 24, v21
	v_bfe_i32 v105, v20, 8, 8
	v_bfe_i32 v113, v21, 0, 8
	;; [unrolled: 1-line block ×3, first 2 shown]
	v_lshrrev_b16 v112, 8, v22
	v_ashrrev_i32_e32 v92, 24, v22
	v_bfe_i32 v93, v22, 16, 8
	v_bfe_i32 v115, v22, 0, 8
	v_lshrrev_b16 v114, 8, v23
	v_ashrrev_i32_e32 v26, 24, v23
	v_bfe_i32 v27, v23, 16, 8
	v_bfe_i32 v89, v23, 0, 8
	s_wait_dscnt 0x0
	v_ashrrev_i32_e32 v94, 24, v119
	v_bfe_i32 v95, v119, 16, 8
	v_bfe_i32 v98, v119, 0, 8
	;; [unrolled: 1-line block ×3, first 2 shown]
	v_ashrrev_i32_e32 v87, 24, v120
	v_bfe_i32 v88, v120, 16, 8
	v_bfe_i32 v91, v120, 0, 8
	;; [unrolled: 1-line block ×3, first 2 shown]
	ds_load_2addr_b32 v[22:23], v99 offset1:1
	ds_load_2addr_b32 v[20:21], v99 offset0:2 offset1:3
	ds_load_2addr_b32 v[119:120], v99 offset0:4 offset1:5
	v_lshrrev_b16 v116, 8, v117
	v_ashrrev_i32_e32 v102, 24, v117
	v_bfe_i32 v106, v117, 0, 8
	v_bfe_i32 v100, v117, 16, 8
	v_lshrrev_b16 v117, 8, v118
	v_ashrrev_i32_e32 v103, 24, v118
	v_bfe_i32 v107, v118, 0, 8
	v_bfe_i32 v101, v118, 16, 8
	;; [unrolled: 1-line block ×4, first 2 shown]
	s_wait_dscnt 0x2
	v_ashrrev_i32_e32 v23, s20, v23
	s_wait_dscnt 0x1
	v_ashrrev_i32_e32 v20, s20, v20
	v_ashrrev_i32_e32 v21, s20, v21
	s_delay_alu instid0(VALU_DEP_3) | instskip(SKIP_1) | instid1(VALU_DEP_2)
	v_and_b32_e32 v118, 3, v23
	v_bfe_u32 v121, v23, 8, 2
	v_mul_i32_i24_e32 v118, v118, v113
	s_delay_alu instid0(VALU_DEP_1) | instskip(SKIP_2) | instid1(VALU_DEP_2)
	v_mad_i32_i24 v118, v121, v110, v118
	v_bfe_u32 v121, v23, 16, 2
	v_bfe_u32 v23, v23, 24, 2
	v_mul_i32_i24_e32 v121, v121, v109
	s_delay_alu instid0(VALU_DEP_2) | instskip(NEXT) | instid1(VALU_DEP_1)
	v_mul_i32_i24_e32 v23, v23, v108
	v_add3_u32 v118, v118, v121, v23
	v_bfe_i32 v23, v116, 0, 8
	s_wait_dscnt 0x0
	v_ashrrev_i32_e32 v116, s20, v119
	s_delay_alu instid0(VALU_DEP_1) | instskip(SKIP_1) | instid1(VALU_DEP_2)
	v_and_b32_e32 v119, 3, v116
	v_bfe_u32 v121, v116, 8, 2
	v_mul_i32_i24_e32 v119, v119, v106
	s_delay_alu instid0(VALU_DEP_1) | instskip(SKIP_2) | instid1(VALU_DEP_2)
	v_mad_i32_i24 v119, v121, v23, v119
	v_bfe_u32 v121, v116, 16, 2
	v_bfe_u32 v116, v116, 24, 2
	v_mul_i32_i24_e32 v121, v121, v100
	s_delay_alu instid0(VALU_DEP_2) | instskip(NEXT) | instid1(VALU_DEP_1)
	v_mul_i32_i24_e32 v116, v116, v102
	v_add3_u32 v121, v119, v121, v116
	v_ashrrev_i32_e32 v116, s20, v22
	v_and_b32_e32 v119, 3, v20
	s_delay_alu instid0(VALU_DEP_2) | instskip(NEXT) | instid1(VALU_DEP_2)
	v_and_b32_e32 v22, 3, v116
	v_mul_i32_i24_e32 v119, v119, v115
	s_delay_alu instid0(VALU_DEP_2) | instskip(NEXT) | instid1(VALU_DEP_1)
	v_mul_i32_i24_e32 v22, v111, v22
	v_add3_u32 v119, v118, v119, v22
	v_ashrrev_i32_e32 v118, s20, v120
	v_bfe_i32 v22, v117, 0, 8
	s_delay_alu instid0(VALU_DEP_2) | instskip(SKIP_1) | instid1(VALU_DEP_2)
	v_and_b32_e32 v117, 3, v118
	v_bfe_u32 v120, v118, 8, 2
	v_mul_i32_i24_e32 v117, v117, v107
	s_delay_alu instid0(VALU_DEP_2) | instskip(NEXT) | instid1(VALU_DEP_1)
	v_mul_i32_i24_e32 v120, v120, v22
	v_add3_u32 v117, v121, v117, v120
	v_add_nc_u32_e32 v120, 0x1080, v99
	ds_load_2addr_b32 v[121:122], v120 offset1:1
	s_wait_dscnt 0x0
	v_ashrrev_i32_e32 v120, s20, v122
	s_delay_alu instid0(VALU_DEP_1) | instskip(SKIP_1) | instid1(VALU_DEP_2)
	v_and_b32_e32 v122, 3, v120
	v_bfe_u32 v123, v120, 8, 2
	v_mul_i32_i24_e32 v122, v122, v113
	s_delay_alu instid0(VALU_DEP_1) | instskip(SKIP_2) | instid1(VALU_DEP_2)
	v_mad_i32_i24 v122, v123, v110, v122
	v_bfe_u32 v123, v120, 16, 2
	v_bfe_u32 v120, v120, 24, 2
	v_mul_i32_i24_e32 v123, v123, v109
	s_delay_alu instid0(VALU_DEP_2) | instskip(NEXT) | instid1(VALU_DEP_1)
	v_mul_i32_i24_e32 v120, v120, v108
	v_add3_u32 v137, v122, v123, v120
	s_wait_alu 0xfffe
	v_add_nc_u32_e32 v120, s21, v71
	v_add_nc_u32_e32 v122, 0x1090, v99
	ds_load_u16 v120, v120 offset:17920
	ds_load_2addr_b32 v[122:123], v122 offset1:1
	ds_load_2addr_b32 v[124:125], v124 offset1:1
	s_wait_dscnt 0x1
	v_ashrrev_i32_e32 v122, s20, v122
	v_ashrrev_i32_e32 v123, s20, v123
	s_delay_alu instid0(VALU_DEP_2) | instskip(SKIP_1) | instid1(VALU_DEP_2)
	v_and_b32_e32 v126, 3, v122
	v_bfe_u32 v127, v122, 8, 2
	v_mul_i32_i24_e32 v126, v126, v106
	s_delay_alu instid0(VALU_DEP_1) | instskip(SKIP_2) | instid1(VALU_DEP_2)
	v_mad_i32_i24 v126, v127, v23, v126
	v_bfe_u32 v127, v122, 16, 2
	v_bfe_u32 v122, v122, 24, 2
	v_mul_i32_i24_e32 v127, v127, v100
	s_delay_alu instid0(VALU_DEP_2) | instskip(NEXT) | instid1(VALU_DEP_1)
	v_mul_i32_i24_e32 v122, v122, v102
	v_add3_u32 v122, v126, v127, v122
	v_add_nc_u32_e32 v126, 0x2100, v99
	ds_load_2addr_b32 v[126:127], v126 offset1:1
	ds_load_2addr_b32 v[128:129], v128 offset1:1
	;; [unrolled: 1-line block ×3, first 2 shown]
	s_wait_dscnt 0x2
	v_ashrrev_i32_e32 v127, s20, v127
	v_ashrrev_i32_e32 v126, s20, v126
	s_wait_dscnt 0x0
	v_ashrrev_i32_e32 v130, s20, v130
	v_ashrrev_i32_e32 v128, s20, v128
	;; [unrolled: 1-line block ×3, first 2 shown]
	v_and_b32_e32 v132, 3, v127
	v_bfe_u32 v133, v127, 8, 2
	s_delay_alu instid0(VALU_DEP_2) | instskip(NEXT) | instid1(VALU_DEP_1)
	v_mul_i32_i24_e32 v132, v132, v113
	v_mad_i32_i24 v132, v133, v110, v132
	v_bfe_u32 v133, v127, 16, 2
	v_bfe_u32 v127, v127, 24, 2
	s_delay_alu instid0(VALU_DEP_2) | instskip(NEXT) | instid1(VALU_DEP_2)
	v_mul_i32_i24_e32 v133, v133, v109
	v_mul_i32_i24_e32 v127, v127, v108
	s_delay_alu instid0(VALU_DEP_1) | instskip(SKIP_2) | instid1(VALU_DEP_2)
	v_add3_u32 v127, v132, v133, v127
	v_and_b32_e32 v132, 3, v130
	v_bfe_u32 v133, v130, 8, 2
	v_mul_i32_i24_e32 v132, v132, v106
	s_delay_alu instid0(VALU_DEP_1) | instskip(SKIP_2) | instid1(VALU_DEP_2)
	v_mad_i32_i24 v132, v133, v23, v132
	v_bfe_u32 v133, v130, 16, 2
	v_bfe_u32 v130, v130, 24, 2
	v_mul_i32_i24_e32 v133, v133, v100
	s_delay_alu instid0(VALU_DEP_2) | instskip(NEXT) | instid1(VALU_DEP_1)
	v_mul_i32_i24_e32 v130, v130, v102
	v_add3_u32 v130, v132, v133, v130
	v_add_nc_u32_e32 v132, 0x3180, v99
	ds_load_2addr_b32 v[132:133], v132 offset1:1
	s_wait_dscnt 0x0
	v_ashrrev_i32_e32 v133, s20, v133
	v_ashrrev_i32_e32 v132, s20, v132
	s_delay_alu instid0(VALU_DEP_2) | instskip(SKIP_1) | instid1(VALU_DEP_2)
	v_and_b32_e32 v134, 3, v133
	v_bfe_u32 v135, v133, 8, 2
	v_mul_i32_i24_e32 v134, v134, v113
	s_delay_alu instid0(VALU_DEP_1) | instskip(SKIP_3) | instid1(VALU_DEP_3)
	v_mad_i32_i24 v134, v135, v110, v134
	v_bfe_u32 v135, v133, 16, 2
	v_bfe_u32 v133, v133, 24, 2
	v_add_nc_u32_e32 v110, v105, v110
	v_mul_i32_i24_e32 v135, v135, v109
	s_delay_alu instid0(VALU_DEP_3) | instskip(NEXT) | instid1(VALU_DEP_3)
	v_mul_i32_i24_e32 v133, v133, v108
	v_add3_u32 v110, v110, v112, v114
	v_add_nc_u32_e32 v108, v108, v96
	v_add_nc_u32_e32 v109, v109, v104
	s_delay_alu instid0(VALU_DEP_4) | instskip(SKIP_2) | instid1(VALU_DEP_4)
	v_add3_u32 v138, v134, v135, v133
	v_add_nc_u32_e32 v133, s21, v70
	v_add_nc_u32_e32 v135, 0x3198, v99
	v_add3_u32 v145, v109, v93, v27
	ds_load_u16 v139, v133 offset:19968
	v_add_nc_u32_e32 v133, 0x3190, v99
	ds_load_2addr_b32 v[133:134], v133 offset1:1
	ds_load_2addr_b32 v[135:136], v135 offset1:1
	s_wait_dscnt 0x1
	v_ashrrev_i32_e32 v133, s20, v133
	v_ashrrev_i32_e32 v134, s20, v134
	s_delay_alu instid0(VALU_DEP_2) | instskip(SKIP_1) | instid1(VALU_DEP_2)
	v_and_b32_e32 v140, 3, v133
	v_bfe_u32 v141, v133, 8, 2
	v_mul_i32_i24_e32 v140, v140, v106
	v_add_nc_u32_e32 v106, v107, v106
	s_delay_alu instid0(VALU_DEP_2) | instskip(SKIP_2) | instid1(VALU_DEP_2)
	v_mad_i32_i24 v140, v141, v23, v140
	v_bfe_u32 v141, v133, 16, 2
	v_bfe_u32 v133, v133, 24, 2
	v_mul_i32_i24_e32 v141, v141, v100
	s_delay_alu instid0(VALU_DEP_2) | instskip(NEXT) | instid1(VALU_DEP_1)
	v_mul_i32_i24_e32 v133, v133, v102
	v_add3_u32 v133, v140, v141, v133
	v_bfe_u32 v140, v116, 8, 2
	v_bfe_u32 v141, v116, 16, 2
	s_delay_alu instid0(VALU_DEP_2) | instskip(NEXT) | instid1(VALU_DEP_2)
	v_mul_i32_i24_e32 v140, v105, v140
	v_mul_i32_i24_e32 v141, v104, v141
	s_delay_alu instid0(VALU_DEP_1) | instskip(SKIP_3) | instid1(VALU_DEP_3)
	v_add3_u32 v119, v119, v140, v141
	v_bfe_u32 v140, v118, 16, 2
	v_bfe_u32 v118, v118, 24, 2
	v_ashrrev_i32_e32 v141, s20, v121
	v_mul_i32_i24_e32 v140, v140, v101
	s_delay_alu instid0(VALU_DEP_3) | instskip(NEXT) | instid1(VALU_DEP_1)
	v_mul_i32_i24_e32 v118, v118, v103
	v_add3_u32 v140, v117, v140, v118
	s_delay_alu instid0(VALU_DEP_4) | instskip(NEXT) | instid1(VALU_DEP_1)
	v_and_b32_e32 v117, 3, v141
	v_mul_i32_i24_e32 v121, v111, v117
	v_add_nc_u32_e32 v117, 0x1088, v99
	ds_load_2addr_b32 v[117:118], v117 offset1:1
	s_wait_dscnt 0x0
	v_ashrrev_i32_e32 v117, s20, v117
	s_delay_alu instid0(VALU_DEP_1) | instskip(NEXT) | instid1(VALU_DEP_1)
	v_and_b32_e32 v142, 3, v117
	v_mul_i32_i24_e32 v142, v142, v115
	s_delay_alu instid0(VALU_DEP_1) | instskip(SKIP_2) | instid1(VALU_DEP_2)
	v_add3_u32 v137, v137, v142, v121
	v_and_b32_e32 v121, 3, v123
	v_bfe_u32 v142, v123, 8, 2
	v_mul_i32_i24_e32 v121, v121, v107
	s_delay_alu instid0(VALU_DEP_2) | instskip(NEXT) | instid1(VALU_DEP_1)
	v_mul_i32_i24_e32 v142, v142, v22
	v_add3_u32 v142, v122, v121, v142
	v_and_b32_e32 v121, 3, v126
	v_and_b32_e32 v122, 3, v128
	s_delay_alu instid0(VALU_DEP_2) | instskip(NEXT) | instid1(VALU_DEP_2)
	v_mul_i32_i24_e32 v121, v111, v121
	v_mul_i32_i24_e32 v122, v122, v115
	s_delay_alu instid0(VALU_DEP_1) | instskip(SKIP_2) | instid1(VALU_DEP_2)
	v_add3_u32 v127, v127, v122, v121
	v_and_b32_e32 v121, 3, v131
	v_bfe_u32 v122, v131, 8, 2
	v_mul_i32_i24_e32 v121, v121, v107
	s_delay_alu instid0(VALU_DEP_2) | instskip(NEXT) | instid1(VALU_DEP_1)
	v_mul_i32_i24_e32 v122, v122, v22
	v_add3_u32 v130, v130, v121, v122
	v_and_b32_e32 v121, 3, v132
	s_delay_alu instid0(VALU_DEP_1)
	v_mul_i32_i24_e32 v143, v111, v121
	v_add_nc_u32_e32 v121, 0x3188, v99
	v_add_nc_u32_e32 v111, v113, v111
	;; [unrolled: 1-line block ×3, first 2 shown]
	ds_load_2addr_b32 v[121:122], v121 offset1:1
	v_add3_u32 v111, v111, v115, v89
	ds_load_u16 v113, v113 offset:16896
	s_wait_dscnt 0x1
	v_ashrrev_i32_e32 v121, s20, v121
	s_delay_alu instid0(VALU_DEP_1) | instskip(NEXT) | instid1(VALU_DEP_1)
	v_and_b32_e32 v144, 3, v121
	v_mul_i32_i24_e32 v144, v144, v115
	s_wait_dscnt 0x0
	v_bfe_u32 v115, v113, 4, 4
	s_delay_alu instid0(VALU_DEP_2) | instskip(SKIP_2) | instid1(VALU_DEP_4)
	v_add3_u32 v138, v138, v144, v143
	v_and_b32_e32 v143, 3, v134
	v_bfe_u32 v144, v134, 8, 2
	v_mul_lo_u32 v115, 0x1010101, v115
	s_delay_alu instid0(VALU_DEP_3) | instskip(NEXT) | instid1(VALU_DEP_3)
	v_mul_i32_i24_e32 v143, v143, v107
	v_mul_i32_i24_e32 v144, v144, v22
	v_add_nc_u32_e32 v22, v22, v23
	v_add3_u32 v23, v106, v98, v91
	v_bfe_i32 v109, v115, 16, 8
	s_delay_alu instid0(VALU_DEP_4)
	v_add3_u32 v133, v133, v143, v144
	v_bfe_i32 v143, v115, 0, 8
	v_bfe_i32 v144, v115, 8, 8
	v_add3_u32 v106, v22, v97, v90
	v_mul_i32_i24_e32 v109, v145, v109
	v_lshrrev_b16 v22, 8, v113
	v_mul_i32_i24_e32 v143, v111, v143
	s_delay_alu instid0(VALU_DEP_2) | instskip(NEXT) | instid1(VALU_DEP_2)
	v_and_b32_e32 v107, 0xffff, v22
	v_mad_i32_i24 v143, v110, v144, v143
	v_add3_u32 v144, v108, v92, v26
	v_lshrrev_b32_e32 v108, 24, v115
	s_delay_alu instid0(VALU_DEP_4) | instskip(NEXT) | instid1(VALU_DEP_2)
	v_lshrrev_b32_e32 v22, 4, v107
	v_mul_i32_i24_e32 v108, v144, v108
	s_delay_alu instid0(VALU_DEP_1) | instskip(SKIP_1) | instid1(VALU_DEP_1)
	v_add3_u32 v115, v143, v109, v108
	v_bfe_u32 v108, v120, 4, 4
	v_mul_lo_u32 v108, 0x1010101, v108
	s_delay_alu instid0(VALU_DEP_1) | instskip(SKIP_1) | instid1(VALU_DEP_2)
	v_bfe_i32 v109, v108, 0, 8
	v_bfe_i32 v143, v108, 8, 8
	v_mul_i32_i24_e32 v109, v111, v109
	s_delay_alu instid0(VALU_DEP_1) | instskip(SKIP_2) | instid1(VALU_DEP_2)
	v_mad_i32_i24 v109, v110, v143, v109
	v_lshrrev_b32_e32 v143, 24, v108
	v_bfe_i32 v108, v108, 16, 8
	v_mul_i32_i24_e32 v143, v144, v143
	s_delay_alu instid0(VALU_DEP_2) | instskip(NEXT) | instid1(VALU_DEP_1)
	v_mul_i32_i24_e32 v108, v145, v108
	v_add3_u32 v143, v109, v108, v143
	v_add_nc_u32_e32 v108, s21, v72
	ds_load_u16 v146, v108 offset:18944
	s_wait_dscnt 0x0
	v_bfe_u32 v108, v146, 4, 4
	s_delay_alu instid0(VALU_DEP_1) | instskip(NEXT) | instid1(VALU_DEP_1)
	v_mul_lo_u32 v108, 0x1010101, v108
	v_bfe_i32 v109, v108, 0, 8
	v_bfe_i32 v147, v108, 8, 8
	s_delay_alu instid0(VALU_DEP_2) | instskip(NEXT) | instid1(VALU_DEP_1)
	v_mul_i32_i24_e32 v109, v111, v109
	v_mad_i32_i24 v109, v110, v147, v109
	v_lshrrev_b32_e32 v147, 24, v108
	v_bfe_i32 v108, v108, 16, 8
	s_delay_alu instid0(VALU_DEP_2) | instskip(NEXT) | instid1(VALU_DEP_2)
	v_mul_i32_i24_e32 v147, v144, v147
	v_mul_i32_i24_e32 v108, v145, v108
	s_delay_alu instid0(VALU_DEP_1) | instskip(SKIP_2) | instid1(VALU_DEP_2)
	v_add3_u32 v147, v109, v108, v147
	v_bfe_u32 v108, v116, 24, 2
	v_bfe_u32 v109, v20, 8, 2
	v_mul_i32_i24_e32 v108, v96, v108
	s_delay_alu instid0(VALU_DEP_2) | instskip(NEXT) | instid1(VALU_DEP_1)
	v_mul_i32_i24_e32 v109, v109, v112
	v_add3_u32 v116, v119, v108, v109
	ds_load_2addr_b32 v[108:109], v99 offset0:6 offset1:7
	s_wait_dscnt 0x0
	v_ashrrev_i32_e32 v108, s20, v108
	s_delay_alu instid0(VALU_DEP_1) | instskip(SKIP_1) | instid1(VALU_DEP_2)
	v_and_b32_e32 v119, 3, v108
	v_bfe_u32 v148, v108, 8, 2
	v_mul_i32_i24_e32 v119, v119, v98
	s_delay_alu instid0(VALU_DEP_2) | instskip(NEXT) | instid1(VALU_DEP_1)
	v_mul_i32_i24_e32 v148, v148, v97
	v_add3_u32 v119, v140, v119, v148
	v_bfe_u32 v140, v141, 8, 2
	v_bfe_u32 v148, v141, 16, 2
	s_delay_alu instid0(VALU_DEP_2) | instskip(NEXT) | instid1(VALU_DEP_2)
	v_mul_i32_i24_e32 v140, v105, v140
	v_mul_i32_i24_e32 v148, v104, v148
	s_delay_alu instid0(VALU_DEP_1) | instskip(SKIP_2) | instid1(VALU_DEP_2)
	v_add3_u32 v137, v137, v140, v148
	v_bfe_u32 v140, v123, 16, 2
	v_bfe_u32 v123, v123, 24, 2
	v_mul_i32_i24_e32 v140, v140, v101
	s_delay_alu instid0(VALU_DEP_2) | instskip(NEXT) | instid1(VALU_DEP_1)
	v_mul_i32_i24_e32 v123, v123, v103
	v_add3_u32 v123, v142, v140, v123
	v_bfe_u32 v140, v126, 8, 2
	v_bfe_u32 v142, v126, 16, 2
	s_delay_alu instid0(VALU_DEP_2) | instskip(NEXT) | instid1(VALU_DEP_2)
	v_mul_i32_i24_e32 v140, v105, v140
	v_mul_i32_i24_e32 v142, v104, v142
	s_delay_alu instid0(VALU_DEP_1) | instskip(SKIP_2) | instid1(VALU_DEP_2)
	v_add3_u32 v127, v127, v140, v142
	v_bfe_u32 v140, v131, 16, 2
	v_bfe_u32 v131, v131, 24, 2
	v_mul_i32_i24_e32 v140, v140, v101
	s_delay_alu instid0(VALU_DEP_2) | instskip(NEXT) | instid1(VALU_DEP_1)
	v_mul_i32_i24_e32 v131, v131, v103
	v_add3_u32 v130, v130, v140, v131
	v_bfe_u32 v131, v132, 8, 2
	s_delay_alu instid0(VALU_DEP_1) | instskip(SKIP_1) | instid1(VALU_DEP_1)
	v_mul_i32_i24_e32 v105, v105, v131
	v_bfe_u32 v131, v132, 16, 2
	v_mul_i32_i24_e32 v104, v104, v131
	v_bfe_u32 v131, v134, 24, 2
	s_delay_alu instid0(VALU_DEP_2) | instskip(SKIP_1) | instid1(VALU_DEP_3)
	v_add3_u32 v104, v138, v105, v104
	v_bfe_u32 v105, v134, 16, 2
	v_mul_i32_i24_e32 v131, v131, v103
	s_delay_alu instid0(VALU_DEP_2) | instskip(NEXT) | instid1(VALU_DEP_1)
	v_mul_i32_i24_e32 v105, v105, v101
	v_add3_u32 v105, v133, v105, v131
	v_mul_lo_u32 v131, 0x1010101, v22
	s_delay_alu instid0(VALU_DEP_1) | instskip(SKIP_1) | instid1(VALU_DEP_2)
	v_bfe_i32 v22, v131, 0, 8
	v_bfe_i32 v133, v131, 8, 8
	v_mul_i32_i24_e32 v22, v23, v22
	s_delay_alu instid0(VALU_DEP_2) | instskip(NEXT) | instid1(VALU_DEP_1)
	v_mul_i32_i24_e32 v133, v106, v133
	v_add3_u32 v115, v115, v22, v133
	v_lshrrev_b16 v22, 8, v120
	s_delay_alu instid0(VALU_DEP_1) | instskip(NEXT) | instid1(VALU_DEP_1)
	v_and_b32_e32 v133, 0xffff, v22
	v_lshrrev_b32_e32 v22, 4, v133
	s_delay_alu instid0(VALU_DEP_1) | instskip(NEXT) | instid1(VALU_DEP_1)
	v_mul_lo_u32 v134, 0x1010101, v22
	v_bfe_i32 v22, v134, 0, 8
	v_bfe_i32 v138, v134, 8, 8
	s_delay_alu instid0(VALU_DEP_2) | instskip(NEXT) | instid1(VALU_DEP_2)
	v_mul_i32_i24_e32 v22, v23, v22
	v_mul_i32_i24_e32 v138, v106, v138
	s_delay_alu instid0(VALU_DEP_1) | instskip(SKIP_1) | instid1(VALU_DEP_1)
	v_add3_u32 v138, v143, v22, v138
	v_lshrrev_b16 v22, 8, v146
	v_and_b32_e32 v140, 0xffff, v22
	s_delay_alu instid0(VALU_DEP_1) | instskip(NEXT) | instid1(VALU_DEP_1)
	v_lshrrev_b32_e32 v22, 4, v140
	v_mul_lo_u32 v142, 0x1010101, v22
	s_delay_alu instid0(VALU_DEP_1) | instskip(SKIP_1) | instid1(VALU_DEP_2)
	v_bfe_i32 v22, v142, 0, 8
	v_bfe_i32 v143, v142, 8, 8
	v_mul_i32_i24_e32 v22, v23, v22
	s_delay_alu instid0(VALU_DEP_2) | instskip(NEXT) | instid1(VALU_DEP_1)
	v_mul_i32_i24_e32 v143, v106, v143
	v_add3_u32 v143, v147, v22, v143
	v_add_nc_u32_e32 v22, v103, v102
	s_delay_alu instid0(VALU_DEP_1) | instskip(SKIP_1) | instid1(VALU_DEP_1)
	v_add3_u32 v102, v22, v94, v87
	v_lshrrev_b16 v22, 8, v139
	v_and_b32_e32 v103, 0xffff, v22
	v_bfe_u32 v22, v139, 4, 4
	s_delay_alu instid0(VALU_DEP_1) | instskip(NEXT) | instid1(VALU_DEP_3)
	v_mul_lo_u32 v147, 0x1010101, v22
	v_lshrrev_b32_e32 v22, 4, v103
	s_delay_alu instid0(VALU_DEP_1) | instskip(NEXT) | instid1(VALU_DEP_3)
	v_mul_lo_u32 v148, 0x1010101, v22
	v_lshrrev_b32_e32 v149, 24, v147
	s_delay_alu instid0(VALU_DEP_2) | instskip(NEXT) | instid1(VALU_DEP_1)
	v_lshrrev_b32_e32 v22, 24, v148
	v_mul_i32_i24_e32 v22, v102, v22
	s_delay_alu instid0(VALU_DEP_1) | instskip(SKIP_2) | instid1(VALU_DEP_2)
	v_mad_i32_i24 v144, v144, v149, v22
	v_add_nc_u32_e32 v22, v101, v100
	v_bfe_i32 v101, v147, 16, 8
	v_add3_u32 v100, v22, v95, v88
	v_bfe_i32 v22, v148, 16, 8
	s_delay_alu instid0(VALU_DEP_1) | instskip(NEXT) | instid1(VALU_DEP_1)
	v_mul_i32_i24_e32 v22, v100, v22
	v_mad_i32_i24 v101, v145, v101, v22
	v_bfe_i32 v22, v148, 0, 8
	s_delay_alu instid0(VALU_DEP_1) | instskip(SKIP_1) | instid1(VALU_DEP_1)
	v_mul_i32_i24_e32 v22, v23, v22
	v_bfe_i32 v23, v147, 0, 8
	v_mad_i32_i24 v111, v111, v23, v22
	v_bfe_u32 v22, v20, 16, 2
	v_bfe_u32 v20, v20, 24, 2
	;; [unrolled: 1-line block ×3, first 2 shown]
	s_delay_alu instid0(VALU_DEP_3) | instskip(NEXT) | instid1(VALU_DEP_3)
	v_mul_i32_i24_e32 v22, v22, v93
	v_mul_i32_i24_e32 v20, v20, v92
	s_delay_alu instid0(VALU_DEP_3) | instskip(NEXT) | instid1(VALU_DEP_2)
	v_mul_i32_i24_e32 v23, v23, v94
	v_add3_u32 v20, v116, v22, v20
	v_bfe_u32 v22, v108, 16, 2
	s_delay_alu instid0(VALU_DEP_1) | instskip(NEXT) | instid1(VALU_DEP_1)
	v_mul_i32_i24_e32 v22, v22, v95
	v_add3_u32 v108, v119, v22, v23
	v_bfe_u32 v22, v141, 24, 2
	v_bfe_u32 v23, v117, 8, 2
	v_ashrrev_i32_e32 v119, s20, v124
	s_delay_alu instid0(VALU_DEP_3) | instskip(NEXT) | instid1(VALU_DEP_3)
	v_mul_i32_i24_e32 v22, v96, v22
	v_mul_i32_i24_e32 v23, v23, v112
	s_delay_alu instid0(VALU_DEP_1) | instskip(NEXT) | instid1(VALU_DEP_4)
	v_add3_u32 v116, v137, v22, v23
	v_and_b32_e32 v22, 3, v119
	v_bfe_u32 v23, v119, 8, 2
	s_delay_alu instid0(VALU_DEP_2) | instskip(NEXT) | instid1(VALU_DEP_2)
	v_mul_i32_i24_e32 v22, v22, v98
	v_mul_i32_i24_e32 v23, v23, v97
	s_delay_alu instid0(VALU_DEP_1) | instskip(SKIP_2) | instid1(VALU_DEP_2)
	v_add3_u32 v123, v123, v22, v23
	v_bfe_u32 v22, v126, 24, 2
	v_bfe_u32 v23, v128, 8, 2
	v_mul_i32_i24_e32 v22, v96, v22
	s_delay_alu instid0(VALU_DEP_2) | instskip(NEXT) | instid1(VALU_DEP_1)
	v_mul_i32_i24_e32 v23, v23, v112
	v_add3_u32 v124, v127, v22, v23
	v_add_nc_u32_e32 v22, 0x2118, v99
	ds_load_2addr_b32 v[22:23], v22 offset1:1
	s_wait_dscnt 0x0
	v_ashrrev_i32_e32 v22, s20, v22
	v_ashrrev_i32_e32 v23, s20, v23
	s_delay_alu instid0(VALU_DEP_2) | instskip(SKIP_1) | instid1(VALU_DEP_2)
	v_and_b32_e32 v99, 3, v22
	v_bfe_u32 v126, v22, 8, 2
	v_mul_i32_i24_e32 v99, v99, v98
	s_delay_alu instid0(VALU_DEP_2) | instskip(NEXT) | instid1(VALU_DEP_1)
	v_mul_i32_i24_e32 v126, v126, v97
	v_add3_u32 v99, v130, v99, v126
	v_bfe_u32 v126, v132, 24, 2
	s_delay_alu instid0(VALU_DEP_1) | instskip(SKIP_1) | instid1(VALU_DEP_1)
	v_mul_i32_i24_e32 v96, v96, v126
	v_bfe_u32 v126, v121, 8, 2
	v_mul_i32_i24_e32 v112, v126, v112
	s_delay_alu instid0(VALU_DEP_1) | instskip(SKIP_1) | instid1(VALU_DEP_1)
	v_add3_u32 v96, v104, v96, v112
	v_ashrrev_i32_e32 v104, s20, v135
	v_and_b32_e32 v112, 3, v104
	s_delay_alu instid0(VALU_DEP_1) | instskip(SKIP_1) | instid1(VALU_DEP_1)
	v_mul_i32_i24_e32 v98, v112, v98
	v_bfe_u32 v112, v104, 8, 2
	v_mul_i32_i24_e32 v97, v112, v97
	v_bfe_i32 v112, v134, 16, 8
	s_delay_alu instid0(VALU_DEP_2) | instskip(SKIP_2) | instid1(VALU_DEP_4)
	v_add3_u32 v97, v105, v98, v97
	v_lshrrev_b32_e32 v98, 24, v131
	v_bfe_i32 v105, v131, 16, 8
	v_mul_i32_i24_e32 v112, v100, v112
	s_delay_alu instid0(VALU_DEP_3) | instskip(NEXT) | instid1(VALU_DEP_3)
	v_mul_i32_i24_e32 v98, v102, v98
	v_mul_i32_i24_e32 v105, v100, v105
	s_delay_alu instid0(VALU_DEP_1) | instskip(SKIP_2) | instid1(VALU_DEP_2)
	v_add3_u32 v98, v115, v105, v98
	v_lshrrev_b32_e32 v105, 24, v134
	v_bfe_u32 v115, v128, 24, 2
	v_mul_i32_i24_e32 v105, v102, v105
	s_delay_alu instid0(VALU_DEP_2) | instskip(NEXT) | instid1(VALU_DEP_2)
	v_mul_i32_i24_e32 v115, v115, v92
	v_add3_u32 v105, v138, v112, v105
	v_lshrrev_b32_e32 v112, 24, v142
	s_delay_alu instid0(VALU_DEP_1) | instskip(SKIP_1) | instid1(VALU_DEP_1)
	v_mul_i32_i24_e32 v102, v102, v112
	v_bfe_i32 v112, v142, 16, 8
	v_mul_i32_i24_e32 v100, v100, v112
	v_bfe_u32 v112, v119, 24, 2
	s_delay_alu instid0(VALU_DEP_2) | instskip(SKIP_1) | instid1(VALU_DEP_3)
	v_add3_u32 v100, v143, v100, v102
	v_lshrrev_b16 v102, 8, v147
	v_mul_i32_i24_e32 v112, v112, v94
	s_delay_alu instid0(VALU_DEP_2) | instskip(NEXT) | instid1(VALU_DEP_1)
	v_bfe_i32 v102, v102, 0, 8
	v_mul_i32_i24_e32 v102, v110, v102
	v_bfe_i32 v110, v148, 8, 8
	s_delay_alu instid0(VALU_DEP_1) | instskip(SKIP_1) | instid1(VALU_DEP_2)
	v_mul_i32_i24_e32 v106, v106, v110
	v_bfe_u32 v110, v21, 8, 2
	v_add3_u32 v102, v102, v106, v144
	v_and_b32_e32 v106, 3, v21
	s_delay_alu instid0(VALU_DEP_3) | instskip(NEXT) | instid1(VALU_DEP_2)
	v_mul_i32_i24_e32 v110, v110, v114
	v_mul_i32_i24_e32 v106, v106, v89
	s_delay_alu instid0(VALU_DEP_1) | instskip(SKIP_1) | instid1(VALU_DEP_1)
	v_add3_u32 v20, v20, v106, v110
	v_ashrrev_i32_e32 v106, s20, v109
	v_and_b32_e32 v109, 3, v106
	v_bfe_u32 v110, v106, 8, 2
	s_delay_alu instid0(VALU_DEP_2) | instskip(NEXT) | instid1(VALU_DEP_2)
	v_mul_i32_i24_e32 v109, v109, v91
	v_mul_i32_i24_e32 v110, v110, v90
	s_delay_alu instid0(VALU_DEP_1) | instskip(SKIP_2) | instid1(VALU_DEP_2)
	v_add3_u32 v108, v108, v109, v110
	v_bfe_u32 v109, v117, 16, 2
	v_bfe_u32 v110, v117, 24, 2
	v_mul_i32_i24_e32 v109, v109, v93
	s_delay_alu instid0(VALU_DEP_2) | instskip(NEXT) | instid1(VALU_DEP_1)
	v_mul_i32_i24_e32 v110, v110, v92
	v_add3_u32 v109, v116, v109, v110
	v_bfe_u32 v110, v119, 16, 2
	s_delay_alu instid0(VALU_DEP_1) | instskip(NEXT) | instid1(VALU_DEP_1)
	v_mul_i32_i24_e32 v110, v110, v95
	v_add3_u32 v110, v123, v110, v112
	v_bfe_u32 v112, v128, 16, 2
	s_delay_alu instid0(VALU_DEP_1) | instskip(NEXT) | instid1(VALU_DEP_1)
	v_mul_i32_i24_e32 v112, v112, v93
	v_add3_u32 v112, v124, v112, v115
	v_bfe_u32 v115, v22, 16, 2
	v_bfe_u32 v22, v22, 24, 2
	s_delay_alu instid0(VALU_DEP_2) | instskip(NEXT) | instid1(VALU_DEP_2)
	v_mul_i32_i24_e32 v115, v115, v95
	v_mul_i32_i24_e32 v22, v22, v94
	s_delay_alu instid0(VALU_DEP_1) | instskip(SKIP_1) | instid1(VALU_DEP_1)
	v_add3_u32 v22, v99, v115, v22
	v_bfe_u32 v99, v121, 16, 2
	v_mul_i32_i24_e32 v93, v99, v93
	v_bfe_u32 v99, v121, 24, 2
	s_delay_alu instid0(VALU_DEP_1) | instskip(NEXT) | instid1(VALU_DEP_1)
	v_mul_i32_i24_e32 v92, v99, v92
	v_add3_u32 v92, v96, v93, v92
	v_bfe_u32 v93, v104, 16, 2
	s_delay_alu instid0(VALU_DEP_1) | instskip(SKIP_1) | instid1(VALU_DEP_1)
	v_mul_i32_i24_e32 v93, v93, v95
	v_bfe_u32 v95, v104, 24, 2
	v_mul_i32_i24_e32 v94, v95, v94
	v_bfe_u32 v95, v21, 16, 2
	v_bfe_u32 v21, v21, 24, 2
	s_delay_alu instid0(VALU_DEP_3) | instskip(NEXT) | instid1(VALU_DEP_3)
	v_add3_u32 v93, v97, v93, v94
	v_mul_i32_i24_e32 v95, v95, v27
	s_delay_alu instid0(VALU_DEP_3) | instskip(SKIP_1) | instid1(VALU_DEP_2)
	v_mul_i32_i24_e32 v21, v21, v26
	v_add3_u32 v94, v111, v101, v102
	v_add3_u32 v20, v20, v95, v21
	v_bfe_u32 v21, v106, 16, 2
	v_bfe_u32 v95, v106, 24, 2
	;; [unrolled: 1-line block ×3, first 2 shown]
	v_cvt_f32_i32_e32 v94, v94
	s_delay_alu instid0(VALU_DEP_4) | instskip(NEXT) | instid1(VALU_DEP_4)
	v_mul_i32_i24_e32 v21, v21, v88
	v_mul_i32_i24_e32 v95, v95, v87
	s_delay_alu instid0(VALU_DEP_4) | instskip(NEXT) | instid1(VALU_DEP_2)
	v_mul_i32_i24_e32 v106, v106, v90
	v_add3_u32 v21, v108, v21, v95
	v_ashrrev_i32_e32 v95, s20, v118
	s_delay_alu instid0(VALU_DEP_1) | instskip(SKIP_1) | instid1(VALU_DEP_2)
	v_and_b32_e32 v96, 3, v95
	v_bfe_u32 v97, v95, 8, 2
	v_mul_i32_i24_e32 v96, v96, v89
	s_delay_alu instid0(VALU_DEP_2) | instskip(NEXT) | instid1(VALU_DEP_1)
	v_mul_i32_i24_e32 v97, v97, v114
	v_add3_u32 v96, v109, v96, v97
	v_ashrrev_i32_e32 v97, s20, v125
	s_delay_alu instid0(VALU_DEP_1) | instskip(SKIP_1) | instid1(VALU_DEP_2)
	v_and_b32_e32 v99, 3, v97
	v_bfe_u32 v101, v97, 8, 2
	v_mul_i32_i24_e32 v99, v99, v91
	s_delay_alu instid0(VALU_DEP_2) | instskip(NEXT) | instid1(VALU_DEP_1)
	;; [unrolled: 8-line block ×3, first 2 shown]
	v_mul_i32_i24_e32 v104, v104, v114
	v_add3_u32 v102, v112, v102, v104
	v_and_b32_e32 v104, 3, v23
	s_delay_alu instid0(VALU_DEP_1) | instskip(NEXT) | instid1(VALU_DEP_1)
	v_mul_i32_i24_e32 v104, v104, v91
	v_add3_u32 v22, v22, v104, v106
	v_ashrrev_i32_e32 v104, s20, v122
	s_delay_alu instid0(VALU_DEP_1) | instskip(NEXT) | instid1(VALU_DEP_1)
	v_and_b32_e32 v106, 3, v104
	v_mul_i32_i24_e32 v89, v106, v89
	v_bfe_u32 v106, v104, 8, 2
	s_delay_alu instid0(VALU_DEP_1) | instskip(NEXT) | instid1(VALU_DEP_1)
	v_mul_i32_i24_e32 v106, v106, v114
	v_add3_u32 v89, v92, v89, v106
	v_ashrrev_i32_e32 v92, s20, v136
	s_lshr_b32 s20, s1, 2
	s_wait_alu 0xfffe
	s_and_b32 s20, s20, 0x3ffffffc
	s_delay_alu instid0(VALU_DEP_1) | instskip(SKIP_2) | instid1(VALU_DEP_1)
	v_and_b32_e32 v106, 3, v92
	s_wait_alu 0xfffe
	s_addk_co_i32 s20, 0x5280
	v_mul_i32_i24_e32 v91, v106, v91
	v_bfe_u32 v106, v92, 8, 2
	s_delay_alu instid0(VALU_DEP_1) | instskip(NEXT) | instid1(VALU_DEP_1)
	v_mul_i32_i24_e32 v90, v106, v90
	v_add3_u32 v90, v93, v91, v90
	v_bfe_u32 v91, v95, 16, 2
	v_bfe_u32 v93, v95, 24, 2
	;; [unrolled: 1-line block ×3, first 2 shown]
	s_delay_alu instid0(VALU_DEP_3) | instskip(NEXT) | instid1(VALU_DEP_3)
	v_mul_i32_i24_e32 v91, v91, v27
	v_mul_i32_i24_e32 v93, v93, v26
	s_delay_alu instid0(VALU_DEP_3) | instskip(NEXT) | instid1(VALU_DEP_2)
	v_mul_i32_i24_e32 v95, v95, v87
	v_add3_u32 v91, v96, v91, v93
	v_bfe_u32 v93, v97, 16, 2
	v_bfe_u32 v96, v101, 24, 2
	v_and_b32_e32 v97, 15, v139
	s_delay_alu instid0(VALU_DEP_3) | instskip(NEXT) | instid1(VALU_DEP_3)
	v_mul_i32_i24_e32 v93, v93, v88
	v_mul_i32_i24_e32 v96, v96, v26
	s_delay_alu instid0(VALU_DEP_2) | instskip(SKIP_2) | instid1(VALU_DEP_2)
	v_add3_u32 v93, v99, v93, v95
	v_bfe_u32 v95, v101, 16, 2
	v_and_b32_e32 v99, 15, v140
	v_mul_i32_i24_e32 v95, v95, v27
	s_delay_alu instid0(VALU_DEP_1) | instskip(SKIP_2) | instid1(VALU_DEP_2)
	v_add3_u32 v95, v102, v95, v96
	v_bfe_u32 v96, v23, 16, 2
	v_bfe_u32 v23, v23, 24, 2
	v_mul_i32_i24_e32 v96, v96, v88
	s_delay_alu instid0(VALU_DEP_2) | instskip(NEXT) | instid1(VALU_DEP_1)
	v_mul_i32_i24_e32 v23, v23, v87
	v_add3_u32 v23, v22, v96, v23
	v_bfe_u32 v22, v104, 16, 2
	s_delay_alu instid0(VALU_DEP_1) | instskip(SKIP_1) | instid1(VALU_DEP_1)
	v_mul_i32_i24_e32 v22, v22, v27
	v_bfe_u32 v27, v104, 24, 2
	v_mul_i32_i24_e32 v26, v27, v26
	s_wait_alu 0xfffe
	v_add3_u32 v27, s20, v78, v79
	s_delay_alu instid0(VALU_DEP_2) | instskip(SKIP_1) | instid1(VALU_DEP_1)
	v_add3_u32 v26, v89, v22, v26
	v_bfe_u32 v22, v92, 16, 2
	v_mul_i32_i24_e32 v22, v22, v88
	v_bfe_u32 v88, v92, 24, 2
	v_and_b32_e32 v92, 15, v107
	s_delay_alu instid0(VALU_DEP_2)
	v_mul_i32_i24_e32 v87, v88, v87
	v_add3_u32 v88, s20, v82, v83
	ds_load_b32 v89, v27
	ds_load_b32 v88, v88
	v_add3_u32 v27, v90, v22, v87
	v_add3_u32 v22, s20, v84, v85
	;; [unrolled: 1-line block ×3, first 2 shown]
	ds_load_b32 v90, v22
	ds_load_b32 v87, v87
	v_and_b32_e32 v22, 15, v113
	s_add_co_i32 s20, s1, 2
	s_cmp_lt_u32 s1, 14
	s_wait_alu 0xfffe
	s_mov_b32 s1, s20
	v_mul_lo_u32 v20, v20, v22
	v_and_b32_e32 v22, 15, v133
	s_delay_alu instid0(VALU_DEP_2)
	v_mad_co_u64_u32 v[20:21], null, v21, v92, v[20:21]
	v_and_b32_e32 v21, 15, v120
	ds_load_b32 v92, v25
	v_add_nc_u32_e32 v25, 4, v25
	s_wait_dscnt 0x1
	v_lshrrev_b32_e32 v96, 16, v87
	v_mul_lo_u32 v21, v91, v21
	v_lshrrev_b32_e32 v91, 16, v90
	v_cvt_f32_i32_e32 v20, v20
	s_delay_alu instid0(VALU_DEP_4) | instskip(NEXT) | instid1(VALU_DEP_3)
	v_cvt_f32_f16_e32 v96, v96
	v_cvt_f32_f16_e32 v91, v91
	v_mad_co_u64_u32 v[21:22], null, v93, v22, v[21:22]
	v_and_b32_e32 v22, 15, v146
	v_lshrrev_b32_e32 v93, 16, v89
	s_delay_alu instid0(VALU_DEP_4) | instskip(NEXT) | instid1(VALU_DEP_3)
	v_mul_f32_e32 v91, v91, v94
	v_mul_lo_u32 v22, v95, v22
	v_lshrrev_b32_e32 v95, 16, v88
	s_delay_alu instid0(VALU_DEP_4) | instskip(SKIP_1) | instid1(VALU_DEP_3)
	v_cvt_f32_f16_e32 v93, v93
	v_cvt_f32_i32_e32 v21, v21
	v_cvt_f32_f16_e32 v95, v95
	v_mad_co_u64_u32 v[22:23], null, v23, v99, v[22:23]
	v_mul_lo_u32 v23, v26, v97
	v_and_b32_e32 v26, 15, v103
	v_cvt_f32_i32_e32 v97, v98
	v_cvt_f32_i32_e32 v98, v105
	;; [unrolled: 1-line block ×4, first 2 shown]
	v_mad_co_u64_u32 v[26:27], null, v27, v26, v[23:24]
	v_mul_f32_e32 v23, v93, v97
	v_mul_f32_e32 v27, v96, v98
	v_dual_mul_f32 v93, v95, v99 :: v_dual_add_nc_u32 v24, 32, v24
	s_delay_alu instid0(VALU_DEP_3) | instskip(SKIP_1) | instid1(VALU_DEP_4)
	v_fma_mix_f32 v20, v89, v20, -v23 op_sel_hi:[1,0,0]
	v_cvt_f32_i32_e32 v26, v26
	v_fma_mix_f32 v21, v87, v21, -v27 op_sel_hi:[1,0,0]
	s_delay_alu instid0(VALU_DEP_4)
	v_fma_mix_f32 v22, v88, v22, -v93 op_sel_hi:[1,0,0]
	s_wait_dscnt 0x0
	v_fmac_f32_e32 v30, v92, v20
	v_fma_mix_f32 v23, v90, v26, -v91 op_sel_hi:[1,0,0]
	v_fmac_f32_e32 v63, v92, v21
	v_fmac_f32_e32 v59, v92, v22
	s_delay_alu instid0(VALU_DEP_3)
	v_fmac_f32_e32 v17, v92, v23
	s_cbranch_scc1 .LBB188_19
; %bb.20:                               ;   in Loop: Header=BB188_5 Depth=1
	s_or_b32 s1, s18, 0x100
	s_wait_loadcnt 0x0
	s_wait_alu 0xfffe
	s_cmp_ge_i32 s1, s5
	s_barrier_signal -1
	s_barrier_wait -1
	global_inv scope:SCOPE_SE
	s_cbranch_scc1 .LBB188_4
; %bb.21:                               ;   in Loop: Header=BB188_5 Depth=1
	v_add_nc_u32_e32 v20, s19, v65
	s_delay_alu instid0(VALU_DEP_1)
	v_cmp_gt_i32_e64 s1, s6, v20
	s_and_b32 s20, s0, s1
	s_wait_alu 0xfffe
	s_and_saveexec_b32 s1, s20
	s_cbranch_execz .LBB188_23
; %bb.22:                               ;   in Loop: Header=BB188_5 Depth=1
	v_add_nc_u32_e32 v20, v67, v20
	s_delay_alu instid0(VALU_DEP_1)
	v_mad_co_i64_i32 v[20:21], null, v20, 36, v[18:19]
	global_load_b32 v20, v[20:21], off offset:4
	s_wait_loadcnt 0x0
	ds_store_b32 v60, v20
.LBB188_23:                             ;   in Loop: Header=BB188_5 Depth=1
	s_wait_alu 0xfffe
	s_or_b32 exec_lo, exec_lo, s1
	s_and_saveexec_b32 s20, vcc_lo
	s_cbranch_execz .LBB188_26
; %bb.24:                               ;   in Loop: Header=BB188_5 Depth=1
	v_or_b32_e32 v20, 8, v86
	s_delay_alu instid0(VALU_DEP_1)
	v_cmp_gt_i32_e64 s1, s6, v20
	s_and_b32 s1, s0, s1
	s_wait_alu 0xfffe
	s_and_b32 exec_lo, exec_lo, s1
	s_cbranch_execz .LBB188_26
; %bb.25:                               ;   in Loop: Header=BB188_5 Depth=1
	v_ashrrev_i32_e32 v20, 31, v86
	v_add_co_u32 v21, s1, v67, v86
	s_wait_alu 0xf1ff
	s_delay_alu instid0(VALU_DEP_2) | instskip(NEXT) | instid1(VALU_DEP_2)
	v_add_co_ci_u32_e64 v22, null, v69, v20, s1
	v_mad_co_u64_u32 v[20:21], null, v21, 36, s[2:3]
	s_delay_alu instid0(VALU_DEP_1)
	v_mad_i32_i24 v21, v22, 36, v21
	global_load_b32 v20, v[20:21], off offset:288
	s_wait_loadcnt 0x0
	v_cvt_f32_f16_e32 v20, v20
	ds_store_b32 v62, v20
.LBB188_26:                             ;   in Loop: Header=BB188_5 Depth=1
	s_wait_alu 0xfffe
	s_or_b32 exec_lo, exec_lo, s20
	v_dual_mov_b32 v24, v58 :: v_dual_mov_b32 v25, v61
	s_mov_b32 s1, 16
	s_wait_loadcnt_dscnt 0x0
	s_barrier_signal -1
	s_barrier_wait -1
	global_inv scope:SCOPE_SE
.LBB188_27:                             ;   Parent Loop BB188_5 Depth=1
                                        ; =>  This Inner Loop Header: Depth=2
	ds_load_b128 v[20:23], v24
	ds_load_b128 v[117:120], v24 offset:16
	s_wait_alu 0xfffe
	s_and_b32 s21, s1, 0x3ffffff8
	s_add_co_i32 s20, s1, -16
	s_wait_alu 0xfffe
	v_lshl_add_u32 v99, s21, 2, v0
	s_and_b32 s21, s1, -16
	s_wait_alu 0xfffe
	s_add_co_i32 s21, s1, s21
	s_delay_alu instid0(VALU_DEP_1)
	v_add_nc_u32_e32 v124, 0x1098, v99
	v_add_nc_u32_e32 v128, 0x2108, v99
	;; [unrolled: 1-line block ×3, first 2 shown]
	s_wait_dscnt 0x1
	v_ashrrev_i32_e32 v96, 24, v20
	v_bfe_i32 v110, v21, 8, 8
	v_bfe_i32 v111, v20, 0, 8
	;; [unrolled: 1-line block ×3, first 2 shown]
	v_ashrrev_i32_e32 v108, 24, v21
	v_bfe_i32 v105, v20, 8, 8
	v_bfe_i32 v113, v21, 0, 8
	;; [unrolled: 1-line block ×3, first 2 shown]
	v_lshrrev_b16 v112, 8, v22
	v_ashrrev_i32_e32 v92, 24, v22
	v_bfe_i32 v93, v22, 16, 8
	v_bfe_i32 v115, v22, 0, 8
	v_lshrrev_b16 v114, 8, v23
	v_ashrrev_i32_e32 v26, 24, v23
	v_bfe_i32 v27, v23, 16, 8
	v_bfe_i32 v89, v23, 0, 8
	s_wait_dscnt 0x0
	v_ashrrev_i32_e32 v94, 24, v119
	v_bfe_i32 v95, v119, 16, 8
	v_bfe_i32 v98, v119, 0, 8
	;; [unrolled: 1-line block ×3, first 2 shown]
	v_ashrrev_i32_e32 v87, 24, v120
	v_bfe_i32 v88, v120, 16, 8
	v_bfe_i32 v91, v120, 0, 8
	v_bfe_i32 v90, v120, 8, 8
	ds_load_2addr_b32 v[22:23], v99 offset1:1
	ds_load_2addr_b32 v[20:21], v99 offset0:2 offset1:3
	ds_load_2addr_b32 v[119:120], v99 offset0:4 offset1:5
	v_lshrrev_b16 v116, 8, v117
	v_ashrrev_i32_e32 v102, 24, v117
	v_bfe_i32 v106, v117, 0, 8
	v_bfe_i32 v100, v117, 16, 8
	v_lshrrev_b16 v117, 8, v118
	v_ashrrev_i32_e32 v103, 24, v118
	v_bfe_i32 v107, v118, 0, 8
	v_bfe_i32 v101, v118, 16, 8
	;; [unrolled: 1-line block ×4, first 2 shown]
	s_wait_dscnt 0x2
	v_ashrrev_i32_e32 v23, s20, v23
	s_wait_dscnt 0x1
	v_ashrrev_i32_e32 v20, s20, v20
	v_ashrrev_i32_e32 v21, s20, v21
	s_delay_alu instid0(VALU_DEP_3) | instskip(SKIP_1) | instid1(VALU_DEP_2)
	v_and_b32_e32 v118, 3, v23
	v_bfe_u32 v121, v23, 8, 2
	v_mul_i32_i24_e32 v118, v118, v113
	s_delay_alu instid0(VALU_DEP_1) | instskip(SKIP_2) | instid1(VALU_DEP_2)
	v_mad_i32_i24 v118, v121, v110, v118
	v_bfe_u32 v121, v23, 16, 2
	v_bfe_u32 v23, v23, 24, 2
	v_mul_i32_i24_e32 v121, v121, v109
	s_delay_alu instid0(VALU_DEP_2) | instskip(NEXT) | instid1(VALU_DEP_1)
	v_mul_i32_i24_e32 v23, v23, v108
	v_add3_u32 v118, v118, v121, v23
	v_bfe_i32 v23, v116, 0, 8
	s_wait_dscnt 0x0
	v_ashrrev_i32_e32 v116, s20, v119
	s_delay_alu instid0(VALU_DEP_1) | instskip(SKIP_1) | instid1(VALU_DEP_2)
	v_and_b32_e32 v119, 3, v116
	v_bfe_u32 v121, v116, 8, 2
	v_mul_i32_i24_e32 v119, v119, v106
	s_delay_alu instid0(VALU_DEP_1) | instskip(SKIP_2) | instid1(VALU_DEP_2)
	v_mad_i32_i24 v119, v121, v23, v119
	v_bfe_u32 v121, v116, 16, 2
	v_bfe_u32 v116, v116, 24, 2
	v_mul_i32_i24_e32 v121, v121, v100
	s_delay_alu instid0(VALU_DEP_2) | instskip(NEXT) | instid1(VALU_DEP_1)
	v_mul_i32_i24_e32 v116, v116, v102
	v_add3_u32 v121, v119, v121, v116
	v_ashrrev_i32_e32 v116, s20, v22
	v_and_b32_e32 v119, 3, v20
	s_delay_alu instid0(VALU_DEP_2) | instskip(NEXT) | instid1(VALU_DEP_2)
	v_and_b32_e32 v22, 3, v116
	v_mul_i32_i24_e32 v119, v119, v115
	s_delay_alu instid0(VALU_DEP_2) | instskip(NEXT) | instid1(VALU_DEP_1)
	v_mul_i32_i24_e32 v22, v111, v22
	v_add3_u32 v119, v118, v119, v22
	v_ashrrev_i32_e32 v118, s20, v120
	v_bfe_i32 v22, v117, 0, 8
	s_delay_alu instid0(VALU_DEP_2) | instskip(SKIP_1) | instid1(VALU_DEP_2)
	v_and_b32_e32 v117, 3, v118
	v_bfe_u32 v120, v118, 8, 2
	v_mul_i32_i24_e32 v117, v117, v107
	s_delay_alu instid0(VALU_DEP_2) | instskip(NEXT) | instid1(VALU_DEP_1)
	v_mul_i32_i24_e32 v120, v120, v22
	v_add3_u32 v117, v121, v117, v120
	v_add_nc_u32_e32 v120, 0x1080, v99
	ds_load_2addr_b32 v[121:122], v120 offset1:1
	s_wait_dscnt 0x0
	v_ashrrev_i32_e32 v120, s20, v122
	s_delay_alu instid0(VALU_DEP_1) | instskip(SKIP_1) | instid1(VALU_DEP_2)
	v_and_b32_e32 v122, 3, v120
	v_bfe_u32 v123, v120, 8, 2
	v_mul_i32_i24_e32 v122, v122, v113
	s_delay_alu instid0(VALU_DEP_1) | instskip(SKIP_2) | instid1(VALU_DEP_2)
	v_mad_i32_i24 v122, v123, v110, v122
	v_bfe_u32 v123, v120, 16, 2
	v_bfe_u32 v120, v120, 24, 2
	v_mul_i32_i24_e32 v123, v123, v109
	s_delay_alu instid0(VALU_DEP_2) | instskip(NEXT) | instid1(VALU_DEP_1)
	v_mul_i32_i24_e32 v120, v120, v108
	v_add3_u32 v137, v122, v123, v120
	s_wait_alu 0xfffe
	v_add_nc_u32_e32 v120, s21, v71
	v_add_nc_u32_e32 v122, 0x1090, v99
	ds_load_u16 v120, v120 offset:17904
	ds_load_2addr_b32 v[122:123], v122 offset1:1
	ds_load_2addr_b32 v[124:125], v124 offset1:1
	s_wait_dscnt 0x1
	v_ashrrev_i32_e32 v122, s20, v122
	v_ashrrev_i32_e32 v123, s20, v123
	s_delay_alu instid0(VALU_DEP_2) | instskip(SKIP_1) | instid1(VALU_DEP_2)
	v_and_b32_e32 v126, 3, v122
	v_bfe_u32 v127, v122, 8, 2
	v_mul_i32_i24_e32 v126, v126, v106
	s_delay_alu instid0(VALU_DEP_1) | instskip(SKIP_2) | instid1(VALU_DEP_2)
	v_mad_i32_i24 v126, v127, v23, v126
	v_bfe_u32 v127, v122, 16, 2
	v_bfe_u32 v122, v122, 24, 2
	v_mul_i32_i24_e32 v127, v127, v100
	s_delay_alu instid0(VALU_DEP_2) | instskip(NEXT) | instid1(VALU_DEP_1)
	v_mul_i32_i24_e32 v122, v122, v102
	v_add3_u32 v122, v126, v127, v122
	v_add_nc_u32_e32 v126, 0x2100, v99
	ds_load_2addr_b32 v[126:127], v126 offset1:1
	ds_load_2addr_b32 v[128:129], v128 offset1:1
	;; [unrolled: 1-line block ×3, first 2 shown]
	s_wait_dscnt 0x2
	v_ashrrev_i32_e32 v127, s20, v127
	v_ashrrev_i32_e32 v126, s20, v126
	s_wait_dscnt 0x0
	v_ashrrev_i32_e32 v130, s20, v130
	v_ashrrev_i32_e32 v128, s20, v128
	;; [unrolled: 1-line block ×3, first 2 shown]
	v_and_b32_e32 v132, 3, v127
	v_bfe_u32 v133, v127, 8, 2
	s_delay_alu instid0(VALU_DEP_2) | instskip(NEXT) | instid1(VALU_DEP_1)
	v_mul_i32_i24_e32 v132, v132, v113
	v_mad_i32_i24 v132, v133, v110, v132
	v_bfe_u32 v133, v127, 16, 2
	v_bfe_u32 v127, v127, 24, 2
	s_delay_alu instid0(VALU_DEP_2) | instskip(NEXT) | instid1(VALU_DEP_2)
	v_mul_i32_i24_e32 v133, v133, v109
	v_mul_i32_i24_e32 v127, v127, v108
	s_delay_alu instid0(VALU_DEP_1) | instskip(SKIP_2) | instid1(VALU_DEP_2)
	v_add3_u32 v127, v132, v133, v127
	v_and_b32_e32 v132, 3, v130
	v_bfe_u32 v133, v130, 8, 2
	v_mul_i32_i24_e32 v132, v132, v106
	s_delay_alu instid0(VALU_DEP_1) | instskip(SKIP_2) | instid1(VALU_DEP_2)
	v_mad_i32_i24 v132, v133, v23, v132
	v_bfe_u32 v133, v130, 16, 2
	v_bfe_u32 v130, v130, 24, 2
	v_mul_i32_i24_e32 v133, v133, v100
	s_delay_alu instid0(VALU_DEP_2) | instskip(NEXT) | instid1(VALU_DEP_1)
	v_mul_i32_i24_e32 v130, v130, v102
	v_add3_u32 v130, v132, v133, v130
	v_add_nc_u32_e32 v132, 0x3180, v99
	ds_load_2addr_b32 v[132:133], v132 offset1:1
	s_wait_dscnt 0x0
	v_ashrrev_i32_e32 v133, s20, v133
	v_ashrrev_i32_e32 v132, s20, v132
	s_delay_alu instid0(VALU_DEP_2) | instskip(SKIP_1) | instid1(VALU_DEP_2)
	v_and_b32_e32 v134, 3, v133
	v_bfe_u32 v135, v133, 8, 2
	v_mul_i32_i24_e32 v134, v134, v113
	s_delay_alu instid0(VALU_DEP_1) | instskip(SKIP_3) | instid1(VALU_DEP_3)
	v_mad_i32_i24 v134, v135, v110, v134
	v_bfe_u32 v135, v133, 16, 2
	v_bfe_u32 v133, v133, 24, 2
	v_add_nc_u32_e32 v110, v105, v110
	v_mul_i32_i24_e32 v135, v135, v109
	s_delay_alu instid0(VALU_DEP_3) | instskip(NEXT) | instid1(VALU_DEP_3)
	v_mul_i32_i24_e32 v133, v133, v108
	v_add3_u32 v110, v110, v112, v114
	v_add_nc_u32_e32 v108, v108, v96
	v_add_nc_u32_e32 v109, v109, v104
	s_delay_alu instid0(VALU_DEP_4) | instskip(SKIP_2) | instid1(VALU_DEP_4)
	v_add3_u32 v138, v134, v135, v133
	v_add_nc_u32_e32 v133, s21, v70
	v_add_nc_u32_e32 v135, 0x3198, v99
	v_add3_u32 v145, v109, v93, v27
	ds_load_u16 v139, v133 offset:19952
	v_add_nc_u32_e32 v133, 0x3190, v99
	ds_load_2addr_b32 v[133:134], v133 offset1:1
	ds_load_2addr_b32 v[135:136], v135 offset1:1
	s_wait_dscnt 0x1
	v_ashrrev_i32_e32 v133, s20, v133
	v_ashrrev_i32_e32 v134, s20, v134
	s_delay_alu instid0(VALU_DEP_2) | instskip(SKIP_1) | instid1(VALU_DEP_2)
	v_and_b32_e32 v140, 3, v133
	v_bfe_u32 v141, v133, 8, 2
	v_mul_i32_i24_e32 v140, v140, v106
	v_add_nc_u32_e32 v106, v107, v106
	s_delay_alu instid0(VALU_DEP_2) | instskip(SKIP_2) | instid1(VALU_DEP_2)
	v_mad_i32_i24 v140, v141, v23, v140
	v_bfe_u32 v141, v133, 16, 2
	v_bfe_u32 v133, v133, 24, 2
	v_mul_i32_i24_e32 v141, v141, v100
	s_delay_alu instid0(VALU_DEP_2) | instskip(NEXT) | instid1(VALU_DEP_1)
	v_mul_i32_i24_e32 v133, v133, v102
	v_add3_u32 v133, v140, v141, v133
	v_bfe_u32 v140, v116, 8, 2
	v_bfe_u32 v141, v116, 16, 2
	s_delay_alu instid0(VALU_DEP_2) | instskip(NEXT) | instid1(VALU_DEP_2)
	v_mul_i32_i24_e32 v140, v105, v140
	v_mul_i32_i24_e32 v141, v104, v141
	s_delay_alu instid0(VALU_DEP_1) | instskip(SKIP_3) | instid1(VALU_DEP_3)
	v_add3_u32 v119, v119, v140, v141
	v_bfe_u32 v140, v118, 16, 2
	v_bfe_u32 v118, v118, 24, 2
	v_ashrrev_i32_e32 v141, s20, v121
	v_mul_i32_i24_e32 v140, v140, v101
	s_delay_alu instid0(VALU_DEP_3) | instskip(NEXT) | instid1(VALU_DEP_1)
	v_mul_i32_i24_e32 v118, v118, v103
	v_add3_u32 v140, v117, v140, v118
	s_delay_alu instid0(VALU_DEP_4) | instskip(NEXT) | instid1(VALU_DEP_1)
	v_and_b32_e32 v117, 3, v141
	v_mul_i32_i24_e32 v121, v111, v117
	v_add_nc_u32_e32 v117, 0x1088, v99
	ds_load_2addr_b32 v[117:118], v117 offset1:1
	s_wait_dscnt 0x0
	v_ashrrev_i32_e32 v117, s20, v117
	s_delay_alu instid0(VALU_DEP_1) | instskip(NEXT) | instid1(VALU_DEP_1)
	v_and_b32_e32 v142, 3, v117
	v_mul_i32_i24_e32 v142, v142, v115
	s_delay_alu instid0(VALU_DEP_1) | instskip(SKIP_2) | instid1(VALU_DEP_2)
	v_add3_u32 v137, v137, v142, v121
	v_and_b32_e32 v121, 3, v123
	v_bfe_u32 v142, v123, 8, 2
	v_mul_i32_i24_e32 v121, v121, v107
	s_delay_alu instid0(VALU_DEP_2) | instskip(NEXT) | instid1(VALU_DEP_1)
	v_mul_i32_i24_e32 v142, v142, v22
	v_add3_u32 v142, v122, v121, v142
	v_and_b32_e32 v121, 3, v126
	v_and_b32_e32 v122, 3, v128
	s_delay_alu instid0(VALU_DEP_2) | instskip(NEXT) | instid1(VALU_DEP_2)
	v_mul_i32_i24_e32 v121, v111, v121
	v_mul_i32_i24_e32 v122, v122, v115
	s_delay_alu instid0(VALU_DEP_1) | instskip(SKIP_2) | instid1(VALU_DEP_2)
	v_add3_u32 v127, v127, v122, v121
	v_and_b32_e32 v121, 3, v131
	v_bfe_u32 v122, v131, 8, 2
	v_mul_i32_i24_e32 v121, v121, v107
	s_delay_alu instid0(VALU_DEP_2) | instskip(NEXT) | instid1(VALU_DEP_1)
	v_mul_i32_i24_e32 v122, v122, v22
	v_add3_u32 v130, v130, v121, v122
	v_and_b32_e32 v121, 3, v132
	s_delay_alu instid0(VALU_DEP_1)
	v_mul_i32_i24_e32 v143, v111, v121
	v_add_nc_u32_e32 v121, 0x3188, v99
	v_add_nc_u32_e32 v111, v113, v111
	;; [unrolled: 1-line block ×3, first 2 shown]
	ds_load_2addr_b32 v[121:122], v121 offset1:1
	v_add3_u32 v111, v111, v115, v89
	ds_load_u16 v113, v113 offset:16880
	s_wait_dscnt 0x1
	v_ashrrev_i32_e32 v121, s20, v121
	s_delay_alu instid0(VALU_DEP_1) | instskip(NEXT) | instid1(VALU_DEP_1)
	v_and_b32_e32 v144, 3, v121
	v_mul_i32_i24_e32 v144, v144, v115
	s_wait_dscnt 0x0
	v_bfe_u32 v115, v113, 4, 4
	s_delay_alu instid0(VALU_DEP_2) | instskip(SKIP_2) | instid1(VALU_DEP_4)
	v_add3_u32 v138, v138, v144, v143
	v_and_b32_e32 v143, 3, v134
	v_bfe_u32 v144, v134, 8, 2
	v_mul_lo_u32 v115, 0x1010101, v115
	s_delay_alu instid0(VALU_DEP_3) | instskip(NEXT) | instid1(VALU_DEP_3)
	v_mul_i32_i24_e32 v143, v143, v107
	v_mul_i32_i24_e32 v144, v144, v22
	v_add_nc_u32_e32 v22, v22, v23
	v_add3_u32 v23, v106, v98, v91
	v_bfe_i32 v109, v115, 16, 8
	s_delay_alu instid0(VALU_DEP_4)
	v_add3_u32 v133, v133, v143, v144
	v_bfe_i32 v143, v115, 0, 8
	v_bfe_i32 v144, v115, 8, 8
	v_add3_u32 v106, v22, v97, v90
	v_mul_i32_i24_e32 v109, v145, v109
	v_lshrrev_b16 v22, 8, v113
	v_mul_i32_i24_e32 v143, v111, v143
	s_delay_alu instid0(VALU_DEP_2) | instskip(NEXT) | instid1(VALU_DEP_2)
	v_and_b32_e32 v107, 0xffff, v22
	v_mad_i32_i24 v143, v110, v144, v143
	v_add3_u32 v144, v108, v92, v26
	v_lshrrev_b32_e32 v108, 24, v115
	s_delay_alu instid0(VALU_DEP_4) | instskip(NEXT) | instid1(VALU_DEP_2)
	v_lshrrev_b32_e32 v22, 4, v107
	v_mul_i32_i24_e32 v108, v144, v108
	s_delay_alu instid0(VALU_DEP_1) | instskip(SKIP_1) | instid1(VALU_DEP_1)
	v_add3_u32 v115, v143, v109, v108
	v_bfe_u32 v108, v120, 4, 4
	v_mul_lo_u32 v108, 0x1010101, v108
	s_delay_alu instid0(VALU_DEP_1) | instskip(SKIP_1) | instid1(VALU_DEP_2)
	v_bfe_i32 v109, v108, 0, 8
	v_bfe_i32 v143, v108, 8, 8
	v_mul_i32_i24_e32 v109, v111, v109
	s_delay_alu instid0(VALU_DEP_1) | instskip(SKIP_2) | instid1(VALU_DEP_2)
	v_mad_i32_i24 v109, v110, v143, v109
	v_lshrrev_b32_e32 v143, 24, v108
	v_bfe_i32 v108, v108, 16, 8
	v_mul_i32_i24_e32 v143, v144, v143
	s_delay_alu instid0(VALU_DEP_2) | instskip(NEXT) | instid1(VALU_DEP_1)
	v_mul_i32_i24_e32 v108, v145, v108
	v_add3_u32 v143, v109, v108, v143
	v_add_nc_u32_e32 v108, s21, v72
	ds_load_u16 v146, v108 offset:18928
	s_wait_dscnt 0x0
	v_bfe_u32 v108, v146, 4, 4
	s_delay_alu instid0(VALU_DEP_1) | instskip(NEXT) | instid1(VALU_DEP_1)
	v_mul_lo_u32 v108, 0x1010101, v108
	v_bfe_i32 v109, v108, 0, 8
	v_bfe_i32 v147, v108, 8, 8
	s_delay_alu instid0(VALU_DEP_2) | instskip(NEXT) | instid1(VALU_DEP_1)
	v_mul_i32_i24_e32 v109, v111, v109
	v_mad_i32_i24 v109, v110, v147, v109
	v_lshrrev_b32_e32 v147, 24, v108
	v_bfe_i32 v108, v108, 16, 8
	s_delay_alu instid0(VALU_DEP_2) | instskip(NEXT) | instid1(VALU_DEP_2)
	v_mul_i32_i24_e32 v147, v144, v147
	v_mul_i32_i24_e32 v108, v145, v108
	s_delay_alu instid0(VALU_DEP_1) | instskip(SKIP_2) | instid1(VALU_DEP_2)
	v_add3_u32 v147, v109, v108, v147
	v_bfe_u32 v108, v116, 24, 2
	v_bfe_u32 v109, v20, 8, 2
	v_mul_i32_i24_e32 v108, v96, v108
	s_delay_alu instid0(VALU_DEP_2) | instskip(NEXT) | instid1(VALU_DEP_1)
	v_mul_i32_i24_e32 v109, v109, v112
	v_add3_u32 v116, v119, v108, v109
	ds_load_2addr_b32 v[108:109], v99 offset0:6 offset1:7
	s_wait_dscnt 0x0
	v_ashrrev_i32_e32 v108, s20, v108
	s_delay_alu instid0(VALU_DEP_1) | instskip(SKIP_1) | instid1(VALU_DEP_2)
	v_and_b32_e32 v119, 3, v108
	v_bfe_u32 v148, v108, 8, 2
	v_mul_i32_i24_e32 v119, v119, v98
	s_delay_alu instid0(VALU_DEP_2) | instskip(NEXT) | instid1(VALU_DEP_1)
	v_mul_i32_i24_e32 v148, v148, v97
	v_add3_u32 v119, v140, v119, v148
	v_bfe_u32 v140, v141, 8, 2
	v_bfe_u32 v148, v141, 16, 2
	s_delay_alu instid0(VALU_DEP_2) | instskip(NEXT) | instid1(VALU_DEP_2)
	v_mul_i32_i24_e32 v140, v105, v140
	v_mul_i32_i24_e32 v148, v104, v148
	s_delay_alu instid0(VALU_DEP_1) | instskip(SKIP_2) | instid1(VALU_DEP_2)
	v_add3_u32 v137, v137, v140, v148
	v_bfe_u32 v140, v123, 16, 2
	v_bfe_u32 v123, v123, 24, 2
	v_mul_i32_i24_e32 v140, v140, v101
	s_delay_alu instid0(VALU_DEP_2) | instskip(NEXT) | instid1(VALU_DEP_1)
	v_mul_i32_i24_e32 v123, v123, v103
	v_add3_u32 v123, v142, v140, v123
	v_bfe_u32 v140, v126, 8, 2
	v_bfe_u32 v142, v126, 16, 2
	s_delay_alu instid0(VALU_DEP_2) | instskip(NEXT) | instid1(VALU_DEP_2)
	v_mul_i32_i24_e32 v140, v105, v140
	v_mul_i32_i24_e32 v142, v104, v142
	s_delay_alu instid0(VALU_DEP_1) | instskip(SKIP_2) | instid1(VALU_DEP_2)
	v_add3_u32 v127, v127, v140, v142
	v_bfe_u32 v140, v131, 16, 2
	v_bfe_u32 v131, v131, 24, 2
	v_mul_i32_i24_e32 v140, v140, v101
	s_delay_alu instid0(VALU_DEP_2) | instskip(NEXT) | instid1(VALU_DEP_1)
	v_mul_i32_i24_e32 v131, v131, v103
	v_add3_u32 v130, v130, v140, v131
	v_bfe_u32 v131, v132, 8, 2
	s_delay_alu instid0(VALU_DEP_1) | instskip(SKIP_1) | instid1(VALU_DEP_1)
	v_mul_i32_i24_e32 v105, v105, v131
	v_bfe_u32 v131, v132, 16, 2
	v_mul_i32_i24_e32 v104, v104, v131
	v_bfe_u32 v131, v134, 24, 2
	s_delay_alu instid0(VALU_DEP_2) | instskip(SKIP_1) | instid1(VALU_DEP_3)
	v_add3_u32 v104, v138, v105, v104
	v_bfe_u32 v105, v134, 16, 2
	v_mul_i32_i24_e32 v131, v131, v103
	s_delay_alu instid0(VALU_DEP_2) | instskip(NEXT) | instid1(VALU_DEP_1)
	v_mul_i32_i24_e32 v105, v105, v101
	v_add3_u32 v105, v133, v105, v131
	v_mul_lo_u32 v131, 0x1010101, v22
	s_delay_alu instid0(VALU_DEP_1) | instskip(SKIP_1) | instid1(VALU_DEP_2)
	v_bfe_i32 v22, v131, 0, 8
	v_bfe_i32 v133, v131, 8, 8
	v_mul_i32_i24_e32 v22, v23, v22
	s_delay_alu instid0(VALU_DEP_2) | instskip(NEXT) | instid1(VALU_DEP_1)
	v_mul_i32_i24_e32 v133, v106, v133
	v_add3_u32 v115, v115, v22, v133
	v_lshrrev_b16 v22, 8, v120
	s_delay_alu instid0(VALU_DEP_1) | instskip(NEXT) | instid1(VALU_DEP_1)
	v_and_b32_e32 v133, 0xffff, v22
	v_lshrrev_b32_e32 v22, 4, v133
	s_delay_alu instid0(VALU_DEP_1) | instskip(NEXT) | instid1(VALU_DEP_1)
	v_mul_lo_u32 v134, 0x1010101, v22
	v_bfe_i32 v22, v134, 0, 8
	v_bfe_i32 v138, v134, 8, 8
	s_delay_alu instid0(VALU_DEP_2) | instskip(NEXT) | instid1(VALU_DEP_2)
	v_mul_i32_i24_e32 v22, v23, v22
	v_mul_i32_i24_e32 v138, v106, v138
	s_delay_alu instid0(VALU_DEP_1) | instskip(SKIP_1) | instid1(VALU_DEP_1)
	v_add3_u32 v138, v143, v22, v138
	v_lshrrev_b16 v22, 8, v146
	v_and_b32_e32 v140, 0xffff, v22
	s_delay_alu instid0(VALU_DEP_1) | instskip(NEXT) | instid1(VALU_DEP_1)
	v_lshrrev_b32_e32 v22, 4, v140
	v_mul_lo_u32 v142, 0x1010101, v22
	s_delay_alu instid0(VALU_DEP_1) | instskip(SKIP_1) | instid1(VALU_DEP_2)
	v_bfe_i32 v22, v142, 0, 8
	v_bfe_i32 v143, v142, 8, 8
	v_mul_i32_i24_e32 v22, v23, v22
	s_delay_alu instid0(VALU_DEP_2) | instskip(NEXT) | instid1(VALU_DEP_1)
	v_mul_i32_i24_e32 v143, v106, v143
	v_add3_u32 v143, v147, v22, v143
	v_add_nc_u32_e32 v22, v103, v102
	s_delay_alu instid0(VALU_DEP_1) | instskip(SKIP_1) | instid1(VALU_DEP_1)
	v_add3_u32 v102, v22, v94, v87
	v_lshrrev_b16 v22, 8, v139
	v_and_b32_e32 v103, 0xffff, v22
	v_bfe_u32 v22, v139, 4, 4
	s_delay_alu instid0(VALU_DEP_1) | instskip(NEXT) | instid1(VALU_DEP_3)
	v_mul_lo_u32 v147, 0x1010101, v22
	v_lshrrev_b32_e32 v22, 4, v103
	s_delay_alu instid0(VALU_DEP_1) | instskip(NEXT) | instid1(VALU_DEP_3)
	v_mul_lo_u32 v148, 0x1010101, v22
	v_lshrrev_b32_e32 v149, 24, v147
	s_delay_alu instid0(VALU_DEP_2) | instskip(NEXT) | instid1(VALU_DEP_1)
	v_lshrrev_b32_e32 v22, 24, v148
	v_mul_i32_i24_e32 v22, v102, v22
	s_delay_alu instid0(VALU_DEP_1) | instskip(SKIP_2) | instid1(VALU_DEP_2)
	v_mad_i32_i24 v144, v144, v149, v22
	v_add_nc_u32_e32 v22, v101, v100
	v_bfe_i32 v101, v147, 16, 8
	v_add3_u32 v100, v22, v95, v88
	v_bfe_i32 v22, v148, 16, 8
	s_delay_alu instid0(VALU_DEP_1) | instskip(NEXT) | instid1(VALU_DEP_1)
	v_mul_i32_i24_e32 v22, v100, v22
	v_mad_i32_i24 v101, v145, v101, v22
	v_bfe_i32 v22, v148, 0, 8
	s_delay_alu instid0(VALU_DEP_1) | instskip(SKIP_1) | instid1(VALU_DEP_1)
	v_mul_i32_i24_e32 v22, v23, v22
	v_bfe_i32 v23, v147, 0, 8
	v_mad_i32_i24 v111, v111, v23, v22
	v_bfe_u32 v22, v20, 16, 2
	v_bfe_u32 v20, v20, 24, 2
	;; [unrolled: 1-line block ×3, first 2 shown]
	s_delay_alu instid0(VALU_DEP_3) | instskip(NEXT) | instid1(VALU_DEP_3)
	v_mul_i32_i24_e32 v22, v22, v93
	v_mul_i32_i24_e32 v20, v20, v92
	s_delay_alu instid0(VALU_DEP_3) | instskip(NEXT) | instid1(VALU_DEP_2)
	v_mul_i32_i24_e32 v23, v23, v94
	v_add3_u32 v20, v116, v22, v20
	v_bfe_u32 v22, v108, 16, 2
	s_delay_alu instid0(VALU_DEP_1) | instskip(NEXT) | instid1(VALU_DEP_1)
	v_mul_i32_i24_e32 v22, v22, v95
	v_add3_u32 v108, v119, v22, v23
	v_bfe_u32 v22, v141, 24, 2
	v_bfe_u32 v23, v117, 8, 2
	v_ashrrev_i32_e32 v119, s20, v124
	s_delay_alu instid0(VALU_DEP_3) | instskip(NEXT) | instid1(VALU_DEP_3)
	v_mul_i32_i24_e32 v22, v96, v22
	v_mul_i32_i24_e32 v23, v23, v112
	s_delay_alu instid0(VALU_DEP_1) | instskip(NEXT) | instid1(VALU_DEP_4)
	v_add3_u32 v116, v137, v22, v23
	v_and_b32_e32 v22, 3, v119
	v_bfe_u32 v23, v119, 8, 2
	s_delay_alu instid0(VALU_DEP_2) | instskip(NEXT) | instid1(VALU_DEP_2)
	v_mul_i32_i24_e32 v22, v22, v98
	v_mul_i32_i24_e32 v23, v23, v97
	s_delay_alu instid0(VALU_DEP_1) | instskip(SKIP_2) | instid1(VALU_DEP_2)
	v_add3_u32 v123, v123, v22, v23
	v_bfe_u32 v22, v126, 24, 2
	v_bfe_u32 v23, v128, 8, 2
	v_mul_i32_i24_e32 v22, v96, v22
	s_delay_alu instid0(VALU_DEP_2) | instskip(NEXT) | instid1(VALU_DEP_1)
	v_mul_i32_i24_e32 v23, v23, v112
	v_add3_u32 v124, v127, v22, v23
	v_add_nc_u32_e32 v22, 0x2118, v99
	ds_load_2addr_b32 v[22:23], v22 offset1:1
	s_wait_dscnt 0x0
	v_ashrrev_i32_e32 v22, s20, v22
	v_ashrrev_i32_e32 v23, s20, v23
	s_delay_alu instid0(VALU_DEP_2) | instskip(SKIP_1) | instid1(VALU_DEP_2)
	v_and_b32_e32 v99, 3, v22
	v_bfe_u32 v126, v22, 8, 2
	v_mul_i32_i24_e32 v99, v99, v98
	s_delay_alu instid0(VALU_DEP_2) | instskip(NEXT) | instid1(VALU_DEP_1)
	v_mul_i32_i24_e32 v126, v126, v97
	v_add3_u32 v99, v130, v99, v126
	v_bfe_u32 v126, v132, 24, 2
	s_delay_alu instid0(VALU_DEP_1) | instskip(SKIP_1) | instid1(VALU_DEP_1)
	v_mul_i32_i24_e32 v96, v96, v126
	v_bfe_u32 v126, v121, 8, 2
	v_mul_i32_i24_e32 v112, v126, v112
	s_delay_alu instid0(VALU_DEP_1) | instskip(SKIP_1) | instid1(VALU_DEP_1)
	v_add3_u32 v96, v104, v96, v112
	v_ashrrev_i32_e32 v104, s20, v135
	v_and_b32_e32 v112, 3, v104
	s_delay_alu instid0(VALU_DEP_1) | instskip(SKIP_1) | instid1(VALU_DEP_1)
	v_mul_i32_i24_e32 v98, v112, v98
	v_bfe_u32 v112, v104, 8, 2
	v_mul_i32_i24_e32 v97, v112, v97
	v_bfe_i32 v112, v134, 16, 8
	s_delay_alu instid0(VALU_DEP_2) | instskip(SKIP_2) | instid1(VALU_DEP_4)
	v_add3_u32 v97, v105, v98, v97
	v_lshrrev_b32_e32 v98, 24, v131
	v_bfe_i32 v105, v131, 16, 8
	v_mul_i32_i24_e32 v112, v100, v112
	s_delay_alu instid0(VALU_DEP_3) | instskip(NEXT) | instid1(VALU_DEP_3)
	v_mul_i32_i24_e32 v98, v102, v98
	v_mul_i32_i24_e32 v105, v100, v105
	s_delay_alu instid0(VALU_DEP_1) | instskip(SKIP_2) | instid1(VALU_DEP_2)
	v_add3_u32 v98, v115, v105, v98
	v_lshrrev_b32_e32 v105, 24, v134
	v_bfe_u32 v115, v128, 24, 2
	v_mul_i32_i24_e32 v105, v102, v105
	s_delay_alu instid0(VALU_DEP_2) | instskip(NEXT) | instid1(VALU_DEP_2)
	v_mul_i32_i24_e32 v115, v115, v92
	v_add3_u32 v105, v138, v112, v105
	v_lshrrev_b32_e32 v112, 24, v142
	s_delay_alu instid0(VALU_DEP_1) | instskip(SKIP_1) | instid1(VALU_DEP_1)
	v_mul_i32_i24_e32 v102, v102, v112
	v_bfe_i32 v112, v142, 16, 8
	v_mul_i32_i24_e32 v100, v100, v112
	v_bfe_u32 v112, v119, 24, 2
	s_delay_alu instid0(VALU_DEP_2) | instskip(SKIP_1) | instid1(VALU_DEP_3)
	v_add3_u32 v100, v143, v100, v102
	v_lshrrev_b16 v102, 8, v147
	v_mul_i32_i24_e32 v112, v112, v94
	s_delay_alu instid0(VALU_DEP_2) | instskip(NEXT) | instid1(VALU_DEP_1)
	v_bfe_i32 v102, v102, 0, 8
	v_mul_i32_i24_e32 v102, v110, v102
	v_bfe_i32 v110, v148, 8, 8
	s_delay_alu instid0(VALU_DEP_1) | instskip(SKIP_1) | instid1(VALU_DEP_2)
	v_mul_i32_i24_e32 v106, v106, v110
	v_bfe_u32 v110, v21, 8, 2
	v_add3_u32 v102, v102, v106, v144
	v_and_b32_e32 v106, 3, v21
	s_delay_alu instid0(VALU_DEP_3) | instskip(NEXT) | instid1(VALU_DEP_2)
	v_mul_i32_i24_e32 v110, v110, v114
	v_mul_i32_i24_e32 v106, v106, v89
	s_delay_alu instid0(VALU_DEP_1) | instskip(SKIP_1) | instid1(VALU_DEP_1)
	v_add3_u32 v20, v20, v106, v110
	v_ashrrev_i32_e32 v106, s20, v109
	v_and_b32_e32 v109, 3, v106
	v_bfe_u32 v110, v106, 8, 2
	s_delay_alu instid0(VALU_DEP_2) | instskip(NEXT) | instid1(VALU_DEP_2)
	v_mul_i32_i24_e32 v109, v109, v91
	v_mul_i32_i24_e32 v110, v110, v90
	s_delay_alu instid0(VALU_DEP_1) | instskip(SKIP_2) | instid1(VALU_DEP_2)
	v_add3_u32 v108, v108, v109, v110
	v_bfe_u32 v109, v117, 16, 2
	v_bfe_u32 v110, v117, 24, 2
	v_mul_i32_i24_e32 v109, v109, v93
	s_delay_alu instid0(VALU_DEP_2) | instskip(NEXT) | instid1(VALU_DEP_1)
	v_mul_i32_i24_e32 v110, v110, v92
	v_add3_u32 v109, v116, v109, v110
	v_bfe_u32 v110, v119, 16, 2
	s_delay_alu instid0(VALU_DEP_1) | instskip(NEXT) | instid1(VALU_DEP_1)
	v_mul_i32_i24_e32 v110, v110, v95
	v_add3_u32 v110, v123, v110, v112
	v_bfe_u32 v112, v128, 16, 2
	s_delay_alu instid0(VALU_DEP_1) | instskip(NEXT) | instid1(VALU_DEP_1)
	v_mul_i32_i24_e32 v112, v112, v93
	v_add3_u32 v112, v124, v112, v115
	v_bfe_u32 v115, v22, 16, 2
	v_bfe_u32 v22, v22, 24, 2
	s_delay_alu instid0(VALU_DEP_2) | instskip(NEXT) | instid1(VALU_DEP_2)
	v_mul_i32_i24_e32 v115, v115, v95
	v_mul_i32_i24_e32 v22, v22, v94
	s_delay_alu instid0(VALU_DEP_1) | instskip(SKIP_1) | instid1(VALU_DEP_1)
	v_add3_u32 v22, v99, v115, v22
	v_bfe_u32 v99, v121, 16, 2
	v_mul_i32_i24_e32 v93, v99, v93
	v_bfe_u32 v99, v121, 24, 2
	s_delay_alu instid0(VALU_DEP_1) | instskip(NEXT) | instid1(VALU_DEP_1)
	v_mul_i32_i24_e32 v92, v99, v92
	v_add3_u32 v92, v96, v93, v92
	v_bfe_u32 v93, v104, 16, 2
	s_delay_alu instid0(VALU_DEP_1) | instskip(SKIP_1) | instid1(VALU_DEP_1)
	v_mul_i32_i24_e32 v93, v93, v95
	v_bfe_u32 v95, v104, 24, 2
	v_mul_i32_i24_e32 v94, v95, v94
	v_bfe_u32 v95, v21, 16, 2
	v_bfe_u32 v21, v21, 24, 2
	s_delay_alu instid0(VALU_DEP_3) | instskip(NEXT) | instid1(VALU_DEP_3)
	v_add3_u32 v93, v97, v93, v94
	v_mul_i32_i24_e32 v95, v95, v27
	s_delay_alu instid0(VALU_DEP_3) | instskip(SKIP_1) | instid1(VALU_DEP_2)
	v_mul_i32_i24_e32 v21, v21, v26
	v_add3_u32 v94, v111, v101, v102
	v_add3_u32 v20, v20, v95, v21
	v_bfe_u32 v21, v106, 16, 2
	v_bfe_u32 v95, v106, 24, 2
	;; [unrolled: 1-line block ×3, first 2 shown]
	v_cvt_f32_i32_e32 v94, v94
	s_delay_alu instid0(VALU_DEP_4) | instskip(NEXT) | instid1(VALU_DEP_4)
	v_mul_i32_i24_e32 v21, v21, v88
	v_mul_i32_i24_e32 v95, v95, v87
	s_delay_alu instid0(VALU_DEP_4) | instskip(NEXT) | instid1(VALU_DEP_2)
	v_mul_i32_i24_e32 v106, v106, v90
	v_add3_u32 v21, v108, v21, v95
	v_ashrrev_i32_e32 v95, s20, v118
	s_delay_alu instid0(VALU_DEP_1) | instskip(SKIP_1) | instid1(VALU_DEP_2)
	v_and_b32_e32 v96, 3, v95
	v_bfe_u32 v97, v95, 8, 2
	v_mul_i32_i24_e32 v96, v96, v89
	s_delay_alu instid0(VALU_DEP_2) | instskip(NEXT) | instid1(VALU_DEP_1)
	v_mul_i32_i24_e32 v97, v97, v114
	v_add3_u32 v96, v109, v96, v97
	v_ashrrev_i32_e32 v97, s20, v125
	s_delay_alu instid0(VALU_DEP_1) | instskip(SKIP_1) | instid1(VALU_DEP_2)
	v_and_b32_e32 v99, 3, v97
	v_bfe_u32 v101, v97, 8, 2
	v_mul_i32_i24_e32 v99, v99, v91
	s_delay_alu instid0(VALU_DEP_2) | instskip(NEXT) | instid1(VALU_DEP_1)
	;; [unrolled: 8-line block ×3, first 2 shown]
	v_mul_i32_i24_e32 v104, v104, v114
	v_add3_u32 v102, v112, v102, v104
	v_and_b32_e32 v104, 3, v23
	s_delay_alu instid0(VALU_DEP_1) | instskip(NEXT) | instid1(VALU_DEP_1)
	v_mul_i32_i24_e32 v104, v104, v91
	v_add3_u32 v22, v22, v104, v106
	v_ashrrev_i32_e32 v104, s20, v122
	s_delay_alu instid0(VALU_DEP_1) | instskip(NEXT) | instid1(VALU_DEP_1)
	v_and_b32_e32 v106, 3, v104
	v_mul_i32_i24_e32 v89, v106, v89
	v_bfe_u32 v106, v104, 8, 2
	s_delay_alu instid0(VALU_DEP_1) | instskip(NEXT) | instid1(VALU_DEP_1)
	v_mul_i32_i24_e32 v106, v106, v114
	v_add3_u32 v89, v92, v89, v106
	v_ashrrev_i32_e32 v92, s20, v136
	s_lshr_b32 s20, s1, 2
	s_wait_alu 0xfffe
	s_and_b32 s20, s20, 0x3ffffffc
	s_delay_alu instid0(VALU_DEP_1) | instskip(SKIP_2) | instid1(VALU_DEP_1)
	v_and_b32_e32 v106, 3, v92
	s_wait_alu 0xfffe
	s_addk_co_i32 s20, 0x5280
	v_mul_i32_i24_e32 v91, v106, v91
	v_bfe_u32 v106, v92, 8, 2
	s_delay_alu instid0(VALU_DEP_1) | instskip(NEXT) | instid1(VALU_DEP_1)
	v_mul_i32_i24_e32 v90, v106, v90
	v_add3_u32 v90, v93, v91, v90
	v_bfe_u32 v91, v95, 16, 2
	v_bfe_u32 v93, v95, 24, 2
	;; [unrolled: 1-line block ×3, first 2 shown]
	s_delay_alu instid0(VALU_DEP_3) | instskip(NEXT) | instid1(VALU_DEP_3)
	v_mul_i32_i24_e32 v91, v91, v27
	v_mul_i32_i24_e32 v93, v93, v26
	s_delay_alu instid0(VALU_DEP_3) | instskip(NEXT) | instid1(VALU_DEP_2)
	v_mul_i32_i24_e32 v95, v95, v87
	v_add3_u32 v91, v96, v91, v93
	v_bfe_u32 v93, v97, 16, 2
	v_bfe_u32 v96, v101, 24, 2
	v_and_b32_e32 v97, 15, v139
	s_delay_alu instid0(VALU_DEP_3) | instskip(NEXT) | instid1(VALU_DEP_3)
	v_mul_i32_i24_e32 v93, v93, v88
	v_mul_i32_i24_e32 v96, v96, v26
	s_delay_alu instid0(VALU_DEP_2) | instskip(SKIP_2) | instid1(VALU_DEP_2)
	v_add3_u32 v93, v99, v93, v95
	v_bfe_u32 v95, v101, 16, 2
	v_and_b32_e32 v99, 15, v140
	v_mul_i32_i24_e32 v95, v95, v27
	s_delay_alu instid0(VALU_DEP_1) | instskip(SKIP_2) | instid1(VALU_DEP_2)
	v_add3_u32 v95, v102, v95, v96
	v_bfe_u32 v96, v23, 16, 2
	v_bfe_u32 v23, v23, 24, 2
	v_mul_i32_i24_e32 v96, v96, v88
	s_delay_alu instid0(VALU_DEP_2) | instskip(NEXT) | instid1(VALU_DEP_1)
	v_mul_i32_i24_e32 v23, v23, v87
	v_add3_u32 v23, v22, v96, v23
	v_bfe_u32 v22, v104, 16, 2
	s_delay_alu instid0(VALU_DEP_1) | instskip(SKIP_1) | instid1(VALU_DEP_1)
	v_mul_i32_i24_e32 v22, v22, v27
	v_bfe_u32 v27, v104, 24, 2
	v_mul_i32_i24_e32 v26, v27, v26
	s_wait_alu 0xfffe
	v_add3_u32 v27, s20, v78, v79
	s_delay_alu instid0(VALU_DEP_2) | instskip(SKIP_1) | instid1(VALU_DEP_1)
	v_add3_u32 v26, v89, v22, v26
	v_bfe_u32 v22, v92, 16, 2
	v_mul_i32_i24_e32 v22, v22, v88
	v_bfe_u32 v88, v92, 24, 2
	v_and_b32_e32 v92, 15, v107
	s_delay_alu instid0(VALU_DEP_2)
	v_mul_i32_i24_e32 v87, v88, v87
	v_add3_u32 v88, s20, v82, v83
	ds_load_b32 v89, v27
	ds_load_b32 v88, v88
	v_add3_u32 v27, v90, v22, v87
	v_add3_u32 v22, s20, v84, v85
	;; [unrolled: 1-line block ×3, first 2 shown]
	ds_load_b32 v90, v22
	ds_load_b32 v87, v87
	v_and_b32_e32 v22, 15, v113
	s_add_co_i32 s20, s1, 2
	s_cmp_lt_u32 s1, 22
	s_wait_alu 0xfffe
	s_mov_b32 s1, s20
	v_mul_lo_u32 v20, v20, v22
	v_and_b32_e32 v22, 15, v133
	s_delay_alu instid0(VALU_DEP_2)
	v_mad_co_u64_u32 v[20:21], null, v21, v92, v[20:21]
	v_and_b32_e32 v21, 15, v120
	ds_load_b32 v92, v25
	v_add_nc_u32_e32 v25, 4, v25
	s_wait_dscnt 0x1
	v_lshrrev_b32_e32 v96, 16, v87
	v_mul_lo_u32 v21, v91, v21
	v_lshrrev_b32_e32 v91, 16, v90
	v_cvt_f32_i32_e32 v20, v20
	s_delay_alu instid0(VALU_DEP_4) | instskip(NEXT) | instid1(VALU_DEP_3)
	v_cvt_f32_f16_e32 v96, v96
	v_cvt_f32_f16_e32 v91, v91
	v_mad_co_u64_u32 v[21:22], null, v93, v22, v[21:22]
	v_and_b32_e32 v22, 15, v146
	v_lshrrev_b32_e32 v93, 16, v89
	s_delay_alu instid0(VALU_DEP_4) | instskip(NEXT) | instid1(VALU_DEP_3)
	v_mul_f32_e32 v91, v91, v94
	v_mul_lo_u32 v22, v95, v22
	v_lshrrev_b32_e32 v95, 16, v88
	s_delay_alu instid0(VALU_DEP_4) | instskip(SKIP_1) | instid1(VALU_DEP_3)
	v_cvt_f32_f16_e32 v93, v93
	v_cvt_f32_i32_e32 v21, v21
	v_cvt_f32_f16_e32 v95, v95
	v_mad_co_u64_u32 v[22:23], null, v23, v99, v[22:23]
	v_mul_lo_u32 v23, v26, v97
	v_and_b32_e32 v26, 15, v103
	v_cvt_f32_i32_e32 v97, v98
	v_cvt_f32_i32_e32 v98, v105
	;; [unrolled: 1-line block ×4, first 2 shown]
	v_mad_co_u64_u32 v[26:27], null, v27, v26, v[23:24]
	v_mul_f32_e32 v23, v93, v97
	v_mul_f32_e32 v27, v96, v98
	v_dual_mul_f32 v93, v95, v99 :: v_dual_add_nc_u32 v24, 32, v24
	s_delay_alu instid0(VALU_DEP_3) | instskip(SKIP_1) | instid1(VALU_DEP_4)
	v_fma_mix_f32 v20, v89, v20, -v23 op_sel_hi:[1,0,0]
	v_cvt_f32_i32_e32 v26, v26
	v_fma_mix_f32 v21, v87, v21, -v27 op_sel_hi:[1,0,0]
	s_delay_alu instid0(VALU_DEP_4)
	v_fma_mix_f32 v22, v88, v22, -v93 op_sel_hi:[1,0,0]
	s_wait_dscnt 0x0
	v_fmac_f32_e32 v30, v92, v20
	v_fma_mix_f32 v23, v90, v26, -v91 op_sel_hi:[1,0,0]
	v_fmac_f32_e32 v63, v92, v21
	v_fmac_f32_e32 v59, v92, v22
	s_delay_alu instid0(VALU_DEP_3)
	v_fmac_f32_e32 v17, v92, v23
	s_cbranch_scc1 .LBB188_27
; %bb.28:                               ;   in Loop: Header=BB188_5 Depth=1
	s_or_b32 s1, s18, 0x180
	s_wait_loadcnt 0x0
	s_wait_alu 0xfffe
	s_cmp_ge_i32 s1, s5
	s_barrier_signal -1
	s_barrier_wait -1
	global_inv scope:SCOPE_SE
	s_cbranch_scc1 .LBB188_4
; %bb.29:                               ;   in Loop: Header=BB188_5 Depth=1
	v_add_nc_u32_e32 v20, s19, v66
	s_delay_alu instid0(VALU_DEP_1)
	v_cmp_gt_i32_e64 s1, s6, v20
	s_and_b32 s18, s0, s1
	s_wait_alu 0xfffe
	s_and_saveexec_b32 s1, s18
	s_cbranch_execz .LBB188_31
; %bb.30:                               ;   in Loop: Header=BB188_5 Depth=1
	v_add_nc_u32_e32 v20, v67, v20
	s_delay_alu instid0(VALU_DEP_1)
	v_mad_co_i64_i32 v[20:21], null, v20, 36, v[18:19]
	global_load_b32 v20, v[20:21], off offset:4
	s_wait_loadcnt 0x0
	ds_store_b32 v60, v20
.LBB188_31:                             ;   in Loop: Header=BB188_5 Depth=1
	s_wait_alu 0xfffe
	s_or_b32 exec_lo, exec_lo, s1
	s_and_saveexec_b32 s18, vcc_lo
	s_cbranch_execz .LBB188_34
; %bb.32:                               ;   in Loop: Header=BB188_5 Depth=1
	v_or_b32_e32 v20, 12, v86
	s_delay_alu instid0(VALU_DEP_1)
	v_cmp_gt_i32_e64 s1, s6, v20
	s_and_b32 s1, s0, s1
	s_wait_alu 0xfffe
	s_and_b32 exec_lo, exec_lo, s1
	s_cbranch_execz .LBB188_34
; %bb.33:                               ;   in Loop: Header=BB188_5 Depth=1
	v_ashrrev_i32_e32 v20, 31, v86
	v_add_co_u32 v21, s1, v67, v86
	s_wait_alu 0xf1ff
	s_delay_alu instid0(VALU_DEP_2) | instskip(NEXT) | instid1(VALU_DEP_2)
	v_add_co_ci_u32_e64 v22, null, v69, v20, s1
	v_mad_co_u64_u32 v[20:21], null, v21, 36, s[2:3]
	s_delay_alu instid0(VALU_DEP_1)
	v_mad_i32_i24 v21, v22, 36, v21
	global_load_b32 v20, v[20:21], off offset:432
	s_wait_loadcnt 0x0
	v_cvt_f32_f16_e32 v20, v20
	ds_store_b32 v62, v20
.LBB188_34:                             ;   in Loop: Header=BB188_5 Depth=1
	s_wait_alu 0xfffe
	s_or_b32 exec_lo, exec_lo, s18
	v_dual_mov_b32 v24, v58 :: v_dual_mov_b32 v25, v61
	s_mov_b32 s1, 24
	s_wait_loadcnt_dscnt 0x0
	s_barrier_signal -1
	s_barrier_wait -1
	global_inv scope:SCOPE_SE
.LBB188_35:                             ;   Parent Loop BB188_5 Depth=1
                                        ; =>  This Inner Loop Header: Depth=2
	ds_load_b128 v[20:23], v24
	ds_load_b128 v[116:119], v24 offset:16
	s_wait_alu 0xfffe
	s_and_b32 s19, s1, 0x3ffffff8
	s_sub_co_i32 s18, s1, 24
	s_wait_alu 0xfffe
	v_lshl_add_u32 v98, s19, 2, v0
	s_and_b32 s19, s1, -16
	s_wait_alu 0xfffe
	s_add_co_i32 s19, s1, s19
	s_delay_alu instid0(VALU_DEP_1)
	v_add_nc_u32_e32 v123, 0x1098, v98
	v_add_nc_u32_e32 v127, 0x2108, v98
	;; [unrolled: 1-line block ×3, first 2 shown]
	s_wait_dscnt 0x1
	v_ashrrev_i32_e32 v95, 24, v20
	v_bfe_i32 v109, v21, 8, 8
	v_bfe_i32 v110, v20, 0, 8
	;; [unrolled: 1-line block ×3, first 2 shown]
	v_ashrrev_i32_e32 v107, 24, v21
	v_bfe_i32 v104, v20, 8, 8
	v_bfe_i32 v112, v21, 0, 8
	;; [unrolled: 1-line block ×3, first 2 shown]
	v_lshrrev_b16 v111, 8, v22
	v_ashrrev_i32_e32 v91, 24, v22
	v_bfe_i32 v92, v22, 16, 8
	v_bfe_i32 v114, v22, 0, 8
	v_lshrrev_b16 v113, 8, v23
	v_ashrrev_i32_e32 v26, 24, v23
	v_bfe_i32 v27, v23, 16, 8
	v_bfe_i32 v88, v23, 0, 8
	s_wait_dscnt 0x0
	v_ashrrev_i32_e32 v93, 24, v118
	v_bfe_i32 v94, v118, 16, 8
	v_bfe_i32 v97, v118, 0, 8
	v_bfe_i32 v96, v118, 8, 8
	v_ashrrev_i32_e32 v86, 24, v119
	v_bfe_i32 v87, v119, 16, 8
	v_bfe_i32 v90, v119, 0, 8
	;; [unrolled: 1-line block ×3, first 2 shown]
	ds_load_2addr_b32 v[22:23], v98 offset1:1
	ds_load_2addr_b32 v[20:21], v98 offset0:2 offset1:3
	ds_load_2addr_b32 v[118:119], v98 offset0:4 offset1:5
	v_lshrrev_b16 v115, 8, v116
	v_ashrrev_i32_e32 v101, 24, v116
	v_bfe_i32 v105, v116, 0, 8
	v_bfe_i32 v99, v116, 16, 8
	v_lshrrev_b16 v116, 8, v117
	v_ashrrev_i32_e32 v102, 24, v117
	v_bfe_i32 v106, v117, 0, 8
	v_bfe_i32 v100, v117, 16, 8
	;; [unrolled: 1-line block ×4, first 2 shown]
	s_wait_dscnt 0x2
	v_ashrrev_i32_e32 v23, s18, v23
	s_wait_dscnt 0x1
	v_ashrrev_i32_e32 v20, s18, v20
	v_ashrrev_i32_e32 v21, s18, v21
	s_delay_alu instid0(VALU_DEP_3) | instskip(SKIP_1) | instid1(VALU_DEP_2)
	v_and_b32_e32 v117, 3, v23
	v_bfe_u32 v120, v23, 8, 2
	v_mul_i32_i24_e32 v117, v117, v112
	s_delay_alu instid0(VALU_DEP_1) | instskip(SKIP_2) | instid1(VALU_DEP_2)
	v_mad_i32_i24 v117, v120, v109, v117
	v_bfe_u32 v120, v23, 16, 2
	v_bfe_u32 v23, v23, 24, 2
	v_mul_i32_i24_e32 v120, v120, v108
	s_delay_alu instid0(VALU_DEP_2) | instskip(NEXT) | instid1(VALU_DEP_1)
	v_mul_i32_i24_e32 v23, v23, v107
	v_add3_u32 v117, v117, v120, v23
	v_bfe_i32 v23, v115, 0, 8
	s_wait_dscnt 0x0
	v_ashrrev_i32_e32 v115, s18, v118
	s_delay_alu instid0(VALU_DEP_1) | instskip(SKIP_1) | instid1(VALU_DEP_2)
	v_and_b32_e32 v118, 3, v115
	v_bfe_u32 v120, v115, 8, 2
	v_mul_i32_i24_e32 v118, v118, v105
	s_delay_alu instid0(VALU_DEP_1) | instskip(SKIP_2) | instid1(VALU_DEP_2)
	v_mad_i32_i24 v118, v120, v23, v118
	v_bfe_u32 v120, v115, 16, 2
	v_bfe_u32 v115, v115, 24, 2
	v_mul_i32_i24_e32 v120, v120, v99
	s_delay_alu instid0(VALU_DEP_2) | instskip(NEXT) | instid1(VALU_DEP_1)
	v_mul_i32_i24_e32 v115, v115, v101
	v_add3_u32 v120, v118, v120, v115
	v_ashrrev_i32_e32 v115, s18, v22
	v_and_b32_e32 v118, 3, v20
	s_delay_alu instid0(VALU_DEP_2) | instskip(NEXT) | instid1(VALU_DEP_2)
	v_and_b32_e32 v22, 3, v115
	v_mul_i32_i24_e32 v118, v118, v114
	s_delay_alu instid0(VALU_DEP_2) | instskip(NEXT) | instid1(VALU_DEP_1)
	v_mul_i32_i24_e32 v22, v110, v22
	v_add3_u32 v118, v117, v118, v22
	v_ashrrev_i32_e32 v117, s18, v119
	v_bfe_i32 v22, v116, 0, 8
	s_delay_alu instid0(VALU_DEP_2) | instskip(SKIP_1) | instid1(VALU_DEP_2)
	v_and_b32_e32 v116, 3, v117
	v_bfe_u32 v119, v117, 8, 2
	v_mul_i32_i24_e32 v116, v116, v106
	s_delay_alu instid0(VALU_DEP_2) | instskip(NEXT) | instid1(VALU_DEP_1)
	v_mul_i32_i24_e32 v119, v119, v22
	v_add3_u32 v116, v120, v116, v119
	v_add_nc_u32_e32 v119, 0x1080, v98
	ds_load_2addr_b32 v[120:121], v119 offset1:1
	s_wait_dscnt 0x0
	v_ashrrev_i32_e32 v119, s18, v121
	s_delay_alu instid0(VALU_DEP_1) | instskip(SKIP_1) | instid1(VALU_DEP_2)
	v_and_b32_e32 v121, 3, v119
	v_bfe_u32 v122, v119, 8, 2
	v_mul_i32_i24_e32 v121, v121, v112
	s_delay_alu instid0(VALU_DEP_1) | instskip(SKIP_2) | instid1(VALU_DEP_2)
	v_mad_i32_i24 v121, v122, v109, v121
	v_bfe_u32 v122, v119, 16, 2
	v_bfe_u32 v119, v119, 24, 2
	v_mul_i32_i24_e32 v122, v122, v108
	s_delay_alu instid0(VALU_DEP_2) | instskip(NEXT) | instid1(VALU_DEP_1)
	v_mul_i32_i24_e32 v119, v119, v107
	v_add3_u32 v136, v121, v122, v119
	s_wait_alu 0xfffe
	v_add_nc_u32_e32 v119, s19, v71
	v_add_nc_u32_e32 v121, 0x1090, v98
	ds_load_u16 v119, v119 offset:17904
	ds_load_2addr_b32 v[121:122], v121 offset1:1
	ds_load_2addr_b32 v[123:124], v123 offset1:1
	s_wait_dscnt 0x1
	v_ashrrev_i32_e32 v121, s18, v121
	v_ashrrev_i32_e32 v122, s18, v122
	s_delay_alu instid0(VALU_DEP_2) | instskip(SKIP_1) | instid1(VALU_DEP_2)
	v_and_b32_e32 v125, 3, v121
	v_bfe_u32 v126, v121, 8, 2
	v_mul_i32_i24_e32 v125, v125, v105
	s_delay_alu instid0(VALU_DEP_1) | instskip(SKIP_2) | instid1(VALU_DEP_2)
	v_mad_i32_i24 v125, v126, v23, v125
	v_bfe_u32 v126, v121, 16, 2
	v_bfe_u32 v121, v121, 24, 2
	v_mul_i32_i24_e32 v126, v126, v99
	s_delay_alu instid0(VALU_DEP_2) | instskip(NEXT) | instid1(VALU_DEP_1)
	v_mul_i32_i24_e32 v121, v121, v101
	v_add3_u32 v121, v125, v126, v121
	v_add_nc_u32_e32 v125, 0x2100, v98
	ds_load_2addr_b32 v[125:126], v125 offset1:1
	ds_load_2addr_b32 v[127:128], v127 offset1:1
	;; [unrolled: 1-line block ×3, first 2 shown]
	s_wait_dscnt 0x2
	v_ashrrev_i32_e32 v126, s18, v126
	v_ashrrev_i32_e32 v125, s18, v125
	s_wait_dscnt 0x0
	v_ashrrev_i32_e32 v129, s18, v129
	v_ashrrev_i32_e32 v127, s18, v127
	;; [unrolled: 1-line block ×3, first 2 shown]
	v_and_b32_e32 v131, 3, v126
	v_bfe_u32 v132, v126, 8, 2
	s_delay_alu instid0(VALU_DEP_2) | instskip(NEXT) | instid1(VALU_DEP_1)
	v_mul_i32_i24_e32 v131, v131, v112
	v_mad_i32_i24 v131, v132, v109, v131
	v_bfe_u32 v132, v126, 16, 2
	v_bfe_u32 v126, v126, 24, 2
	s_delay_alu instid0(VALU_DEP_2) | instskip(NEXT) | instid1(VALU_DEP_2)
	v_mul_i32_i24_e32 v132, v132, v108
	v_mul_i32_i24_e32 v126, v126, v107
	s_delay_alu instid0(VALU_DEP_1) | instskip(SKIP_2) | instid1(VALU_DEP_2)
	v_add3_u32 v126, v131, v132, v126
	v_and_b32_e32 v131, 3, v129
	v_bfe_u32 v132, v129, 8, 2
	v_mul_i32_i24_e32 v131, v131, v105
	s_delay_alu instid0(VALU_DEP_1) | instskip(SKIP_2) | instid1(VALU_DEP_2)
	v_mad_i32_i24 v131, v132, v23, v131
	v_bfe_u32 v132, v129, 16, 2
	v_bfe_u32 v129, v129, 24, 2
	v_mul_i32_i24_e32 v132, v132, v99
	s_delay_alu instid0(VALU_DEP_2) | instskip(NEXT) | instid1(VALU_DEP_1)
	v_mul_i32_i24_e32 v129, v129, v101
	v_add3_u32 v129, v131, v132, v129
	v_add_nc_u32_e32 v131, 0x3180, v98
	ds_load_2addr_b32 v[131:132], v131 offset1:1
	s_wait_dscnt 0x0
	v_ashrrev_i32_e32 v132, s18, v132
	v_ashrrev_i32_e32 v131, s18, v131
	s_delay_alu instid0(VALU_DEP_2) | instskip(SKIP_1) | instid1(VALU_DEP_2)
	v_and_b32_e32 v133, 3, v132
	v_bfe_u32 v134, v132, 8, 2
	v_mul_i32_i24_e32 v133, v133, v112
	s_delay_alu instid0(VALU_DEP_1) | instskip(SKIP_3) | instid1(VALU_DEP_3)
	v_mad_i32_i24 v133, v134, v109, v133
	v_bfe_u32 v134, v132, 16, 2
	v_bfe_u32 v132, v132, 24, 2
	v_add_nc_u32_e32 v109, v104, v109
	v_mul_i32_i24_e32 v134, v134, v108
	s_delay_alu instid0(VALU_DEP_3) | instskip(NEXT) | instid1(VALU_DEP_3)
	v_mul_i32_i24_e32 v132, v132, v107
	v_add3_u32 v109, v109, v111, v113
	v_add_nc_u32_e32 v107, v107, v95
	v_add_nc_u32_e32 v108, v108, v103
	s_delay_alu instid0(VALU_DEP_4) | instskip(SKIP_2) | instid1(VALU_DEP_4)
	v_add3_u32 v137, v133, v134, v132
	v_add_nc_u32_e32 v132, s19, v70
	v_add_nc_u32_e32 v134, 0x3198, v98
	v_add3_u32 v144, v108, v92, v27
	ds_load_u16 v138, v132 offset:19952
	v_add_nc_u32_e32 v132, 0x3190, v98
	ds_load_2addr_b32 v[132:133], v132 offset1:1
	ds_load_2addr_b32 v[134:135], v134 offset1:1
	s_wait_dscnt 0x1
	v_ashrrev_i32_e32 v132, s18, v132
	v_ashrrev_i32_e32 v133, s18, v133
	s_delay_alu instid0(VALU_DEP_2) | instskip(SKIP_1) | instid1(VALU_DEP_2)
	v_and_b32_e32 v139, 3, v132
	v_bfe_u32 v140, v132, 8, 2
	v_mul_i32_i24_e32 v139, v139, v105
	v_add_nc_u32_e32 v105, v106, v105
	s_delay_alu instid0(VALU_DEP_2) | instskip(SKIP_2) | instid1(VALU_DEP_2)
	v_mad_i32_i24 v139, v140, v23, v139
	v_bfe_u32 v140, v132, 16, 2
	v_bfe_u32 v132, v132, 24, 2
	v_mul_i32_i24_e32 v140, v140, v99
	s_delay_alu instid0(VALU_DEP_2) | instskip(NEXT) | instid1(VALU_DEP_1)
	v_mul_i32_i24_e32 v132, v132, v101
	v_add3_u32 v132, v139, v140, v132
	v_bfe_u32 v139, v115, 8, 2
	v_bfe_u32 v140, v115, 16, 2
	s_delay_alu instid0(VALU_DEP_2) | instskip(NEXT) | instid1(VALU_DEP_2)
	v_mul_i32_i24_e32 v139, v104, v139
	v_mul_i32_i24_e32 v140, v103, v140
	s_delay_alu instid0(VALU_DEP_1) | instskip(SKIP_3) | instid1(VALU_DEP_3)
	v_add3_u32 v118, v118, v139, v140
	v_bfe_u32 v139, v117, 16, 2
	v_bfe_u32 v117, v117, 24, 2
	v_ashrrev_i32_e32 v140, s18, v120
	v_mul_i32_i24_e32 v139, v139, v100
	s_delay_alu instid0(VALU_DEP_3) | instskip(NEXT) | instid1(VALU_DEP_1)
	v_mul_i32_i24_e32 v117, v117, v102
	v_add3_u32 v139, v116, v139, v117
	s_delay_alu instid0(VALU_DEP_4) | instskip(NEXT) | instid1(VALU_DEP_1)
	v_and_b32_e32 v116, 3, v140
	v_mul_i32_i24_e32 v120, v110, v116
	v_add_nc_u32_e32 v116, 0x1088, v98
	ds_load_2addr_b32 v[116:117], v116 offset1:1
	s_wait_dscnt 0x0
	v_ashrrev_i32_e32 v116, s18, v116
	s_delay_alu instid0(VALU_DEP_1) | instskip(NEXT) | instid1(VALU_DEP_1)
	v_and_b32_e32 v141, 3, v116
	v_mul_i32_i24_e32 v141, v141, v114
	s_delay_alu instid0(VALU_DEP_1) | instskip(SKIP_2) | instid1(VALU_DEP_2)
	v_add3_u32 v136, v136, v141, v120
	v_and_b32_e32 v120, 3, v122
	v_bfe_u32 v141, v122, 8, 2
	v_mul_i32_i24_e32 v120, v120, v106
	s_delay_alu instid0(VALU_DEP_2) | instskip(NEXT) | instid1(VALU_DEP_1)
	v_mul_i32_i24_e32 v141, v141, v22
	v_add3_u32 v141, v121, v120, v141
	v_and_b32_e32 v120, 3, v125
	v_and_b32_e32 v121, 3, v127
	s_delay_alu instid0(VALU_DEP_2) | instskip(NEXT) | instid1(VALU_DEP_2)
	v_mul_i32_i24_e32 v120, v110, v120
	v_mul_i32_i24_e32 v121, v121, v114
	s_delay_alu instid0(VALU_DEP_1) | instskip(SKIP_2) | instid1(VALU_DEP_2)
	v_add3_u32 v126, v126, v121, v120
	v_and_b32_e32 v120, 3, v130
	v_bfe_u32 v121, v130, 8, 2
	v_mul_i32_i24_e32 v120, v120, v106
	s_delay_alu instid0(VALU_DEP_2) | instskip(NEXT) | instid1(VALU_DEP_1)
	v_mul_i32_i24_e32 v121, v121, v22
	v_add3_u32 v129, v129, v120, v121
	v_and_b32_e32 v120, 3, v131
	s_delay_alu instid0(VALU_DEP_1)
	v_mul_i32_i24_e32 v142, v110, v120
	v_add_nc_u32_e32 v120, 0x3188, v98
	v_add_nc_u32_e32 v110, v112, v110
	;; [unrolled: 1-line block ×3, first 2 shown]
	ds_load_2addr_b32 v[120:121], v120 offset1:1
	v_add3_u32 v110, v110, v114, v88
	ds_load_u16 v112, v112 offset:16880
	s_wait_dscnt 0x1
	v_ashrrev_i32_e32 v120, s18, v120
	s_delay_alu instid0(VALU_DEP_1) | instskip(NEXT) | instid1(VALU_DEP_1)
	v_and_b32_e32 v143, 3, v120
	v_mul_i32_i24_e32 v143, v143, v114
	s_wait_dscnt 0x0
	v_bfe_u32 v114, v112, 4, 4
	s_delay_alu instid0(VALU_DEP_2) | instskip(SKIP_2) | instid1(VALU_DEP_4)
	v_add3_u32 v137, v137, v143, v142
	v_and_b32_e32 v142, 3, v133
	v_bfe_u32 v143, v133, 8, 2
	v_mul_lo_u32 v114, 0x1010101, v114
	s_delay_alu instid0(VALU_DEP_3) | instskip(NEXT) | instid1(VALU_DEP_3)
	v_mul_i32_i24_e32 v142, v142, v106
	v_mul_i32_i24_e32 v143, v143, v22
	v_add_nc_u32_e32 v22, v22, v23
	v_add3_u32 v23, v105, v97, v90
	v_bfe_i32 v108, v114, 16, 8
	s_delay_alu instid0(VALU_DEP_4)
	v_add3_u32 v132, v132, v142, v143
	v_bfe_i32 v142, v114, 0, 8
	v_bfe_i32 v143, v114, 8, 8
	v_add3_u32 v105, v22, v96, v89
	v_mul_i32_i24_e32 v108, v144, v108
	v_lshrrev_b16 v22, 8, v112
	v_mul_i32_i24_e32 v142, v110, v142
	s_delay_alu instid0(VALU_DEP_2) | instskip(NEXT) | instid1(VALU_DEP_2)
	v_and_b32_e32 v106, 0xffff, v22
	v_mad_i32_i24 v142, v109, v143, v142
	v_add3_u32 v143, v107, v91, v26
	v_lshrrev_b32_e32 v107, 24, v114
	s_delay_alu instid0(VALU_DEP_4) | instskip(NEXT) | instid1(VALU_DEP_2)
	v_lshrrev_b32_e32 v22, 4, v106
	v_mul_i32_i24_e32 v107, v143, v107
	s_delay_alu instid0(VALU_DEP_1) | instskip(SKIP_1) | instid1(VALU_DEP_1)
	v_add3_u32 v114, v142, v108, v107
	v_bfe_u32 v107, v119, 4, 4
	v_mul_lo_u32 v107, 0x1010101, v107
	s_delay_alu instid0(VALU_DEP_1) | instskip(SKIP_1) | instid1(VALU_DEP_2)
	v_bfe_i32 v108, v107, 0, 8
	v_bfe_i32 v142, v107, 8, 8
	v_mul_i32_i24_e32 v108, v110, v108
	s_delay_alu instid0(VALU_DEP_1) | instskip(SKIP_2) | instid1(VALU_DEP_2)
	v_mad_i32_i24 v108, v109, v142, v108
	v_lshrrev_b32_e32 v142, 24, v107
	v_bfe_i32 v107, v107, 16, 8
	v_mul_i32_i24_e32 v142, v143, v142
	s_delay_alu instid0(VALU_DEP_2) | instskip(NEXT) | instid1(VALU_DEP_1)
	v_mul_i32_i24_e32 v107, v144, v107
	v_add3_u32 v142, v108, v107, v142
	v_add_nc_u32_e32 v107, s19, v72
	ds_load_u16 v145, v107 offset:18928
	s_wait_dscnt 0x0
	v_bfe_u32 v107, v145, 4, 4
	s_delay_alu instid0(VALU_DEP_1) | instskip(NEXT) | instid1(VALU_DEP_1)
	v_mul_lo_u32 v107, 0x1010101, v107
	v_bfe_i32 v108, v107, 0, 8
	v_bfe_i32 v146, v107, 8, 8
	s_delay_alu instid0(VALU_DEP_2) | instskip(NEXT) | instid1(VALU_DEP_1)
	v_mul_i32_i24_e32 v108, v110, v108
	v_mad_i32_i24 v108, v109, v146, v108
	v_lshrrev_b32_e32 v146, 24, v107
	v_bfe_i32 v107, v107, 16, 8
	s_delay_alu instid0(VALU_DEP_2) | instskip(NEXT) | instid1(VALU_DEP_2)
	v_mul_i32_i24_e32 v146, v143, v146
	v_mul_i32_i24_e32 v107, v144, v107
	s_delay_alu instid0(VALU_DEP_1) | instskip(SKIP_2) | instid1(VALU_DEP_2)
	v_add3_u32 v146, v108, v107, v146
	v_bfe_u32 v107, v115, 24, 2
	v_bfe_u32 v108, v20, 8, 2
	v_mul_i32_i24_e32 v107, v95, v107
	s_delay_alu instid0(VALU_DEP_2) | instskip(NEXT) | instid1(VALU_DEP_1)
	v_mul_i32_i24_e32 v108, v108, v111
	v_add3_u32 v115, v118, v107, v108
	ds_load_2addr_b32 v[107:108], v98 offset0:6 offset1:7
	s_wait_dscnt 0x0
	v_ashrrev_i32_e32 v107, s18, v107
	s_delay_alu instid0(VALU_DEP_1) | instskip(SKIP_1) | instid1(VALU_DEP_2)
	v_and_b32_e32 v118, 3, v107
	v_bfe_u32 v147, v107, 8, 2
	v_mul_i32_i24_e32 v118, v118, v97
	s_delay_alu instid0(VALU_DEP_2) | instskip(NEXT) | instid1(VALU_DEP_1)
	v_mul_i32_i24_e32 v147, v147, v96
	v_add3_u32 v118, v139, v118, v147
	v_bfe_u32 v139, v140, 8, 2
	v_bfe_u32 v147, v140, 16, 2
	s_delay_alu instid0(VALU_DEP_2) | instskip(NEXT) | instid1(VALU_DEP_2)
	v_mul_i32_i24_e32 v139, v104, v139
	v_mul_i32_i24_e32 v147, v103, v147
	s_delay_alu instid0(VALU_DEP_1) | instskip(SKIP_2) | instid1(VALU_DEP_2)
	v_add3_u32 v136, v136, v139, v147
	v_bfe_u32 v139, v122, 16, 2
	v_bfe_u32 v122, v122, 24, 2
	v_mul_i32_i24_e32 v139, v139, v100
	s_delay_alu instid0(VALU_DEP_2) | instskip(NEXT) | instid1(VALU_DEP_1)
	v_mul_i32_i24_e32 v122, v122, v102
	v_add3_u32 v122, v141, v139, v122
	v_bfe_u32 v139, v125, 8, 2
	v_bfe_u32 v141, v125, 16, 2
	s_delay_alu instid0(VALU_DEP_2) | instskip(NEXT) | instid1(VALU_DEP_2)
	v_mul_i32_i24_e32 v139, v104, v139
	v_mul_i32_i24_e32 v141, v103, v141
	s_delay_alu instid0(VALU_DEP_1) | instskip(SKIP_2) | instid1(VALU_DEP_2)
	v_add3_u32 v126, v126, v139, v141
	v_bfe_u32 v139, v130, 16, 2
	v_bfe_u32 v130, v130, 24, 2
	v_mul_i32_i24_e32 v139, v139, v100
	s_delay_alu instid0(VALU_DEP_2) | instskip(NEXT) | instid1(VALU_DEP_1)
	v_mul_i32_i24_e32 v130, v130, v102
	v_add3_u32 v129, v129, v139, v130
	v_bfe_u32 v130, v131, 8, 2
	s_delay_alu instid0(VALU_DEP_1) | instskip(SKIP_1) | instid1(VALU_DEP_1)
	v_mul_i32_i24_e32 v104, v104, v130
	v_bfe_u32 v130, v131, 16, 2
	v_mul_i32_i24_e32 v103, v103, v130
	v_bfe_u32 v130, v133, 24, 2
	s_delay_alu instid0(VALU_DEP_2) | instskip(SKIP_1) | instid1(VALU_DEP_3)
	v_add3_u32 v103, v137, v104, v103
	v_bfe_u32 v104, v133, 16, 2
	v_mul_i32_i24_e32 v130, v130, v102
	s_delay_alu instid0(VALU_DEP_2) | instskip(NEXT) | instid1(VALU_DEP_1)
	v_mul_i32_i24_e32 v104, v104, v100
	v_add3_u32 v104, v132, v104, v130
	v_mul_lo_u32 v130, 0x1010101, v22
	s_delay_alu instid0(VALU_DEP_1) | instskip(SKIP_1) | instid1(VALU_DEP_2)
	v_bfe_i32 v22, v130, 0, 8
	v_bfe_i32 v132, v130, 8, 8
	v_mul_i32_i24_e32 v22, v23, v22
	s_delay_alu instid0(VALU_DEP_2) | instskip(NEXT) | instid1(VALU_DEP_1)
	v_mul_i32_i24_e32 v132, v105, v132
	v_add3_u32 v114, v114, v22, v132
	v_lshrrev_b16 v22, 8, v119
	s_delay_alu instid0(VALU_DEP_1) | instskip(NEXT) | instid1(VALU_DEP_1)
	v_and_b32_e32 v132, 0xffff, v22
	v_lshrrev_b32_e32 v22, 4, v132
	s_delay_alu instid0(VALU_DEP_1) | instskip(NEXT) | instid1(VALU_DEP_1)
	v_mul_lo_u32 v133, 0x1010101, v22
	v_bfe_i32 v22, v133, 0, 8
	v_bfe_i32 v137, v133, 8, 8
	s_delay_alu instid0(VALU_DEP_2) | instskip(NEXT) | instid1(VALU_DEP_2)
	v_mul_i32_i24_e32 v22, v23, v22
	v_mul_i32_i24_e32 v137, v105, v137
	s_delay_alu instid0(VALU_DEP_1) | instskip(SKIP_1) | instid1(VALU_DEP_1)
	v_add3_u32 v137, v142, v22, v137
	v_lshrrev_b16 v22, 8, v145
	v_and_b32_e32 v139, 0xffff, v22
	s_delay_alu instid0(VALU_DEP_1) | instskip(NEXT) | instid1(VALU_DEP_1)
	v_lshrrev_b32_e32 v22, 4, v139
	v_mul_lo_u32 v141, 0x1010101, v22
	s_delay_alu instid0(VALU_DEP_1) | instskip(SKIP_1) | instid1(VALU_DEP_2)
	v_bfe_i32 v22, v141, 0, 8
	v_bfe_i32 v142, v141, 8, 8
	v_mul_i32_i24_e32 v22, v23, v22
	s_delay_alu instid0(VALU_DEP_2) | instskip(NEXT) | instid1(VALU_DEP_1)
	v_mul_i32_i24_e32 v142, v105, v142
	v_add3_u32 v142, v146, v22, v142
	v_add_nc_u32_e32 v22, v102, v101
	s_delay_alu instid0(VALU_DEP_1) | instskip(SKIP_1) | instid1(VALU_DEP_1)
	v_add3_u32 v101, v22, v93, v86
	v_lshrrev_b16 v22, 8, v138
	v_and_b32_e32 v102, 0xffff, v22
	v_bfe_u32 v22, v138, 4, 4
	s_delay_alu instid0(VALU_DEP_1) | instskip(NEXT) | instid1(VALU_DEP_3)
	v_mul_lo_u32 v146, 0x1010101, v22
	v_lshrrev_b32_e32 v22, 4, v102
	s_delay_alu instid0(VALU_DEP_1) | instskip(NEXT) | instid1(VALU_DEP_3)
	v_mul_lo_u32 v147, 0x1010101, v22
	v_lshrrev_b32_e32 v148, 24, v146
	s_delay_alu instid0(VALU_DEP_2) | instskip(NEXT) | instid1(VALU_DEP_1)
	v_lshrrev_b32_e32 v22, 24, v147
	v_mul_i32_i24_e32 v22, v101, v22
	s_delay_alu instid0(VALU_DEP_1) | instskip(SKIP_2) | instid1(VALU_DEP_2)
	v_mad_i32_i24 v143, v143, v148, v22
	v_add_nc_u32_e32 v22, v100, v99
	v_bfe_i32 v100, v146, 16, 8
	v_add3_u32 v99, v22, v94, v87
	v_bfe_i32 v22, v147, 16, 8
	s_delay_alu instid0(VALU_DEP_1) | instskip(NEXT) | instid1(VALU_DEP_1)
	v_mul_i32_i24_e32 v22, v99, v22
	v_mad_i32_i24 v100, v144, v100, v22
	v_bfe_i32 v22, v147, 0, 8
	s_delay_alu instid0(VALU_DEP_1) | instskip(SKIP_1) | instid1(VALU_DEP_1)
	v_mul_i32_i24_e32 v22, v23, v22
	v_bfe_i32 v23, v146, 0, 8
	v_mad_i32_i24 v110, v110, v23, v22
	v_bfe_u32 v22, v20, 16, 2
	v_bfe_u32 v20, v20, 24, 2
	;; [unrolled: 1-line block ×3, first 2 shown]
	s_delay_alu instid0(VALU_DEP_3) | instskip(NEXT) | instid1(VALU_DEP_3)
	v_mul_i32_i24_e32 v22, v22, v92
	v_mul_i32_i24_e32 v20, v20, v91
	s_delay_alu instid0(VALU_DEP_3) | instskip(NEXT) | instid1(VALU_DEP_2)
	v_mul_i32_i24_e32 v23, v23, v93
	v_add3_u32 v20, v115, v22, v20
	v_bfe_u32 v22, v107, 16, 2
	s_delay_alu instid0(VALU_DEP_1) | instskip(NEXT) | instid1(VALU_DEP_1)
	v_mul_i32_i24_e32 v22, v22, v94
	v_add3_u32 v107, v118, v22, v23
	v_bfe_u32 v22, v140, 24, 2
	v_bfe_u32 v23, v116, 8, 2
	v_ashrrev_i32_e32 v118, s18, v123
	s_delay_alu instid0(VALU_DEP_3) | instskip(NEXT) | instid1(VALU_DEP_3)
	v_mul_i32_i24_e32 v22, v95, v22
	v_mul_i32_i24_e32 v23, v23, v111
	s_delay_alu instid0(VALU_DEP_1) | instskip(NEXT) | instid1(VALU_DEP_4)
	v_add3_u32 v115, v136, v22, v23
	v_and_b32_e32 v22, 3, v118
	v_bfe_u32 v23, v118, 8, 2
	s_delay_alu instid0(VALU_DEP_2) | instskip(NEXT) | instid1(VALU_DEP_2)
	v_mul_i32_i24_e32 v22, v22, v97
	v_mul_i32_i24_e32 v23, v23, v96
	s_delay_alu instid0(VALU_DEP_1) | instskip(SKIP_2) | instid1(VALU_DEP_2)
	v_add3_u32 v122, v122, v22, v23
	v_bfe_u32 v22, v125, 24, 2
	v_bfe_u32 v23, v127, 8, 2
	v_mul_i32_i24_e32 v22, v95, v22
	s_delay_alu instid0(VALU_DEP_2) | instskip(NEXT) | instid1(VALU_DEP_1)
	v_mul_i32_i24_e32 v23, v23, v111
	v_add3_u32 v123, v126, v22, v23
	v_add_nc_u32_e32 v22, 0x2118, v98
	ds_load_2addr_b32 v[22:23], v22 offset1:1
	s_wait_dscnt 0x0
	v_ashrrev_i32_e32 v22, s18, v22
	v_ashrrev_i32_e32 v23, s18, v23
	s_delay_alu instid0(VALU_DEP_2) | instskip(SKIP_1) | instid1(VALU_DEP_2)
	v_and_b32_e32 v98, 3, v22
	v_bfe_u32 v125, v22, 8, 2
	v_mul_i32_i24_e32 v98, v98, v97
	s_delay_alu instid0(VALU_DEP_2) | instskip(NEXT) | instid1(VALU_DEP_1)
	v_mul_i32_i24_e32 v125, v125, v96
	v_add3_u32 v98, v129, v98, v125
	v_bfe_u32 v125, v131, 24, 2
	s_delay_alu instid0(VALU_DEP_1) | instskip(SKIP_1) | instid1(VALU_DEP_1)
	v_mul_i32_i24_e32 v95, v95, v125
	v_bfe_u32 v125, v120, 8, 2
	v_mul_i32_i24_e32 v111, v125, v111
	s_delay_alu instid0(VALU_DEP_1) | instskip(SKIP_1) | instid1(VALU_DEP_1)
	v_add3_u32 v95, v103, v95, v111
	v_ashrrev_i32_e32 v103, s18, v134
	v_and_b32_e32 v111, 3, v103
	s_delay_alu instid0(VALU_DEP_1) | instskip(SKIP_1) | instid1(VALU_DEP_1)
	v_mul_i32_i24_e32 v97, v111, v97
	v_bfe_u32 v111, v103, 8, 2
	v_mul_i32_i24_e32 v96, v111, v96
	v_bfe_i32 v111, v133, 16, 8
	s_delay_alu instid0(VALU_DEP_2) | instskip(SKIP_2) | instid1(VALU_DEP_4)
	v_add3_u32 v96, v104, v97, v96
	v_lshrrev_b32_e32 v97, 24, v130
	v_bfe_i32 v104, v130, 16, 8
	v_mul_i32_i24_e32 v111, v99, v111
	s_delay_alu instid0(VALU_DEP_3) | instskip(NEXT) | instid1(VALU_DEP_3)
	v_mul_i32_i24_e32 v97, v101, v97
	v_mul_i32_i24_e32 v104, v99, v104
	s_delay_alu instid0(VALU_DEP_1) | instskip(SKIP_2) | instid1(VALU_DEP_2)
	v_add3_u32 v97, v114, v104, v97
	v_lshrrev_b32_e32 v104, 24, v133
	v_bfe_u32 v114, v127, 24, 2
	v_mul_i32_i24_e32 v104, v101, v104
	s_delay_alu instid0(VALU_DEP_2) | instskip(NEXT) | instid1(VALU_DEP_2)
	v_mul_i32_i24_e32 v114, v114, v91
	v_add3_u32 v104, v137, v111, v104
	v_lshrrev_b32_e32 v111, 24, v141
	s_delay_alu instid0(VALU_DEP_1) | instskip(SKIP_1) | instid1(VALU_DEP_1)
	v_mul_i32_i24_e32 v101, v101, v111
	v_bfe_i32 v111, v141, 16, 8
	v_mul_i32_i24_e32 v99, v99, v111
	v_bfe_u32 v111, v118, 24, 2
	s_delay_alu instid0(VALU_DEP_2) | instskip(SKIP_1) | instid1(VALU_DEP_3)
	v_add3_u32 v99, v142, v99, v101
	v_lshrrev_b16 v101, 8, v146
	v_mul_i32_i24_e32 v111, v111, v93
	s_delay_alu instid0(VALU_DEP_2) | instskip(NEXT) | instid1(VALU_DEP_1)
	v_bfe_i32 v101, v101, 0, 8
	v_mul_i32_i24_e32 v101, v109, v101
	v_bfe_i32 v109, v147, 8, 8
	s_delay_alu instid0(VALU_DEP_1) | instskip(SKIP_1) | instid1(VALU_DEP_2)
	v_mul_i32_i24_e32 v105, v105, v109
	v_bfe_u32 v109, v21, 8, 2
	v_add3_u32 v101, v101, v105, v143
	v_and_b32_e32 v105, 3, v21
	s_delay_alu instid0(VALU_DEP_3) | instskip(NEXT) | instid1(VALU_DEP_2)
	v_mul_i32_i24_e32 v109, v109, v113
	v_mul_i32_i24_e32 v105, v105, v88
	s_delay_alu instid0(VALU_DEP_1) | instskip(SKIP_1) | instid1(VALU_DEP_1)
	v_add3_u32 v20, v20, v105, v109
	v_ashrrev_i32_e32 v105, s18, v108
	v_and_b32_e32 v108, 3, v105
	v_bfe_u32 v109, v105, 8, 2
	s_delay_alu instid0(VALU_DEP_2) | instskip(NEXT) | instid1(VALU_DEP_2)
	v_mul_i32_i24_e32 v108, v108, v90
	v_mul_i32_i24_e32 v109, v109, v89
	s_delay_alu instid0(VALU_DEP_1) | instskip(SKIP_2) | instid1(VALU_DEP_2)
	v_add3_u32 v107, v107, v108, v109
	v_bfe_u32 v108, v116, 16, 2
	v_bfe_u32 v109, v116, 24, 2
	v_mul_i32_i24_e32 v108, v108, v92
	s_delay_alu instid0(VALU_DEP_2) | instskip(NEXT) | instid1(VALU_DEP_1)
	v_mul_i32_i24_e32 v109, v109, v91
	v_add3_u32 v108, v115, v108, v109
	v_bfe_u32 v109, v118, 16, 2
	s_delay_alu instid0(VALU_DEP_1) | instskip(NEXT) | instid1(VALU_DEP_1)
	v_mul_i32_i24_e32 v109, v109, v94
	v_add3_u32 v109, v122, v109, v111
	v_bfe_u32 v111, v127, 16, 2
	s_delay_alu instid0(VALU_DEP_1) | instskip(NEXT) | instid1(VALU_DEP_1)
	v_mul_i32_i24_e32 v111, v111, v92
	v_add3_u32 v111, v123, v111, v114
	v_bfe_u32 v114, v22, 16, 2
	v_bfe_u32 v22, v22, 24, 2
	s_delay_alu instid0(VALU_DEP_2) | instskip(NEXT) | instid1(VALU_DEP_2)
	v_mul_i32_i24_e32 v114, v114, v94
	v_mul_i32_i24_e32 v22, v22, v93
	s_delay_alu instid0(VALU_DEP_1) | instskip(SKIP_1) | instid1(VALU_DEP_1)
	v_add3_u32 v22, v98, v114, v22
	v_bfe_u32 v98, v120, 16, 2
	v_mul_i32_i24_e32 v92, v98, v92
	v_bfe_u32 v98, v120, 24, 2
	s_delay_alu instid0(VALU_DEP_1) | instskip(NEXT) | instid1(VALU_DEP_1)
	v_mul_i32_i24_e32 v91, v98, v91
	v_add3_u32 v91, v95, v92, v91
	v_bfe_u32 v92, v103, 16, 2
	s_delay_alu instid0(VALU_DEP_1) | instskip(SKIP_1) | instid1(VALU_DEP_1)
	v_mul_i32_i24_e32 v92, v92, v94
	v_bfe_u32 v94, v103, 24, 2
	v_mul_i32_i24_e32 v93, v94, v93
	v_bfe_u32 v94, v21, 16, 2
	v_bfe_u32 v21, v21, 24, 2
	s_delay_alu instid0(VALU_DEP_3) | instskip(NEXT) | instid1(VALU_DEP_3)
	v_add3_u32 v92, v96, v92, v93
	v_mul_i32_i24_e32 v94, v94, v27
	s_delay_alu instid0(VALU_DEP_3) | instskip(SKIP_1) | instid1(VALU_DEP_2)
	v_mul_i32_i24_e32 v21, v21, v26
	v_add3_u32 v93, v110, v100, v101
	v_add3_u32 v20, v20, v94, v21
	v_bfe_u32 v21, v105, 16, 2
	v_bfe_u32 v94, v105, 24, 2
	;; [unrolled: 1-line block ×3, first 2 shown]
	v_cvt_f32_i32_e32 v93, v93
	s_delay_alu instid0(VALU_DEP_4) | instskip(NEXT) | instid1(VALU_DEP_4)
	v_mul_i32_i24_e32 v21, v21, v87
	v_mul_i32_i24_e32 v94, v94, v86
	s_delay_alu instid0(VALU_DEP_4) | instskip(NEXT) | instid1(VALU_DEP_2)
	v_mul_i32_i24_e32 v105, v105, v89
	v_add3_u32 v21, v107, v21, v94
	v_ashrrev_i32_e32 v94, s18, v117
	s_delay_alu instid0(VALU_DEP_1) | instskip(SKIP_1) | instid1(VALU_DEP_2)
	v_and_b32_e32 v95, 3, v94
	v_bfe_u32 v96, v94, 8, 2
	v_mul_i32_i24_e32 v95, v95, v88
	s_delay_alu instid0(VALU_DEP_2) | instskip(NEXT) | instid1(VALU_DEP_1)
	v_mul_i32_i24_e32 v96, v96, v113
	v_add3_u32 v95, v108, v95, v96
	v_ashrrev_i32_e32 v96, s18, v124
	s_delay_alu instid0(VALU_DEP_1) | instskip(SKIP_1) | instid1(VALU_DEP_2)
	v_and_b32_e32 v98, 3, v96
	v_bfe_u32 v100, v96, 8, 2
	v_mul_i32_i24_e32 v98, v98, v90
	s_delay_alu instid0(VALU_DEP_2) | instskip(NEXT) | instid1(VALU_DEP_1)
	;; [unrolled: 8-line block ×3, first 2 shown]
	v_mul_i32_i24_e32 v103, v103, v113
	v_add3_u32 v101, v111, v101, v103
	v_and_b32_e32 v103, 3, v23
	s_delay_alu instid0(VALU_DEP_1) | instskip(NEXT) | instid1(VALU_DEP_1)
	v_mul_i32_i24_e32 v103, v103, v90
	v_add3_u32 v22, v22, v103, v105
	v_ashrrev_i32_e32 v103, s18, v121
	s_delay_alu instid0(VALU_DEP_1) | instskip(NEXT) | instid1(VALU_DEP_1)
	v_and_b32_e32 v105, 3, v103
	v_mul_i32_i24_e32 v88, v105, v88
	v_bfe_u32 v105, v103, 8, 2
	s_delay_alu instid0(VALU_DEP_1) | instskip(NEXT) | instid1(VALU_DEP_1)
	v_mul_i32_i24_e32 v105, v105, v113
	v_add3_u32 v88, v91, v88, v105
	v_ashrrev_i32_e32 v91, s18, v135
	s_lshr_b32 s18, s1, 2
	s_wait_alu 0xfffe
	s_and_b32 s18, s18, 0x3ffffffc
	s_delay_alu instid0(VALU_DEP_1) | instskip(SKIP_2) | instid1(VALU_DEP_1)
	v_and_b32_e32 v105, 3, v91
	s_wait_alu 0xfffe
	s_addk_co_i32 s18, 0x5280
	v_mul_i32_i24_e32 v90, v105, v90
	v_bfe_u32 v105, v91, 8, 2
	s_delay_alu instid0(VALU_DEP_1) | instskip(NEXT) | instid1(VALU_DEP_1)
	v_mul_i32_i24_e32 v89, v105, v89
	v_add3_u32 v89, v92, v90, v89
	v_bfe_u32 v90, v94, 16, 2
	v_bfe_u32 v92, v94, 24, 2
	;; [unrolled: 1-line block ×3, first 2 shown]
	s_delay_alu instid0(VALU_DEP_3) | instskip(NEXT) | instid1(VALU_DEP_3)
	v_mul_i32_i24_e32 v90, v90, v27
	v_mul_i32_i24_e32 v92, v92, v26
	s_delay_alu instid0(VALU_DEP_3) | instskip(NEXT) | instid1(VALU_DEP_2)
	v_mul_i32_i24_e32 v94, v94, v86
	v_add3_u32 v90, v95, v90, v92
	v_bfe_u32 v92, v96, 16, 2
	v_bfe_u32 v95, v100, 24, 2
	v_and_b32_e32 v96, 15, v138
	s_delay_alu instid0(VALU_DEP_3) | instskip(NEXT) | instid1(VALU_DEP_3)
	v_mul_i32_i24_e32 v92, v92, v87
	v_mul_i32_i24_e32 v95, v95, v26
	s_delay_alu instid0(VALU_DEP_2) | instskip(SKIP_2) | instid1(VALU_DEP_2)
	v_add3_u32 v92, v98, v92, v94
	v_bfe_u32 v94, v100, 16, 2
	v_and_b32_e32 v98, 15, v139
	v_mul_i32_i24_e32 v94, v94, v27
	s_delay_alu instid0(VALU_DEP_1) | instskip(SKIP_2) | instid1(VALU_DEP_2)
	v_add3_u32 v94, v101, v94, v95
	v_bfe_u32 v95, v23, 16, 2
	v_bfe_u32 v23, v23, 24, 2
	v_mul_i32_i24_e32 v95, v95, v87
	s_delay_alu instid0(VALU_DEP_2) | instskip(NEXT) | instid1(VALU_DEP_1)
	v_mul_i32_i24_e32 v23, v23, v86
	v_add3_u32 v23, v22, v95, v23
	v_bfe_u32 v22, v103, 16, 2
	s_delay_alu instid0(VALU_DEP_1) | instskip(SKIP_1) | instid1(VALU_DEP_1)
	v_mul_i32_i24_e32 v22, v22, v27
	v_bfe_u32 v27, v103, 24, 2
	v_mul_i32_i24_e32 v26, v27, v26
	s_wait_alu 0xfffe
	v_add3_u32 v27, s18, v78, v79
	s_delay_alu instid0(VALU_DEP_2) | instskip(SKIP_1) | instid1(VALU_DEP_1)
	v_add3_u32 v26, v88, v22, v26
	v_bfe_u32 v22, v91, 16, 2
	v_mul_i32_i24_e32 v22, v22, v87
	v_bfe_u32 v87, v91, 24, 2
	v_and_b32_e32 v91, 15, v106
	s_delay_alu instid0(VALU_DEP_2)
	v_mul_i32_i24_e32 v86, v87, v86
	v_add3_u32 v87, s18, v82, v83
	ds_load_b32 v88, v27
	ds_load_b32 v87, v87
	v_add3_u32 v27, v89, v22, v86
	v_add3_u32 v22, s18, v84, v85
	v_add3_u32 v86, s18, v80, v81
	ds_load_b32 v89, v22
	ds_load_b32 v86, v86
	v_and_b32_e32 v22, 15, v112
	s_add_co_i32 s18, s1, 2
	s_cmp_lt_u32 s1, 30
	s_wait_alu 0xfffe
	s_mov_b32 s1, s18
	v_mul_lo_u32 v20, v20, v22
	v_and_b32_e32 v22, 15, v132
	s_delay_alu instid0(VALU_DEP_2)
	v_mad_co_u64_u32 v[20:21], null, v21, v91, v[20:21]
	v_and_b32_e32 v21, 15, v119
	ds_load_b32 v91, v25
	v_add_nc_u32_e32 v25, 4, v25
	s_wait_dscnt 0x1
	v_lshrrev_b32_e32 v95, 16, v86
	v_mul_lo_u32 v21, v90, v21
	v_lshrrev_b32_e32 v90, 16, v89
	v_cvt_f32_i32_e32 v20, v20
	s_delay_alu instid0(VALU_DEP_4) | instskip(NEXT) | instid1(VALU_DEP_3)
	v_cvt_f32_f16_e32 v95, v95
	v_cvt_f32_f16_e32 v90, v90
	v_mad_co_u64_u32 v[21:22], null, v92, v22, v[21:22]
	v_and_b32_e32 v22, 15, v145
	v_lshrrev_b32_e32 v92, 16, v88
	s_delay_alu instid0(VALU_DEP_4) | instskip(NEXT) | instid1(VALU_DEP_3)
	v_mul_f32_e32 v90, v90, v93
	v_mul_lo_u32 v22, v94, v22
	v_lshrrev_b32_e32 v94, 16, v87
	s_delay_alu instid0(VALU_DEP_4) | instskip(SKIP_1) | instid1(VALU_DEP_3)
	v_cvt_f32_f16_e32 v92, v92
	v_cvt_f32_i32_e32 v21, v21
	v_cvt_f32_f16_e32 v94, v94
	v_mad_co_u64_u32 v[22:23], null, v23, v98, v[22:23]
	v_mul_lo_u32 v23, v26, v96
	v_and_b32_e32 v26, 15, v102
	v_cvt_f32_i32_e32 v96, v97
	v_cvt_f32_i32_e32 v97, v104
	;; [unrolled: 1-line block ×4, first 2 shown]
	v_mad_co_u64_u32 v[26:27], null, v27, v26, v[23:24]
	v_mul_f32_e32 v23, v92, v96
	s_delay_alu instid0(VALU_DEP_4) | instskip(SKIP_1) | instid1(VALU_DEP_3)
	v_dual_mul_f32 v27, v95, v97 :: v_dual_mul_f32 v92, v94, v98
	v_add_nc_u32_e32 v24, 32, v24
	v_fma_mix_f32 v20, v88, v20, -v23 op_sel_hi:[1,0,0]
	v_cvt_f32_i32_e32 v26, v26
	s_delay_alu instid0(VALU_DEP_4)
	v_fma_mix_f32 v21, v86, v21, -v27 op_sel_hi:[1,0,0]
	v_fma_mix_f32 v22, v87, v22, -v92 op_sel_hi:[1,0,0]
	s_wait_dscnt 0x0
	v_fmac_f32_e32 v30, v91, v20
	v_fma_mix_f32 v23, v89, v26, -v90 op_sel_hi:[1,0,0]
	v_fmac_f32_e32 v63, v91, v21
	v_fmac_f32_e32 v59, v91, v22
	s_delay_alu instid0(VALU_DEP_3)
	v_fmac_f32_e32 v17, v91, v23
	s_cbranch_scc1 .LBB188_35
; %bb.36:                               ;   in Loop: Header=BB188_5 Depth=1
	s_wait_loadcnt 0x0
	s_barrier_signal -1
	s_barrier_wait -1
	global_inv scope:SCOPE_SE
	s_branch .LBB188_4
.LBB188_37:
	s_mul_i32 s0, s10, s7
	s_wait_loadcnt 0x0
	s_wait_alu 0xfffe
	v_cmp_gt_i32_e32 vcc_lo, s0, v28
	s_and_saveexec_b32 s0, vcc_lo
	s_cbranch_execz .LBB188_46
; %bb.38:
	v_mul_lo_u32 v0, v28, s9
	v_add_nc_u32_e32 v1, s11, v29
	s_mov_b32 s0, exec_lo
	s_delay_alu instid0(VALU_DEP_1)
	v_cmpx_gt_u32_e64 s9, v1
	s_cbranch_execz .LBB188_40
; %bb.39:
	s_delay_alu instid0(VALU_DEP_3) | instskip(NEXT) | instid1(VALU_DEP_1)
	v_dual_mov_b32 v3, 0 :: v_dual_add_nc_u32 v2, v0, v1
	v_lshlrev_b64_e32 v[2:3], 2, v[2:3]
	s_delay_alu instid0(VALU_DEP_1) | instskip(SKIP_1) | instid1(VALU_DEP_2)
	v_add_co_u32 v2, vcc_lo, s12, v2
	s_wait_alu 0xfffd
	v_add_co_ci_u32_e64 v3, null, s13, v3, vcc_lo
	global_store_b32 v[2:3], v30, off
.LBB188_40:
	s_wait_alu 0xfffe
	s_or_b32 exec_lo, exec_lo, s0
	v_add_nc_u32_e32 v2, 32, v1
	s_mov_b32 s0, exec_lo
	s_delay_alu instid0(VALU_DEP_1)
	v_cmpx_gt_u32_e64 s9, v2
	s_cbranch_execz .LBB188_42
; %bb.41:
	v_dual_mov_b32 v3, 0 :: v_dual_add_nc_u32 v2, v0, v2
	s_delay_alu instid0(VALU_DEP_1) | instskip(NEXT) | instid1(VALU_DEP_1)
	v_lshlrev_b64_e32 v[2:3], 2, v[2:3]
	v_add_co_u32 v2, vcc_lo, s12, v2
	s_wait_alu 0xfffd
	s_delay_alu instid0(VALU_DEP_2)
	v_add_co_ci_u32_e64 v3, null, s13, v3, vcc_lo
	global_store_b32 v[2:3], v63, off
.LBB188_42:
	s_wait_alu 0xfffe
	s_or_b32 exec_lo, exec_lo, s0
	v_add_nc_u32_e32 v2, 64, v1
	s_mov_b32 s0, exec_lo
	s_delay_alu instid0(VALU_DEP_1)
	v_cmpx_gt_u32_e64 s9, v2
	s_cbranch_execz .LBB188_44
; %bb.43:
	v_dual_mov_b32 v3, 0 :: v_dual_add_nc_u32 v2, v0, v2
	s_delay_alu instid0(VALU_DEP_1) | instskip(NEXT) | instid1(VALU_DEP_1)
	v_lshlrev_b64_e32 v[2:3], 2, v[2:3]
	v_add_co_u32 v2, vcc_lo, s12, v2
	s_wait_alu 0xfffd
	s_delay_alu instid0(VALU_DEP_2)
	v_add_co_ci_u32_e64 v3, null, s13, v3, vcc_lo
	global_store_b32 v[2:3], v59, off
.LBB188_44:
	s_wait_alu 0xfffe
	s_or_b32 exec_lo, exec_lo, s0
	v_add_nc_u32_e32 v1, 0x60, v1
	s_delay_alu instid0(VALU_DEP_1)
	v_cmp_gt_u32_e32 vcc_lo, s9, v1
	s_and_b32 exec_lo, exec_lo, vcc_lo
	s_cbranch_execz .LBB188_46
; %bb.45:
	v_dual_mov_b32 v1, 0 :: v_dual_add_nc_u32 v0, v0, v1
	s_delay_alu instid0(VALU_DEP_1) | instskip(NEXT) | instid1(VALU_DEP_1)
	v_lshlrev_b64_e32 v[0:1], 2, v[0:1]
	v_add_co_u32 v0, vcc_lo, s12, v0
	s_wait_alu 0xfffd
	s_delay_alu instid0(VALU_DEP_2)
	v_add_co_ci_u32_e64 v1, null, s13, v1, vcc_lo
	global_store_b32 v[0:1], v17, off
.LBB188_46:
	s_nop 0
	s_sendmsg sendmsg(MSG_DEALLOC_VGPRS)
	s_endpgm
	.section	.rodata,"a",@progbits
	.p2align	6, 0x0
	.amdhsa_kernel _ZL8moe_q2_KIfLb1EEvPKvS1_PT_PKiS5_S5_iiiiiii
		.amdhsa_group_segment_fixed_size 23328
		.amdhsa_private_segment_fixed_size 0
		.amdhsa_kernarg_size 76
		.amdhsa_user_sgpr_count 2
		.amdhsa_user_sgpr_dispatch_ptr 0
		.amdhsa_user_sgpr_queue_ptr 0
		.amdhsa_user_sgpr_kernarg_segment_ptr 1
		.amdhsa_user_sgpr_dispatch_id 0
		.amdhsa_user_sgpr_private_segment_size 0
		.amdhsa_wavefront_size32 1
		.amdhsa_uses_dynamic_stack 0
		.amdhsa_enable_private_segment 0
		.amdhsa_system_sgpr_workgroup_id_x 1
		.amdhsa_system_sgpr_workgroup_id_y 1
		.amdhsa_system_sgpr_workgroup_id_z 0
		.amdhsa_system_sgpr_workgroup_info 0
		.amdhsa_system_vgpr_workitem_id 1
		.amdhsa_next_free_vgpr 151
		.amdhsa_next_free_sgpr 22
		.amdhsa_reserve_vcc 1
		.amdhsa_float_round_mode_32 0
		.amdhsa_float_round_mode_16_64 0
		.amdhsa_float_denorm_mode_32 3
		.amdhsa_float_denorm_mode_16_64 3
		.amdhsa_fp16_overflow 0
		.amdhsa_workgroup_processor_mode 1
		.amdhsa_memory_ordered 1
		.amdhsa_forward_progress 1
		.amdhsa_inst_pref_size 171
		.amdhsa_round_robin_scheduling 0
		.amdhsa_exception_fp_ieee_invalid_op 0
		.amdhsa_exception_fp_denorm_src 0
		.amdhsa_exception_fp_ieee_div_zero 0
		.amdhsa_exception_fp_ieee_overflow 0
		.amdhsa_exception_fp_ieee_underflow 0
		.amdhsa_exception_fp_ieee_inexact 0
		.amdhsa_exception_int_div_zero 0
	.end_amdhsa_kernel
	.section	.text._ZL8moe_q2_KIfLb1EEvPKvS1_PT_PKiS5_S5_iiiiiii,"axG",@progbits,_ZL8moe_q2_KIfLb1EEvPKvS1_PT_PKiS5_S5_iiiiiii,comdat
.Lfunc_end188:
	.size	_ZL8moe_q2_KIfLb1EEvPKvS1_PT_PKiS5_S5_iiiiiii, .Lfunc_end188-_ZL8moe_q2_KIfLb1EEvPKvS1_PT_PKiS5_S5_iiiiiii
                                        ; -- End function
	.set _ZL8moe_q2_KIfLb1EEvPKvS1_PT_PKiS5_S5_iiiiiii.num_vgpr, 151
	.set _ZL8moe_q2_KIfLb1EEvPKvS1_PT_PKiS5_S5_iiiiiii.num_agpr, 0
	.set _ZL8moe_q2_KIfLb1EEvPKvS1_PT_PKiS5_S5_iiiiiii.numbered_sgpr, 22
	.set _ZL8moe_q2_KIfLb1EEvPKvS1_PT_PKiS5_S5_iiiiiii.num_named_barrier, 0
	.set _ZL8moe_q2_KIfLb1EEvPKvS1_PT_PKiS5_S5_iiiiiii.private_seg_size, 0
	.set _ZL8moe_q2_KIfLb1EEvPKvS1_PT_PKiS5_S5_iiiiiii.uses_vcc, 1
	.set _ZL8moe_q2_KIfLb1EEvPKvS1_PT_PKiS5_S5_iiiiiii.uses_flat_scratch, 0
	.set _ZL8moe_q2_KIfLb1EEvPKvS1_PT_PKiS5_S5_iiiiiii.has_dyn_sized_stack, 0
	.set _ZL8moe_q2_KIfLb1EEvPKvS1_PT_PKiS5_S5_iiiiiii.has_recursion, 0
	.set _ZL8moe_q2_KIfLb1EEvPKvS1_PT_PKiS5_S5_iiiiiii.has_indirect_call, 0
	.section	.AMDGPU.csdata,"",@progbits
; Kernel info:
; codeLenInByte = 21776
; TotalNumSgprs: 24
; NumVgprs: 151
; ScratchSize: 0
; MemoryBound: 0
; FloatMode: 240
; IeeeMode: 1
; LDSByteSize: 23328 bytes/workgroup (compile time only)
; SGPRBlocks: 0
; VGPRBlocks: 18
; NumSGPRsForWavesPerEU: 24
; NumVGPRsForWavesPerEU: 151
; Occupancy: 9
; WaveLimiterHint : 1
; COMPUTE_PGM_RSRC2:SCRATCH_EN: 0
; COMPUTE_PGM_RSRC2:USER_SGPR: 2
; COMPUTE_PGM_RSRC2:TRAP_HANDLER: 0
; COMPUTE_PGM_RSRC2:TGID_X_EN: 1
; COMPUTE_PGM_RSRC2:TGID_Y_EN: 1
; COMPUTE_PGM_RSRC2:TGID_Z_EN: 0
; COMPUTE_PGM_RSRC2:TIDIG_COMP_CNT: 1
	.section	.text._ZL8moe_q3_KIfLb0EEvPKvS1_PT_PKiS5_S5_iiiiiii,"axG",@progbits,_ZL8moe_q3_KIfLb0EEvPKvS1_PT_PKiS5_S5_iiiiiii,comdat
	.globl	_ZL8moe_q3_KIfLb0EEvPKvS1_PT_PKiS5_S5_iiiiiii ; -- Begin function _ZL8moe_q3_KIfLb0EEvPKvS1_PT_PKiS5_S5_iiiiiii
	.p2align	8
	.type	_ZL8moe_q3_KIfLb0EEvPKvS1_PT_PKiS5_S5_iiiiiii,@function
_ZL8moe_q3_KIfLb0EEvPKvS1_PT_PKiS5_S5_iiiiiii: ; @_ZL8moe_q3_KIfLb0EEvPKvS1_PT_PKiS5_S5_iiiiiii
; %bb.0:
	s_load_b128 s[4:7], s[0:1], 0x18
	s_mov_b32 s2, ttmp7
	s_mov_b32 s3, 0
	s_delay_alu instid0(SALU_CYCLE_1)
	s_lshl_b64 s[2:3], s[2:3], 2
	s_wait_kmcnt 0x0
	s_add_nc_u64 s[2:3], s[6:7], s[2:3]
	s_load_b32 s12, s[2:3], 0x0
	s_wait_kmcnt 0x0
	s_cmp_gt_u32 s12, 0xff
	s_cbranch_scc1 .LBB189_46
; %bb.1:
	s_load_b64 s[2:3], s[0:1], 0x28
	s_wait_kmcnt 0x0
	s_load_b32 s3, s[2:3], 0x0
	s_lshl_b32 s2, ttmp7, 3
	s_wait_kmcnt 0x0
	s_cmp_gt_u32 s2, s3
	s_cbranch_scc1 .LBB189_46
; %bb.2:
	v_bfe_u32 v3, v0, 10, 10
	v_mov_b32_e32 v2, 0
	s_lshl_b32 s18, ttmp9, 7
	s_delay_alu instid0(VALU_DEP_2) | instskip(NEXT) | instid1(VALU_DEP_2)
	v_add_nc_u32_e32 v1, s2, v3
	v_dual_mov_b32 v87, v2 :: v_dual_and_b32 v24, 0x3ff, v0
	v_dual_mov_b32 v86, v2 :: v_dual_mov_b32 v25, v2
	s_delay_alu instid0(VALU_DEP_3) | instskip(NEXT) | instid1(VALU_DEP_1)
	v_lshlrev_b64_e32 v[4:5], 2, v[1:2]
	v_add_co_u32 v4, vcc_lo, s4, v4
	s_delay_alu instid0(VALU_DEP_1)
	v_add_co_ci_u32_e64 v5, null, s5, v5, vcc_lo
	global_load_b32 v23, v[4:5], off
	s_clause 0x2
	s_load_b64 s[10:11], s[0:1], 0x30
	s_load_b64 s[8:9], s[0:1], 0x10
	s_load_b128 s[4:7], s[0:1], 0x3c
	s_wait_kmcnt 0x0
	s_cmp_lt_i32 s11, 0x100
	s_cbranch_scc1 .LBB189_37
; %bb.3:
	v_bfe_u32 v73, v0, 3, 7
	s_ashr_i32 s2, s11, 31
	v_and_b32_e32 v7, 7, v0
	s_wait_alu 0xfffe
	s_lshr_b32 s13, s2, 24
	s_mul_i32 s12, s12, s10
	v_lshl_add_u32 v80, v3, 2, v73
	s_add_co_i32 s13, s11, s13
	v_lshlrev_b32_e32 v36, 2, v7
	s_ashr_i32 s19, s13, 8
	v_lshlrev_b32_e32 v86, 1, v24
	v_add_nc_u32_e32 v82, 64, v80
	v_add_nc_u32_e32 v84, 0x60, v80
	s_lshl_b32 s10, s19, 3
	v_lshlrev_b32_e32 v113, 4, v24
	v_mad_i32_i24 v27, s19, v3, s10
	v_and_b32_e32 v83, 0x3ffc, v82
	v_and_b32_e32 v85, 0x3ffc, v84
	v_lshlrev_b32_e32 v110, 5, v82
	v_lshlrev_b32_e32 v112, 5, v84
	v_add_nc_u32_e32 v29, s10, v27
	v_add3_u32 v109, v83, v36, 0x6300
	v_add3_u32 v111, v85, v36, 0x6300
	v_and_b32_e32 v75, 4, v86
	s_load_b128 s[0:3], s[0:1], 0x0
	s_ashr_i32 s14, s5, 31
	v_add_nc_u32_e32 v109, v109, v110
	v_add_nc_u32_e32 v110, v111, v112
	v_lshlrev_b32_e32 v112, 2, v113
	v_dual_mov_b32 v86, 0 :: v_dual_lshlrev_b32 v113, 2, v86
	v_add_nc_u32_e32 v30, s10, v29
	s_lshr_b32 s14, s14, 27
	v_and_b32_e32 v22, 3, v0
	s_add_co_i32 s5, s5, s14
	s_mul_i32 s14, s19, s18
	v_add_nc_u32_e32 v32, s10, v30
	s_ashr_i32 s13, s12, 31
	s_ashr_i32 s15, s14, 31
	v_add_nc_u16 v74, v22, -2
	s_mul_u64 s[14:15], s[14:15], 0x6e
	v_add_nc_u32_e32 v34, s10, v32
	v_and_b32_e32 v1, 15, v0
	v_lshlrev_b32_e32 v77, 1, v22
	s_wait_kmcnt 0x0
	s_add_nc_u64 s[0:1], s[0:1], s[12:13]
	v_dual_mov_b32 v25, 0 :: v_dual_lshlrev_b32 v2, 2, v24
	v_add_nc_u32_e32 v37, s10, v34
	s_add_nc_u64 s[12:13], s[0:1], s[14:15]
	s_abs_i32 s1, s7
	v_cmp_lt_u32_e32 vcc_lo, 7, v1
	s_cvt_f32_u32 s0, s1
	v_add_nc_u32_e32 v39, s10, v37
	s_sub_co_i32 s14, 0, s1
	v_lshlrev_b32_e32 v4, 4, v3
	v_rcp_iflag_f32_e32 v79, s0
	s_wait_alu 0xfffd
	v_cndmask_b32_e64 v35, 0, 1, vcc_lo
	v_add_nc_u32_e32 v44, s10, v39
	v_cmp_gt_u32_e32 vcc_lo, 2, v22
	v_lshlrev_b32_e32 v6, 1, v3
	v_mad_u32_u24 v33, 0x84, v3, v2
	v_mul_i32_i24_e32 v38, s19, v3
	s_wait_alu 0xfffd
	v_dual_cndmask_b32 v74, v74, v22 :: v_dual_add_nc_u32 v49, s10, v44
	v_add_nc_u32_e32 v22, 32, v80
	v_lshl_add_u32 v82, v3, 7, 0x77a0
	s_lshl_b32 s0, s19, 5
	s_delay_alu instid0(VALU_DEP_3)
	v_add_nc_u32_e32 v54, s10, v49
	v_cmp_lt_u32_e32 vcc_lo, 3, v7
	v_and_b32_e32 v81, 0x3ffc, v22
	v_and_b32_e32 v7, 0x1ffc, v80
	v_mul_i32_i24_e32 v78, s19, v80
	v_add_nc_u32_e32 v58, s10, v54
	v_lshlrev_b32_e32 v87, 5, v80
	v_add3_u32 v108, v81, v36, 0x6300
	s_wait_loadcnt 0x0
	v_sub_nc_u32_e32 v81, 0, v23
	v_bfe_u32 v26, v0, 4, 6
	v_add_nc_u32_e32 v60, s10, v58
	v_bfe_u32 v5, v0, 1, 9
	v_and_b32_e32 v28, 1, v0
	v_max_i32_e32 v88, v23, v81
	v_add_nc_u32_e32 v10, v26, v6
	v_add_nc_u32_e32 v62, s10, v60
	;; [unrolled: 1-line block ×3, first 2 shown]
	v_add3_u32 v7, v7, v36, 0x6300
	s_lshl_b32 s16, s19, 4
	v_lshlrev_b32_e32 v31, 2, v1
	v_add_nc_u32_e32 v63, s10, v62
	v_add_nc_u16 v1, v26, v6
	v_and_b32_e32 v6, 0x7f, v8
	v_lshrrev_b32_e32 v8, 2, v8
	v_add_nc_u32_e32 v11, 16, v10
	v_add_nc_u32_e32 v65, s10, v63
	v_readfirstlane_b32 s10, v79
	s_wait_alu 0xfffe
	v_mad_i32_i24 v79, s19, v80, s0
	v_mad_i32_i24 v66, s19, v10, s16
	v_add_nc_u32_e32 v107, v7, v87
	v_mov_b32_e32 v87, 0
	s_mul_f32 s10, s10, 0x4f7ffffe
	v_add_nc_u32_e32 v80, s0, v79
	v_lshlrev_b32_e32 v9, 2, v28
	v_mul_i32_i24_e32 v61, s19, v6
	s_wait_alu 0xfffe
	s_cvt_u32_f32 s10, s10
	v_and_b32_e32 v8, 28, v8
	v_add_nc_u32_e32 v81, s0, v80
	v_lshl_or_b32 v6, v6, 3, v9
	s_wait_alu 0xfffe
	s_mul_i32 s14, s14, s10
	v_lshlrev_b32_e32 v9, 1, v11
	s_mul_hi_u32 s14, s10, s14
	v_add_nc_u32_e32 v67, s16, v66
	s_add_co_i32 s10, s10, s14
	v_mul_i32_i24_e32 v59, s19, v10
	s_wait_alu 0xfffe
	v_mul_hi_u32 v89, v88, s10
	v_lshrrev_b16 v1, 1, v1
	v_add_nc_u32_e32 v12, 32, v10
	v_add3_u32 v64, v6, v8, 0x7380
	v_and_b32_e32 v6, 0x3ffc, v9
	v_add_nc_u32_e32 v9, 48, v10
	v_lshlrev_b32_e32 v13, 6, v10
	v_add_nc_u32_e32 v15, 64, v10
	v_mul_lo_u32 v3, v89, s1
	v_add_nc_u32_e32 v17, 0x50, v10
	v_add_nc_u32_e32 v68, s16, v67
	;; [unrolled: 1-line block ×4, first 2 shown]
	v_and_b32_e32 v1, 0xffff, v1
	v_lshlrev_b32_e32 v8, 1, v12
	v_lshlrev_b32_e32 v14, 1, v9
	v_sub_nc_u32_e32 v3, v88, v3
	v_add_nc_u32_e32 v88, 1, v89
	v_lshlrev_b32_e32 v16, 1, v15
	v_lshlrev_b32_e32 v18, 1, v17
	v_add_nc_u32_e32 v69, s16, v68
	v_subrev_nc_u32_e32 v90, s1, v3
	v_cmp_le_u32_e64 s0, s1, v3
	v_lshlrev_b32_e32 v20, 1, v19
	v_lshlrev_b32_e32 v21, 1, v10
	v_and_b32_e32 v85, 31, v0
	v_add_nc_u32_e32 v83, 0x7ba0, v4
	s_wait_alu 0xf1ff
	v_cndmask_b32_e64 v88, v89, v88, s0
	v_cndmask_b32_e64 v3, v3, v90, s0
	v_xor_b32_e32 v89, s7, v23
	v_add_nc_u32_e32 v92, 0x60, v24
	s_ashr_i32 s5, s5, 5
	v_add_nc_u32_e32 v90, 1, v88
	v_cmp_le_u32_e64 s0, s1, v3
	v_ashrrev_i32_e32 v89, 31, v89
	v_lshlrev_b32_e32 v1, 2, v1
	v_and_b32_e32 v8, 0x3ffc, v8
	v_and_b32_e32 v14, 0x3ffc, v14
	s_wait_alu 0xf1ff
	v_cndmask_b32_e64 v3, v88, v90, s0
	v_and_b32_e32 v16, 0x3ffc, v16
	v_and_b32_e32 v18, 0x3ffc, v18
	v_add_nc_u32_e32 v70, s16, v69
	v_and_b32_e32 v20, 0x3ffc, v20
	v_xor_b32_e32 v3, v3, v89
	v_and_b32_e32 v21, 0x3ffc, v21
	v_and_b32_e32 v4, 28, v2
	v_lshl_add_u32 v84, v85, 2, v82
	v_add_nc_u32_e32 v85, v83, v2
	v_sub_nc_u32_e32 v3, v3, v89
	v_mul_u32_u24_e32 v2, 33, v24
	v_add_nc_u32_e32 v94, 32, v24
	v_lshlrev_b32_e32 v98, 5, v24
	v_add_nc_u32_e32 v95, 64, v24
	v_and_b32_e32 v93, 0x1fc, v92
	s_wait_alu 0xfffe
	v_mul_lo_u32 v91, v3, s5
	v_add3_u32 v1, v1, v31, 0x4200
	v_add3_u32 v6, v6, v31, 0x4200
	v_lshlrev_b32_e32 v11, 6, v11
	v_add3_u32 v8, v8, v31, 0x4200
	v_lshlrev_b32_e32 v12, 6, v12
	;; [unrolled: 2-line block ×5, first 2 shown]
	v_add_nc_u32_e32 v71, s16, v70
	v_add3_u32 v20, v20, v31, 0x4200
	v_lshlrev_b32_e32 v19, 6, v19
	v_add3_u32 v21, v21, v31, 0x4200
	v_lshlrev_b32_e32 v10, 6, v10
	v_and_b32_e32 v76, 0xff, v74
	v_lshlrev_b32_e32 v22, 5, v22
	v_lshlrev_b32_e32 v115, 4, v94
	v_lshrrev_b32_e32 v114, 1, v94
	v_lshlrev_b32_e32 v117, 1, v94
	v_lshrrev_b32_e32 v116, 4, v94
	;; [unrolled: 2-line block ×6, first 2 shown]
	v_lshrrev_b32_e32 v90, 3, v92
	v_lshlrev_b32_e32 v92, 2, v2
	v_add_nc_u32_e32 v93, v98, v93
	v_and_b32_e32 v2, 0x1fc, v95
	v_and_b32_e32 v97, 0x1fc, v94
	;; [unrolled: 1-line block ×3, first 2 shown]
	s_wait_alu 0xfffd
	v_cndmask_b32_e64 v74, 0, 1, vcc_lo
	v_cmp_gt_u32_e32 vcc_lo, 4, v24
	v_cmp_gt_i32_e64 s0, s4, v3
	v_add_co_u32 v3, s1, s2, v4
	v_add_nc_u32_e32 v40, 0x420, v33
	v_add_nc_u32_e32 v41, 0x840, v33
	;; [unrolled: 1-line block ×16, first 2 shown]
	v_lshlrev_b32_e32 v76, 2, v76
	v_lshrrev_b32_e32 v88, 3, v94
	v_lshrrev_b32_e32 v89, 3, v95
	s_wait_alu 0xf1ff
	v_add_co_ci_u32_e64 v4, null, s3, 0, s1
	v_ashrrev_i32_e32 v94, 31, v91
	v_add_nc_u32_e32 v95, 0x6f00, v93
	v_add_nc_u32_e32 v96, v98, v2
	;; [unrolled: 1-line block ×13, first 2 shown]
	v_lshlrev_b32_e32 v111, 2, v5
	v_lshlrev_b32_e32 v114, 2, v114
	;; [unrolled: 1-line block ×14, first 2 shown]
	v_mov_b32_e32 v2, 0
	s_mov_b32 s15, 0
	s_and_b32 s10, vcc_lo, s0
	s_mov_b32 s14, s15
	s_branch .LBB189_5
.LBB189_4:                              ;   in Loop: Header=BB189_5 Depth=1
	s_add_co_i32 s14, s14, 2
	s_delay_alu instid0(SALU_CYCLE_1)
	s_cmp_ge_i32 s14, s19
	s_cbranch_scc1 .LBB189_37
.LBB189_5:                              ; =>This Loop Header: Depth=1
                                        ;     Child Loop BB189_11 Depth 2
                                        ;     Child Loop BB189_19 Depth 2
	;; [unrolled: 1-line block ×4, first 2 shown]
	s_mul_u64 s[16:17], s[14:15], 0x6e
	s_wait_alu 0xfffe
	s_add_nc_u64 s[16:17], s[12:13], s[16:17]
	s_wait_alu 0xfffe
	v_mad_co_u64_u32 v[0:1], null, 0x6e, v26, s[16:17]
	s_delay_alu instid0(VALU_DEP_1) | instskip(SKIP_3) | instid1(VALU_DEP_4)
	v_mad_co_u64_u32 v[5:6], null, 0x6e, v38, v[0:1]
	v_mad_co_u64_u32 v[7:8], null, 0x6e, v27, v[0:1]
	;; [unrolled: 1-line block ×4, first 2 shown]
	v_add_co_u32 v5, s1, v5, v31
	v_mad_co_u64_u32 v[13:14], null, 0x6e, v32, v[0:1]
	s_wait_alu 0xf1ff
	v_add_co_ci_u32_e64 v6, null, 0, v6, s1
	v_add_co_u32 v7, s1, v7, v31
	v_mad_co_u64_u32 v[15:16], null, 0x6e, v34, v[0:1]
	s_wait_alu 0xf1ff
	v_add_co_ci_u32_e64 v8, null, 0, v8, s1
	;; [unrolled: 4-line block ×4, first 2 shown]
	v_add_co_u32 v13, s1, v13, v31
	s_wait_alu 0xf1ff
	v_add_co_ci_u32_e64 v14, null, 0, v14, s1
	v_add_co_u32 v15, s1, v15, v31
	s_wait_alu 0xf1ff
	v_add_co_ci_u32_e64 v16, null, 0, v16, s1
	;; [unrolled: 3-line block ×3, first 2 shown]
	v_add_co_u32 v19, s1, v19, v31
	v_mad_co_u64_u32 v[21:22], null, 0x6e, v44, v[0:1]
	s_wait_alu 0xf1ff
	v_add_co_ci_u32_e64 v20, null, 0, v20, s1
	s_clause 0x7
	global_load_b32 v129, v[5:6], off offset:32
	global_load_b32 v130, v[7:8], off offset:32
	;; [unrolled: 1-line block ×8, first 2 shown]
	v_mad_co_u64_u32 v[5:6], null, 0x6e, v49, v[0:1]
	v_mad_co_u64_u32 v[9:10], null, 0x6e, v54, v[0:1]
	;; [unrolled: 1-line block ×3, first 2 shown]
	v_add_co_u32 v7, s1, v21, v31
	v_mad_co_u64_u32 v[13:14], null, 0x6e, v60, v[0:1]
	s_wait_alu 0xf1ff
	v_add_co_ci_u32_e64 v8, null, 0, v22, s1
	v_add_co_u32 v5, s1, v5, v31
	v_mad_co_u64_u32 v[15:16], null, 0x6e, v62, v[0:1]
	s_wait_alu 0xf1ff
	v_add_co_ci_u32_e64 v6, null, 0, v6, s1
	;; [unrolled: 4-line block ×5, first 2 shown]
	v_add_co_u32 v15, s1, v15, v31
	s_wait_alu 0xf1ff
	v_add_co_ci_u32_e64 v16, null, 0, v16, s1
	v_add_co_u32 v17, s1, v17, v31
	s_wait_alu 0xf1ff
	v_add_co_ci_u32_e64 v18, null, 0, v18, s1
	v_add_co_u32 v0, s1, v0, v31
	v_mad_co_u64_u32 v[21:22], null, 0x6e, v61, s[16:17]
	s_wait_alu 0xf1ff
	v_add_co_ci_u32_e64 v1, null, 0, v1, s1
	v_add_co_u32 v19, s1, v19, v36
	s_wait_alu 0xf1ff
	v_add_co_ci_u32_e64 v20, null, 0, v20, s1
	s_clause 0x7
	global_load_b32 v137, v[7:8], off offset:32
	global_load_b32 v138, v[5:6], off offset:32
	;; [unrolled: 1-line block ×8, first 2 shown]
	v_mad_co_u64_u32 v[13:14], null, 0x6e, v74, s[16:17]
	v_mad_co_u64_u32 v[0:1], null, 0x6e, v28, v[21:22]
	;; [unrolled: 1-line block ×10, first 2 shown]
	s_clause 0x7
	global_load_u16 v145, v[0:1], off offset:108
	global_load_b32 v146, v[5:6], off
	global_load_b32 v147, v[7:8], off
	;; [unrolled: 1-line block ×7, first 2 shown]
	v_mad_co_u64_u32 v[5:6], null, 0x6e, v79, v[13:14]
	v_mad_co_u64_u32 v[9:10], null, 0x6e, v80, v[13:14]
	;; [unrolled: 1-line block ×4, first 2 shown]
	v_add_co_u32 v7, s1, v127, v76
	s_wait_alu 0xf1ff
	v_add_co_ci_u32_e64 v8, null, 0, v128, s1
	v_add_co_u32 v13, s1, v5, v76
	s_wait_alu 0xf1ff
	v_add_co_ci_u32_e64 v14, null, 0, v6, s1
	;; [unrolled: 3-line block ×4, first 2 shown]
	s_clause 0x8
	global_load_b32 v0, v[0:1], off
	global_load_b32 v1, v[7:8], off offset:96
	global_load_b32 v7, v[11:12], off offset:104
	;; [unrolled: 1-line block ×8, first 2 shown]
	s_lshl_b32 s16, s14, 8
	s_wait_loadcnt 0x20
	ds_store_b32 v33, v129
	s_wait_loadcnt 0x1f
	ds_store_b32 v40, v130
	;; [unrolled: 2-line block ×16, first 2 shown]
	s_wait_alu 0xfffe
	s_cmp_lt_i32 s16, s11
	s_wait_loadcnt 0x10
	v_cvt_f32_f16_e64 v12, v145
	s_wait_loadcnt 0xf
	v_not_b32_e32 v13, v146
	s_wait_loadcnt 0xe
	v_not_b32_e32 v14, v147
	;; [unrolled: 2-line block ×6, first 2 shown]
	ds_store_b32 v64, v12
	ds_store_b32 v99, v13
	ds_store_b32 v100, v14
	ds_store_b32 v101, v15
	ds_store_b32 v102, v16
	ds_store_b32 v103, v17
	s_wait_loadcnt 0x9
	v_not_b32_e32 v19, v21
	ds_store_b32 v104, v18
	ds_store_b32 v105, v19
	s_wait_loadcnt 0x8
	v_not_b32_e32 v0, v0
	s_wait_loadcnt 0x7
	v_ashrrev_i32_e32 v1, v75, v1
	s_wait_loadcnt 0x6
	v_ashrrev_i32_e32 v7, v77, v7
	;; [unrolled: 2-line block ×8, first 2 shown]
	v_and_b32_e32 v1, 0xf0f0f0f, v1
	v_lshlrev_b32_e32 v6, 4, v6
	v_and_b32_e32 v9, 0xf0f0f0f, v9
	v_lshlrev_b32_e32 v5, 4, v5
	;; [unrolled: 2-line block ×4, first 2 shown]
	v_and_or_b32 v1, 0x30303030, v6, v1
	v_and_or_b32 v5, 0x30303030, v5, v9
	;; [unrolled: 1-line block ×3, first 2 shown]
	s_delay_alu instid0(VALU_DEP_4) | instskip(NEXT) | instid1(VALU_DEP_4)
	v_and_or_b32 v7, 0x30303030, v7, v11
	v_lshrrev_b32_e32 v8, 16, v1
	v_and_b32_e32 v9, 0x3f00, v1
	v_lshlrev_b16 v1, 8, v1
	v_lshrrev_b32_e32 v10, 16, v5
	v_lshrrev_b32_e32 v12, 16, v6
	v_and_b32_e32 v11, 0x3f00, v5
	v_lshlrev_b16 v5, 8, v5
	v_lshrrev_b32_e32 v14, 16, v7
	v_and_b32_e32 v16, 0x3f00, v8
	v_lshlrev_b16 v8, 8, v8
	v_add_nc_u16 v1, 0xe000, v1
	v_and_b32_e32 v17, 0x3f00, v10
	v_lshlrev_b16 v10, 8, v10
	v_and_b32_e32 v13, 0x3f00, v6
	v_lshlrev_b16 v6, 8, v6
	;; [unrolled: 2-line block ×4, first 2 shown]
	v_add_nc_u16 v5, 0xe000, v5
	v_and_b32_e32 v20, 0x3f00, v14
	v_lshlrev_b16 v14, 8, v14
	v_add_nc_u16 v8, 0xe000, v8
	v_lshrrev_b16 v1, 8, v1
	v_add_nc_u16 v10, 0xe000, v10
	v_add_nc_u16 v6, 0xe000, v6
	;; [unrolled: 1-line block ×4, first 2 shown]
	v_lshrrev_b16 v5, 8, v5
	v_add_nc_u16 v14, 0xe000, v14
	v_lshrrev_b16 v8, 8, v8
	v_or_b32_e32 v1, v9, v1
	v_lshrrev_b16 v9, 8, v10
	v_lshrrev_b16 v6, 8, v6
	v_lshrrev_b16 v10, 8, v12
	v_lshrrev_b16 v7, 8, v7
	v_or_b32_e32 v5, v11, v5
	v_lshrrev_b16 v11, 8, v14
	v_or_b32_e32 v8, v16, v8
	v_or_b32_e32 v9, v17, v9
	;; [unrolled: 1-line block ×6, first 2 shown]
	v_add_nc_u16 v1, 0xe000, v1
	v_add_nc_u16 v8, 0xe000, v8
	;; [unrolled: 1-line block ×8, first 2 shown]
	v_and_b32_e32 v1, 0xffff, v1
	v_lshlrev_b32_e32 v8, 16, v8
	v_and_b32_e32 v5, 0xffff, v5
	v_lshlrev_b32_e32 v9, 16, v9
	;; [unrolled: 2-line block ×4, first 2 shown]
	v_or_b32_e32 v1, v1, v8
	v_or_b32_e32 v5, v5, v9
	;; [unrolled: 1-line block ×3, first 2 shown]
	s_delay_alu instid0(VALU_DEP_4)
	v_or_b32_e32 v7, v7, v11
	ds_store_b32 v106, v0
	ds_store_b32 v107, v1
	;; [unrolled: 1-line block ×5, first 2 shown]
	s_cbranch_scc0 .LBB189_4
; %bb.6:                                ;   in Loop: Header=BB189_5 Depth=1
	s_lshl_b32 s17, s14, 3
	s_wait_alu 0xfffe
	v_add_nc_u32_e32 v0, s17, v73
	s_delay_alu instid0(VALU_DEP_1)
	v_cmp_gt_i32_e64 s1, s5, v0
	s_and_b32 s20, s0, s1
	s_wait_alu 0xfffe
	s_and_saveexec_b32 s1, s20
	s_cbranch_execz .LBB189_8
; %bb.7:                                ;   in Loop: Header=BB189_5 Depth=1
	v_add_nc_u32_e32 v0, v91, v0
	s_delay_alu instid0(VALU_DEP_1)
	v_mad_co_i64_i32 v[0:1], null, v0, 36, v[3:4]
	global_load_b32 v0, v[0:1], off offset:4
	s_wait_loadcnt 0x0
	ds_store_b32 v84, v0
.LBB189_8:                              ;   in Loop: Header=BB189_5 Depth=1
	s_wait_alu 0xfffe
	s_or_b32 exec_lo, exec_lo, s1
	v_add_nc_u32_e32 v127, s17, v24
	s_delay_alu instid0(VALU_DEP_1)
	v_cmp_gt_i32_e64 s1, s5, v127
	s_and_b32 s20, s10, s1
	s_wait_alu 0xfffe
	s_and_saveexec_b32 s1, s20
	s_cbranch_execz .LBB189_10
; %bb.9:                                ;   in Loop: Header=BB189_5 Depth=1
	v_add_nc_u32_e32 v0, v91, v127
	s_delay_alu instid0(VALU_DEP_1)
	v_mad_co_i64_i32 v[0:1], null, v0, 36, s[2:3]
	global_load_b32 v0, v[0:1], off
	s_wait_loadcnt 0x0
	v_cvt_f32_f16_e32 v0, v0
	ds_store_b32 v85, v0
.LBB189_10:                             ;   in Loop: Header=BB189_5 Depth=1
	s_wait_alu 0xfffe
	s_or_b32 exec_lo, exec_lo, s1
	v_dual_mov_b32 v128, v83 :: v_dual_mov_b32 v129, v82
	s_mov_b32 s22, -2
	s_mov_b32 s1, 0
	s_mov_b32 s20, 0
	s_wait_dscnt 0x0
	s_barrier_signal -1
	s_barrier_wait -1
	global_inv scope:SCOPE_SE
.LBB189_11:                             ;   Parent Loop BB189_5 Depth=1
                                        ; =>  This Inner Loop Header: Depth=2
	ds_load_b128 v[5:8], v129
	ds_load_b128 v[16:19], v129 offset:16
	s_wait_alu 0xfffe
	s_add_co_i32 s21, s22, 2
	v_add_nc_u32_e32 v129, 32, v129
	s_wait_alu 0xfffe
	s_and_b32 s25, s21, 0x3ffffff8
	s_lshr_b32 s24, s21, 4
	s_wait_alu 0xfffe
	v_lshl_add_u32 v140, s25, 2, v92
	s_and_b32 s25, s20, -16
	s_lshl_b32 s23, s24, 5
	s_wait_alu 0xfffe
	s_add_co_i32 s22, s22, s25
	s_addk_co_i32 s23, 0x4200
	v_add_nc_u32_e32 v0, 0x3188, v140
	s_wait_alu 0xfffe
	v_add_nc_u32_e32 v20, s22, v95
	s_lshl_b32 s24, s24, 2
	v_add_nc_u32_e32 v22, 0x3198, v140
	s_wait_alu 0xfffe
	s_addk_co_i32 s24, 0x7380
	v_add3_u32 v180, s23, v111, v112
	v_add3_u32 v182, s23, v114, v115
	;; [unrolled: 1-line block ×3, first 2 shown]
	s_add_co_i32 s20, s20, 2
	s_wait_dscnt 0x1
	v_lshrrev_b16 v153, 8, v5
	s_wait_dscnt 0x0
	v_lshrrev_b16 v159, 8, v16
	v_lshrrev_b16 v161, 8, v17
	v_ashrrev_i32_e32 v15, 24, v16
	v_bfe_i32 v13, v16, 16, 8
	v_bfe_i32 v162, v16, 0, 8
	v_perm_b32 v145, v16, v16, 0xc0c0302
	v_ashrrev_i32_e32 v16, 24, v17
	v_bfe_i32 v14, v17, 16, 8
	v_bfe_i32 v142, v17, 0, 8
	v_perm_b32 v138, v17, v17, 0xc030201
	v_add3_u32 v17, s23, v122, v123
	v_lshrrev_b16 v155, 8, v6
	v_lshrrev_b16 v151, 8, v7
	;; [unrolled: 1-line block ×3, first 2 shown]
	v_ashrrev_i32_e32 v11, 24, v5
	v_bfe_i32 v9, v5, 16, 8
	v_bfe_i32 v156, v5, 0, 8
	v_perm_b32 v149, v5, v5, 0xc0c0302
	v_ashrrev_i32_e32 v12, 24, v6
	v_bfe_i32 v10, v6, 16, 8
	v_bfe_i32 v143, v6, 0, 8
	v_perm_b32 v139, v6, v6, 0xc030201
	;; [unrolled: 4-line block ×4, first 2 shown]
	v_lshrrev_b16 v160, 8, v18
	v_lshrrev_b16 v144, 8, v19
	v_ashrrev_i32_e32 v152, 24, v18
	v_bfe_i32 v157, v18, 16, 8
	v_bfe_i32 v136, v18, 0, 8
	v_perm_b32 v134, v18, v18, 0xc030201
	v_ashrrev_i32_e32 v154, 24, v19
	v_bfe_i32 v158, v19, 16, 8
	v_bfe_i32 v132, v19, 0, 8
	v_perm_b32 v130, v19, v19, 0xc030201
	ds_load_2addr_b32 v[0:1], v0 offset1:1
	ds_load_2addr_b32 v[18:19], v17 offset0:4 offset1:5
	ds_load_2addr_b32 v[7:8], v17 offset0:6 offset1:7
	;; [unrolled: 1-line block ×3, first 2 shown]
	ds_load_u16 v167, v20 offset:2
	s_wait_alu 0xfffe
	v_add3_u32 v20, s24, v124, v125
	v_bfe_i32 v159, v159, 0, 8
	v_bfe_i32 v161, v161, 0, 8
	;; [unrolled: 1-line block ×4, first 2 shown]
	ds_load_b32 v163, v20
	v_add_nc_u32_e32 v20, 0x3190, v140
	ds_load_2addr_b32 v[20:21], v20 offset1:1
	ds_load_2addr_b32 v[164:165], v22 offset1:1
	v_bfe_i32 v153, v153, 0, 8
	v_bfe_i32 v151, v151, 0, 8
	v_bfe_i32 v144, v144, 0, 8
	s_wait_dscnt 0x7
	v_ashrrev_i32_e32 v203, s21, v0
	s_wait_dscnt 0x6
	v_ashrrev_i32_e32 v19, s1, v19
	v_ashrrev_i32_e32 v18, s1, v18
	s_wait_dscnt 0x5
	v_ashrrev_i32_e32 v7, s1, v7
	v_ashrrev_i32_e32 v8, s1, v8
	v_ashrrev_i32_e32 v204, s21, v1
	v_lshlrev_b32_e32 v19, 2, v19
	v_lshlrev_b32_e32 v18, 2, v18
	;; [unrolled: 1-line block ×4, first 2 shown]
	s_wait_dscnt 0x4
	v_ashrrev_i32_e32 v5, s1, v5
	v_and_b32_e32 v19, 0x4040404, v19
	v_and_b32_e32 v18, 0x4040404, v18
	;; [unrolled: 1-line block ×4, first 2 shown]
	s_wait_dscnt 0x1
	v_ashrrev_i32_e32 v21, s21, v21
	v_ashrrev_i32_e32 v20, s21, v20
	v_lshrrev_b32_e32 v166, 24, v19
	v_lshrrev_b32_e32 v168, 24, v18
	s_wait_dscnt 0x0
	v_ashrrev_i32_e32 v190, s21, v164
	v_bfe_u32 v22, v21, 24, 2
	v_and_b32_e32 v21, 0x3030303, v21
	v_ashrrev_i32_e32 v191, s21, v165
	v_ashrrev_i32_e32 v6, s1, v6
	v_and_b32_e32 v194, 0x3030303, v190
	v_sub_nc_u16 v22, v22, v166
	v_bfe_u32 v166, v20, 24, 2
	v_and_b32_e32 v20, 0x3030303, v20
	v_and_b32_e32 v195, 0x3030303, v191
	v_sub_nc_u16 v7, v194, v192
	v_bfe_i32 v22, v22, 0, 16
	v_sub_nc_u16 v166, v166, v168
	v_and_b32_e32 v207, 0x3030303, v203
	v_sub_nc_u16 v8, v195, v193
	v_bfe_i32 v7, v7, 0, 8
	v_mul_i32_i24_e32 v16, v22, v16
	v_bfe_i32 v22, v166, 0, 16
	v_and_b32_e32 v208, 0x3030303, v204
	v_bfe_i32 v8, v8, 0, 8
	v_mul_i32_i24_e32 v7, v7, v136
	v_lshrrev_b16 v214, 8, v192
	v_mad_i32_i24 v188, v22, v15, v16
	v_lshrrev_b32_e32 v15, 16, v21
	v_lshrrev_b32_e32 v16, 16, v19
	;; [unrolled: 1-line block ×3, first 2 shown]
	v_mul_i32_i24_e32 v8, v8, v132
	v_bfe_i32 v141, v141, 0, 8
	s_delay_alu instid0(VALU_DEP_4) | instskip(SKIP_1) | instid1(VALU_DEP_2)
	v_sub_nc_u16 v15, v15, v16
	v_lshrrev_b32_e32 v16, 16, v20
	v_bfe_i32 v15, v15, 0, 8
	s_delay_alu instid0(VALU_DEP_2) | instskip(NEXT) | instid1(VALU_DEP_2)
	v_sub_nc_u16 v16, v16, v22
	v_mul_i32_i24_e32 v14, v15, v14
	s_delay_alu instid0(VALU_DEP_2) | instskip(NEXT) | instid1(VALU_DEP_1)
	v_bfe_i32 v15, v16, 0, 8
	v_mad_i32_i24 v189, v15, v13, v14
	v_sub_nc_u16 v13, v21, v19
	v_sub_nc_u16 v14, v20, v18
	v_add3_u32 v15, s24, v120, v121
	v_lshrrev_b16 v18, 8, v18
	s_delay_alu instid0(VALU_DEP_4) | instskip(NEXT) | instid1(VALU_DEP_4)
	v_bfe_i32 v13, v13, 0, 8
	v_bfe_i32 v14, v14, 0, 8
	s_delay_alu instid0(VALU_DEP_2) | instskip(NEXT) | instid1(VALU_DEP_1)
	v_mul_i32_i24_e32 v13, v13, v142
	v_mad_i32_i24 v13, v14, v162, v13
	s_delay_alu instid0(VALU_DEP_1)
	v_add3_u32 v196, v13, v7, v8
	v_add_nc_u32_e32 v13, 0x3180, v140
	ds_load_2addr_b32 v[7:8], v17 offset1:1
	ds_load_2addr_b32 v[13:14], v13 offset1:1
	ds_load_b32 v164, v15
	s_wait_dscnt 0x2
	v_ashrrev_i32_e32 v8, s1, v8
	v_ashrrev_i32_e32 v7, s1, v7
	s_wait_dscnt 0x1
	v_ashrrev_i32_e32 v14, s21, v14
	v_ashrrev_i32_e32 v13, s21, v13
	v_lshlrev_b32_e32 v8, 2, v8
	v_lshlrev_b32_e32 v7, 2, v7
	s_delay_alu instid0(VALU_DEP_4) | instskip(NEXT) | instid1(VALU_DEP_4)
	v_and_b32_e32 v200, 0x3030303, v14
	v_and_b32_e32 v201, 0x3030303, v13
	s_delay_alu instid0(VALU_DEP_4) | instskip(NEXT) | instid1(VALU_DEP_4)
	v_and_b32_e32 v197, 0x4040404, v8
	v_and_b32_e32 v198, 0x4040404, v7
	v_bfe_u32 v8, v14, 24, 2
	v_bfe_u32 v7, v13, 24, 2
	s_delay_alu instid0(VALU_DEP_4) | instskip(NEXT) | instid1(VALU_DEP_4)
	v_sub_nc_u16 v0, v200, v197
	v_sub_nc_u16 v1, v201, v198
	v_lshrrev_b32_e32 v15, 24, v197
	s_delay_alu instid0(VALU_DEP_3) | instskip(NEXT) | instid1(VALU_DEP_3)
	v_bfe_i32 v0, v0, 0, 8
	v_bfe_i32 v1, v1, 0, 8
	s_delay_alu instid0(VALU_DEP_3) | instskip(SKIP_1) | instid1(VALU_DEP_4)
	v_sub_nc_u16 v8, v8, v15
	v_lshrrev_b32_e32 v15, 24, v198
	v_mul_i32_i24_e32 v0, v0, v143
	s_delay_alu instid0(VALU_DEP_3) | instskip(NEXT) | instid1(VALU_DEP_3)
	v_bfe_i32 v8, v8, 0, 16
	v_sub_nc_u16 v7, v7, v15
	s_delay_alu instid0(VALU_DEP_3) | instskip(SKIP_4) | instid1(VALU_DEP_4)
	v_mad_i32_i24 v0, v1, v156, v0
	v_lshlrev_b32_e32 v1, 2, v5
	v_lshlrev_b32_e32 v5, 2, v6
	v_mul_i32_i24_e32 v8, v8, v12
	v_bfe_i32 v7, v7, 0, 16
	v_and_b32_e32 v205, 0x4040404, v1
	s_delay_alu instid0(VALU_DEP_4) | instskip(NEXT) | instid1(VALU_DEP_3)
	v_and_b32_e32 v206, 0x4040404, v5
	v_mad_i32_i24 v199, v7, v11, v8
	v_lshrrev_b32_e32 v7, 16, v200
	s_delay_alu instid0(VALU_DEP_4) | instskip(NEXT) | instid1(VALU_DEP_4)
	v_sub_nc_u16 v1, v207, v205
	v_sub_nc_u16 v5, v208, v206
	v_lshrrev_b32_e32 v8, 16, v197
	v_lshrrev_b32_e32 v11, 16, v198
	v_lshrrev_b16 v198, 8, v198
	v_bfe_i32 v1, v1, 0, 8
	v_bfe_i32 v5, v5, 0, 8
	v_sub_nc_u16 v7, v7, v8
	v_lshrrev_b32_e32 v8, 16, v201
	v_lshrrev_b16 v201, 8, v201
	v_mul_i32_i24_e32 v1, v1, v137
	v_mul_i32_i24_e32 v5, v5, v133
	v_bfe_i32 v7, v7, 0, 8
	v_sub_nc_u16 v8, v8, v11
	v_lshrrev_b16 v200, 8, v200
	v_lshrrev_b16 v197, 8, v197
	v_add3_u32 v209, v0, v1, v5
	ds_load_2addr_b32 v[168:169], v180 offset0:4 offset1:5
	ds_load_2addr_b32 v[0:1], v180 offset0:6 offset1:7
	;; [unrolled: 1-line block ×3, first 2 shown]
	v_mul_i32_i24_e32 v7, v7, v10
	v_bfe_i32 v8, v8, 0, 8
	v_add_nc_u32_e32 v10, 0x1098, v140
	v_sub_nc_u16 v198, v201, v198
	v_sub_nc_u16 v197, v200, v197
	v_lshrrev_b16 v200, 8, v207
	v_mad_i32_i24 v202, v8, v9, v7
	v_lshrrev_b16 v201, 8, v205
	v_bfe_i32 v198, v198, 0, 16
	v_bfe_i32 v197, v197, 0, 16
	s_delay_alu instid0(VALU_DEP_3) | instskip(NEXT) | instid1(VALU_DEP_2)
	v_sub_nc_u16 v200, v200, v201
	v_mul_i32_i24_e32 v155, v197, v155
	s_wait_dscnt 0x2
	v_ashrrev_i32_e32 v5, s1, v168
	s_wait_dscnt 0x1
	v_ashrrev_i32_e32 v0, s1, v0
	;; [unrolled: 2-line block ×3, first 2 shown]
	v_ashrrev_i32_e32 v12, s1, v12
	v_lshlrev_b32_e32 v5, 2, v5
	v_lshlrev_b32_e32 v0, 2, v0
	s_delay_alu instid0(VALU_DEP_4) | instskip(NEXT) | instid1(VALU_DEP_4)
	v_lshlrev_b32_e32 v11, 2, v11
	v_lshlrev_b32_e32 v12, 2, v12
	s_delay_alu instid0(VALU_DEP_4)
	v_and_b32_e32 v168, 0x4040404, v5
	ds_load_2addr_b32 v[170:171], v140 offset0:4 offset1:5
	ds_load_2addr_b32 v[5:6], v140 offset0:6 offset1:7
	;; [unrolled: 1-line block ×3, first 2 shown]
	v_and_b32_e32 v11, 0x4040404, v11
	v_and_b32_e32 v0, 0x4040404, v0
	;; [unrolled: 1-line block ×3, first 2 shown]
	v_lshrrev_b16 v8, 8, v168
	s_wait_dscnt 0x2
	v_ashrrev_i32_e32 v170, s21, v170
	s_wait_dscnt 0x1
	v_ashrrev_i32_e32 v5, s21, v5
	;; [unrolled: 2-line block ×3, first 2 shown]
	v_ashrrev_i32_e32 v6, s21, v6
	v_and_b32_e32 v210, 0x3030303, v170
	s_delay_alu instid0(VALU_DEP_1) | instskip(NEXT) | instid1(VALU_DEP_1)
	v_lshrrev_b16 v7, 8, v210
	v_sub_nc_u16 v181, v7, v8
	v_add_nc_u32_e32 v7, s22, v97
	s_delay_alu instid0(VALU_DEP_2)
	v_lshlrev_b16 v181, 8, v181
	ds_load_u16 v166, v7 offset:26370
	v_add3_u32 v7, s24, v116, v117
	v_bfe_i32 v181, v181, 8, 8
	ds_load_b32 v165, v7
	ds_load_2addr_b32 v[172:173], v182 offset0:4 offset1:5
	ds_load_2addr_b32 v[7:8], v182 offset0:6 offset1:7
	;; [unrolled: 1-line block ×3, first 2 shown]
	s_wait_dscnt 0x2
	v_ashrrev_i32_e32 v9, s1, v172
	s_wait_dscnt 0x1
	v_ashrrev_i32_e32 v7, s1, v7
	;; [unrolled: 2-line block ×3, first 2 shown]
	v_ashrrev_i32_e32 v16, s1, v16
	v_ashrrev_i32_e32 v8, s1, v8
	v_lshlrev_b32_e32 v9, 2, v9
	v_lshlrev_b32_e32 v7, 2, v7
	;; [unrolled: 1-line block ×5, first 2 shown]
	v_and_b32_e32 v172, 0x4040404, v9
	v_add_nc_u32_e32 v9, 0x1090, v140
	ds_load_2addr_b32 v[174:175], v9 offset1:1
	ds_load_2addr_b32 v[9:10], v10 offset1:1
	v_lshrrev_b16 v22, 8, v172
	v_and_b32_e32 v15, 0x4040404, v15
	v_and_b32_e32 v7, 0x4040404, v7
	;; [unrolled: 1-line block ×4, first 2 shown]
	s_wait_dscnt 0x1
	v_ashrrev_i32_e32 v174, s21, v174
	s_wait_dscnt 0x0
	v_ashrrev_i32_e32 v9, s21, v9
	v_ashrrev_i32_e32 v10, s21, v10
	s_delay_alu instid0(VALU_DEP_3) | instskip(NEXT) | instid1(VALU_DEP_1)
	v_and_b32_e32 v211, 0x3030303, v174
	v_lshrrev_b16 v17, 8, v211
	v_sub_nc_u16 v215, v211, v172
	s_delay_alu instid0(VALU_DEP_2) | instskip(SKIP_1) | instid1(VALU_DEP_3)
	v_sub_nc_u16 v183, v17, v22
	v_lshrrev_b16 v17, 8, v20
	v_bfe_i32 v215, v215, 0, 8
	s_delay_alu instid0(VALU_DEP_2)
	v_sub_nc_u16 v184, v17, v18
	v_lshrrev_b16 v18, 8, v19
	ds_load_2addr_b32 v[176:177], v212 offset0:4 offset1:5
	ds_load_2addr_b32 v[19:20], v212 offset0:2 offset1:3
	v_lshrrev_b16 v17, 8, v21
	v_add_nc_u32_e32 v21, 0x2108, v140
	v_mul_i32_i24_e32 v215, v162, v215
	s_delay_alu instid0(VALU_DEP_3) | instskip(SKIP_1) | instid1(VALU_DEP_2)
	v_sub_nc_u16 v185, v17, v18
	v_add_nc_u32_e32 v18, 0x2118, v140
	v_bfe_i32 v185, v185, 0, 16
	s_delay_alu instid0(VALU_DEP_1) | instskip(SKIP_4) | instid1(VALU_DEP_2)
	v_mul_i32_i24_e32 v161, v185, v161
	s_wait_dscnt 0x1
	v_ashrrev_i32_e32 v17, s1, v176
	s_wait_dscnt 0x0
	v_ashrrev_i32_e32 v19, s1, v19
	v_lshlrev_b32_e32 v17, 2, v17
	s_delay_alu instid0(VALU_DEP_2) | instskip(NEXT) | instid1(VALU_DEP_2)
	v_lshlrev_b32_e32 v19, 2, v19
	v_and_b32_e32 v176, 0x4040404, v17
	v_add_nc_u32_e32 v17, 0x2110, v140
	ds_load_2addr_b32 v[178:179], v17 offset1:1
	ds_load_2addr_b32 v[17:18], v18 offset1:1
	;; [unrolled: 1-line block ×3, first 2 shown]
	v_lshrrev_b16 v187, 8, v176
	v_and_b32_e32 v19, 0x4040404, v19
	s_wait_dscnt 0x2
	v_ashrrev_i32_e32 v178, s21, v178
	s_wait_dscnt 0x1
	v_ashrrev_i32_e32 v17, s21, v17
	;; [unrolled: 2-line block ×3, first 2 shown]
	v_ashrrev_i32_e32 v18, s21, v18
	v_and_b32_e32 v213, 0x3030303, v178
	s_delay_alu instid0(VALU_DEP_1) | instskip(SKIP_1) | instid1(VALU_DEP_2)
	v_lshrrev_b16 v186, 8, v213
	v_sub_nc_u16 v216, v213, v176
	v_sub_nc_u16 v186, v186, v187
	v_lshrrev_b16 v187, 8, v194
	s_delay_alu instid0(VALU_DEP_3) | instskip(NEXT) | instid1(VALU_DEP_2)
	v_bfe_i32 v216, v216, 0, 8
	v_sub_nc_u16 v187, v187, v214
	v_sub_nc_u16 v214, v210, v168
	s_delay_alu instid0(VALU_DEP_2) | instskip(NEXT) | instid1(VALU_DEP_2)
	v_bfe_i32 v185, v187, 0, 16
	v_bfe_i32 v214, v214, 0, 8
	s_delay_alu instid0(VALU_DEP_2) | instskip(NEXT) | instid1(VALU_DEP_2)
	v_mul_i32_i24_e32 v160, v185, v160
	v_mul_i32_i24_e32 v214, v162, v214
	;; [unrolled: 1-line block ×3, first 2 shown]
	s_delay_alu instid0(VALU_DEP_2) | instskip(SKIP_2) | instid1(VALU_DEP_2)
	v_mad_i32_i24 v214, v159, v181, v214
	v_lshlrev_b16 v181, 8, v183
	v_add_nc_u32_e32 v183, 0x1080, v140
	v_bfe_i32 v181, v181, 8, 8
	s_delay_alu instid0(VALU_DEP_1) | instskip(SKIP_1) | instid1(VALU_DEP_1)
	v_mad_i32_i24 v215, v159, v181, v215
	v_lshlrev_b16 v181, 8, v186
	v_bfe_i32 v181, v181, 8, 8
	s_delay_alu instid0(VALU_DEP_1) | instskip(SKIP_1) | instid1(VALU_DEP_1)
	v_mad_i32_i24 v216, v159, v181, v162
	v_bfe_i32 v162, v184, 0, 16
	v_mul_i32_i24_e32 v159, v162, v159
	s_delay_alu instid0(VALU_DEP_1)
	v_add3_u32 v217, v159, v161, v160
	ds_load_2addr_b32 v[159:160], v180 offset1:1
	ds_load_2addr_b32 v[161:162], v140 offset1:1
	s_wait_dscnt 0x1
	v_ashrrev_i32_e32 v159, s1, v159
	s_wait_dscnt 0x0
	v_ashrrev_i32_e32 v161, s21, v161
	s_delay_alu instid0(VALU_DEP_2) | instskip(NEXT) | instid1(VALU_DEP_2)
	v_lshlrev_b32_e32 v159, 2, v159
	v_and_b32_e32 v219, 0x3030303, v161
	s_delay_alu instid0(VALU_DEP_2) | instskip(NEXT) | instid1(VALU_DEP_2)
	v_and_b32_e32 v218, 0x4040404, v159
	v_lshrrev_b16 v159, 8, v219
	s_delay_alu instid0(VALU_DEP_2) | instskip(SKIP_1) | instid1(VALU_DEP_2)
	v_lshrrev_b16 v180, 8, v218
	v_sub_nc_u16 v201, v219, v218
	v_sub_nc_u16 v220, v159, v180
	v_add3_u32 v159, s24, v126, v113
	s_delay_alu instid0(VALU_DEP_3) | instskip(NEXT) | instid1(VALU_DEP_3)
	v_bfe_i32 v201, v201, 0, 8
	v_lshlrev_b16 v197, 8, v220
	ds_load_b32 v159, v159
	ds_load_2addr_b32 v[180:181], v182 offset1:1
	ds_load_2addr_b32 v[182:183], v183 offset1:1
	v_mul_i32_i24_e32 v201, v156, v201
	v_bfe_i32 v197, v197, 8, 8
	s_delay_alu instid0(VALU_DEP_1) | instskip(SKIP_4) | instid1(VALU_DEP_2)
	v_mad_i32_i24 v197, v153, v197, v201
	s_wait_dscnt 0x1
	v_ashrrev_i32_e32 v180, s1, v180
	s_wait_dscnt 0x0
	v_ashrrev_i32_e32 v182, s21, v182
	v_lshlrev_b32_e32 v180, 2, v180
	s_delay_alu instid0(VALU_DEP_2) | instskip(NEXT) | instid1(VALU_DEP_2)
	v_and_b32_e32 v221, 0x3030303, v182
	v_and_b32_e32 v180, 0x4040404, v180
	s_delay_alu instid0(VALU_DEP_2) | instskip(NEXT) | instid1(VALU_DEP_2)
	v_lshrrev_b16 v184, 8, v221
	v_lshrrev_b16 v185, 8, v180
	s_delay_alu instid0(VALU_DEP_1) | instskip(SKIP_4) | instid1(VALU_DEP_1)
	v_sub_nc_u16 v222, v184, v185
	v_add_nc_u32_e32 v184, 0x2100, v140
	ds_load_2addr_b32 v[184:185], v184 offset1:1
	ds_load_2addr_b32 v[186:187], v212 offset1:1
	v_lshlrev_b16 v201, 8, v222
	v_bfe_i32 v201, v201, 8, 8
	s_wait_dscnt 0x1
	v_ashrrev_i32_e32 v184, s21, v184
	s_wait_dscnt 0x0
	v_ashrrev_i32_e32 v186, s1, v186
	s_delay_alu instid0(VALU_DEP_2) | instskip(NEXT) | instid1(VALU_DEP_2)
	v_and_b32_e32 v223, 0x3030303, v184
	v_lshlrev_b32_e32 v186, 2, v186
	s_delay_alu instid0(VALU_DEP_2) | instskip(NEXT) | instid1(VALU_DEP_2)
	v_lshrrev_b16 v224, 8, v223
	v_and_b32_e32 v186, 0x4040404, v186
	s_delay_alu instid0(VALU_DEP_1) | instskip(SKIP_1) | instid1(VALU_DEP_2)
	v_lshrrev_b16 v225, 8, v186
	v_sub_nc_u16 v226, v223, v186
	v_sub_nc_u16 v224, v224, v225
	;; [unrolled: 1-line block ×3, first 2 shown]
	s_delay_alu instid0(VALU_DEP_3) | instskip(NEXT) | instid1(VALU_DEP_3)
	v_bfe_i32 v226, v226, 0, 8
	v_lshlrev_b16 v220, 8, v224
	s_delay_alu instid0(VALU_DEP_3) | instskip(NEXT) | instid1(VALU_DEP_2)
	v_bfe_i32 v225, v225, 0, 8
	v_bfe_i32 v220, v220, 8, 8
	s_delay_alu instid0(VALU_DEP_2) | instskip(SKIP_1) | instid1(VALU_DEP_2)
	v_mul_i32_i24_e32 v225, v156, v225
	v_mul_i32_i24_e32 v156, v156, v226
	v_mad_i32_i24 v201, v153, v201, v225
	s_delay_alu instid0(VALU_DEP_2) | instskip(SKIP_2) | instid1(VALU_DEP_1)
	v_mad_i32_i24 v156, v153, v220, v156
	v_mul_i32_i24_e32 v153, v198, v153
	v_bfe_i32 v198, v200, 0, 16
	v_mul_i32_i24_e32 v151, v198, v151
	s_delay_alu instid0(VALU_DEP_1) | instskip(SKIP_3) | instid1(VALU_DEP_2)
	v_add3_u32 v151, v153, v155, v151
	v_lshrrev_b32_e32 v153, 16, v194
	v_lshrrev_b32_e32 v155, 16, v192
	;; [unrolled: 1-line block ×3, first 2 shown]
	v_sub_nc_u16 v153, v153, v155
	v_lshrrev_b32_e32 v155, 16, v195
	s_delay_alu instid0(VALU_DEP_2) | instskip(NEXT) | instid1(VALU_DEP_2)
	v_bfe_i32 v153, v153, 0, 8
	v_sub_nc_u16 v155, v155, v194
	s_delay_alu instid0(VALU_DEP_2) | instskip(NEXT) | instid1(VALU_DEP_2)
	v_mul_i32_i24_e32 v153, v153, v157
	v_bfe_i32 v155, v155, 0, 8
	v_lshrrev_b32_e32 v157, 24, v192
	s_delay_alu instid0(VALU_DEP_2) | instskip(SKIP_1) | instid1(VALU_DEP_2)
	v_mul_i32_i24_e32 v155, v155, v158
	v_lshrrev_b32_e32 v158, 24, v193
	v_add3_u32 v153, v189, v153, v155
	v_bfe_u32 v155, v190, 24, 2
	s_delay_alu instid0(VALU_DEP_1) | instskip(SKIP_1) | instid1(VALU_DEP_2)
	v_sub_nc_u16 v155, v155, v157
	v_bfe_u32 v157, v191, 24, 2
	v_bfe_i32 v155, v155, 0, 16
	s_delay_alu instid0(VALU_DEP_2) | instskip(SKIP_1) | instid1(VALU_DEP_3)
	v_sub_nc_u16 v157, v157, v158
	v_lshrrev_b32_e32 v158, 24, v180
	v_mul_i32_i24_e32 v152, v155, v152
	s_delay_alu instid0(VALU_DEP_3) | instskip(SKIP_1) | instid1(VALU_DEP_2)
	v_bfe_i32 v155, v157, 0, 16
	v_lshrrev_b32_e32 v157, 16, v218
	v_mul_i32_i24_e32 v154, v155, v154
	v_lshrrev_b32_e32 v155, 24, v218
	s_delay_alu instid0(VALU_DEP_2) | instskip(SKIP_3) | instid1(VALU_DEP_3)
	v_add3_u32 v152, v188, v152, v154
	v_bfe_u32 v154, v161, 24, 2
	v_lshrrev_b32_e32 v161, 16, v180
	v_lshrrev_b32_e32 v180, 24, v186
	v_sub_nc_u16 v154, v154, v155
	v_lshrrev_b32_e32 v155, 16, v219
	s_delay_alu instid0(VALU_DEP_2) | instskip(NEXT) | instid1(VALU_DEP_2)
	v_lshlrev_b16 v154, 8, v154
	v_sub_nc_u16 v155, v155, v157
	v_bfe_u32 v157, v182, 24, 2
	v_lshrrev_b32_e32 v182, 16, v186
	s_delay_alu instid0(VALU_DEP_2) | instskip(SKIP_1) | instid1(VALU_DEP_2)
	v_sub_nc_u16 v157, v157, v158
	v_lshrrev_b32_e32 v158, 16, v221
	v_lshlrev_b16 v157, 8, v157
	s_delay_alu instid0(VALU_DEP_2) | instskip(SKIP_1) | instid1(VALU_DEP_1)
	v_sub_nc_u16 v158, v158, v161
	v_bfe_u32 v161, v184, 24, 2
	v_sub_nc_u16 v161, v161, v180
	v_lshrrev_b32_e32 v180, 16, v223
	s_delay_alu instid0(VALU_DEP_2) | instskip(NEXT) | instid1(VALU_DEP_2)
	v_lshlrev_b16 v161, 8, v161
	v_sub_nc_u16 v180, v180, v182
	v_and_b32_e32 v182, 0xff, v155
	s_delay_alu instid0(VALU_DEP_1) | instskip(SKIP_1) | instid1(VALU_DEP_2)
	v_or_b32_e32 v154, v182, v154
	v_and_b32_e32 v182, 0xff, v158
	v_perm_b32 v154, v154, v155, 0xc0c0500
	s_delay_alu instid0(VALU_DEP_2) | instskip(SKIP_1) | instid1(VALU_DEP_3)
	v_or_b32_e32 v157, v182, v157
	v_and_b32_e32 v182, 0xff, v180
	v_dot4_i32_iu8 v154, v149, v154, v197 neg_lo:[1,1,0]
	s_delay_alu instid0(VALU_DEP_3) | instskip(NEXT) | instid1(VALU_DEP_3)
	v_perm_b32 v155, v157, v158, 0xc0c0500
	v_or_b32_e32 v161, v182, v161
	v_lshrrev_b32_e32 v158, 16, v206
	s_delay_alu instid0(VALU_DEP_3) | instskip(NEXT) | instid1(VALU_DEP_3)
	v_dot4_i32_iu8 v155, v149, v155, v201 neg_lo:[1,1,0]
	v_perm_b32 v157, v161, v180, 0xc0c0500
	v_lshrrev_b32_e32 v161, 24, v176
	s_delay_alu instid0(VALU_DEP_2) | instskip(SKIP_2) | instid1(VALU_DEP_1)
	v_dot4_i32_iu8 v149, v149, v157, v156 neg_lo:[1,1,0]
	v_lshrrev_b32_e32 v156, 16, v207
	v_lshrrev_b32_e32 v157, 16, v205
	v_sub_nc_u16 v156, v156, v157
	v_lshrrev_b32_e32 v157, 16, v208
	s_delay_alu instid0(VALU_DEP_2) | instskip(NEXT) | instid1(VALU_DEP_2)
	v_bfe_i32 v156, v156, 0, 8
	v_sub_nc_u16 v157, v157, v158
	v_lshrrev_b32_e32 v158, 16, v172
	s_delay_alu instid0(VALU_DEP_3) | instskip(NEXT) | instid1(VALU_DEP_3)
	v_mul_i32_i24_e32 v148, v156, v148
	v_bfe_i32 v156, v157, 0, 8
	v_lshrrev_b32_e32 v157, 24, v206
	s_delay_alu instid0(VALU_DEP_2) | instskip(SKIP_1) | instid1(VALU_DEP_2)
	v_mul_i32_i24_e32 v150, v156, v150
	v_lshrrev_b32_e32 v156, 24, v205
	v_add3_u32 v148, v202, v148, v150
	v_bfe_u32 v150, v203, 24, 2
	s_delay_alu instid0(VALU_DEP_1) | instskip(SKIP_1) | instid1(VALU_DEP_2)
	v_sub_nc_u16 v150, v150, v156
	v_bfe_u32 v156, v204, 24, 2
	v_bfe_i32 v150, v150, 0, 16
	s_delay_alu instid0(VALU_DEP_2) | instskip(SKIP_1) | instid1(VALU_DEP_3)
	v_sub_nc_u16 v156, v156, v157
	v_lshrrev_b32_e32 v157, 24, v172
	v_mul_i32_i24_e32 v146, v150, v146
	s_delay_alu instid0(VALU_DEP_3) | instskip(SKIP_1) | instid1(VALU_DEP_2)
	v_bfe_i32 v150, v156, 0, 16
	v_lshrrev_b32_e32 v156, 16, v168
	v_mul_i32_i24_e32 v147, v150, v147
	v_lshrrev_b32_e32 v150, 24, v168
	v_lshrrev_b32_e32 v168, 16, v176
	s_delay_alu instid0(VALU_DEP_3) | instskip(SKIP_1) | instid1(VALU_DEP_1)
	v_add3_u32 v146, v199, v146, v147
	v_bfe_u32 v147, v170, 24, 2
	v_sub_nc_u16 v147, v147, v150
	v_lshrrev_b32_e32 v150, 16, v210
	s_delay_alu instid0(VALU_DEP_2) | instskip(NEXT) | instid1(VALU_DEP_2)
	v_lshlrev_b16 v147, 8, v147
	v_sub_nc_u16 v150, v150, v156
	v_bfe_u32 v156, v174, 24, 2
	s_delay_alu instid0(VALU_DEP_1) | instskip(SKIP_1) | instid1(VALU_DEP_2)
	v_sub_nc_u16 v156, v156, v157
	v_lshrrev_b32_e32 v157, 16, v211
	v_lshlrev_b16 v156, 8, v156
	s_delay_alu instid0(VALU_DEP_2) | instskip(SKIP_1) | instid1(VALU_DEP_1)
	v_sub_nc_u16 v157, v157, v158
	v_bfe_u32 v158, v178, 24, 2
	v_sub_nc_u16 v158, v158, v161
	v_lshrrev_b32_e32 v161, 16, v213
	s_delay_alu instid0(VALU_DEP_2) | instskip(NEXT) | instid1(VALU_DEP_2)
	v_lshlrev_b16 v158, 8, v158
	v_sub_nc_u16 v161, v161, v168
	v_and_b32_e32 v168, 0xff, v150
	s_delay_alu instid0(VALU_DEP_1) | instskip(SKIP_1) | instid1(VALU_DEP_2)
	v_or_b32_e32 v147, v168, v147
	v_and_b32_e32 v168, 0xff, v157
	v_perm_b32 v147, v147, v150, 0xc0c0500
	s_delay_alu instid0(VALU_DEP_2) | instskip(SKIP_1) | instid1(VALU_DEP_3)
	v_or_b32_e32 v156, v168, v156
	v_and_b32_e32 v168, 0xff, v161
	v_dot4_i32_iu8 v147, v145, v147, v214 neg_lo:[1,1,0]
	s_delay_alu instid0(VALU_DEP_3) | instskip(NEXT) | instid1(VALU_DEP_3)
	v_perm_b32 v150, v156, v157, 0xc0c0500
	v_or_b32_e32 v158, v168, v158
	v_lshrrev_b16 v157, 8, v193
	s_delay_alu instid0(VALU_DEP_3) | instskip(NEXT) | instid1(VALU_DEP_3)
	v_dot4_i32_iu8 v150, v145, v150, v215 neg_lo:[1,1,0]
	v_perm_b32 v156, v158, v161, 0xc0c0500
	v_ashrrev_i32_e32 v158, s1, v187
	v_ashrrev_i32_e32 v161, s21, v185
	s_delay_alu instid0(VALU_DEP_3) | instskip(SKIP_1) | instid1(VALU_DEP_4)
	v_dot4_i32_iu8 v145, v145, v156, v216 neg_lo:[1,1,0]
	v_lshrrev_b16 v156, 8, v195
	v_lshlrev_b32_e32 v158, 2, v158
	s_delay_alu instid0(VALU_DEP_2) | instskip(SKIP_1) | instid1(VALU_DEP_3)
	v_sub_nc_u16 v156, v156, v157
	v_ashrrev_i32_e32 v157, s1, v181
	v_and_b32_e32 v158, 0x4040404, v158
	s_delay_alu instid0(VALU_DEP_3) | instskip(NEXT) | instid1(VALU_DEP_3)
	v_bfe_i32 v156, v156, 0, 16
	v_lshlrev_b32_e32 v157, 2, v157
	s_delay_alu instid0(VALU_DEP_2) | instskip(SKIP_2) | instid1(VALU_DEP_4)
	v_mul_i32_i24_e32 v144, v156, v144
	v_ashrrev_i32_e32 v156, s1, v160
	v_ashrrev_i32_e32 v160, s21, v183
	v_and_b32_e32 v157, 0x4040404, v157
	s_delay_alu instid0(VALU_DEP_4) | instskip(SKIP_2) | instid1(VALU_DEP_3)
	v_add3_u32 v144, v217, v144, v152
	v_ashrrev_i32_e32 v152, s21, v162
	v_lshlrev_b32_e32 v156, 2, v156
	v_add3_u32 v144, v196, v153, v144
	s_delay_alu instid0(VALU_DEP_3) | instskip(NEXT) | instid1(VALU_DEP_3)
	v_and_b32_e32 v162, 0x3030303, v152
	v_and_b32_e32 v156, 0x4040404, v156
	s_delay_alu instid0(VALU_DEP_1) | instskip(SKIP_1) | instid1(VALU_DEP_2)
	v_sub_nc_u16 v168, v162, v156
	v_lshrrev_b32_e32 v153, 16, v156
	v_bfe_i32 v168, v168, 0, 8
	s_delay_alu instid0(VALU_DEP_1) | instskip(SKIP_1) | instid1(VALU_DEP_1)
	v_mad_i32_i24 v154, v143, v168, v154
	v_and_b32_e32 v168, 0x3030303, v160
	v_sub_nc_u16 v170, v168, v157
	s_delay_alu instid0(VALU_DEP_1) | instskip(NEXT) | instid1(VALU_DEP_1)
	v_bfe_i32 v170, v170, 0, 8
	v_mad_i32_i24 v155, v143, v170, v155
	v_and_b32_e32 v170, 0x3030303, v161
	v_bfe_u32 v161, v161, 24, 2
	s_delay_alu instid0(VALU_DEP_2) | instskip(NEXT) | instid1(VALU_DEP_1)
	v_sub_nc_u16 v172, v170, v158
	v_bfe_i32 v172, v172, 0, 8
	s_delay_alu instid0(VALU_DEP_1) | instskip(SKIP_2) | instid1(VALU_DEP_1)
	v_mad_i32_i24 v143, v143, v172, v149
	v_lshrrev_b16 v149, 8, v208
	v_lshrrev_b16 v172, 8, v206
	v_sub_nc_u16 v149, v149, v172
	v_ashrrev_i32_e32 v172, s21, v179
	s_delay_alu instid0(VALU_DEP_2) | instskip(NEXT) | instid1(VALU_DEP_1)
	v_bfe_i32 v149, v149, 0, 16
	v_mul_i32_i24_e32 v141, v149, v141
	v_ashrrev_i32_e32 v149, s1, v169
	v_ashrrev_i32_e32 v169, s1, v177
	s_delay_alu instid0(VALU_DEP_3) | instskip(SKIP_1) | instid1(VALU_DEP_4)
	v_add3_u32 v141, v151, v141, v146
	v_ashrrev_i32_e32 v146, s21, v171
	v_lshlrev_b32_e32 v149, 2, v149
	v_ashrrev_i32_e32 v151, s1, v173
	v_ashrrev_i32_e32 v171, s21, v175
	v_lshlrev_b32_e32 v169, 2, v169
	v_and_b32_e32 v173, 0x3030303, v146
	v_and_b32_e32 v149, 0x4040404, v149
	v_lshlrev_b32_e32 v151, 2, v151
	v_add3_u32 v148, v209, v148, v141
	v_and_b32_e32 v169, 0x4040404, v169
	s_delay_alu instid0(VALU_DEP_4) | instskip(NEXT) | instid1(VALU_DEP_4)
	v_sub_nc_u16 v174, v173, v149
	v_and_b32_e32 v151, 0x4040404, v151
	v_lshrrev_b32_e32 v141, 24, v149
	s_delay_alu instid0(VALU_DEP_3) | instskip(NEXT) | instid1(VALU_DEP_1)
	v_bfe_i32 v174, v174, 0, 8
	v_mad_i32_i24 v147, v142, v174, v147
	v_and_b32_e32 v174, 0x3030303, v171
	s_delay_alu instid0(VALU_DEP_1) | instskip(NEXT) | instid1(VALU_DEP_1)
	v_sub_nc_u16 v175, v174, v151
	v_bfe_i32 v175, v175, 0, 8
	s_delay_alu instid0(VALU_DEP_1) | instskip(SKIP_1) | instid1(VALU_DEP_1)
	v_mad_i32_i24 v150, v142, v175, v150
	v_and_b32_e32 v175, 0x3030303, v172
	v_sub_nc_u16 v176, v175, v169
	s_delay_alu instid0(VALU_DEP_1) | instskip(NEXT) | instid1(VALU_DEP_1)
	v_bfe_i32 v176, v176, 0, 8
	v_mad_i32_i24 v142, v142, v176, v145
	v_bfe_u32 v145, v152, 24, 2
	v_lshrrev_b32_e32 v152, 24, v156
	v_lshrrev_b16 v156, 8, v156
	s_delay_alu instid0(VALU_DEP_2) | instskip(SKIP_1) | instid1(VALU_DEP_2)
	v_sub_nc_u16 v145, v145, v152
	v_lshrrev_b32_e32 v152, 16, v162
	v_lshlrev_b16 v145, 8, v145
	s_delay_alu instid0(VALU_DEP_2) | instskip(SKIP_2) | instid1(VALU_DEP_2)
	v_sub_nc_u16 v152, v152, v153
	v_lshrrev_b16 v153, 8, v162
	v_lshrrev_b32_e32 v162, 16, v157
	v_sub_nc_u16 v153, v153, v156
	v_bfe_u32 v156, v160, 24, 2
	v_lshrrev_b32_e32 v160, 24, v157
	v_lshrrev_b16 v157, 8, v157
	s_delay_alu instid0(VALU_DEP_4) | instskip(NEXT) | instid1(VALU_DEP_3)
	v_lshlrev_b16 v153, 8, v153
	v_sub_nc_u16 v156, v156, v160
	v_lshrrev_b32_e32 v160, 16, v168
	s_delay_alu instid0(VALU_DEP_3) | instskip(NEXT) | instid1(VALU_DEP_3)
	v_perm_b32 v153, v153, v153, 0xc0c0c01
	v_lshlrev_b16 v156, 8, v156
	s_delay_alu instid0(VALU_DEP_3) | instskip(SKIP_2) | instid1(VALU_DEP_2)
	v_sub_nc_u16 v160, v160, v162
	v_lshrrev_b16 v162, 8, v168
	v_lshrrev_b32_e32 v168, 16, v158
	v_sub_nc_u16 v157, v162, v157
	v_lshrrev_b32_e32 v162, 24, v158
	v_lshrrev_b16 v158, 8, v158
	s_delay_alu instid0(VALU_DEP_2) | instskip(SKIP_1) | instid1(VALU_DEP_2)
	v_sub_nc_u16 v161, v161, v162
	v_lshrrev_b32_e32 v162, 16, v170
	v_lshlrev_b16 v161, 8, v161
	s_delay_alu instid0(VALU_DEP_2) | instskip(SKIP_1) | instid1(VALU_DEP_1)
	v_sub_nc_u16 v162, v162, v168
	v_lshrrev_b16 v168, 8, v170
	v_sub_nc_u16 v158, v168, v158
	v_and_b32_e32 v168, 0xff, v152
	s_delay_alu instid0(VALU_DEP_1) | instskip(SKIP_1) | instid1(VALU_DEP_2)
	v_or_b32_e32 v145, v168, v145
	v_and_b32_e32 v168, 0xff, v160
	v_perm_b32 v145, v145, v152, 0xc05000c
	s_delay_alu instid0(VALU_DEP_2) | instskip(SKIP_1) | instid1(VALU_DEP_3)
	v_or_b32_e32 v156, v168, v156
	v_and_b32_e32 v168, 0xff, v162
	v_or_b32_e32 v145, v145, v153
	v_lshlrev_b16 v153, 8, v157
	s_delay_alu instid0(VALU_DEP_4) | instskip(NEXT) | instid1(VALU_DEP_4)
	v_perm_b32 v152, v156, v160, 0xc05000c
	v_or_b32_e32 v161, v168, v161
	v_lshrrev_b16 v157, 8, v169
	v_dot4_i32_iu8 v145, v139, v145, v154 neg_lo:[1,1,0]
	v_perm_b32 v153, v153, v153, 0xc0c0c01
	v_lshrrev_b32_e32 v154, 16, v151
	v_perm_b32 v156, v161, v162, 0xc05000c
	s_delay_alu instid0(VALU_DEP_3) | instskip(SKIP_1) | instid1(VALU_DEP_2)
	v_or_b32_e32 v152, v152, v153
	v_lshlrev_b16 v153, 8, v158
	v_dot4_i32_iu8 v152, v139, v152, v155 neg_lo:[1,1,0]
	s_delay_alu instid0(VALU_DEP_2) | instskip(SKIP_1) | instid1(VALU_DEP_2)
	v_perm_b32 v153, v153, v153, 0xc0c0c01
	v_lshrrev_b32_e32 v155, 24, v169
	v_or_b32_e32 v153, v156, v153
	v_lshrrev_b32_e32 v156, 16, v169
	s_delay_alu instid0(VALU_DEP_2)
	v_dot4_i32_iu8 v143, v139, v153, v143 neg_lo:[1,1,0]
	v_bfe_u32 v139, v146, 24, 2
	v_lshrrev_b32_e32 v146, 16, v149
	v_lshrrev_b16 v149, 8, v149
	v_lshrrev_b32_e32 v153, 24, v151
	v_lshrrev_b16 v151, 8, v151
	v_sub_nc_u16 v139, v139, v141
	v_lshrrev_b32_e32 v141, 16, v173
	s_delay_alu instid0(VALU_DEP_2) | instskip(NEXT) | instid1(VALU_DEP_2)
	v_lshlrev_b16 v139, 8, v139
	v_sub_nc_u16 v141, v141, v146
	v_lshrrev_b16 v146, 8, v173
	s_delay_alu instid0(VALU_DEP_1) | instskip(SKIP_1) | instid1(VALU_DEP_2)
	v_sub_nc_u16 v146, v146, v149
	v_bfe_u32 v149, v171, 24, 2
	v_lshlrev_b16 v146, 8, v146
	s_delay_alu instid0(VALU_DEP_2) | instskip(SKIP_1) | instid1(VALU_DEP_3)
	v_sub_nc_u16 v149, v149, v153
	v_lshrrev_b32_e32 v153, 16, v174
	v_perm_b32 v146, v146, v146, 0xc0c0c01
	s_delay_alu instid0(VALU_DEP_3) | instskip(NEXT) | instid1(VALU_DEP_3)
	v_lshlrev_b16 v149, 8, v149
	v_sub_nc_u16 v153, v153, v154
	v_lshrrev_b16 v154, 8, v174
	s_delay_alu instid0(VALU_DEP_1) | instskip(SKIP_1) | instid1(VALU_DEP_1)
	v_sub_nc_u16 v151, v154, v151
	v_bfe_u32 v154, v172, 24, 2
	v_sub_nc_u16 v154, v154, v155
	v_lshrrev_b32_e32 v155, 16, v175
	s_delay_alu instid0(VALU_DEP_2) | instskip(NEXT) | instid1(VALU_DEP_2)
	v_lshlrev_b16 v154, 8, v154
	v_sub_nc_u16 v155, v155, v156
	v_lshrrev_b16 v156, 8, v175
	s_delay_alu instid0(VALU_DEP_1) | instskip(SKIP_1) | instid1(VALU_DEP_1)
	v_sub_nc_u16 v156, v156, v157
	v_and_b32_e32 v157, 0xff, v141
	v_or_b32_e32 v139, v157, v139
	v_and_b32_e32 v157, 0xff, v153
	s_delay_alu instid0(VALU_DEP_2) | instskip(NEXT) | instid1(VALU_DEP_2)
	v_perm_b32 v139, v139, v141, 0xc05000c
	v_or_b32_e32 v149, v157, v149
	v_and_b32_e32 v157, 0xff, v155
	s_delay_alu instid0(VALU_DEP_3) | instskip(SKIP_1) | instid1(VALU_DEP_4)
	v_or_b32_e32 v139, v139, v146
	v_lshlrev_b16 v146, 8, v151
	v_perm_b32 v141, v149, v153, 0xc05000c
	s_delay_alu instid0(VALU_DEP_4) | instskip(NEXT) | instid1(VALU_DEP_4)
	v_or_b32_e32 v154, v157, v154
	v_dot4_i32_iu8 v147, v138, v139, v147 neg_lo:[1,1,0]
	s_delay_alu instid0(VALU_DEP_4) | instskip(NEXT) | instid1(VALU_DEP_3)
	v_perm_b32 v146, v146, v146, 0xc0c0c01
	v_perm_b32 v149, v154, v155, 0xc05000c
	s_delay_alu instid0(VALU_DEP_2) | instskip(SKIP_1) | instid1(VALU_DEP_1)
	v_or_b32_e32 v141, v141, v146
	v_lshlrev_b16 v146, 8, v156
	v_perm_b32 v146, v146, v146, 0xc0c0c01
	s_delay_alu instid0(VALU_DEP_1) | instskip(NEXT) | instid1(VALU_DEP_4)
	v_or_b32_e32 v146, v149, v146
	v_dot4_i32_iu8 v149, v138, v141, v150 neg_lo:[1,1,0]
	s_delay_alu instid0(VALU_DEP_2) | instskip(SKIP_2) | instid1(VALU_DEP_2)
	v_dot4_i32_iu8 v142, v138, v146, v142 neg_lo:[1,1,0]
	v_and_b32_e32 v146, 0x3030303, v13
	v_bfe_u32 v13, v13, 24, 2
	v_sub_nc_u16 v138, v146, v11
	s_delay_alu instid0(VALU_DEP_1) | instskip(NEXT) | instid1(VALU_DEP_1)
	v_bfe_i32 v138, v138, 0, 8
	v_mad_i32_i24 v145, v137, v138, v145
	v_add_nc_u32_e32 v138, 0x1088, v140
	ds_load_2addr_b32 v[138:139], v138 offset1:1
	s_wait_dscnt 0x0
	v_ashrrev_i32_e32 v138, s21, v138
	s_delay_alu instid0(VALU_DEP_1) | instskip(SKIP_1) | instid1(VALU_DEP_2)
	v_and_b32_e32 v150, 0x3030303, v138
	v_bfe_u32 v138, v138, 24, 2
	v_sub_nc_u16 v140, v150, v15
	s_delay_alu instid0(VALU_DEP_1) | instskip(NEXT) | instid1(VALU_DEP_1)
	v_bfe_i32 v140, v140, 0, 8
	v_mad_i32_i24 v151, v137, v140, v152
	v_and_b32_e32 v152, 0x3030303, v21
	ds_load_2addr_b32 v[140:141], v212 offset0:6 offset1:7
	v_bfe_u32 v21, v21, 24, 2
	v_sub_nc_u16 v153, v152, v19
	s_delay_alu instid0(VALU_DEP_1) | instskip(NEXT) | instid1(VALU_DEP_1)
	v_bfe_i32 v153, v153, 0, 8
	v_mad_i32_i24 v137, v137, v153, v143
	v_and_b32_e32 v143, 0x3030303, v5
	v_bfe_u32 v5, v5, 24, 2
	s_delay_alu instid0(VALU_DEP_2) | instskip(SKIP_2) | instid1(VALU_DEP_2)
	v_sub_nc_u16 v153, v143, v0
	s_wait_dscnt 0x0
	v_ashrrev_i32_e32 v140, s1, v140
	v_bfe_i32 v153, v153, 0, 8
	s_delay_alu instid0(VALU_DEP_2) | instskip(NEXT) | instid1(VALU_DEP_2)
	v_lshlrev_b32_e32 v140, 2, v140
	v_mad_i32_i24 v147, v136, v153, v147
	v_and_b32_e32 v153, 0x3030303, v9
	s_delay_alu instid0(VALU_DEP_3) | instskip(SKIP_1) | instid1(VALU_DEP_3)
	v_and_b32_e32 v140, 0x4040404, v140
	v_bfe_u32 v9, v9, 24, 2
	v_sub_nc_u16 v154, v153, v7
	s_delay_alu instid0(VALU_DEP_1) | instskip(NEXT) | instid1(VALU_DEP_1)
	v_bfe_i32 v154, v154, 0, 8
	v_mad_i32_i24 v149, v136, v154, v149
	v_and_b32_e32 v154, 0x3030303, v17
	v_bfe_u32 v17, v17, 24, 2
	s_delay_alu instid0(VALU_DEP_2) | instskip(NEXT) | instid1(VALU_DEP_1)
	v_sub_nc_u16 v155, v154, v140
	v_bfe_i32 v155, v155, 0, 8
	s_delay_alu instid0(VALU_DEP_1) | instskip(SKIP_3) | instid1(VALU_DEP_3)
	v_mad_i32_i24 v136, v136, v155, v142
	v_lshrrev_b32_e32 v142, 24, v11
	v_lshrrev_b32_e32 v155, 16, v11
	v_lshrrev_b16 v11, 8, v11
	v_sub_nc_u16 v13, v13, v142
	v_lshrrev_b32_e32 v142, 16, v146
	v_lshrrev_b16 v146, 8, v146
	s_delay_alu instid0(VALU_DEP_3) | instskip(NEXT) | instid1(VALU_DEP_3)
	v_lshlrev_b16 v13, 8, v13
	v_sub_nc_u16 v142, v142, v155
	s_delay_alu instid0(VALU_DEP_3) | instskip(SKIP_3) | instid1(VALU_DEP_4)
	v_sub_nc_u16 v11, v146, v11
	v_lshrrev_b32_e32 v146, 24, v19
	v_lshrrev_b32_e32 v155, 16, v19
	v_lshrrev_b16 v19, 8, v19
	v_lshlrev_b16 v11, 8, v11
	s_delay_alu instid0(VALU_DEP_4) | instskip(SKIP_2) | instid1(VALU_DEP_4)
	v_sub_nc_u16 v21, v21, v146
	v_lshrrev_b32_e32 v146, 16, v152
	v_lshrrev_b16 v152, 8, v152
	v_perm_b32 v11, v11, v11, 0xc0c0c01
	s_delay_alu instid0(VALU_DEP_4) | instskip(NEXT) | instid1(VALU_DEP_4)
	v_lshlrev_b16 v21, 8, v21
	v_sub_nc_u16 v146, v146, v155
	s_delay_alu instid0(VALU_DEP_4) | instskip(SKIP_3) | instid1(VALU_DEP_3)
	v_sub_nc_u16 v19, v152, v19
	v_lshrrev_b32_e32 v152, 24, v15
	v_lshrrev_b32_e32 v155, 16, v15
	v_lshrrev_b16 v15, 8, v15
	v_sub_nc_u16 v138, v138, v152
	v_lshrrev_b32_e32 v152, 16, v150
	v_lshrrev_b16 v150, 8, v150
	s_delay_alu instid0(VALU_DEP_3) | instskip(NEXT) | instid1(VALU_DEP_3)
	v_lshlrev_b16 v138, 8, v138
	v_sub_nc_u16 v152, v152, v155
	s_delay_alu instid0(VALU_DEP_3) | instskip(SKIP_1) | instid1(VALU_DEP_2)
	v_sub_nc_u16 v15, v150, v15
	v_and_b32_e32 v150, 0xff, v142
	v_lshlrev_b16 v15, 8, v15
	s_delay_alu instid0(VALU_DEP_2) | instskip(SKIP_1) | instid1(VALU_DEP_3)
	v_or_b32_e32 v13, v150, v13
	v_and_b32_e32 v150, 0xff, v146
	v_perm_b32 v15, v15, v15, 0xc0c0c01
	s_delay_alu instid0(VALU_DEP_3) | instskip(NEXT) | instid1(VALU_DEP_3)
	v_perm_b32 v13, v13, v142, 0xc05000c
	v_or_b32_e32 v21, v150, v21
	v_and_b32_e32 v150, 0xff, v152
	s_delay_alu instid0(VALU_DEP_3) | instskip(SKIP_1) | instid1(VALU_DEP_4)
	v_or_b32_e32 v11, v13, v11
	v_lshlrev_b16 v13, 8, v19
	v_perm_b32 v21, v21, v146, 0xc05000c
	v_lshrrev_b32_e32 v19, 24, v0
	v_or_b32_e32 v138, v150, v138
	v_dot4_i32_iu8 v11, v135, v11, v145 neg_lo:[1,1,0]
	v_perm_b32 v13, v13, v13, 0xc0c0c01
	s_delay_alu instid0(VALU_DEP_4) | instskip(SKIP_2) | instid1(VALU_DEP_4)
	v_sub_nc_u16 v5, v5, v19
	v_lshrrev_b32_e32 v19, 16, v143
	v_perm_b32 v138, v138, v152, 0xc05000c
	v_or_b32_e32 v13, v21, v13
	v_lshrrev_b32_e32 v21, 16, v0
	v_lshrrev_b16 v0, 8, v0
	v_lshlrev_b16 v5, 8, v5
	v_or_b32_e32 v15, v138, v15
	v_dot4_i32_iu8 v13, v135, v13, v137 neg_lo:[1,1,0]
	v_sub_nc_u16 v19, v19, v21
	v_lshrrev_b16 v21, 8, v143
	v_lshrrev_b32_e32 v137, 16, v140
	v_dot4_i32_iu8 v15, v135, v15, v151 neg_lo:[1,1,0]
	v_lshrrev_b32_e32 v135, 16, v7
	v_lshrrev_b16 v138, 8, v140
	v_sub_nc_u16 v0, v21, v0
	v_lshrrev_b32_e32 v21, 24, v7
	v_lshrrev_b16 v7, 8, v7
	s_delay_alu instid0(VALU_DEP_3) | instskip(NEXT) | instid1(VALU_DEP_3)
	v_lshlrev_b16 v0, 8, v0
	v_sub_nc_u16 v9, v9, v21
	v_lshrrev_b32_e32 v21, 16, v153
	s_delay_alu instid0(VALU_DEP_3) | instskip(NEXT) | instid1(VALU_DEP_3)
	v_perm_b32 v0, v0, v0, 0xc0c0c01
	v_lshlrev_b16 v9, 8, v9
	s_delay_alu instid0(VALU_DEP_3) | instskip(SKIP_1) | instid1(VALU_DEP_1)
	v_sub_nc_u16 v21, v21, v135
	v_lshrrev_b16 v135, 8, v153
	v_sub_nc_u16 v7, v135, v7
	v_lshrrev_b32_e32 v135, 24, v140
	s_delay_alu instid0(VALU_DEP_1) | instskip(SKIP_1) | instid1(VALU_DEP_2)
	v_sub_nc_u16 v17, v17, v135
	v_lshrrev_b32_e32 v135, 16, v154
	v_lshlrev_b16 v17, 8, v17
	s_delay_alu instid0(VALU_DEP_2) | instskip(SKIP_1) | instid1(VALU_DEP_1)
	v_sub_nc_u16 v135, v135, v137
	v_lshrrev_b16 v137, 8, v154
	v_sub_nc_u16 v137, v137, v138
	v_and_b32_e32 v138, 0xff, v19
	s_delay_alu instid0(VALU_DEP_1) | instskip(SKIP_1) | instid1(VALU_DEP_2)
	v_or_b32_e32 v5, v138, v5
	v_and_b32_e32 v138, 0xff, v21
	v_perm_b32 v5, v5, v19, 0xc05000c
	s_delay_alu instid0(VALU_DEP_2) | instskip(SKIP_1) | instid1(VALU_DEP_3)
	v_or_b32_e32 v9, v138, v9
	v_and_b32_e32 v138, 0xff, v135
	v_or_b32_e32 v0, v5, v0
	v_lshlrev_b16 v5, 8, v7
	s_delay_alu instid0(VALU_DEP_3) | instskip(SKIP_2) | instid1(VALU_DEP_4)
	v_or_b32_e32 v17, v138, v17
	v_lshlrev_b16 v7, 8, v137
	v_perm_b32 v9, v9, v21, 0xc05000c
	v_perm_b32 v5, v5, v5, 0xc0c0c01
	s_delay_alu instid0(VALU_DEP_4) | instskip(NEXT) | instid1(VALU_DEP_4)
	v_perm_b32 v17, v17, v135, 0xc05000c
	v_perm_b32 v7, v7, v7, 0xc0c0c01
	s_delay_alu instid0(VALU_DEP_3) | instskip(SKIP_1) | instid1(VALU_DEP_3)
	v_or_b32_e32 v5, v9, v5
	v_dot4_i32_iu8 v9, v134, v0, v147 neg_lo:[1,1,0]
	v_or_b32_e32 v7, v17, v7
	v_lshrrev_b16 v0, 8, v167
	v_bfe_i32 v17, v167, 0, 8
	v_dot4_i32_iu8 v5, v134, v5, v149 neg_lo:[1,1,0]
	s_delay_alu instid0(VALU_DEP_4) | instskip(NEXT) | instid1(VALU_DEP_4)
	v_dot4_i32_iu8 v7, v134, v7, v136 neg_lo:[1,1,0]
	v_bfe_i32 v19, v0, 0, 8
	s_delay_alu instid0(VALU_DEP_4) | instskip(SKIP_1) | instid1(VALU_DEP_2)
	v_mul_lo_u32 v0, v148, v17
	v_ashrrev_i32_e32 v17, s21, v139
	v_mad_co_u64_u32 v[134:135], null, v144, v19, v[0:1]
	v_ashrrev_i32_e32 v0, s21, v14
	v_ashrrev_i32_e32 v14, s1, v20
	;; [unrolled: 1-line block ×4, first 2 shown]
	s_delay_alu instid0(VALU_DEP_4) | instskip(NEXT) | instid1(VALU_DEP_4)
	v_and_b32_e32 v20, 0x3030303, v0
	v_lshlrev_b32_e32 v14, 2, v14
	v_bfe_u32 v0, v0, 24, 2
	s_delay_alu instid0(VALU_DEP_4) | instskip(NEXT) | instid1(VALU_DEP_4)
	v_lshlrev_b32_e32 v1, 2, v1
	v_sub_nc_u16 v21, v20, v12
	s_delay_alu instid0(VALU_DEP_4) | instskip(NEXT) | instid1(VALU_DEP_3)
	v_and_b32_e32 v14, 0x4040404, v14
	v_and_b32_e32 v1, 0x4040404, v1
	s_delay_alu instid0(VALU_DEP_3) | instskip(NEXT) | instid1(VALU_DEP_1)
	v_bfe_i32 v21, v21, 0, 8
	v_mad_i32_i24 v11, v133, v21, v11
	v_and_b32_e32 v21, 0x3030303, v17
	v_bfe_u32 v17, v17, 24, 2
	s_delay_alu instid0(VALU_DEP_2) | instskip(NEXT) | instid1(VALU_DEP_1)
	v_sub_nc_u16 v22, v21, v16
	v_bfe_i32 v22, v22, 0, 8
	s_delay_alu instid0(VALU_DEP_1) | instskip(SKIP_2) | instid1(VALU_DEP_2)
	v_mad_i32_i24 v15, v133, v22, v15
	v_and_b32_e32 v22, 0x3030303, v19
	v_bfe_u32 v19, v19, 24, 2
	v_sub_nc_u16 v135, v22, v14
	s_delay_alu instid0(VALU_DEP_1) | instskip(NEXT) | instid1(VALU_DEP_1)
	v_bfe_i32 v135, v135, 0, 8
	v_mad_i32_i24 v13, v133, v135, v13
	v_and_b32_e32 v135, 0x3030303, v6
	v_ashrrev_i32_e32 v133, s1, v141
	v_bfe_u32 v6, v6, 24, 2
	s_add_co_i32 s1, s1, 1
	s_cmp_lt_u32 s21, 6
	v_sub_nc_u16 v136, v135, v1
	v_lshlrev_b32_e32 v133, 2, v133
	s_delay_alu instid0(VALU_DEP_2) | instskip(NEXT) | instid1(VALU_DEP_2)
	v_bfe_i32 v136, v136, 0, 8
	v_and_b32_e32 v133, 0x4040404, v133
	s_delay_alu instid0(VALU_DEP_2) | instskip(SKIP_2) | instid1(VALU_DEP_2)
	v_mad_i32_i24 v9, v132, v136, v9
	v_and_b32_e32 v136, 0x3030303, v10
	v_bfe_u32 v10, v10, 24, 2
	v_sub_nc_u16 v137, v136, v8
	s_delay_alu instid0(VALU_DEP_1) | instskip(NEXT) | instid1(VALU_DEP_1)
	v_bfe_i32 v137, v137, 0, 8
	v_mad_i32_i24 v5, v132, v137, v5
	v_and_b32_e32 v137, 0x3030303, v18
	s_delay_alu instid0(VALU_DEP_1) | instskip(NEXT) | instid1(VALU_DEP_1)
	v_sub_nc_u16 v138, v137, v133
	v_bfe_i32 v138, v138, 0, 8
	s_delay_alu instid0(VALU_DEP_1) | instskip(SKIP_3) | instid1(VALU_DEP_3)
	v_mad_i32_i24 v7, v132, v138, v7
	v_lshrrev_b32_e32 v132, 24, v12
	v_lshrrev_b32_e32 v138, 16, v12
	v_lshrrev_b16 v12, 8, v12
	v_sub_nc_u16 v0, v0, v132
	v_lshrrev_b32_e32 v132, 16, v20
	v_lshrrev_b16 v20, 8, v20
	s_delay_alu instid0(VALU_DEP_3) | instskip(NEXT) | instid1(VALU_DEP_3)
	v_lshlrev_b16 v0, 8, v0
	v_sub_nc_u16 v132, v132, v138
	s_delay_alu instid0(VALU_DEP_3) | instskip(SKIP_3) | instid1(VALU_DEP_4)
	v_sub_nc_u16 v12, v20, v12
	v_lshrrev_b32_e32 v20, 24, v14
	v_lshrrev_b32_e32 v138, 16, v14
	v_lshrrev_b16 v14, 8, v14
	v_lshlrev_b16 v12, 8, v12
	s_delay_alu instid0(VALU_DEP_4) | instskip(SKIP_2) | instid1(VALU_DEP_4)
	v_sub_nc_u16 v19, v19, v20
	v_lshrrev_b32_e32 v20, 16, v22
	v_lshrrev_b16 v22, 8, v22
	v_perm_b32 v12, v12, v12, 0xc0c0c01
	s_delay_alu instid0(VALU_DEP_4) | instskip(NEXT) | instid1(VALU_DEP_4)
	v_lshlrev_b16 v19, 8, v19
	v_sub_nc_u16 v20, v20, v138
	s_delay_alu instid0(VALU_DEP_4) | instskip(SKIP_3) | instid1(VALU_DEP_3)
	v_sub_nc_u16 v14, v22, v14
	v_lshrrev_b32_e32 v22, 24, v16
	v_lshrrev_b32_e32 v138, 16, v16
	v_lshrrev_b16 v16, 8, v16
	v_sub_nc_u16 v17, v17, v22
	v_lshrrev_b32_e32 v22, 16, v21
	v_lshrrev_b16 v21, 8, v21
	s_delay_alu instid0(VALU_DEP_3) | instskip(NEXT) | instid1(VALU_DEP_3)
	v_lshlrev_b16 v17, 8, v17
	v_sub_nc_u16 v22, v22, v138
	s_delay_alu instid0(VALU_DEP_3) | instskip(SKIP_1) | instid1(VALU_DEP_1)
	v_sub_nc_u16 v16, v21, v16
	v_and_b32_e32 v21, 0xff, v132
	v_or_b32_e32 v0, v21, v0
	v_and_b32_e32 v21, 0xff, v20
	s_delay_alu instid0(VALU_DEP_2) | instskip(NEXT) | instid1(VALU_DEP_2)
	v_perm_b32 v0, v0, v132, 0xc05000c
	v_or_b32_e32 v19, v21, v19
	v_and_b32_e32 v21, 0xff, v22
	s_delay_alu instid0(VALU_DEP_3) | instskip(SKIP_1) | instid1(VALU_DEP_3)
	v_or_b32_e32 v0, v0, v12
	v_lshlrev_b16 v12, 8, v14
	v_or_b32_e32 v17, v21, v17
	v_perm_b32 v19, v19, v20, 0xc05000c
	v_lshlrev_b16 v14, 8, v16
	v_dot4_i32_iu8 v0, v131, v0, v11 neg_lo:[1,1,0]
	v_perm_b32 v12, v12, v12, 0xc0c0c01
	v_perm_b32 v17, v17, v22, 0xc05000c
	v_lshrrev_b32_e32 v16, 24, v133
	v_perm_b32 v14, v14, v14, 0xc0c0c01
	s_delay_alu instid0(VALU_DEP_4) | instskip(NEXT) | instid1(VALU_DEP_2)
	v_or_b32_e32 v12, v19, v12
	v_or_b32_e32 v14, v17, v14
	v_lshrrev_b32_e32 v17, 16, v133
	s_delay_alu instid0(VALU_DEP_3) | instskip(SKIP_1) | instid1(VALU_DEP_4)
	v_dot4_i32_iu8 v12, v131, v12, v13 neg_lo:[1,1,0]
	v_lshrrev_b32_e32 v13, 24, v1
	v_dot4_i32_iu8 v11, v131, v14, v15 neg_lo:[1,1,0]
	v_lshrrev_b32_e32 v14, 16, v1
	v_lshrrev_b16 v1, 8, v1
	s_delay_alu instid0(VALU_DEP_4) | instskip(SKIP_2) | instid1(VALU_DEP_3)
	v_sub_nc_u16 v6, v6, v13
	v_lshrrev_b32_e32 v13, 16, v135
	v_lshrrev_b32_e32 v15, 16, v8
	v_lshlrev_b16 v6, 8, v6
	s_delay_alu instid0(VALU_DEP_3) | instskip(SKIP_1) | instid1(VALU_DEP_1)
	v_sub_nc_u16 v13, v13, v14
	v_lshrrev_b16 v14, 8, v135
	v_sub_nc_u16 v1, v14, v1
	v_lshrrev_b32_e32 v14, 24, v8
	v_lshrrev_b16 v8, 8, v8
	s_delay_alu instid0(VALU_DEP_3) | instskip(NEXT) | instid1(VALU_DEP_3)
	v_lshlrev_b16 v1, 8, v1
	v_sub_nc_u16 v10, v10, v14
	v_lshrrev_b32_e32 v14, 16, v136
	s_delay_alu instid0(VALU_DEP_3) | instskip(NEXT) | instid1(VALU_DEP_3)
	v_perm_b32 v1, v1, v1, 0xc0c0c01
	v_lshlrev_b16 v10, 8, v10
	s_delay_alu instid0(VALU_DEP_3) | instskip(SKIP_1) | instid1(VALU_DEP_1)
	v_sub_nc_u16 v14, v14, v15
	v_lshrrev_b16 v15, 8, v136
	v_sub_nc_u16 v8, v15, v8
	v_bfe_u32 v15, v18, 24, 2
	v_lshrrev_b16 v18, 8, v133
	s_delay_alu instid0(VALU_DEP_2) | instskip(SKIP_1) | instid1(VALU_DEP_2)
	v_sub_nc_u16 v15, v15, v16
	v_lshrrev_b32_e32 v16, 16, v137
	v_lshlrev_b16 v15, 8, v15
	s_delay_alu instid0(VALU_DEP_2) | instskip(SKIP_1) | instid1(VALU_DEP_1)
	v_sub_nc_u16 v16, v16, v17
	v_lshrrev_b16 v17, 8, v137
	v_sub_nc_u16 v17, v17, v18
	v_and_b32_e32 v18, 0xff, v13
	s_delay_alu instid0(VALU_DEP_1) | instskip(SKIP_1) | instid1(VALU_DEP_2)
	v_or_b32_e32 v6, v18, v6
	v_and_b32_e32 v18, 0xff, v14
	v_perm_b32 v6, v6, v13, 0xc05000c
	s_delay_alu instid0(VALU_DEP_2) | instskip(SKIP_1) | instid1(VALU_DEP_3)
	v_or_b32_e32 v10, v18, v10
	v_and_b32_e32 v18, 0xff, v16
	v_or_b32_e32 v1, v6, v1
	v_lshlrev_b16 v6, 8, v8
	s_delay_alu instid0(VALU_DEP_4) | instskip(NEXT) | instid1(VALU_DEP_4)
	v_perm_b32 v10, v10, v14, 0xc05000c
	v_or_b32_e32 v15, v18, v15
	v_lshlrev_b16 v8, 8, v17
	v_dot4_i32_iu8 v1, v130, v1, v9 neg_lo:[1,1,0]
	v_perm_b32 v6, v6, v6, 0xc0c0c01
	s_delay_alu instid0(VALU_DEP_4) | instskip(NEXT) | instid1(VALU_DEP_4)
	v_perm_b32 v13, v15, v16, 0xc05000c
	v_perm_b32 v8, v8, v8, 0xc0c0c01
	s_delay_alu instid0(VALU_DEP_3) | instskip(NEXT) | instid1(VALU_DEP_2)
	v_or_b32_e32 v6, v10, v6
	v_or_b32_e32 v8, v13, v8
	s_delay_alu instid0(VALU_DEP_2) | instskip(SKIP_1) | instid1(VALU_DEP_3)
	v_dot4_i32_iu8 v5, v130, v6, v5 neg_lo:[1,1,0]
	v_add_nc_u32_e32 v6, s22, v98
	v_dot4_i32_iu8 v7, v130, v8, v7 neg_lo:[1,1,0]
	v_add_nc_u32_e32 v8, s22, v96
	s_mov_b32 s22, s21
	ds_load_u16 v6, v6 offset:25346
	ds_load_u16 v8, v8 offset:27394
	s_wait_dscnt 0x1
	v_lshrrev_b16 v9, 8, v6
	v_bfe_i32 v6, v6, 0, 8
	s_delay_alu instid0(VALU_DEP_2) | instskip(NEXT) | instid1(VALU_DEP_2)
	v_bfe_i32 v9, v9, 0, 8
	v_mul_lo_u32 v0, v0, v6
	v_bfe_i32 v6, v166, 0, 8
	s_delay_alu instid0(VALU_DEP_2) | instskip(SKIP_3) | instid1(VALU_DEP_2)
	v_mad_co_u64_u32 v[0:1], null, v1, v9, v[0:1]
	v_lshrrev_b16 v1, 8, v166
	s_wait_dscnt 0x0
	v_bfe_i32 v9, v8, 0, 8
	v_bfe_i32 v10, v1, 0, 8
	v_mul_lo_u32 v1, v11, v6
	v_cvt_f32_i32_e32 v0, v0
	s_delay_alu instid0(VALU_DEP_2) | instskip(SKIP_4) | instid1(VALU_DEP_3)
	v_mad_co_u64_u32 v[5:6], null, v5, v10, v[1:2]
	ds_load_b32 v10, v128
	v_lshrrev_b16 v6, 8, v8
	v_mul_lo_u32 v1, v12, v9
	v_add_nc_u32_e32 v128, 4, v128
	v_bfe_i32 v6, v6, 0, 8
	v_cvt_f32_i32_e32 v5, v5
	s_delay_alu instid0(VALU_DEP_2) | instskip(NEXT) | instid1(VALU_DEP_1)
	v_mad_co_u64_u32 v[6:7], null, v7, v6, v[1:2]
	v_cvt_f32_i32_e32 v6, v6
	s_wait_dscnt 0x0
	v_mul_f32_e32 v1, v10, v159
	v_mul_f32_e32 v7, v10, v165
	;; [unrolled: 1-line block ×4, first 2 shown]
	v_cvt_f32_i32_e32 v10, v134
	v_fmac_f32_e32 v25, v1, v0
	s_delay_alu instid0(VALU_DEP_4) | instskip(NEXT) | instid1(VALU_DEP_3)
	v_dual_fmac_f32 v87, v7, v5 :: v_dual_fmac_f32 v86, v8, v6
	v_fmac_f32_e32 v2, v9, v10
	s_cbranch_scc1 .LBB189_11
; %bb.12:                               ;   in Loop: Header=BB189_5 Depth=1
	s_or_b32 s1, s16, 0x80
	s_wait_loadcnt 0x0
	s_wait_alu 0xfffe
	s_cmp_ge_i32 s1, s11
	s_barrier_signal -1
	s_barrier_wait -1
	global_inv scope:SCOPE_SE
	s_cbranch_scc1 .LBB189_4
; %bb.13:                               ;   in Loop: Header=BB189_5 Depth=1
	v_add_nc_u32_e32 v0, s17, v88
	s_delay_alu instid0(VALU_DEP_1)
	v_cmp_gt_i32_e64 s1, s5, v0
	s_and_b32 s20, s0, s1
	s_wait_alu 0xfffe
	s_and_saveexec_b32 s1, s20
	s_cbranch_execz .LBB189_15
; %bb.14:                               ;   in Loop: Header=BB189_5 Depth=1
	v_add_nc_u32_e32 v0, v91, v0
	s_delay_alu instid0(VALU_DEP_1)
	v_mad_co_i64_i32 v[0:1], null, v0, 36, v[3:4]
	global_load_b32 v0, v[0:1], off offset:4
	s_wait_loadcnt 0x0
	ds_store_b32 v84, v0
.LBB189_15:                             ;   in Loop: Header=BB189_5 Depth=1
	s_wait_alu 0xfffe
	s_or_b32 exec_lo, exec_lo, s1
	s_and_saveexec_b32 s20, vcc_lo
	s_cbranch_execz .LBB189_18
; %bb.16:                               ;   in Loop: Header=BB189_5 Depth=1
	v_or_b32_e32 v0, 4, v127
	s_delay_alu instid0(VALU_DEP_1)
	v_cmp_gt_i32_e64 s1, s5, v0
	s_and_b32 s1, s0, s1
	s_wait_alu 0xfffe
	s_and_b32 exec_lo, exec_lo, s1
	s_cbranch_execz .LBB189_18
; %bb.17:                               ;   in Loop: Header=BB189_5 Depth=1
	v_ashrrev_i32_e32 v0, 31, v127
	v_add_co_u32 v1, s1, v91, v127
	s_wait_alu 0xf1ff
	s_delay_alu instid0(VALU_DEP_2) | instskip(NEXT) | instid1(VALU_DEP_2)
	v_add_co_ci_u32_e64 v5, null, v94, v0, s1
	v_mad_co_u64_u32 v[0:1], null, v1, 36, s[2:3]
	s_delay_alu instid0(VALU_DEP_1)
	v_mad_i32_i24 v1, v5, 36, v1
	global_load_b32 v0, v[0:1], off offset:144
	s_wait_loadcnt 0x0
	v_cvt_f32_f16_e32 v0, v0
	ds_store_b32 v85, v0
.LBB189_18:                             ;   in Loop: Header=BB189_5 Depth=1
	s_wait_alu 0xfffe
	s_or_b32 exec_lo, exec_lo, s20
	v_dual_mov_b32 v128, v82 :: v_dual_mov_b32 v129, v83
	s_mov_b32 s1, 8
	s_mov_b32 s21, 6
	;; [unrolled: 1-line block ×3, first 2 shown]
	s_wait_loadcnt_dscnt 0x0
	s_barrier_signal -1
	s_barrier_wait -1
	global_inv scope:SCOPE_SE
.LBB189_19:                             ;   Parent Loop BB189_5 Depth=1
                                        ; =>  This Inner Loop Header: Depth=2
	ds_load_b128 v[5:8], v128
	ds_load_b128 v[16:19], v128 offset:16
	s_wait_alu 0xfffe
	s_add_co_i32 s22, s21, 2
	s_and_b32 s26, s1, -16
	s_wait_alu 0xfffe
	s_and_b32 s25, s22, 0x3ffffff8
	s_lshr_b32 s24, s22, 4
	s_wait_alu 0xfffe
	v_lshl_add_u32 v140, s25, 2, v92
	s_lshl_b32 s23, s24, 5
	s_add_co_i32 s25, s21, -6
	s_add_co_i32 s21, s21, s26
	s_wait_alu 0xfffe
	s_addk_co_i32 s23, 0x4200
	v_add_nc_u32_e32 v0, 0x3188, v140
	v_add_nc_u32_e32 v20, s21, v93
	s_lshl_b32 s24, s24, 2
	v_add_nc_u32_e32 v22, 0x3198, v140
	s_wait_alu 0xfffe
	s_addk_co_i32 s24, 0x7380
	v_add3_u32 v180, s23, v111, v112
	v_add3_u32 v182, s23, v114, v115
	;; [unrolled: 1-line block ×3, first 2 shown]
	v_add_nc_u32_e32 v128, 32, v128
	s_wait_dscnt 0x1
	v_lshrrev_b16 v155, 8, v5
	s_wait_dscnt 0x0
	v_lshrrev_b16 v161, 8, v16
	v_lshrrev_b16 v160, 8, v17
	v_ashrrev_i32_e32 v15, 24, v16
	v_bfe_i32 v13, v16, 16, 8
	v_bfe_i32 v162, v16, 0, 8
	v_perm_b32 v145, v16, v16, 0xc0c0302
	v_ashrrev_i32_e32 v16, 24, v17
	v_bfe_i32 v14, v17, 16, 8
	v_bfe_i32 v142, v17, 0, 8
	v_perm_b32 v138, v17, v17, 0xc030201
	v_add3_u32 v17, s23, v122, v123
	v_lshrrev_b16 v152, 8, v6
	v_lshrrev_b16 v151, 8, v7
	;; [unrolled: 1-line block ×3, first 2 shown]
	v_ashrrev_i32_e32 v11, 24, v5
	v_bfe_i32 v9, v5, 16, 8
	v_bfe_i32 v156, v5, 0, 8
	v_perm_b32 v149, v5, v5, 0xc0c0302
	v_ashrrev_i32_e32 v12, 24, v6
	v_bfe_i32 v10, v6, 16, 8
	v_bfe_i32 v143, v6, 0, 8
	v_perm_b32 v139, v6, v6, 0xc030201
	;; [unrolled: 4-line block ×4, first 2 shown]
	v_lshrrev_b16 v159, 8, v18
	v_lshrrev_b16 v144, 8, v19
	v_ashrrev_i32_e32 v153, 24, v18
	v_bfe_i32 v157, v18, 16, 8
	v_bfe_i32 v136, v18, 0, 8
	v_perm_b32 v134, v18, v18, 0xc030201
	v_ashrrev_i32_e32 v154, 24, v19
	v_bfe_i32 v158, v19, 16, 8
	v_bfe_i32 v132, v19, 0, 8
	v_perm_b32 v130, v19, v19, 0xc030201
	ds_load_2addr_b32 v[0:1], v0 offset1:1
	ds_load_2addr_b32 v[18:19], v17 offset0:4 offset1:5
	ds_load_2addr_b32 v[7:8], v17 offset0:6 offset1:7
	;; [unrolled: 1-line block ×3, first 2 shown]
	ds_load_u16 v167, v20 offset:28418
	s_wait_alu 0xfffe
	v_add3_u32 v20, s24, v124, v125
	v_bfe_i32 v161, v161, 0, 8
	v_bfe_i32 v160, v160, 0, 8
	;; [unrolled: 1-line block ×4, first 2 shown]
	ds_load_b32 v163, v20
	v_add_nc_u32_e32 v20, 0x3190, v140
	ds_load_2addr_b32 v[20:21], v20 offset1:1
	ds_load_2addr_b32 v[164:165], v22 offset1:1
	v_bfe_i32 v152, v152, 0, 8
	v_bfe_i32 v151, v151, 0, 8
	;; [unrolled: 1-line block ×3, first 2 shown]
	s_wait_dscnt 0x7
	v_ashrrev_i32_e32 v203, s25, v0
	s_wait_dscnt 0x6
	v_ashrrev_i32_e32 v19, s20, v19
	v_ashrrev_i32_e32 v18, s20, v18
	s_wait_dscnt 0x5
	v_ashrrev_i32_e32 v7, s20, v7
	v_ashrrev_i32_e32 v8, s20, v8
	v_ashrrev_i32_e32 v204, s25, v1
	v_lshlrev_b32_e32 v19, 2, v19
	v_lshlrev_b32_e32 v18, 2, v18
	v_lshlrev_b32_e32 v7, 2, v7
	v_lshlrev_b32_e32 v8, 2, v8
	s_wait_dscnt 0x4
	v_ashrrev_i32_e32 v5, s20, v5
	v_and_b32_e32 v19, 0x4040404, v19
	v_and_b32_e32 v18, 0x4040404, v18
	;; [unrolled: 1-line block ×4, first 2 shown]
	s_wait_dscnt 0x1
	v_ashrrev_i32_e32 v21, s25, v21
	v_ashrrev_i32_e32 v20, s25, v20
	v_lshrrev_b32_e32 v166, 24, v19
	v_lshrrev_b32_e32 v168, 24, v18
	s_wait_dscnt 0x0
	v_ashrrev_i32_e32 v190, s25, v164
	v_bfe_u32 v22, v21, 24, 2
	v_and_b32_e32 v21, 0x3030303, v21
	v_ashrrev_i32_e32 v191, s25, v165
	v_ashrrev_i32_e32 v6, s20, v6
	v_and_b32_e32 v194, 0x3030303, v190
	v_sub_nc_u16 v22, v22, v166
	v_bfe_u32 v166, v20, 24, 2
	v_and_b32_e32 v20, 0x3030303, v20
	v_and_b32_e32 v195, 0x3030303, v191
	v_sub_nc_u16 v7, v194, v192
	v_bfe_i32 v22, v22, 0, 16
	v_sub_nc_u16 v166, v166, v168
	v_and_b32_e32 v207, 0x3030303, v203
	v_sub_nc_u16 v8, v195, v193
	v_bfe_i32 v7, v7, 0, 8
	v_mul_i32_i24_e32 v16, v22, v16
	v_bfe_i32 v22, v166, 0, 16
	v_and_b32_e32 v208, 0x3030303, v204
	v_bfe_i32 v8, v8, 0, 8
	v_mul_i32_i24_e32 v7, v7, v136
	v_lshrrev_b16 v214, 8, v192
	v_mad_i32_i24 v188, v22, v15, v16
	v_lshrrev_b32_e32 v15, 16, v21
	v_lshrrev_b32_e32 v16, 16, v19
	;; [unrolled: 1-line block ×3, first 2 shown]
	v_mul_i32_i24_e32 v8, v8, v132
	v_bfe_i32 v141, v141, 0, 8
	s_add_co_i32 s1, s1, 2
	v_sub_nc_u16 v15, v15, v16
	v_lshrrev_b32_e32 v16, 16, v20
	s_delay_alu instid0(VALU_DEP_2) | instskip(NEXT) | instid1(VALU_DEP_2)
	v_bfe_i32 v15, v15, 0, 8
	v_sub_nc_u16 v16, v16, v22
	s_delay_alu instid0(VALU_DEP_2) | instskip(NEXT) | instid1(VALU_DEP_2)
	v_mul_i32_i24_e32 v14, v15, v14
	v_bfe_i32 v15, v16, 0, 8
	s_delay_alu instid0(VALU_DEP_1) | instskip(SKIP_4) | instid1(VALU_DEP_4)
	v_mad_i32_i24 v189, v15, v13, v14
	v_sub_nc_u16 v13, v21, v19
	v_sub_nc_u16 v14, v20, v18
	v_add3_u32 v15, s24, v120, v121
	v_lshrrev_b16 v18, 8, v18
	v_bfe_i32 v13, v13, 0, 8
	s_delay_alu instid0(VALU_DEP_4) | instskip(NEXT) | instid1(VALU_DEP_2)
	v_bfe_i32 v14, v14, 0, 8
	v_mul_i32_i24_e32 v13, v13, v142
	s_delay_alu instid0(VALU_DEP_1) | instskip(NEXT) | instid1(VALU_DEP_1)
	v_mad_i32_i24 v13, v14, v162, v13
	v_add3_u32 v196, v13, v7, v8
	v_add_nc_u32_e32 v13, 0x3180, v140
	ds_load_2addr_b32 v[7:8], v17 offset1:1
	ds_load_2addr_b32 v[13:14], v13 offset1:1
	ds_load_b32 v164, v15
	s_wait_dscnt 0x2
	v_ashrrev_i32_e32 v8, s20, v8
	v_ashrrev_i32_e32 v7, s20, v7
	s_wait_dscnt 0x1
	v_ashrrev_i32_e32 v14, s25, v14
	v_ashrrev_i32_e32 v13, s25, v13
	v_lshlrev_b32_e32 v8, 2, v8
	v_lshlrev_b32_e32 v7, 2, v7
	s_delay_alu instid0(VALU_DEP_4) | instskip(NEXT) | instid1(VALU_DEP_4)
	v_and_b32_e32 v200, 0x3030303, v14
	v_and_b32_e32 v201, 0x3030303, v13
	s_delay_alu instid0(VALU_DEP_4) | instskip(NEXT) | instid1(VALU_DEP_4)
	v_and_b32_e32 v197, 0x4040404, v8
	v_and_b32_e32 v198, 0x4040404, v7
	v_bfe_u32 v8, v14, 24, 2
	v_bfe_u32 v7, v13, 24, 2
	s_delay_alu instid0(VALU_DEP_4) | instskip(NEXT) | instid1(VALU_DEP_4)
	v_sub_nc_u16 v0, v200, v197
	v_sub_nc_u16 v1, v201, v198
	v_lshrrev_b32_e32 v15, 24, v197
	s_delay_alu instid0(VALU_DEP_3) | instskip(NEXT) | instid1(VALU_DEP_3)
	v_bfe_i32 v0, v0, 0, 8
	v_bfe_i32 v1, v1, 0, 8
	s_delay_alu instid0(VALU_DEP_3) | instskip(SKIP_1) | instid1(VALU_DEP_4)
	v_sub_nc_u16 v8, v8, v15
	v_lshrrev_b32_e32 v15, 24, v198
	v_mul_i32_i24_e32 v0, v0, v143
	s_delay_alu instid0(VALU_DEP_3) | instskip(NEXT) | instid1(VALU_DEP_3)
	v_bfe_i32 v8, v8, 0, 16
	v_sub_nc_u16 v7, v7, v15
	s_delay_alu instid0(VALU_DEP_3) | instskip(SKIP_4) | instid1(VALU_DEP_4)
	v_mad_i32_i24 v0, v1, v156, v0
	v_lshlrev_b32_e32 v1, 2, v5
	v_lshlrev_b32_e32 v5, 2, v6
	v_mul_i32_i24_e32 v8, v8, v12
	v_bfe_i32 v7, v7, 0, 16
	v_and_b32_e32 v205, 0x4040404, v1
	s_delay_alu instid0(VALU_DEP_4) | instskip(NEXT) | instid1(VALU_DEP_3)
	v_and_b32_e32 v206, 0x4040404, v5
	v_mad_i32_i24 v199, v7, v11, v8
	v_lshrrev_b32_e32 v7, 16, v200
	s_delay_alu instid0(VALU_DEP_4) | instskip(NEXT) | instid1(VALU_DEP_4)
	v_sub_nc_u16 v1, v207, v205
	v_sub_nc_u16 v5, v208, v206
	v_lshrrev_b32_e32 v8, 16, v197
	v_lshrrev_b32_e32 v11, 16, v198
	v_lshrrev_b16 v198, 8, v198
	v_bfe_i32 v1, v1, 0, 8
	v_bfe_i32 v5, v5, 0, 8
	v_sub_nc_u16 v7, v7, v8
	v_lshrrev_b32_e32 v8, 16, v201
	v_lshrrev_b16 v201, 8, v201
	v_mul_i32_i24_e32 v1, v1, v137
	v_mul_i32_i24_e32 v5, v5, v133
	v_bfe_i32 v7, v7, 0, 8
	v_sub_nc_u16 v8, v8, v11
	v_lshrrev_b16 v200, 8, v200
	v_lshrrev_b16 v197, 8, v197
	v_add3_u32 v209, v0, v1, v5
	ds_load_2addr_b32 v[168:169], v180 offset0:4 offset1:5
	ds_load_2addr_b32 v[0:1], v180 offset0:6 offset1:7
	;; [unrolled: 1-line block ×3, first 2 shown]
	v_mul_i32_i24_e32 v7, v7, v10
	v_bfe_i32 v8, v8, 0, 8
	v_add_nc_u32_e32 v10, 0x1098, v140
	v_sub_nc_u16 v198, v201, v198
	v_sub_nc_u16 v197, v200, v197
	v_lshrrev_b16 v200, 8, v207
	v_mad_i32_i24 v202, v8, v9, v7
	v_lshrrev_b16 v201, 8, v205
	v_bfe_i32 v198, v198, 0, 16
	v_bfe_i32 v197, v197, 0, 16
	s_delay_alu instid0(VALU_DEP_3) | instskip(NEXT) | instid1(VALU_DEP_2)
	v_sub_nc_u16 v200, v200, v201
	v_mul_i32_i24_e32 v152, v197, v152
	s_wait_dscnt 0x2
	v_ashrrev_i32_e32 v5, s20, v168
	s_delay_alu instid0(VALU_DEP_3)
	v_bfe_i32 v197, v200, 0, 16
	s_wait_dscnt 0x0
	v_ashrrev_i32_e32 v11, s20, v11
	v_ashrrev_i32_e32 v0, s20, v0
	;; [unrolled: 1-line block ×3, first 2 shown]
	v_lshlrev_b32_e32 v5, 2, v5
	v_mul_i32_i24_e32 v151, v197, v151
	v_lshlrev_b32_e32 v11, 2, v11
	v_lshlrev_b32_e32 v0, 2, v0
	;; [unrolled: 1-line block ×3, first 2 shown]
	v_and_b32_e32 v168, 0x4040404, v5
	ds_load_2addr_b32 v[170:171], v140 offset0:4 offset1:5
	ds_load_2addr_b32 v[5:6], v140 offset0:6 offset1:7
	;; [unrolled: 1-line block ×3, first 2 shown]
	v_and_b32_e32 v11, 0x4040404, v11
	v_and_b32_e32 v0, 0x4040404, v0
	v_and_b32_e32 v12, 0x4040404, v12
	v_lshrrev_b16 v8, 8, v168
	s_wait_dscnt 0x2
	v_ashrrev_i32_e32 v170, s25, v170
	s_wait_dscnt 0x1
	v_ashrrev_i32_e32 v5, s25, v5
	;; [unrolled: 2-line block ×3, first 2 shown]
	v_ashrrev_i32_e32 v6, s25, v6
	v_and_b32_e32 v210, 0x3030303, v170
	s_delay_alu instid0(VALU_DEP_1) | instskip(NEXT) | instid1(VALU_DEP_1)
	v_lshrrev_b16 v7, 8, v210
	v_sub_nc_u16 v181, v7, v8
	v_add_nc_u32_e32 v7, s21, v97
	s_delay_alu instid0(VALU_DEP_2)
	v_lshlrev_b16 v181, 8, v181
	ds_load_u16 v166, v7 offset:26370
	v_add3_u32 v7, s24, v116, v117
	v_bfe_i32 v181, v181, 8, 8
	ds_load_b32 v165, v7
	ds_load_2addr_b32 v[172:173], v182 offset0:4 offset1:5
	ds_load_2addr_b32 v[7:8], v182 offset0:6 offset1:7
	;; [unrolled: 1-line block ×3, first 2 shown]
	s_wait_dscnt 0x2
	v_ashrrev_i32_e32 v9, s20, v172
	s_wait_dscnt 0x1
	v_ashrrev_i32_e32 v7, s20, v7
	s_wait_dscnt 0x0
	v_ashrrev_i32_e32 v15, s20, v15
	v_ashrrev_i32_e32 v16, s20, v16
	v_ashrrev_i32_e32 v8, s20, v8
	v_lshlrev_b32_e32 v9, 2, v9
	v_lshlrev_b32_e32 v7, 2, v7
	;; [unrolled: 1-line block ×5, first 2 shown]
	v_and_b32_e32 v172, 0x4040404, v9
	v_add_nc_u32_e32 v9, 0x1090, v140
	ds_load_2addr_b32 v[174:175], v9 offset1:1
	ds_load_2addr_b32 v[9:10], v10 offset1:1
	v_lshrrev_b16 v22, 8, v172
	v_and_b32_e32 v15, 0x4040404, v15
	v_and_b32_e32 v7, 0x4040404, v7
	;; [unrolled: 1-line block ×4, first 2 shown]
	s_wait_dscnt 0x1
	v_ashrrev_i32_e32 v174, s25, v174
	s_wait_dscnt 0x0
	v_ashrrev_i32_e32 v9, s25, v9
	v_ashrrev_i32_e32 v10, s25, v10
	s_delay_alu instid0(VALU_DEP_3) | instskip(NEXT) | instid1(VALU_DEP_1)
	v_and_b32_e32 v211, 0x3030303, v174
	v_lshrrev_b16 v17, 8, v211
	v_sub_nc_u16 v215, v211, v172
	s_delay_alu instid0(VALU_DEP_2) | instskip(SKIP_1) | instid1(VALU_DEP_3)
	v_sub_nc_u16 v183, v17, v22
	v_lshrrev_b16 v17, 8, v20
	v_bfe_i32 v215, v215, 0, 8
	s_delay_alu instid0(VALU_DEP_2)
	v_sub_nc_u16 v184, v17, v18
	v_lshrrev_b16 v18, 8, v19
	ds_load_2addr_b32 v[176:177], v212 offset0:4 offset1:5
	ds_load_2addr_b32 v[19:20], v212 offset0:2 offset1:3
	v_lshrrev_b16 v17, 8, v21
	v_add_nc_u32_e32 v21, 0x2108, v140
	v_mul_i32_i24_e32 v215, v162, v215
	s_delay_alu instid0(VALU_DEP_3)
	v_sub_nc_u16 v185, v17, v18
	v_add_nc_u32_e32 v18, 0x2118, v140
	s_wait_dscnt 0x1
	v_ashrrev_i32_e32 v17, s20, v176
	s_wait_dscnt 0x0
	v_ashrrev_i32_e32 v19, s20, v19
	s_delay_alu instid0(VALU_DEP_2) | instskip(NEXT) | instid1(VALU_DEP_2)
	v_lshlrev_b32_e32 v17, 2, v17
	v_lshlrev_b32_e32 v19, 2, v19
	s_delay_alu instid0(VALU_DEP_2)
	v_and_b32_e32 v176, 0x4040404, v17
	v_add_nc_u32_e32 v17, 0x2110, v140
	ds_load_2addr_b32 v[178:179], v17 offset1:1
	ds_load_2addr_b32 v[17:18], v18 offset1:1
	;; [unrolled: 1-line block ×3, first 2 shown]
	v_lshrrev_b16 v187, 8, v176
	v_and_b32_e32 v19, 0x4040404, v19
	s_wait_dscnt 0x2
	v_ashrrev_i32_e32 v178, s25, v178
	s_wait_dscnt 0x1
	v_ashrrev_i32_e32 v17, s25, v17
	;; [unrolled: 2-line block ×3, first 2 shown]
	v_ashrrev_i32_e32 v18, s25, v18
	v_and_b32_e32 v213, 0x3030303, v178
	s_delay_alu instid0(VALU_DEP_1) | instskip(SKIP_1) | instid1(VALU_DEP_2)
	v_lshrrev_b16 v186, 8, v213
	v_sub_nc_u16 v216, v213, v176
	v_sub_nc_u16 v186, v186, v187
	v_lshrrev_b16 v187, 8, v194
	s_delay_alu instid0(VALU_DEP_3) | instskip(NEXT) | instid1(VALU_DEP_2)
	v_bfe_i32 v216, v216, 0, 8
	v_sub_nc_u16 v187, v187, v214
	v_sub_nc_u16 v214, v210, v168
	s_delay_alu instid0(VALU_DEP_1) | instskip(NEXT) | instid1(VALU_DEP_1)
	v_bfe_i32 v214, v214, 0, 8
	v_mul_i32_i24_e32 v214, v162, v214
	v_mul_i32_i24_e32 v162, v162, v216
	s_delay_alu instid0(VALU_DEP_2) | instskip(SKIP_2) | instid1(VALU_DEP_2)
	v_mad_i32_i24 v214, v161, v181, v214
	v_lshlrev_b16 v181, 8, v183
	v_add_nc_u32_e32 v183, 0x1080, v140
	v_bfe_i32 v181, v181, 8, 8
	s_delay_alu instid0(VALU_DEP_1) | instskip(SKIP_1) | instid1(VALU_DEP_1)
	v_mad_i32_i24 v215, v161, v181, v215
	v_lshlrev_b16 v181, 8, v186
	v_bfe_i32 v181, v181, 8, 8
	s_delay_alu instid0(VALU_DEP_1) | instskip(SKIP_1) | instid1(VALU_DEP_1)
	v_mad_i32_i24 v216, v161, v181, v162
	v_bfe_i32 v162, v184, 0, 16
	v_mul_i32_i24_e32 v161, v162, v161
	v_bfe_i32 v162, v185, 0, 16
	s_delay_alu instid0(VALU_DEP_1) | instskip(SKIP_1) | instid1(VALU_DEP_1)
	v_mul_i32_i24_e32 v160, v162, v160
	v_bfe_i32 v162, v187, 0, 16
	v_mul_i32_i24_e32 v159, v162, v159
	s_delay_alu instid0(VALU_DEP_1)
	v_add3_u32 v217, v161, v160, v159
	ds_load_2addr_b32 v[159:160], v180 offset1:1
	ds_load_2addr_b32 v[161:162], v140 offset1:1
	s_wait_dscnt 0x1
	v_ashrrev_i32_e32 v159, s20, v159
	s_wait_dscnt 0x0
	v_ashrrev_i32_e32 v161, s25, v161
	s_delay_alu instid0(VALU_DEP_2) | instskip(NEXT) | instid1(VALU_DEP_2)
	v_lshlrev_b32_e32 v159, 2, v159
	v_and_b32_e32 v219, 0x3030303, v161
	s_delay_alu instid0(VALU_DEP_2) | instskip(NEXT) | instid1(VALU_DEP_2)
	v_and_b32_e32 v218, 0x4040404, v159
	v_lshrrev_b16 v159, 8, v219
	s_delay_alu instid0(VALU_DEP_2) | instskip(SKIP_1) | instid1(VALU_DEP_2)
	v_lshrrev_b16 v180, 8, v218
	v_sub_nc_u16 v201, v219, v218
	v_sub_nc_u16 v220, v159, v180
	v_add3_u32 v159, s24, v126, v113
	s_delay_alu instid0(VALU_DEP_3) | instskip(NEXT) | instid1(VALU_DEP_3)
	v_bfe_i32 v201, v201, 0, 8
	v_lshlrev_b16 v220, 8, v220
	ds_load_b32 v159, v159
	ds_load_2addr_b32 v[180:181], v182 offset1:1
	ds_load_2addr_b32 v[182:183], v183 offset1:1
	v_mul_i32_i24_e32 v201, v156, v201
	v_bfe_i32 v220, v220, 8, 8
	s_delay_alu instid0(VALU_DEP_1) | instskip(SKIP_4) | instid1(VALU_DEP_2)
	v_mad_i32_i24 v201, v155, v220, v201
	s_wait_dscnt 0x1
	v_ashrrev_i32_e32 v180, s20, v180
	s_wait_dscnt 0x0
	v_ashrrev_i32_e32 v182, s25, v182
	v_lshlrev_b32_e32 v180, 2, v180
	s_delay_alu instid0(VALU_DEP_2) | instskip(NEXT) | instid1(VALU_DEP_2)
	v_and_b32_e32 v221, 0x3030303, v182
	v_and_b32_e32 v180, 0x4040404, v180
	s_delay_alu instid0(VALU_DEP_2) | instskip(NEXT) | instid1(VALU_DEP_2)
	v_lshrrev_b16 v184, 8, v221
	v_lshrrev_b16 v185, 8, v180
	s_delay_alu instid0(VALU_DEP_1) | instskip(SKIP_4) | instid1(VALU_DEP_1)
	v_sub_nc_u16 v222, v184, v185
	v_add_nc_u32_e32 v184, 0x2100, v140
	ds_load_2addr_b32 v[184:185], v184 offset1:1
	ds_load_2addr_b32 v[186:187], v212 offset1:1
	v_lshlrev_b16 v220, 8, v222
	v_bfe_i32 v220, v220, 8, 8
	s_wait_dscnt 0x1
	v_ashrrev_i32_e32 v184, s25, v184
	s_wait_dscnt 0x0
	v_ashrrev_i32_e32 v186, s20, v186
	s_delay_alu instid0(VALU_DEP_2) | instskip(NEXT) | instid1(VALU_DEP_2)
	v_and_b32_e32 v223, 0x3030303, v184
	v_lshlrev_b32_e32 v186, 2, v186
	s_delay_alu instid0(VALU_DEP_2) | instskip(NEXT) | instid1(VALU_DEP_2)
	v_lshrrev_b16 v224, 8, v223
	v_and_b32_e32 v186, 0x4040404, v186
	s_delay_alu instid0(VALU_DEP_1) | instskip(SKIP_1) | instid1(VALU_DEP_2)
	v_lshrrev_b16 v225, 8, v186
	v_sub_nc_u16 v226, v223, v186
	v_sub_nc_u16 v224, v224, v225
	;; [unrolled: 1-line block ×3, first 2 shown]
	s_delay_alu instid0(VALU_DEP_3) | instskip(NEXT) | instid1(VALU_DEP_3)
	v_bfe_i32 v226, v226, 0, 8
	v_lshlrev_b16 v222, 8, v224
	s_delay_alu instid0(VALU_DEP_3) | instskip(NEXT) | instid1(VALU_DEP_2)
	v_bfe_i32 v225, v225, 0, 8
	v_bfe_i32 v222, v222, 8, 8
	s_delay_alu instid0(VALU_DEP_2) | instskip(SKIP_1) | instid1(VALU_DEP_2)
	v_mul_i32_i24_e32 v225, v156, v225
	v_mul_i32_i24_e32 v156, v156, v226
	v_mad_i32_i24 v220, v155, v220, v225
	s_delay_alu instid0(VALU_DEP_2) | instskip(SKIP_1) | instid1(VALU_DEP_1)
	v_mad_i32_i24 v156, v155, v222, v156
	v_mul_i32_i24_e32 v155, v198, v155
	v_add3_u32 v151, v155, v152, v151
	v_lshrrev_b32_e32 v152, 16, v194
	v_lshrrev_b32_e32 v155, 16, v192
	;; [unrolled: 1-line block ×3, first 2 shown]
	s_delay_alu instid0(VALU_DEP_2) | instskip(SKIP_1) | instid1(VALU_DEP_2)
	v_sub_nc_u16 v152, v152, v155
	v_lshrrev_b32_e32 v155, 16, v195
	v_bfe_i32 v152, v152, 0, 8
	s_delay_alu instid0(VALU_DEP_2) | instskip(NEXT) | instid1(VALU_DEP_2)
	v_sub_nc_u16 v155, v155, v194
	v_mul_i32_i24_e32 v152, v152, v157
	s_delay_alu instid0(VALU_DEP_2) | instskip(SKIP_1) | instid1(VALU_DEP_2)
	v_bfe_i32 v155, v155, 0, 8
	v_lshrrev_b32_e32 v157, 24, v192
	v_mul_i32_i24_e32 v155, v155, v158
	v_lshrrev_b32_e32 v158, 24, v193
	s_delay_alu instid0(VALU_DEP_2) | instskip(SKIP_1) | instid1(VALU_DEP_1)
	v_add3_u32 v152, v189, v152, v155
	v_bfe_u32 v155, v190, 24, 2
	v_sub_nc_u16 v155, v155, v157
	v_bfe_u32 v157, v191, 24, 2
	s_delay_alu instid0(VALU_DEP_2) | instskip(NEXT) | instid1(VALU_DEP_2)
	v_bfe_i32 v155, v155, 0, 16
	v_sub_nc_u16 v157, v157, v158
	v_lshrrev_b32_e32 v158, 24, v180
	s_delay_alu instid0(VALU_DEP_3) | instskip(NEXT) | instid1(VALU_DEP_3)
	v_mul_i32_i24_e32 v153, v155, v153
	v_bfe_i32 v155, v157, 0, 16
	v_lshrrev_b32_e32 v157, 16, v218
	s_delay_alu instid0(VALU_DEP_2) | instskip(SKIP_1) | instid1(VALU_DEP_2)
	v_mul_i32_i24_e32 v154, v155, v154
	v_lshrrev_b32_e32 v155, 24, v218
	v_add3_u32 v153, v188, v153, v154
	v_bfe_u32 v154, v161, 24, 2
	v_lshrrev_b32_e32 v161, 16, v180
	v_lshrrev_b32_e32 v180, 24, v186
	s_delay_alu instid0(VALU_DEP_3) | instskip(SKIP_1) | instid1(VALU_DEP_2)
	v_sub_nc_u16 v154, v154, v155
	v_lshrrev_b32_e32 v155, 16, v219
	v_lshlrev_b16 v154, 8, v154
	s_delay_alu instid0(VALU_DEP_2) | instskip(SKIP_2) | instid1(VALU_DEP_2)
	v_sub_nc_u16 v155, v155, v157
	v_bfe_u32 v157, v182, 24, 2
	v_lshrrev_b32_e32 v182, 16, v186
	v_sub_nc_u16 v157, v157, v158
	v_lshrrev_b32_e32 v158, 16, v221
	s_delay_alu instid0(VALU_DEP_2) | instskip(NEXT) | instid1(VALU_DEP_2)
	v_lshlrev_b16 v157, 8, v157
	v_sub_nc_u16 v158, v158, v161
	v_bfe_u32 v161, v184, 24, 2
	s_delay_alu instid0(VALU_DEP_1) | instskip(SKIP_1) | instid1(VALU_DEP_2)
	v_sub_nc_u16 v161, v161, v180
	v_lshrrev_b32_e32 v180, 16, v223
	v_lshlrev_b16 v161, 8, v161
	s_delay_alu instid0(VALU_DEP_2) | instskip(SKIP_1) | instid1(VALU_DEP_1)
	v_sub_nc_u16 v180, v180, v182
	v_and_b32_e32 v182, 0xff, v155
	v_or_b32_e32 v154, v182, v154
	v_and_b32_e32 v182, 0xff, v158
	s_delay_alu instid0(VALU_DEP_2) | instskip(NEXT) | instid1(VALU_DEP_2)
	v_perm_b32 v154, v154, v155, 0xc0c0500
	v_or_b32_e32 v157, v182, v157
	v_and_b32_e32 v182, 0xff, v180
	s_delay_alu instid0(VALU_DEP_3) | instskip(NEXT) | instid1(VALU_DEP_3)
	v_dot4_i32_iu8 v154, v149, v154, v201 neg_lo:[1,1,0]
	v_perm_b32 v155, v157, v158, 0xc0c0500
	s_delay_alu instid0(VALU_DEP_3) | instskip(SKIP_1) | instid1(VALU_DEP_3)
	v_or_b32_e32 v161, v182, v161
	v_lshrrev_b32_e32 v158, 16, v206
	v_dot4_i32_iu8 v155, v149, v155, v220 neg_lo:[1,1,0]
	s_delay_alu instid0(VALU_DEP_3) | instskip(SKIP_1) | instid1(VALU_DEP_2)
	v_perm_b32 v157, v161, v180, 0xc0c0500
	v_lshrrev_b32_e32 v161, 24, v176
	v_dot4_i32_iu8 v149, v149, v157, v156 neg_lo:[1,1,0]
	v_lshrrev_b32_e32 v156, 16, v207
	v_lshrrev_b32_e32 v157, 16, v205
	s_delay_alu instid0(VALU_DEP_1) | instskip(SKIP_1) | instid1(VALU_DEP_2)
	v_sub_nc_u16 v156, v156, v157
	v_lshrrev_b32_e32 v157, 16, v208
	v_bfe_i32 v156, v156, 0, 8
	s_delay_alu instid0(VALU_DEP_2) | instskip(SKIP_1) | instid1(VALU_DEP_3)
	v_sub_nc_u16 v157, v157, v158
	v_lshrrev_b32_e32 v158, 16, v172
	v_mul_i32_i24_e32 v148, v156, v148
	s_delay_alu instid0(VALU_DEP_3) | instskip(SKIP_1) | instid1(VALU_DEP_2)
	v_bfe_i32 v156, v157, 0, 8
	v_lshrrev_b32_e32 v157, 24, v206
	v_mul_i32_i24_e32 v150, v156, v150
	v_lshrrev_b32_e32 v156, 24, v205
	s_delay_alu instid0(VALU_DEP_2) | instskip(SKIP_1) | instid1(VALU_DEP_1)
	v_add3_u32 v148, v202, v148, v150
	v_bfe_u32 v150, v203, 24, 2
	v_sub_nc_u16 v150, v150, v156
	v_bfe_u32 v156, v204, 24, 2
	s_delay_alu instid0(VALU_DEP_2) | instskip(NEXT) | instid1(VALU_DEP_2)
	v_bfe_i32 v150, v150, 0, 16
	v_sub_nc_u16 v156, v156, v157
	v_lshrrev_b32_e32 v157, 24, v172
	s_delay_alu instid0(VALU_DEP_3) | instskip(NEXT) | instid1(VALU_DEP_3)
	v_mul_i32_i24_e32 v146, v150, v146
	v_bfe_i32 v150, v156, 0, 16
	v_lshrrev_b32_e32 v156, 16, v168
	s_delay_alu instid0(VALU_DEP_2) | instskip(SKIP_2) | instid1(VALU_DEP_3)
	v_mul_i32_i24_e32 v147, v150, v147
	v_lshrrev_b32_e32 v150, 24, v168
	v_lshrrev_b32_e32 v168, 16, v176
	v_add3_u32 v146, v199, v146, v147
	v_bfe_u32 v147, v170, 24, 2
	s_delay_alu instid0(VALU_DEP_1) | instskip(SKIP_1) | instid1(VALU_DEP_2)
	v_sub_nc_u16 v147, v147, v150
	v_lshrrev_b32_e32 v150, 16, v210
	v_lshlrev_b16 v147, 8, v147
	s_delay_alu instid0(VALU_DEP_2) | instskip(SKIP_1) | instid1(VALU_DEP_1)
	v_sub_nc_u16 v150, v150, v156
	v_bfe_u32 v156, v174, 24, 2
	v_sub_nc_u16 v156, v156, v157
	v_lshrrev_b32_e32 v157, 16, v211
	s_delay_alu instid0(VALU_DEP_2) | instskip(NEXT) | instid1(VALU_DEP_2)
	v_lshlrev_b16 v156, 8, v156
	v_sub_nc_u16 v157, v157, v158
	v_bfe_u32 v158, v178, 24, 2
	s_delay_alu instid0(VALU_DEP_1) | instskip(SKIP_1) | instid1(VALU_DEP_2)
	v_sub_nc_u16 v158, v158, v161
	v_lshrrev_b32_e32 v161, 16, v213
	v_lshlrev_b16 v158, 8, v158
	s_delay_alu instid0(VALU_DEP_2) | instskip(SKIP_1) | instid1(VALU_DEP_1)
	v_sub_nc_u16 v161, v161, v168
	v_and_b32_e32 v168, 0xff, v150
	v_or_b32_e32 v147, v168, v147
	v_and_b32_e32 v168, 0xff, v157
	s_delay_alu instid0(VALU_DEP_2) | instskip(NEXT) | instid1(VALU_DEP_2)
	v_perm_b32 v147, v147, v150, 0xc0c0500
	v_or_b32_e32 v156, v168, v156
	v_and_b32_e32 v168, 0xff, v161
	s_delay_alu instid0(VALU_DEP_3) | instskip(NEXT) | instid1(VALU_DEP_3)
	v_dot4_i32_iu8 v147, v145, v147, v214 neg_lo:[1,1,0]
	v_perm_b32 v150, v156, v157, 0xc0c0500
	s_delay_alu instid0(VALU_DEP_3) | instskip(SKIP_1) | instid1(VALU_DEP_3)
	v_or_b32_e32 v158, v168, v158
	v_lshrrev_b16 v157, 8, v193
	v_dot4_i32_iu8 v150, v145, v150, v215 neg_lo:[1,1,0]
	s_delay_alu instid0(VALU_DEP_3) | instskip(SKIP_2) | instid1(VALU_DEP_3)
	v_perm_b32 v156, v158, v161, 0xc0c0500
	v_ashrrev_i32_e32 v158, s20, v187
	v_ashrrev_i32_e32 v161, s25, v185
	v_dot4_i32_iu8 v145, v145, v156, v216 neg_lo:[1,1,0]
	v_lshrrev_b16 v156, 8, v195
	s_delay_alu instid0(VALU_DEP_4) | instskip(NEXT) | instid1(VALU_DEP_2)
	v_lshlrev_b32_e32 v158, 2, v158
	v_sub_nc_u16 v156, v156, v157
	v_ashrrev_i32_e32 v157, s20, v181
	s_delay_alu instid0(VALU_DEP_3) | instskip(NEXT) | instid1(VALU_DEP_3)
	v_and_b32_e32 v158, 0x4040404, v158
	v_bfe_i32 v156, v156, 0, 16
	s_delay_alu instid0(VALU_DEP_3) | instskip(NEXT) | instid1(VALU_DEP_2)
	v_lshlrev_b32_e32 v157, 2, v157
	v_mul_i32_i24_e32 v144, v156, v144
	v_ashrrev_i32_e32 v156, s20, v160
	v_ashrrev_i32_e32 v160, s25, v183
	s_delay_alu instid0(VALU_DEP_4) | instskip(NEXT) | instid1(VALU_DEP_4)
	v_and_b32_e32 v157, 0x4040404, v157
	v_add3_u32 v144, v217, v144, v153
	v_ashrrev_i32_e32 v153, s25, v162
	v_lshlrev_b32_e32 v156, 2, v156
	s_delay_alu instid0(VALU_DEP_3) | instskip(NEXT) | instid1(VALU_DEP_3)
	v_add3_u32 v144, v196, v152, v144
	v_and_b32_e32 v162, 0x3030303, v153
	s_delay_alu instid0(VALU_DEP_3) | instskip(NEXT) | instid1(VALU_DEP_1)
	v_and_b32_e32 v156, 0x4040404, v156
	v_sub_nc_u16 v168, v162, v156
	v_lshrrev_b32_e32 v152, 24, v156
	s_delay_alu instid0(VALU_DEP_2) | instskip(NEXT) | instid1(VALU_DEP_1)
	v_bfe_i32 v168, v168, 0, 8
	v_mad_i32_i24 v154, v143, v168, v154
	v_and_b32_e32 v168, 0x3030303, v160
	s_delay_alu instid0(VALU_DEP_1) | instskip(NEXT) | instid1(VALU_DEP_1)
	v_sub_nc_u16 v170, v168, v157
	v_bfe_i32 v170, v170, 0, 8
	s_delay_alu instid0(VALU_DEP_1) | instskip(SKIP_2) | instid1(VALU_DEP_2)
	v_mad_i32_i24 v155, v143, v170, v155
	v_and_b32_e32 v170, 0x3030303, v161
	v_bfe_u32 v161, v161, 24, 2
	v_sub_nc_u16 v172, v170, v158
	s_delay_alu instid0(VALU_DEP_1) | instskip(NEXT) | instid1(VALU_DEP_1)
	v_bfe_i32 v172, v172, 0, 8
	v_mad_i32_i24 v143, v143, v172, v149
	v_lshrrev_b16 v149, 8, v208
	v_lshrrev_b16 v172, 8, v206
	s_delay_alu instid0(VALU_DEP_1) | instskip(SKIP_1) | instid1(VALU_DEP_2)
	v_sub_nc_u16 v149, v149, v172
	v_ashrrev_i32_e32 v172, s25, v179
	v_bfe_i32 v149, v149, 0, 16
	s_delay_alu instid0(VALU_DEP_1) | instskip(SKIP_2) | instid1(VALU_DEP_3)
	v_mul_i32_i24_e32 v141, v149, v141
	v_ashrrev_i32_e32 v149, s20, v169
	v_ashrrev_i32_e32 v169, s20, v177
	v_add3_u32 v141, v151, v141, v146
	v_ashrrev_i32_e32 v146, s25, v171
	s_delay_alu instid0(VALU_DEP_4)
	v_lshlrev_b32_e32 v149, 2, v149
	v_ashrrev_i32_e32 v151, s20, v173
	v_ashrrev_i32_e32 v171, s25, v175
	v_lshlrev_b32_e32 v169, 2, v169
	v_and_b32_e32 v173, 0x3030303, v146
	v_and_b32_e32 v149, 0x4040404, v149
	v_lshlrev_b32_e32 v151, 2, v151
	v_add3_u32 v148, v209, v148, v141
	v_and_b32_e32 v169, 0x4040404, v169
	s_delay_alu instid0(VALU_DEP_4) | instskip(NEXT) | instid1(VALU_DEP_4)
	v_sub_nc_u16 v174, v173, v149
	v_and_b32_e32 v151, 0x4040404, v151
	v_lshrrev_b32_e32 v141, 24, v149
	s_delay_alu instid0(VALU_DEP_3) | instskip(NEXT) | instid1(VALU_DEP_1)
	v_bfe_i32 v174, v174, 0, 8
	v_mad_i32_i24 v147, v142, v174, v147
	v_and_b32_e32 v174, 0x3030303, v171
	s_delay_alu instid0(VALU_DEP_1) | instskip(NEXT) | instid1(VALU_DEP_1)
	v_sub_nc_u16 v175, v174, v151
	v_bfe_i32 v175, v175, 0, 8
	s_delay_alu instid0(VALU_DEP_1) | instskip(SKIP_1) | instid1(VALU_DEP_1)
	v_mad_i32_i24 v150, v142, v175, v150
	v_and_b32_e32 v175, 0x3030303, v172
	v_sub_nc_u16 v176, v175, v169
	s_delay_alu instid0(VALU_DEP_1) | instskip(NEXT) | instid1(VALU_DEP_1)
	v_bfe_i32 v176, v176, 0, 8
	v_mad_i32_i24 v142, v142, v176, v145
	v_bfe_u32 v145, v153, 24, 2
	v_lshrrev_b32_e32 v153, 16, v156
	v_lshrrev_b16 v156, 8, v156
	s_delay_alu instid0(VALU_DEP_3) | instskip(SKIP_1) | instid1(VALU_DEP_2)
	v_sub_nc_u16 v145, v145, v152
	v_lshrrev_b32_e32 v152, 16, v162
	v_lshlrev_b16 v145, 8, v145
	s_delay_alu instid0(VALU_DEP_2) | instskip(SKIP_2) | instid1(VALU_DEP_2)
	v_sub_nc_u16 v152, v152, v153
	v_lshrrev_b16 v153, 8, v162
	v_lshrrev_b32_e32 v162, 16, v157
	v_sub_nc_u16 v153, v153, v156
	v_bfe_u32 v156, v160, 24, 2
	v_lshrrev_b32_e32 v160, 24, v157
	v_lshrrev_b16 v157, 8, v157
	s_delay_alu instid0(VALU_DEP_4) | instskip(NEXT) | instid1(VALU_DEP_3)
	v_lshlrev_b16 v153, 8, v153
	v_sub_nc_u16 v156, v156, v160
	v_lshrrev_b32_e32 v160, 16, v168
	s_delay_alu instid0(VALU_DEP_3) | instskip(NEXT) | instid1(VALU_DEP_3)
	v_perm_b32 v153, v153, v153, 0xc0c0c01
	v_lshlrev_b16 v156, 8, v156
	s_delay_alu instid0(VALU_DEP_3) | instskip(SKIP_2) | instid1(VALU_DEP_2)
	v_sub_nc_u16 v160, v160, v162
	v_lshrrev_b16 v162, 8, v168
	v_lshrrev_b32_e32 v168, 16, v158
	v_sub_nc_u16 v157, v162, v157
	v_lshrrev_b32_e32 v162, 24, v158
	v_lshrrev_b16 v158, 8, v158
	s_delay_alu instid0(VALU_DEP_2) | instskip(SKIP_1) | instid1(VALU_DEP_2)
	v_sub_nc_u16 v161, v161, v162
	v_lshrrev_b32_e32 v162, 16, v170
	v_lshlrev_b16 v161, 8, v161
	s_delay_alu instid0(VALU_DEP_2) | instskip(SKIP_1) | instid1(VALU_DEP_1)
	v_sub_nc_u16 v162, v162, v168
	v_lshrrev_b16 v168, 8, v170
	v_sub_nc_u16 v158, v168, v158
	v_and_b32_e32 v168, 0xff, v152
	s_delay_alu instid0(VALU_DEP_1) | instskip(SKIP_1) | instid1(VALU_DEP_2)
	v_or_b32_e32 v145, v168, v145
	v_and_b32_e32 v168, 0xff, v160
	v_perm_b32 v145, v145, v152, 0xc05000c
	s_delay_alu instid0(VALU_DEP_2) | instskip(SKIP_1) | instid1(VALU_DEP_3)
	v_or_b32_e32 v156, v168, v156
	v_and_b32_e32 v168, 0xff, v162
	v_or_b32_e32 v145, v145, v153
	v_lshlrev_b16 v153, 8, v157
	s_delay_alu instid0(VALU_DEP_4) | instskip(NEXT) | instid1(VALU_DEP_4)
	v_perm_b32 v152, v156, v160, 0xc05000c
	v_or_b32_e32 v161, v168, v161
	v_lshrrev_b16 v157, 8, v169
	v_dot4_i32_iu8 v145, v139, v145, v154 neg_lo:[1,1,0]
	v_perm_b32 v153, v153, v153, 0xc0c0c01
	v_lshrrev_b32_e32 v154, 16, v151
	v_perm_b32 v156, v161, v162, 0xc05000c
	s_delay_alu instid0(VALU_DEP_3) | instskip(SKIP_1) | instid1(VALU_DEP_2)
	v_or_b32_e32 v152, v152, v153
	v_lshlrev_b16 v153, 8, v158
	v_dot4_i32_iu8 v152, v139, v152, v155 neg_lo:[1,1,0]
	s_delay_alu instid0(VALU_DEP_2) | instskip(SKIP_1) | instid1(VALU_DEP_2)
	v_perm_b32 v153, v153, v153, 0xc0c0c01
	v_lshrrev_b32_e32 v155, 24, v169
	v_or_b32_e32 v153, v156, v153
	v_lshrrev_b32_e32 v156, 16, v169
	s_delay_alu instid0(VALU_DEP_2)
	v_dot4_i32_iu8 v143, v139, v153, v143 neg_lo:[1,1,0]
	v_bfe_u32 v139, v146, 24, 2
	v_lshrrev_b32_e32 v146, 16, v149
	v_lshrrev_b16 v149, 8, v149
	v_lshrrev_b32_e32 v153, 24, v151
	v_lshrrev_b16 v151, 8, v151
	v_sub_nc_u16 v139, v139, v141
	v_lshrrev_b32_e32 v141, 16, v173
	s_delay_alu instid0(VALU_DEP_2) | instskip(NEXT) | instid1(VALU_DEP_2)
	v_lshlrev_b16 v139, 8, v139
	v_sub_nc_u16 v141, v141, v146
	v_lshrrev_b16 v146, 8, v173
	s_delay_alu instid0(VALU_DEP_1) | instskip(SKIP_1) | instid1(VALU_DEP_2)
	v_sub_nc_u16 v146, v146, v149
	v_bfe_u32 v149, v171, 24, 2
	v_lshlrev_b16 v146, 8, v146
	s_delay_alu instid0(VALU_DEP_2) | instskip(SKIP_1) | instid1(VALU_DEP_3)
	v_sub_nc_u16 v149, v149, v153
	v_lshrrev_b32_e32 v153, 16, v174
	v_perm_b32 v146, v146, v146, 0xc0c0c01
	s_delay_alu instid0(VALU_DEP_3) | instskip(NEXT) | instid1(VALU_DEP_3)
	v_lshlrev_b16 v149, 8, v149
	v_sub_nc_u16 v153, v153, v154
	v_lshrrev_b16 v154, 8, v174
	s_delay_alu instid0(VALU_DEP_1) | instskip(SKIP_1) | instid1(VALU_DEP_1)
	v_sub_nc_u16 v151, v154, v151
	v_bfe_u32 v154, v172, 24, 2
	v_sub_nc_u16 v154, v154, v155
	v_lshrrev_b32_e32 v155, 16, v175
	s_delay_alu instid0(VALU_DEP_2) | instskip(NEXT) | instid1(VALU_DEP_2)
	v_lshlrev_b16 v154, 8, v154
	v_sub_nc_u16 v155, v155, v156
	v_lshrrev_b16 v156, 8, v175
	s_delay_alu instid0(VALU_DEP_1) | instskip(SKIP_1) | instid1(VALU_DEP_1)
	v_sub_nc_u16 v156, v156, v157
	v_and_b32_e32 v157, 0xff, v141
	v_or_b32_e32 v139, v157, v139
	v_and_b32_e32 v157, 0xff, v153
	s_delay_alu instid0(VALU_DEP_2) | instskip(NEXT) | instid1(VALU_DEP_2)
	v_perm_b32 v139, v139, v141, 0xc05000c
	v_or_b32_e32 v149, v157, v149
	v_and_b32_e32 v157, 0xff, v155
	s_delay_alu instid0(VALU_DEP_3) | instskip(SKIP_1) | instid1(VALU_DEP_4)
	v_or_b32_e32 v139, v139, v146
	v_lshlrev_b16 v146, 8, v151
	v_perm_b32 v141, v149, v153, 0xc05000c
	s_delay_alu instid0(VALU_DEP_4) | instskip(NEXT) | instid1(VALU_DEP_4)
	v_or_b32_e32 v154, v157, v154
	v_dot4_i32_iu8 v147, v138, v139, v147 neg_lo:[1,1,0]
	s_delay_alu instid0(VALU_DEP_4) | instskip(NEXT) | instid1(VALU_DEP_3)
	v_perm_b32 v146, v146, v146, 0xc0c0c01
	v_perm_b32 v149, v154, v155, 0xc05000c
	s_delay_alu instid0(VALU_DEP_2) | instskip(SKIP_1) | instid1(VALU_DEP_1)
	v_or_b32_e32 v141, v141, v146
	v_lshlrev_b16 v146, 8, v156
	v_perm_b32 v146, v146, v146, 0xc0c0c01
	s_delay_alu instid0(VALU_DEP_1) | instskip(NEXT) | instid1(VALU_DEP_4)
	v_or_b32_e32 v146, v149, v146
	v_dot4_i32_iu8 v149, v138, v141, v150 neg_lo:[1,1,0]
	s_delay_alu instid0(VALU_DEP_2) | instskip(SKIP_2) | instid1(VALU_DEP_2)
	v_dot4_i32_iu8 v142, v138, v146, v142 neg_lo:[1,1,0]
	v_and_b32_e32 v146, 0x3030303, v13
	v_bfe_u32 v13, v13, 24, 2
	v_sub_nc_u16 v138, v146, v11
	s_delay_alu instid0(VALU_DEP_1) | instskip(NEXT) | instid1(VALU_DEP_1)
	v_bfe_i32 v138, v138, 0, 8
	v_mad_i32_i24 v145, v137, v138, v145
	v_add_nc_u32_e32 v138, 0x1088, v140
	ds_load_2addr_b32 v[138:139], v138 offset1:1
	s_wait_dscnt 0x0
	v_ashrrev_i32_e32 v138, s25, v138
	s_delay_alu instid0(VALU_DEP_1) | instskip(SKIP_1) | instid1(VALU_DEP_2)
	v_and_b32_e32 v150, 0x3030303, v138
	v_bfe_u32 v138, v138, 24, 2
	v_sub_nc_u16 v140, v150, v15
	s_delay_alu instid0(VALU_DEP_1) | instskip(NEXT) | instid1(VALU_DEP_1)
	v_bfe_i32 v140, v140, 0, 8
	v_mad_i32_i24 v151, v137, v140, v152
	v_and_b32_e32 v152, 0x3030303, v21
	ds_load_2addr_b32 v[140:141], v212 offset0:6 offset1:7
	v_bfe_u32 v21, v21, 24, 2
	v_sub_nc_u16 v153, v152, v19
	s_delay_alu instid0(VALU_DEP_1) | instskip(NEXT) | instid1(VALU_DEP_1)
	v_bfe_i32 v153, v153, 0, 8
	v_mad_i32_i24 v137, v137, v153, v143
	v_and_b32_e32 v143, 0x3030303, v5
	v_bfe_u32 v5, v5, 24, 2
	s_delay_alu instid0(VALU_DEP_2) | instskip(SKIP_2) | instid1(VALU_DEP_2)
	v_sub_nc_u16 v153, v143, v0
	s_wait_dscnt 0x0
	v_ashrrev_i32_e32 v140, s20, v140
	v_bfe_i32 v153, v153, 0, 8
	s_delay_alu instid0(VALU_DEP_2) | instskip(NEXT) | instid1(VALU_DEP_2)
	v_lshlrev_b32_e32 v140, 2, v140
	v_mad_i32_i24 v147, v136, v153, v147
	v_and_b32_e32 v153, 0x3030303, v9
	s_delay_alu instid0(VALU_DEP_3) | instskip(SKIP_1) | instid1(VALU_DEP_3)
	v_and_b32_e32 v140, 0x4040404, v140
	v_bfe_u32 v9, v9, 24, 2
	v_sub_nc_u16 v154, v153, v7
	s_delay_alu instid0(VALU_DEP_1) | instskip(NEXT) | instid1(VALU_DEP_1)
	v_bfe_i32 v154, v154, 0, 8
	v_mad_i32_i24 v149, v136, v154, v149
	v_and_b32_e32 v154, 0x3030303, v17
	v_bfe_u32 v17, v17, 24, 2
	s_delay_alu instid0(VALU_DEP_2) | instskip(NEXT) | instid1(VALU_DEP_1)
	v_sub_nc_u16 v155, v154, v140
	v_bfe_i32 v155, v155, 0, 8
	s_delay_alu instid0(VALU_DEP_1) | instskip(SKIP_3) | instid1(VALU_DEP_3)
	v_mad_i32_i24 v136, v136, v155, v142
	v_lshrrev_b32_e32 v142, 24, v11
	v_lshrrev_b32_e32 v155, 16, v11
	v_lshrrev_b16 v11, 8, v11
	v_sub_nc_u16 v13, v13, v142
	v_lshrrev_b32_e32 v142, 16, v146
	v_lshrrev_b16 v146, 8, v146
	s_delay_alu instid0(VALU_DEP_3) | instskip(NEXT) | instid1(VALU_DEP_3)
	v_lshlrev_b16 v13, 8, v13
	v_sub_nc_u16 v142, v142, v155
	s_delay_alu instid0(VALU_DEP_3) | instskip(SKIP_3) | instid1(VALU_DEP_4)
	v_sub_nc_u16 v11, v146, v11
	v_lshrrev_b32_e32 v146, 24, v19
	v_lshrrev_b32_e32 v155, 16, v19
	v_lshrrev_b16 v19, 8, v19
	v_lshlrev_b16 v11, 8, v11
	s_delay_alu instid0(VALU_DEP_4) | instskip(SKIP_2) | instid1(VALU_DEP_4)
	v_sub_nc_u16 v21, v21, v146
	v_lshrrev_b32_e32 v146, 16, v152
	v_lshrrev_b16 v152, 8, v152
	v_perm_b32 v11, v11, v11, 0xc0c0c01
	s_delay_alu instid0(VALU_DEP_4) | instskip(NEXT) | instid1(VALU_DEP_4)
	v_lshlrev_b16 v21, 8, v21
	v_sub_nc_u16 v146, v146, v155
	s_delay_alu instid0(VALU_DEP_4) | instskip(SKIP_3) | instid1(VALU_DEP_3)
	v_sub_nc_u16 v19, v152, v19
	v_lshrrev_b32_e32 v152, 24, v15
	v_lshrrev_b32_e32 v155, 16, v15
	v_lshrrev_b16 v15, 8, v15
	v_sub_nc_u16 v138, v138, v152
	v_lshrrev_b32_e32 v152, 16, v150
	v_lshrrev_b16 v150, 8, v150
	s_delay_alu instid0(VALU_DEP_3) | instskip(NEXT) | instid1(VALU_DEP_3)
	v_lshlrev_b16 v138, 8, v138
	v_sub_nc_u16 v152, v152, v155
	s_delay_alu instid0(VALU_DEP_3) | instskip(SKIP_1) | instid1(VALU_DEP_2)
	v_sub_nc_u16 v15, v150, v15
	v_and_b32_e32 v150, 0xff, v142
	v_lshlrev_b16 v15, 8, v15
	s_delay_alu instid0(VALU_DEP_2) | instskip(SKIP_1) | instid1(VALU_DEP_3)
	v_or_b32_e32 v13, v150, v13
	v_and_b32_e32 v150, 0xff, v146
	v_perm_b32 v15, v15, v15, 0xc0c0c01
	s_delay_alu instid0(VALU_DEP_3) | instskip(NEXT) | instid1(VALU_DEP_3)
	v_perm_b32 v13, v13, v142, 0xc05000c
	v_or_b32_e32 v21, v150, v21
	v_and_b32_e32 v150, 0xff, v152
	s_delay_alu instid0(VALU_DEP_3) | instskip(SKIP_1) | instid1(VALU_DEP_4)
	v_or_b32_e32 v11, v13, v11
	v_lshlrev_b16 v13, 8, v19
	v_perm_b32 v21, v21, v146, 0xc05000c
	v_lshrrev_b32_e32 v19, 24, v0
	v_or_b32_e32 v138, v150, v138
	v_dot4_i32_iu8 v11, v135, v11, v145 neg_lo:[1,1,0]
	v_perm_b32 v13, v13, v13, 0xc0c0c01
	s_delay_alu instid0(VALU_DEP_4) | instskip(SKIP_2) | instid1(VALU_DEP_4)
	v_sub_nc_u16 v5, v5, v19
	v_lshrrev_b32_e32 v19, 16, v143
	v_perm_b32 v138, v138, v152, 0xc05000c
	v_or_b32_e32 v13, v21, v13
	v_lshrrev_b32_e32 v21, 16, v0
	v_lshrrev_b16 v0, 8, v0
	v_lshlrev_b16 v5, 8, v5
	v_or_b32_e32 v15, v138, v15
	v_dot4_i32_iu8 v13, v135, v13, v137 neg_lo:[1,1,0]
	v_sub_nc_u16 v19, v19, v21
	v_lshrrev_b16 v21, 8, v143
	v_lshrrev_b32_e32 v137, 16, v140
	v_dot4_i32_iu8 v15, v135, v15, v151 neg_lo:[1,1,0]
	v_lshrrev_b32_e32 v135, 16, v7
	v_lshrrev_b16 v138, 8, v140
	v_sub_nc_u16 v0, v21, v0
	v_lshrrev_b32_e32 v21, 24, v7
	v_lshrrev_b16 v7, 8, v7
	s_delay_alu instid0(VALU_DEP_3) | instskip(NEXT) | instid1(VALU_DEP_3)
	v_lshlrev_b16 v0, 8, v0
	v_sub_nc_u16 v9, v9, v21
	v_lshrrev_b32_e32 v21, 16, v153
	s_delay_alu instid0(VALU_DEP_3) | instskip(NEXT) | instid1(VALU_DEP_3)
	v_perm_b32 v0, v0, v0, 0xc0c0c01
	v_lshlrev_b16 v9, 8, v9
	s_delay_alu instid0(VALU_DEP_3) | instskip(SKIP_1) | instid1(VALU_DEP_1)
	v_sub_nc_u16 v21, v21, v135
	v_lshrrev_b16 v135, 8, v153
	v_sub_nc_u16 v7, v135, v7
	v_lshrrev_b32_e32 v135, 24, v140
	s_delay_alu instid0(VALU_DEP_1) | instskip(SKIP_1) | instid1(VALU_DEP_2)
	v_sub_nc_u16 v17, v17, v135
	v_lshrrev_b32_e32 v135, 16, v154
	v_lshlrev_b16 v17, 8, v17
	s_delay_alu instid0(VALU_DEP_2) | instskip(SKIP_1) | instid1(VALU_DEP_1)
	v_sub_nc_u16 v135, v135, v137
	v_lshrrev_b16 v137, 8, v154
	v_sub_nc_u16 v137, v137, v138
	v_and_b32_e32 v138, 0xff, v19
	s_delay_alu instid0(VALU_DEP_1) | instskip(SKIP_1) | instid1(VALU_DEP_2)
	v_or_b32_e32 v5, v138, v5
	v_and_b32_e32 v138, 0xff, v21
	v_perm_b32 v5, v5, v19, 0xc05000c
	s_delay_alu instid0(VALU_DEP_2) | instskip(SKIP_1) | instid1(VALU_DEP_3)
	v_or_b32_e32 v9, v138, v9
	v_and_b32_e32 v138, 0xff, v135
	v_or_b32_e32 v0, v5, v0
	v_lshlrev_b16 v5, 8, v7
	s_delay_alu instid0(VALU_DEP_3) | instskip(SKIP_2) | instid1(VALU_DEP_4)
	v_or_b32_e32 v17, v138, v17
	v_lshlrev_b16 v7, 8, v137
	v_perm_b32 v9, v9, v21, 0xc05000c
	v_perm_b32 v5, v5, v5, 0xc0c0c01
	s_delay_alu instid0(VALU_DEP_4) | instskip(NEXT) | instid1(VALU_DEP_4)
	v_perm_b32 v17, v17, v135, 0xc05000c
	v_perm_b32 v7, v7, v7, 0xc0c0c01
	s_delay_alu instid0(VALU_DEP_3) | instskip(SKIP_1) | instid1(VALU_DEP_3)
	v_or_b32_e32 v5, v9, v5
	v_dot4_i32_iu8 v9, v134, v0, v147 neg_lo:[1,1,0]
	v_or_b32_e32 v7, v17, v7
	v_lshrrev_b16 v0, 8, v167
	v_bfe_i32 v17, v167, 0, 8
	v_dot4_i32_iu8 v5, v134, v5, v149 neg_lo:[1,1,0]
	s_delay_alu instid0(VALU_DEP_4) | instskip(NEXT) | instid1(VALU_DEP_4)
	v_dot4_i32_iu8 v7, v134, v7, v136 neg_lo:[1,1,0]
	v_bfe_i32 v19, v0, 0, 8
	s_delay_alu instid0(VALU_DEP_4) | instskip(SKIP_1) | instid1(VALU_DEP_2)
	v_mul_lo_u32 v0, v148, v17
	v_ashrrev_i32_e32 v17, s25, v139
	v_mad_co_u64_u32 v[134:135], null, v144, v19, v[0:1]
	v_ashrrev_i32_e32 v0, s25, v14
	v_ashrrev_i32_e32 v14, s20, v20
	;; [unrolled: 1-line block ×4, first 2 shown]
	s_delay_alu instid0(VALU_DEP_4) | instskip(NEXT) | instid1(VALU_DEP_4)
	v_and_b32_e32 v20, 0x3030303, v0
	v_lshlrev_b32_e32 v14, 2, v14
	v_bfe_u32 v0, v0, 24, 2
	s_delay_alu instid0(VALU_DEP_4) | instskip(NEXT) | instid1(VALU_DEP_4)
	v_lshlrev_b32_e32 v1, 2, v1
	v_sub_nc_u16 v21, v20, v12
	s_delay_alu instid0(VALU_DEP_4) | instskip(NEXT) | instid1(VALU_DEP_3)
	v_and_b32_e32 v14, 0x4040404, v14
	v_and_b32_e32 v1, 0x4040404, v1
	s_delay_alu instid0(VALU_DEP_3) | instskip(NEXT) | instid1(VALU_DEP_1)
	v_bfe_i32 v21, v21, 0, 8
	v_mad_i32_i24 v11, v133, v21, v11
	v_and_b32_e32 v21, 0x3030303, v17
	v_bfe_u32 v17, v17, 24, 2
	s_delay_alu instid0(VALU_DEP_2) | instskip(NEXT) | instid1(VALU_DEP_1)
	v_sub_nc_u16 v22, v21, v16
	v_bfe_i32 v22, v22, 0, 8
	s_delay_alu instid0(VALU_DEP_1) | instskip(SKIP_2) | instid1(VALU_DEP_2)
	v_mad_i32_i24 v15, v133, v22, v15
	v_and_b32_e32 v22, 0x3030303, v19
	v_bfe_u32 v19, v19, 24, 2
	v_sub_nc_u16 v135, v22, v14
	s_delay_alu instid0(VALU_DEP_1) | instskip(NEXT) | instid1(VALU_DEP_1)
	v_bfe_i32 v135, v135, 0, 8
	v_mad_i32_i24 v13, v133, v135, v13
	v_and_b32_e32 v135, 0x3030303, v6
	v_ashrrev_i32_e32 v133, s20, v141
	v_bfe_u32 v6, v6, 24, 2
	s_add_co_i32 s20, s20, 1
	s_cmp_lt_u32 s22, 14
	v_sub_nc_u16 v136, v135, v1
	v_lshlrev_b32_e32 v133, 2, v133
	s_delay_alu instid0(VALU_DEP_2) | instskip(NEXT) | instid1(VALU_DEP_2)
	v_bfe_i32 v136, v136, 0, 8
	v_and_b32_e32 v133, 0x4040404, v133
	s_delay_alu instid0(VALU_DEP_2) | instskip(SKIP_2) | instid1(VALU_DEP_2)
	v_mad_i32_i24 v9, v132, v136, v9
	v_and_b32_e32 v136, 0x3030303, v10
	v_bfe_u32 v10, v10, 24, 2
	v_sub_nc_u16 v137, v136, v8
	s_delay_alu instid0(VALU_DEP_1) | instskip(NEXT) | instid1(VALU_DEP_1)
	v_bfe_i32 v137, v137, 0, 8
	v_mad_i32_i24 v5, v132, v137, v5
	v_and_b32_e32 v137, 0x3030303, v18
	s_delay_alu instid0(VALU_DEP_1) | instskip(NEXT) | instid1(VALU_DEP_1)
	v_sub_nc_u16 v138, v137, v133
	v_bfe_i32 v138, v138, 0, 8
	s_delay_alu instid0(VALU_DEP_1) | instskip(SKIP_3) | instid1(VALU_DEP_3)
	v_mad_i32_i24 v7, v132, v138, v7
	v_lshrrev_b32_e32 v132, 24, v12
	v_lshrrev_b32_e32 v138, 16, v12
	v_lshrrev_b16 v12, 8, v12
	v_sub_nc_u16 v0, v0, v132
	v_lshrrev_b32_e32 v132, 16, v20
	v_lshrrev_b16 v20, 8, v20
	s_delay_alu instid0(VALU_DEP_3) | instskip(NEXT) | instid1(VALU_DEP_3)
	v_lshlrev_b16 v0, 8, v0
	v_sub_nc_u16 v132, v132, v138
	s_delay_alu instid0(VALU_DEP_3) | instskip(SKIP_3) | instid1(VALU_DEP_4)
	v_sub_nc_u16 v12, v20, v12
	v_lshrrev_b32_e32 v20, 24, v14
	v_lshrrev_b32_e32 v138, 16, v14
	v_lshrrev_b16 v14, 8, v14
	v_lshlrev_b16 v12, 8, v12
	s_delay_alu instid0(VALU_DEP_4) | instskip(SKIP_2) | instid1(VALU_DEP_4)
	v_sub_nc_u16 v19, v19, v20
	v_lshrrev_b32_e32 v20, 16, v22
	v_lshrrev_b16 v22, 8, v22
	v_perm_b32 v12, v12, v12, 0xc0c0c01
	s_delay_alu instid0(VALU_DEP_4) | instskip(NEXT) | instid1(VALU_DEP_4)
	v_lshlrev_b16 v19, 8, v19
	v_sub_nc_u16 v20, v20, v138
	s_delay_alu instid0(VALU_DEP_4) | instskip(SKIP_3) | instid1(VALU_DEP_3)
	v_sub_nc_u16 v14, v22, v14
	v_lshrrev_b32_e32 v22, 24, v16
	v_lshrrev_b32_e32 v138, 16, v16
	v_lshrrev_b16 v16, 8, v16
	v_sub_nc_u16 v17, v17, v22
	v_lshrrev_b32_e32 v22, 16, v21
	v_lshrrev_b16 v21, 8, v21
	s_delay_alu instid0(VALU_DEP_3) | instskip(NEXT) | instid1(VALU_DEP_3)
	v_lshlrev_b16 v17, 8, v17
	v_sub_nc_u16 v22, v22, v138
	s_delay_alu instid0(VALU_DEP_3) | instskip(SKIP_1) | instid1(VALU_DEP_1)
	v_sub_nc_u16 v16, v21, v16
	v_and_b32_e32 v21, 0xff, v132
	v_or_b32_e32 v0, v21, v0
	v_and_b32_e32 v21, 0xff, v20
	s_delay_alu instid0(VALU_DEP_2) | instskip(NEXT) | instid1(VALU_DEP_2)
	v_perm_b32 v0, v0, v132, 0xc05000c
	v_or_b32_e32 v19, v21, v19
	v_and_b32_e32 v21, 0xff, v22
	s_delay_alu instid0(VALU_DEP_3) | instskip(SKIP_1) | instid1(VALU_DEP_3)
	v_or_b32_e32 v0, v0, v12
	v_lshlrev_b16 v12, 8, v14
	v_or_b32_e32 v17, v21, v17
	v_perm_b32 v19, v19, v20, 0xc05000c
	v_lshlrev_b16 v14, 8, v16
	v_dot4_i32_iu8 v0, v131, v0, v11 neg_lo:[1,1,0]
	v_perm_b32 v12, v12, v12, 0xc0c0c01
	v_perm_b32 v17, v17, v22, 0xc05000c
	v_lshrrev_b32_e32 v16, 24, v133
	v_perm_b32 v14, v14, v14, 0xc0c0c01
	s_delay_alu instid0(VALU_DEP_4) | instskip(NEXT) | instid1(VALU_DEP_2)
	v_or_b32_e32 v12, v19, v12
	v_or_b32_e32 v14, v17, v14
	v_lshrrev_b32_e32 v17, 16, v133
	s_delay_alu instid0(VALU_DEP_3) | instskip(SKIP_1) | instid1(VALU_DEP_4)
	v_dot4_i32_iu8 v12, v131, v12, v13 neg_lo:[1,1,0]
	v_lshrrev_b32_e32 v13, 24, v1
	v_dot4_i32_iu8 v11, v131, v14, v15 neg_lo:[1,1,0]
	v_lshrrev_b32_e32 v14, 16, v1
	v_lshrrev_b16 v1, 8, v1
	s_delay_alu instid0(VALU_DEP_4) | instskip(SKIP_2) | instid1(VALU_DEP_3)
	v_sub_nc_u16 v6, v6, v13
	v_lshrrev_b32_e32 v13, 16, v135
	v_lshrrev_b32_e32 v15, 16, v8
	v_lshlrev_b16 v6, 8, v6
	s_delay_alu instid0(VALU_DEP_3) | instskip(SKIP_1) | instid1(VALU_DEP_1)
	v_sub_nc_u16 v13, v13, v14
	v_lshrrev_b16 v14, 8, v135
	v_sub_nc_u16 v1, v14, v1
	v_lshrrev_b32_e32 v14, 24, v8
	v_lshrrev_b16 v8, 8, v8
	s_delay_alu instid0(VALU_DEP_3) | instskip(NEXT) | instid1(VALU_DEP_3)
	v_lshlrev_b16 v1, 8, v1
	v_sub_nc_u16 v10, v10, v14
	v_lshrrev_b32_e32 v14, 16, v136
	s_delay_alu instid0(VALU_DEP_3) | instskip(NEXT) | instid1(VALU_DEP_3)
	v_perm_b32 v1, v1, v1, 0xc0c0c01
	v_lshlrev_b16 v10, 8, v10
	s_delay_alu instid0(VALU_DEP_3) | instskip(SKIP_1) | instid1(VALU_DEP_1)
	v_sub_nc_u16 v14, v14, v15
	v_lshrrev_b16 v15, 8, v136
	v_sub_nc_u16 v8, v15, v8
	v_bfe_u32 v15, v18, 24, 2
	v_lshrrev_b16 v18, 8, v133
	s_delay_alu instid0(VALU_DEP_2) | instskip(SKIP_1) | instid1(VALU_DEP_2)
	v_sub_nc_u16 v15, v15, v16
	v_lshrrev_b32_e32 v16, 16, v137
	v_lshlrev_b16 v15, 8, v15
	s_delay_alu instid0(VALU_DEP_2) | instskip(SKIP_1) | instid1(VALU_DEP_1)
	v_sub_nc_u16 v16, v16, v17
	v_lshrrev_b16 v17, 8, v137
	v_sub_nc_u16 v17, v17, v18
	v_and_b32_e32 v18, 0xff, v13
	s_delay_alu instid0(VALU_DEP_1) | instskip(SKIP_1) | instid1(VALU_DEP_2)
	v_or_b32_e32 v6, v18, v6
	v_and_b32_e32 v18, 0xff, v14
	v_perm_b32 v6, v6, v13, 0xc05000c
	s_delay_alu instid0(VALU_DEP_2) | instskip(SKIP_1) | instid1(VALU_DEP_3)
	v_or_b32_e32 v10, v18, v10
	v_and_b32_e32 v18, 0xff, v16
	v_or_b32_e32 v1, v6, v1
	v_lshlrev_b16 v6, 8, v8
	s_delay_alu instid0(VALU_DEP_4) | instskip(NEXT) | instid1(VALU_DEP_4)
	v_perm_b32 v10, v10, v14, 0xc05000c
	v_or_b32_e32 v15, v18, v15
	v_lshlrev_b16 v8, 8, v17
	v_dot4_i32_iu8 v1, v130, v1, v9 neg_lo:[1,1,0]
	v_perm_b32 v6, v6, v6, 0xc0c0c01
	s_delay_alu instid0(VALU_DEP_4) | instskip(NEXT) | instid1(VALU_DEP_4)
	v_perm_b32 v13, v15, v16, 0xc05000c
	v_perm_b32 v8, v8, v8, 0xc0c0c01
	s_delay_alu instid0(VALU_DEP_3) | instskip(NEXT) | instid1(VALU_DEP_2)
	v_or_b32_e32 v6, v10, v6
	v_or_b32_e32 v8, v13, v8
	s_delay_alu instid0(VALU_DEP_2) | instskip(SKIP_1) | instid1(VALU_DEP_3)
	v_dot4_i32_iu8 v5, v130, v6, v5 neg_lo:[1,1,0]
	v_add_nc_u32_e32 v6, s21, v98
	v_dot4_i32_iu8 v7, v130, v8, v7 neg_lo:[1,1,0]
	v_add_nc_u32_e32 v8, s21, v96
	s_mov_b32 s21, s22
	ds_load_u16 v6, v6 offset:25346
	ds_load_u16 v8, v8 offset:27394
	s_wait_dscnt 0x1
	v_lshrrev_b16 v9, 8, v6
	v_bfe_i32 v6, v6, 0, 8
	s_delay_alu instid0(VALU_DEP_2) | instskip(NEXT) | instid1(VALU_DEP_2)
	v_bfe_i32 v9, v9, 0, 8
	v_mul_lo_u32 v0, v0, v6
	v_bfe_i32 v6, v166, 0, 8
	s_delay_alu instid0(VALU_DEP_2) | instskip(SKIP_3) | instid1(VALU_DEP_2)
	v_mad_co_u64_u32 v[0:1], null, v1, v9, v[0:1]
	v_lshrrev_b16 v1, 8, v166
	s_wait_dscnt 0x0
	v_bfe_i32 v9, v8, 0, 8
	v_bfe_i32 v10, v1, 0, 8
	v_mul_lo_u32 v1, v11, v6
	v_cvt_f32_i32_e32 v0, v0
	s_delay_alu instid0(VALU_DEP_2) | instskip(SKIP_4) | instid1(VALU_DEP_3)
	v_mad_co_u64_u32 v[5:6], null, v5, v10, v[1:2]
	ds_load_b32 v10, v129
	v_lshrrev_b16 v6, 8, v8
	v_mul_lo_u32 v1, v12, v9
	v_add_nc_u32_e32 v129, 4, v129
	v_bfe_i32 v6, v6, 0, 8
	v_cvt_f32_i32_e32 v5, v5
	s_delay_alu instid0(VALU_DEP_2) | instskip(NEXT) | instid1(VALU_DEP_1)
	v_mad_co_u64_u32 v[6:7], null, v7, v6, v[1:2]
	v_cvt_f32_i32_e32 v6, v6
	s_wait_dscnt 0x0
	v_mul_f32_e32 v1, v10, v159
	v_mul_f32_e32 v7, v10, v165
	;; [unrolled: 1-line block ×4, first 2 shown]
	v_cvt_f32_i32_e32 v10, v134
	v_fmac_f32_e32 v25, v1, v0
	s_delay_alu instid0(VALU_DEP_4) | instskip(NEXT) | instid1(VALU_DEP_3)
	v_dual_fmac_f32 v87, v7, v5 :: v_dual_fmac_f32 v86, v8, v6
	v_fmac_f32_e32 v2, v9, v10
	s_cbranch_scc1 .LBB189_19
; %bb.20:                               ;   in Loop: Header=BB189_5 Depth=1
	s_or_b32 s1, s16, 0x100
	s_wait_loadcnt 0x0
	s_wait_alu 0xfffe
	s_cmp_ge_i32 s1, s11
	s_barrier_signal -1
	s_barrier_wait -1
	global_inv scope:SCOPE_SE
	s_cbranch_scc1 .LBB189_4
; %bb.21:                               ;   in Loop: Header=BB189_5 Depth=1
	v_add_nc_u32_e32 v0, s17, v89
	s_delay_alu instid0(VALU_DEP_1)
	v_cmp_gt_i32_e64 s1, s5, v0
	s_and_b32 s20, s0, s1
	s_wait_alu 0xfffe
	s_and_saveexec_b32 s1, s20
	s_cbranch_execz .LBB189_23
; %bb.22:                               ;   in Loop: Header=BB189_5 Depth=1
	v_add_nc_u32_e32 v0, v91, v0
	s_delay_alu instid0(VALU_DEP_1)
	v_mad_co_i64_i32 v[0:1], null, v0, 36, v[3:4]
	global_load_b32 v0, v[0:1], off offset:4
	s_wait_loadcnt 0x0
	ds_store_b32 v84, v0
.LBB189_23:                             ;   in Loop: Header=BB189_5 Depth=1
	s_wait_alu 0xfffe
	s_or_b32 exec_lo, exec_lo, s1
	s_and_saveexec_b32 s20, vcc_lo
	s_cbranch_execz .LBB189_26
; %bb.24:                               ;   in Loop: Header=BB189_5 Depth=1
	v_or_b32_e32 v0, 8, v127
	s_delay_alu instid0(VALU_DEP_1)
	v_cmp_gt_i32_e64 s1, s5, v0
	s_and_b32 s1, s0, s1
	s_wait_alu 0xfffe
	s_and_b32 exec_lo, exec_lo, s1
	s_cbranch_execz .LBB189_26
; %bb.25:                               ;   in Loop: Header=BB189_5 Depth=1
	v_ashrrev_i32_e32 v0, 31, v127
	v_add_co_u32 v1, s1, v91, v127
	s_wait_alu 0xf1ff
	s_delay_alu instid0(VALU_DEP_2) | instskip(NEXT) | instid1(VALU_DEP_2)
	v_add_co_ci_u32_e64 v5, null, v94, v0, s1
	v_mad_co_u64_u32 v[0:1], null, v1, 36, s[2:3]
	s_delay_alu instid0(VALU_DEP_1)
	v_mad_i32_i24 v1, v5, 36, v1
	global_load_b32 v0, v[0:1], off offset:288
	s_wait_loadcnt 0x0
	v_cvt_f32_f16_e32 v0, v0
	ds_store_b32 v85, v0
.LBB189_26:                             ;   in Loop: Header=BB189_5 Depth=1
	s_wait_alu 0xfffe
	s_or_b32 exec_lo, exec_lo, s20
	v_dual_mov_b32 v128, v82 :: v_dual_mov_b32 v129, v83
	s_mov_b32 s1, 16
	s_mov_b32 s21, 14
	;; [unrolled: 1-line block ×3, first 2 shown]
	s_wait_loadcnt_dscnt 0x0
	s_barrier_signal -1
	s_barrier_wait -1
	global_inv scope:SCOPE_SE
.LBB189_27:                             ;   Parent Loop BB189_5 Depth=1
                                        ; =>  This Inner Loop Header: Depth=2
	ds_load_b128 v[5:8], v128
	ds_load_b128 v[16:19], v128 offset:16
	s_wait_alu 0xfffe
	s_add_co_i32 s22, s21, 2
	s_and_b32 s26, s1, -16
	s_wait_alu 0xfffe
	s_and_b32 s25, s22, 0x3ffffff8
	s_lshr_b32 s24, s22, 4
	s_wait_alu 0xfffe
	v_lshl_add_u32 v140, s25, 2, v92
	s_lshl_b32 s23, s24, 5
	s_add_co_i32 s25, s21, -14
	s_add_co_i32 s21, s21, s26
	s_wait_alu 0xfffe
	s_addk_co_i32 s23, 0x4200
	v_add_nc_u32_e32 v0, 0x3188, v140
	v_add_nc_u32_e32 v20, s21, v93
	s_lshl_b32 s24, s24, 2
	v_add_nc_u32_e32 v22, 0x3198, v140
	s_wait_alu 0xfffe
	s_addk_co_i32 s24, 0x7380
	v_add3_u32 v180, s23, v111, v112
	v_add3_u32 v182, s23, v114, v115
	;; [unrolled: 1-line block ×3, first 2 shown]
	v_add_nc_u32_e32 v128, 32, v128
	s_wait_dscnt 0x1
	v_lshrrev_b16 v155, 8, v5
	s_wait_dscnt 0x0
	v_lshrrev_b16 v161, 8, v16
	v_lshrrev_b16 v160, 8, v17
	v_ashrrev_i32_e32 v15, 24, v16
	v_bfe_i32 v13, v16, 16, 8
	v_bfe_i32 v162, v16, 0, 8
	v_perm_b32 v145, v16, v16, 0xc0c0302
	v_ashrrev_i32_e32 v16, 24, v17
	v_bfe_i32 v14, v17, 16, 8
	v_bfe_i32 v142, v17, 0, 8
	v_perm_b32 v138, v17, v17, 0xc030201
	v_add3_u32 v17, s23, v122, v123
	v_lshrrev_b16 v152, 8, v6
	v_lshrrev_b16 v151, 8, v7
	v_lshrrev_b16 v141, 8, v8
	v_ashrrev_i32_e32 v11, 24, v5
	v_bfe_i32 v9, v5, 16, 8
	v_bfe_i32 v156, v5, 0, 8
	v_perm_b32 v149, v5, v5, 0xc0c0302
	v_ashrrev_i32_e32 v12, 24, v6
	v_bfe_i32 v10, v6, 16, 8
	v_bfe_i32 v143, v6, 0, 8
	v_perm_b32 v139, v6, v6, 0xc030201
	;; [unrolled: 4-line block ×4, first 2 shown]
	v_lshrrev_b16 v159, 8, v18
	v_lshrrev_b16 v144, 8, v19
	v_ashrrev_i32_e32 v153, 24, v18
	v_bfe_i32 v157, v18, 16, 8
	v_bfe_i32 v136, v18, 0, 8
	v_perm_b32 v134, v18, v18, 0xc030201
	v_ashrrev_i32_e32 v154, 24, v19
	v_bfe_i32 v158, v19, 16, 8
	v_bfe_i32 v132, v19, 0, 8
	v_perm_b32 v130, v19, v19, 0xc030201
	ds_load_2addr_b32 v[0:1], v0 offset1:1
	ds_load_2addr_b32 v[18:19], v17 offset0:4 offset1:5
	ds_load_2addr_b32 v[7:8], v17 offset0:6 offset1:7
	ds_load_2addr_b32 v[5:6], v17 offset0:2 offset1:3
	ds_load_u16 v167, v20 offset:28402
	s_wait_alu 0xfffe
	v_add3_u32 v20, s24, v124, v125
	v_bfe_i32 v161, v161, 0, 8
	v_bfe_i32 v160, v160, 0, 8
	;; [unrolled: 1-line block ×4, first 2 shown]
	ds_load_b32 v163, v20
	v_add_nc_u32_e32 v20, 0x3190, v140
	ds_load_2addr_b32 v[20:21], v20 offset1:1
	ds_load_2addr_b32 v[164:165], v22 offset1:1
	v_bfe_i32 v152, v152, 0, 8
	v_bfe_i32 v151, v151, 0, 8
	;; [unrolled: 1-line block ×3, first 2 shown]
	s_wait_dscnt 0x7
	v_ashrrev_i32_e32 v203, s25, v0
	s_wait_dscnt 0x6
	v_ashrrev_i32_e32 v19, s20, v19
	v_ashrrev_i32_e32 v18, s20, v18
	s_wait_dscnt 0x5
	v_ashrrev_i32_e32 v7, s20, v7
	v_ashrrev_i32_e32 v8, s20, v8
	;; [unrolled: 1-line block ×3, first 2 shown]
	v_lshlrev_b32_e32 v19, 2, v19
	v_lshlrev_b32_e32 v18, 2, v18
	;; [unrolled: 1-line block ×4, first 2 shown]
	s_wait_dscnt 0x4
	v_ashrrev_i32_e32 v5, s20, v5
	v_and_b32_e32 v19, 0x4040404, v19
	v_and_b32_e32 v18, 0x4040404, v18
	;; [unrolled: 1-line block ×4, first 2 shown]
	s_wait_dscnt 0x1
	v_ashrrev_i32_e32 v21, s25, v21
	v_ashrrev_i32_e32 v20, s25, v20
	v_lshrrev_b32_e32 v166, 24, v19
	v_lshrrev_b32_e32 v168, 24, v18
	s_wait_dscnt 0x0
	v_ashrrev_i32_e32 v190, s25, v164
	v_bfe_u32 v22, v21, 24, 2
	v_and_b32_e32 v21, 0x3030303, v21
	v_ashrrev_i32_e32 v191, s25, v165
	v_ashrrev_i32_e32 v6, s20, v6
	v_and_b32_e32 v194, 0x3030303, v190
	v_sub_nc_u16 v22, v22, v166
	v_bfe_u32 v166, v20, 24, 2
	v_and_b32_e32 v20, 0x3030303, v20
	v_and_b32_e32 v195, 0x3030303, v191
	v_sub_nc_u16 v7, v194, v192
	v_bfe_i32 v22, v22, 0, 16
	v_sub_nc_u16 v166, v166, v168
	v_and_b32_e32 v207, 0x3030303, v203
	v_sub_nc_u16 v8, v195, v193
	v_bfe_i32 v7, v7, 0, 8
	v_mul_i32_i24_e32 v16, v22, v16
	v_bfe_i32 v22, v166, 0, 16
	v_and_b32_e32 v208, 0x3030303, v204
	v_bfe_i32 v8, v8, 0, 8
	v_mul_i32_i24_e32 v7, v7, v136
	v_lshrrev_b16 v214, 8, v192
	v_mad_i32_i24 v188, v22, v15, v16
	v_lshrrev_b32_e32 v15, 16, v21
	v_lshrrev_b32_e32 v16, 16, v19
	;; [unrolled: 1-line block ×3, first 2 shown]
	v_mul_i32_i24_e32 v8, v8, v132
	v_bfe_i32 v141, v141, 0, 8
	s_add_co_i32 s1, s1, 2
	v_sub_nc_u16 v15, v15, v16
	v_lshrrev_b32_e32 v16, 16, v20
	s_delay_alu instid0(VALU_DEP_2) | instskip(NEXT) | instid1(VALU_DEP_2)
	v_bfe_i32 v15, v15, 0, 8
	v_sub_nc_u16 v16, v16, v22
	s_delay_alu instid0(VALU_DEP_2) | instskip(NEXT) | instid1(VALU_DEP_2)
	v_mul_i32_i24_e32 v14, v15, v14
	v_bfe_i32 v15, v16, 0, 8
	s_delay_alu instid0(VALU_DEP_1) | instskip(SKIP_4) | instid1(VALU_DEP_4)
	v_mad_i32_i24 v189, v15, v13, v14
	v_sub_nc_u16 v13, v21, v19
	v_sub_nc_u16 v14, v20, v18
	v_add3_u32 v15, s24, v120, v121
	v_lshrrev_b16 v18, 8, v18
	v_bfe_i32 v13, v13, 0, 8
	s_delay_alu instid0(VALU_DEP_4) | instskip(NEXT) | instid1(VALU_DEP_2)
	v_bfe_i32 v14, v14, 0, 8
	v_mul_i32_i24_e32 v13, v13, v142
	s_delay_alu instid0(VALU_DEP_1) | instskip(NEXT) | instid1(VALU_DEP_1)
	v_mad_i32_i24 v13, v14, v162, v13
	v_add3_u32 v196, v13, v7, v8
	v_add_nc_u32_e32 v13, 0x3180, v140
	ds_load_2addr_b32 v[7:8], v17 offset1:1
	ds_load_2addr_b32 v[13:14], v13 offset1:1
	ds_load_b32 v164, v15
	s_wait_dscnt 0x2
	v_ashrrev_i32_e32 v8, s20, v8
	v_ashrrev_i32_e32 v7, s20, v7
	s_wait_dscnt 0x1
	v_ashrrev_i32_e32 v14, s25, v14
	v_ashrrev_i32_e32 v13, s25, v13
	v_lshlrev_b32_e32 v8, 2, v8
	v_lshlrev_b32_e32 v7, 2, v7
	s_delay_alu instid0(VALU_DEP_4) | instskip(NEXT) | instid1(VALU_DEP_4)
	v_and_b32_e32 v200, 0x3030303, v14
	v_and_b32_e32 v201, 0x3030303, v13
	s_delay_alu instid0(VALU_DEP_4) | instskip(NEXT) | instid1(VALU_DEP_4)
	v_and_b32_e32 v197, 0x4040404, v8
	v_and_b32_e32 v198, 0x4040404, v7
	v_bfe_u32 v8, v14, 24, 2
	v_bfe_u32 v7, v13, 24, 2
	s_delay_alu instid0(VALU_DEP_4) | instskip(NEXT) | instid1(VALU_DEP_4)
	v_sub_nc_u16 v0, v200, v197
	v_sub_nc_u16 v1, v201, v198
	v_lshrrev_b32_e32 v15, 24, v197
	s_delay_alu instid0(VALU_DEP_3) | instskip(NEXT) | instid1(VALU_DEP_3)
	v_bfe_i32 v0, v0, 0, 8
	v_bfe_i32 v1, v1, 0, 8
	s_delay_alu instid0(VALU_DEP_3) | instskip(SKIP_1) | instid1(VALU_DEP_4)
	v_sub_nc_u16 v8, v8, v15
	v_lshrrev_b32_e32 v15, 24, v198
	v_mul_i32_i24_e32 v0, v0, v143
	s_delay_alu instid0(VALU_DEP_3) | instskip(NEXT) | instid1(VALU_DEP_3)
	v_bfe_i32 v8, v8, 0, 16
	v_sub_nc_u16 v7, v7, v15
	s_delay_alu instid0(VALU_DEP_3) | instskip(SKIP_4) | instid1(VALU_DEP_4)
	v_mad_i32_i24 v0, v1, v156, v0
	v_lshlrev_b32_e32 v1, 2, v5
	v_lshlrev_b32_e32 v5, 2, v6
	v_mul_i32_i24_e32 v8, v8, v12
	v_bfe_i32 v7, v7, 0, 16
	v_and_b32_e32 v205, 0x4040404, v1
	s_delay_alu instid0(VALU_DEP_4) | instskip(NEXT) | instid1(VALU_DEP_3)
	v_and_b32_e32 v206, 0x4040404, v5
	v_mad_i32_i24 v199, v7, v11, v8
	v_lshrrev_b32_e32 v7, 16, v200
	s_delay_alu instid0(VALU_DEP_4) | instskip(NEXT) | instid1(VALU_DEP_4)
	v_sub_nc_u16 v1, v207, v205
	v_sub_nc_u16 v5, v208, v206
	v_lshrrev_b32_e32 v8, 16, v197
	v_lshrrev_b32_e32 v11, 16, v198
	v_lshrrev_b16 v198, 8, v198
	v_bfe_i32 v1, v1, 0, 8
	v_bfe_i32 v5, v5, 0, 8
	v_sub_nc_u16 v7, v7, v8
	v_lshrrev_b32_e32 v8, 16, v201
	v_lshrrev_b16 v201, 8, v201
	v_mul_i32_i24_e32 v1, v1, v137
	v_mul_i32_i24_e32 v5, v5, v133
	v_bfe_i32 v7, v7, 0, 8
	v_sub_nc_u16 v8, v8, v11
	v_lshrrev_b16 v200, 8, v200
	v_lshrrev_b16 v197, 8, v197
	v_add3_u32 v209, v0, v1, v5
	ds_load_2addr_b32 v[168:169], v180 offset0:4 offset1:5
	ds_load_2addr_b32 v[0:1], v180 offset0:6 offset1:7
	;; [unrolled: 1-line block ×3, first 2 shown]
	v_mul_i32_i24_e32 v7, v7, v10
	v_bfe_i32 v8, v8, 0, 8
	v_add_nc_u32_e32 v10, 0x1098, v140
	v_sub_nc_u16 v198, v201, v198
	v_sub_nc_u16 v197, v200, v197
	v_lshrrev_b16 v200, 8, v207
	v_mad_i32_i24 v202, v8, v9, v7
	v_lshrrev_b16 v201, 8, v205
	v_bfe_i32 v198, v198, 0, 16
	v_bfe_i32 v197, v197, 0, 16
	s_delay_alu instid0(VALU_DEP_3) | instskip(NEXT) | instid1(VALU_DEP_2)
	v_sub_nc_u16 v200, v200, v201
	v_mul_i32_i24_e32 v152, v197, v152
	s_wait_dscnt 0x2
	v_ashrrev_i32_e32 v5, s20, v168
	s_delay_alu instid0(VALU_DEP_3)
	v_bfe_i32 v197, v200, 0, 16
	s_wait_dscnt 0x0
	v_ashrrev_i32_e32 v11, s20, v11
	v_ashrrev_i32_e32 v0, s20, v0
	;; [unrolled: 1-line block ×3, first 2 shown]
	v_lshlrev_b32_e32 v5, 2, v5
	v_mul_i32_i24_e32 v151, v197, v151
	v_lshlrev_b32_e32 v11, 2, v11
	v_lshlrev_b32_e32 v0, 2, v0
	;; [unrolled: 1-line block ×3, first 2 shown]
	v_and_b32_e32 v168, 0x4040404, v5
	ds_load_2addr_b32 v[170:171], v140 offset0:4 offset1:5
	ds_load_2addr_b32 v[5:6], v140 offset0:6 offset1:7
	;; [unrolled: 1-line block ×3, first 2 shown]
	v_and_b32_e32 v11, 0x4040404, v11
	v_and_b32_e32 v0, 0x4040404, v0
	v_and_b32_e32 v12, 0x4040404, v12
	v_lshrrev_b16 v8, 8, v168
	s_wait_dscnt 0x2
	v_ashrrev_i32_e32 v170, s25, v170
	s_wait_dscnt 0x1
	v_ashrrev_i32_e32 v5, s25, v5
	s_wait_dscnt 0x0
	v_ashrrev_i32_e32 v13, s25, v13
	v_ashrrev_i32_e32 v6, s25, v6
	v_and_b32_e32 v210, 0x3030303, v170
	s_delay_alu instid0(VALU_DEP_1) | instskip(NEXT) | instid1(VALU_DEP_1)
	v_lshrrev_b16 v7, 8, v210
	v_sub_nc_u16 v181, v7, v8
	v_add_nc_u32_e32 v7, s21, v97
	s_delay_alu instid0(VALU_DEP_2)
	v_lshlrev_b16 v181, 8, v181
	ds_load_u16 v166, v7 offset:26354
	v_add3_u32 v7, s24, v116, v117
	v_bfe_i32 v181, v181, 8, 8
	ds_load_b32 v165, v7
	ds_load_2addr_b32 v[172:173], v182 offset0:4 offset1:5
	ds_load_2addr_b32 v[7:8], v182 offset0:6 offset1:7
	ds_load_2addr_b32 v[15:16], v182 offset0:2 offset1:3
	s_wait_dscnt 0x2
	v_ashrrev_i32_e32 v9, s20, v172
	s_wait_dscnt 0x1
	v_ashrrev_i32_e32 v7, s20, v7
	;; [unrolled: 2-line block ×3, first 2 shown]
	v_ashrrev_i32_e32 v16, s20, v16
	v_ashrrev_i32_e32 v8, s20, v8
	v_lshlrev_b32_e32 v9, 2, v9
	v_lshlrev_b32_e32 v7, 2, v7
	;; [unrolled: 1-line block ×5, first 2 shown]
	v_and_b32_e32 v172, 0x4040404, v9
	v_add_nc_u32_e32 v9, 0x1090, v140
	ds_load_2addr_b32 v[174:175], v9 offset1:1
	ds_load_2addr_b32 v[9:10], v10 offset1:1
	v_lshrrev_b16 v22, 8, v172
	v_and_b32_e32 v15, 0x4040404, v15
	v_and_b32_e32 v7, 0x4040404, v7
	;; [unrolled: 1-line block ×4, first 2 shown]
	s_wait_dscnt 0x1
	v_ashrrev_i32_e32 v174, s25, v174
	s_wait_dscnt 0x0
	v_ashrrev_i32_e32 v9, s25, v9
	v_ashrrev_i32_e32 v10, s25, v10
	s_delay_alu instid0(VALU_DEP_3) | instskip(NEXT) | instid1(VALU_DEP_1)
	v_and_b32_e32 v211, 0x3030303, v174
	v_lshrrev_b16 v17, 8, v211
	v_sub_nc_u16 v215, v211, v172
	s_delay_alu instid0(VALU_DEP_2) | instskip(SKIP_1) | instid1(VALU_DEP_3)
	v_sub_nc_u16 v183, v17, v22
	v_lshrrev_b16 v17, 8, v20
	v_bfe_i32 v215, v215, 0, 8
	s_delay_alu instid0(VALU_DEP_2)
	v_sub_nc_u16 v184, v17, v18
	v_lshrrev_b16 v18, 8, v19
	ds_load_2addr_b32 v[176:177], v212 offset0:4 offset1:5
	ds_load_2addr_b32 v[19:20], v212 offset0:2 offset1:3
	v_lshrrev_b16 v17, 8, v21
	v_add_nc_u32_e32 v21, 0x2108, v140
	v_mul_i32_i24_e32 v215, v162, v215
	s_delay_alu instid0(VALU_DEP_3)
	v_sub_nc_u16 v185, v17, v18
	v_add_nc_u32_e32 v18, 0x2118, v140
	s_wait_dscnt 0x1
	v_ashrrev_i32_e32 v17, s20, v176
	s_wait_dscnt 0x0
	v_ashrrev_i32_e32 v19, s20, v19
	s_delay_alu instid0(VALU_DEP_2) | instskip(NEXT) | instid1(VALU_DEP_2)
	v_lshlrev_b32_e32 v17, 2, v17
	v_lshlrev_b32_e32 v19, 2, v19
	s_delay_alu instid0(VALU_DEP_2)
	v_and_b32_e32 v176, 0x4040404, v17
	v_add_nc_u32_e32 v17, 0x2110, v140
	ds_load_2addr_b32 v[178:179], v17 offset1:1
	ds_load_2addr_b32 v[17:18], v18 offset1:1
	;; [unrolled: 1-line block ×3, first 2 shown]
	v_lshrrev_b16 v187, 8, v176
	v_and_b32_e32 v19, 0x4040404, v19
	s_wait_dscnt 0x2
	v_ashrrev_i32_e32 v178, s25, v178
	s_wait_dscnt 0x1
	v_ashrrev_i32_e32 v17, s25, v17
	;; [unrolled: 2-line block ×3, first 2 shown]
	v_ashrrev_i32_e32 v18, s25, v18
	v_and_b32_e32 v213, 0x3030303, v178
	s_delay_alu instid0(VALU_DEP_1) | instskip(SKIP_1) | instid1(VALU_DEP_2)
	v_lshrrev_b16 v186, 8, v213
	v_sub_nc_u16 v216, v213, v176
	v_sub_nc_u16 v186, v186, v187
	v_lshrrev_b16 v187, 8, v194
	s_delay_alu instid0(VALU_DEP_3) | instskip(NEXT) | instid1(VALU_DEP_2)
	v_bfe_i32 v216, v216, 0, 8
	v_sub_nc_u16 v187, v187, v214
	v_sub_nc_u16 v214, v210, v168
	s_delay_alu instid0(VALU_DEP_1) | instskip(NEXT) | instid1(VALU_DEP_1)
	v_bfe_i32 v214, v214, 0, 8
	v_mul_i32_i24_e32 v214, v162, v214
	v_mul_i32_i24_e32 v162, v162, v216
	s_delay_alu instid0(VALU_DEP_2) | instskip(SKIP_2) | instid1(VALU_DEP_2)
	v_mad_i32_i24 v214, v161, v181, v214
	v_lshlrev_b16 v181, 8, v183
	v_add_nc_u32_e32 v183, 0x1080, v140
	v_bfe_i32 v181, v181, 8, 8
	s_delay_alu instid0(VALU_DEP_1) | instskip(SKIP_1) | instid1(VALU_DEP_1)
	v_mad_i32_i24 v215, v161, v181, v215
	v_lshlrev_b16 v181, 8, v186
	v_bfe_i32 v181, v181, 8, 8
	s_delay_alu instid0(VALU_DEP_1) | instskip(SKIP_1) | instid1(VALU_DEP_1)
	v_mad_i32_i24 v216, v161, v181, v162
	v_bfe_i32 v162, v184, 0, 16
	v_mul_i32_i24_e32 v161, v162, v161
	v_bfe_i32 v162, v185, 0, 16
	s_delay_alu instid0(VALU_DEP_1) | instskip(SKIP_1) | instid1(VALU_DEP_1)
	v_mul_i32_i24_e32 v160, v162, v160
	v_bfe_i32 v162, v187, 0, 16
	v_mul_i32_i24_e32 v159, v162, v159
	s_delay_alu instid0(VALU_DEP_1)
	v_add3_u32 v217, v161, v160, v159
	ds_load_2addr_b32 v[159:160], v180 offset1:1
	ds_load_2addr_b32 v[161:162], v140 offset1:1
	s_wait_dscnt 0x1
	v_ashrrev_i32_e32 v159, s20, v159
	s_wait_dscnt 0x0
	v_ashrrev_i32_e32 v161, s25, v161
	s_delay_alu instid0(VALU_DEP_2) | instskip(NEXT) | instid1(VALU_DEP_2)
	v_lshlrev_b32_e32 v159, 2, v159
	v_and_b32_e32 v219, 0x3030303, v161
	s_delay_alu instid0(VALU_DEP_2) | instskip(NEXT) | instid1(VALU_DEP_2)
	v_and_b32_e32 v218, 0x4040404, v159
	v_lshrrev_b16 v159, 8, v219
	s_delay_alu instid0(VALU_DEP_2) | instskip(SKIP_1) | instid1(VALU_DEP_2)
	v_lshrrev_b16 v180, 8, v218
	v_sub_nc_u16 v201, v219, v218
	v_sub_nc_u16 v220, v159, v180
	v_add3_u32 v159, s24, v126, v113
	s_delay_alu instid0(VALU_DEP_3) | instskip(NEXT) | instid1(VALU_DEP_3)
	v_bfe_i32 v201, v201, 0, 8
	v_lshlrev_b16 v220, 8, v220
	ds_load_b32 v159, v159
	ds_load_2addr_b32 v[180:181], v182 offset1:1
	ds_load_2addr_b32 v[182:183], v183 offset1:1
	v_mul_i32_i24_e32 v201, v156, v201
	v_bfe_i32 v220, v220, 8, 8
	s_delay_alu instid0(VALU_DEP_1) | instskip(SKIP_4) | instid1(VALU_DEP_2)
	v_mad_i32_i24 v201, v155, v220, v201
	s_wait_dscnt 0x1
	v_ashrrev_i32_e32 v180, s20, v180
	s_wait_dscnt 0x0
	v_ashrrev_i32_e32 v182, s25, v182
	v_lshlrev_b32_e32 v180, 2, v180
	s_delay_alu instid0(VALU_DEP_2) | instskip(NEXT) | instid1(VALU_DEP_2)
	v_and_b32_e32 v221, 0x3030303, v182
	v_and_b32_e32 v180, 0x4040404, v180
	s_delay_alu instid0(VALU_DEP_2) | instskip(NEXT) | instid1(VALU_DEP_2)
	v_lshrrev_b16 v184, 8, v221
	v_lshrrev_b16 v185, 8, v180
	s_delay_alu instid0(VALU_DEP_1) | instskip(SKIP_4) | instid1(VALU_DEP_1)
	v_sub_nc_u16 v222, v184, v185
	v_add_nc_u32_e32 v184, 0x2100, v140
	ds_load_2addr_b32 v[184:185], v184 offset1:1
	ds_load_2addr_b32 v[186:187], v212 offset1:1
	v_lshlrev_b16 v220, 8, v222
	v_bfe_i32 v220, v220, 8, 8
	s_wait_dscnt 0x1
	v_ashrrev_i32_e32 v184, s25, v184
	s_wait_dscnt 0x0
	v_ashrrev_i32_e32 v186, s20, v186
	s_delay_alu instid0(VALU_DEP_2) | instskip(NEXT) | instid1(VALU_DEP_2)
	v_and_b32_e32 v223, 0x3030303, v184
	v_lshlrev_b32_e32 v186, 2, v186
	s_delay_alu instid0(VALU_DEP_2) | instskip(NEXT) | instid1(VALU_DEP_2)
	v_lshrrev_b16 v224, 8, v223
	v_and_b32_e32 v186, 0x4040404, v186
	s_delay_alu instid0(VALU_DEP_1) | instskip(SKIP_1) | instid1(VALU_DEP_2)
	v_lshrrev_b16 v225, 8, v186
	v_sub_nc_u16 v226, v223, v186
	v_sub_nc_u16 v224, v224, v225
	;; [unrolled: 1-line block ×3, first 2 shown]
	s_delay_alu instid0(VALU_DEP_3) | instskip(NEXT) | instid1(VALU_DEP_3)
	v_bfe_i32 v226, v226, 0, 8
	v_lshlrev_b16 v222, 8, v224
	s_delay_alu instid0(VALU_DEP_3) | instskip(NEXT) | instid1(VALU_DEP_2)
	v_bfe_i32 v225, v225, 0, 8
	v_bfe_i32 v222, v222, 8, 8
	s_delay_alu instid0(VALU_DEP_2) | instskip(SKIP_1) | instid1(VALU_DEP_2)
	v_mul_i32_i24_e32 v225, v156, v225
	v_mul_i32_i24_e32 v156, v156, v226
	v_mad_i32_i24 v220, v155, v220, v225
	s_delay_alu instid0(VALU_DEP_2) | instskip(SKIP_1) | instid1(VALU_DEP_1)
	v_mad_i32_i24 v156, v155, v222, v156
	v_mul_i32_i24_e32 v155, v198, v155
	v_add3_u32 v151, v155, v152, v151
	v_lshrrev_b32_e32 v152, 16, v194
	v_lshrrev_b32_e32 v155, 16, v192
	;; [unrolled: 1-line block ×3, first 2 shown]
	s_delay_alu instid0(VALU_DEP_2) | instskip(SKIP_1) | instid1(VALU_DEP_2)
	v_sub_nc_u16 v152, v152, v155
	v_lshrrev_b32_e32 v155, 16, v195
	v_bfe_i32 v152, v152, 0, 8
	s_delay_alu instid0(VALU_DEP_2) | instskip(NEXT) | instid1(VALU_DEP_2)
	v_sub_nc_u16 v155, v155, v194
	v_mul_i32_i24_e32 v152, v152, v157
	s_delay_alu instid0(VALU_DEP_2) | instskip(SKIP_1) | instid1(VALU_DEP_2)
	v_bfe_i32 v155, v155, 0, 8
	v_lshrrev_b32_e32 v157, 24, v192
	v_mul_i32_i24_e32 v155, v155, v158
	v_lshrrev_b32_e32 v158, 24, v193
	s_delay_alu instid0(VALU_DEP_2) | instskip(SKIP_1) | instid1(VALU_DEP_1)
	v_add3_u32 v152, v189, v152, v155
	v_bfe_u32 v155, v190, 24, 2
	v_sub_nc_u16 v155, v155, v157
	v_bfe_u32 v157, v191, 24, 2
	s_delay_alu instid0(VALU_DEP_2) | instskip(NEXT) | instid1(VALU_DEP_2)
	v_bfe_i32 v155, v155, 0, 16
	v_sub_nc_u16 v157, v157, v158
	v_lshrrev_b32_e32 v158, 24, v180
	s_delay_alu instid0(VALU_DEP_3) | instskip(NEXT) | instid1(VALU_DEP_3)
	v_mul_i32_i24_e32 v153, v155, v153
	v_bfe_i32 v155, v157, 0, 16
	v_lshrrev_b32_e32 v157, 16, v218
	s_delay_alu instid0(VALU_DEP_2) | instskip(SKIP_1) | instid1(VALU_DEP_2)
	v_mul_i32_i24_e32 v154, v155, v154
	v_lshrrev_b32_e32 v155, 24, v218
	v_add3_u32 v153, v188, v153, v154
	v_bfe_u32 v154, v161, 24, 2
	v_lshrrev_b32_e32 v161, 16, v180
	v_lshrrev_b32_e32 v180, 24, v186
	s_delay_alu instid0(VALU_DEP_3) | instskip(SKIP_1) | instid1(VALU_DEP_2)
	v_sub_nc_u16 v154, v154, v155
	v_lshrrev_b32_e32 v155, 16, v219
	v_lshlrev_b16 v154, 8, v154
	s_delay_alu instid0(VALU_DEP_2) | instskip(SKIP_2) | instid1(VALU_DEP_2)
	v_sub_nc_u16 v155, v155, v157
	v_bfe_u32 v157, v182, 24, 2
	v_lshrrev_b32_e32 v182, 16, v186
	v_sub_nc_u16 v157, v157, v158
	v_lshrrev_b32_e32 v158, 16, v221
	s_delay_alu instid0(VALU_DEP_2) | instskip(NEXT) | instid1(VALU_DEP_2)
	v_lshlrev_b16 v157, 8, v157
	v_sub_nc_u16 v158, v158, v161
	v_bfe_u32 v161, v184, 24, 2
	s_delay_alu instid0(VALU_DEP_1) | instskip(SKIP_1) | instid1(VALU_DEP_2)
	v_sub_nc_u16 v161, v161, v180
	v_lshrrev_b32_e32 v180, 16, v223
	v_lshlrev_b16 v161, 8, v161
	s_delay_alu instid0(VALU_DEP_2) | instskip(SKIP_1) | instid1(VALU_DEP_1)
	v_sub_nc_u16 v180, v180, v182
	v_and_b32_e32 v182, 0xff, v155
	v_or_b32_e32 v154, v182, v154
	v_and_b32_e32 v182, 0xff, v158
	s_delay_alu instid0(VALU_DEP_2) | instskip(NEXT) | instid1(VALU_DEP_2)
	v_perm_b32 v154, v154, v155, 0xc0c0500
	v_or_b32_e32 v157, v182, v157
	v_and_b32_e32 v182, 0xff, v180
	s_delay_alu instid0(VALU_DEP_3) | instskip(NEXT) | instid1(VALU_DEP_3)
	v_dot4_i32_iu8 v154, v149, v154, v201 neg_lo:[1,1,0]
	v_perm_b32 v155, v157, v158, 0xc0c0500
	s_delay_alu instid0(VALU_DEP_3) | instskip(SKIP_1) | instid1(VALU_DEP_3)
	v_or_b32_e32 v161, v182, v161
	v_lshrrev_b32_e32 v158, 16, v206
	v_dot4_i32_iu8 v155, v149, v155, v220 neg_lo:[1,1,0]
	s_delay_alu instid0(VALU_DEP_3) | instskip(SKIP_1) | instid1(VALU_DEP_2)
	v_perm_b32 v157, v161, v180, 0xc0c0500
	v_lshrrev_b32_e32 v161, 24, v176
	v_dot4_i32_iu8 v149, v149, v157, v156 neg_lo:[1,1,0]
	v_lshrrev_b32_e32 v156, 16, v207
	v_lshrrev_b32_e32 v157, 16, v205
	s_delay_alu instid0(VALU_DEP_1) | instskip(SKIP_1) | instid1(VALU_DEP_2)
	v_sub_nc_u16 v156, v156, v157
	v_lshrrev_b32_e32 v157, 16, v208
	v_bfe_i32 v156, v156, 0, 8
	s_delay_alu instid0(VALU_DEP_2) | instskip(SKIP_1) | instid1(VALU_DEP_3)
	v_sub_nc_u16 v157, v157, v158
	v_lshrrev_b32_e32 v158, 16, v172
	v_mul_i32_i24_e32 v148, v156, v148
	s_delay_alu instid0(VALU_DEP_3) | instskip(SKIP_1) | instid1(VALU_DEP_2)
	v_bfe_i32 v156, v157, 0, 8
	v_lshrrev_b32_e32 v157, 24, v206
	v_mul_i32_i24_e32 v150, v156, v150
	v_lshrrev_b32_e32 v156, 24, v205
	s_delay_alu instid0(VALU_DEP_2) | instskip(SKIP_1) | instid1(VALU_DEP_1)
	v_add3_u32 v148, v202, v148, v150
	v_bfe_u32 v150, v203, 24, 2
	v_sub_nc_u16 v150, v150, v156
	v_bfe_u32 v156, v204, 24, 2
	s_delay_alu instid0(VALU_DEP_2) | instskip(NEXT) | instid1(VALU_DEP_2)
	v_bfe_i32 v150, v150, 0, 16
	v_sub_nc_u16 v156, v156, v157
	v_lshrrev_b32_e32 v157, 24, v172
	s_delay_alu instid0(VALU_DEP_3) | instskip(NEXT) | instid1(VALU_DEP_3)
	v_mul_i32_i24_e32 v146, v150, v146
	v_bfe_i32 v150, v156, 0, 16
	v_lshrrev_b32_e32 v156, 16, v168
	s_delay_alu instid0(VALU_DEP_2) | instskip(SKIP_2) | instid1(VALU_DEP_3)
	v_mul_i32_i24_e32 v147, v150, v147
	v_lshrrev_b32_e32 v150, 24, v168
	v_lshrrev_b32_e32 v168, 16, v176
	v_add3_u32 v146, v199, v146, v147
	v_bfe_u32 v147, v170, 24, 2
	s_delay_alu instid0(VALU_DEP_1) | instskip(SKIP_1) | instid1(VALU_DEP_2)
	v_sub_nc_u16 v147, v147, v150
	v_lshrrev_b32_e32 v150, 16, v210
	v_lshlrev_b16 v147, 8, v147
	s_delay_alu instid0(VALU_DEP_2) | instskip(SKIP_1) | instid1(VALU_DEP_1)
	v_sub_nc_u16 v150, v150, v156
	v_bfe_u32 v156, v174, 24, 2
	v_sub_nc_u16 v156, v156, v157
	v_lshrrev_b32_e32 v157, 16, v211
	s_delay_alu instid0(VALU_DEP_2) | instskip(NEXT) | instid1(VALU_DEP_2)
	v_lshlrev_b16 v156, 8, v156
	v_sub_nc_u16 v157, v157, v158
	v_bfe_u32 v158, v178, 24, 2
	s_delay_alu instid0(VALU_DEP_1) | instskip(SKIP_1) | instid1(VALU_DEP_2)
	v_sub_nc_u16 v158, v158, v161
	v_lshrrev_b32_e32 v161, 16, v213
	v_lshlrev_b16 v158, 8, v158
	s_delay_alu instid0(VALU_DEP_2) | instskip(SKIP_1) | instid1(VALU_DEP_1)
	v_sub_nc_u16 v161, v161, v168
	v_and_b32_e32 v168, 0xff, v150
	v_or_b32_e32 v147, v168, v147
	v_and_b32_e32 v168, 0xff, v157
	s_delay_alu instid0(VALU_DEP_2) | instskip(NEXT) | instid1(VALU_DEP_2)
	v_perm_b32 v147, v147, v150, 0xc0c0500
	v_or_b32_e32 v156, v168, v156
	v_and_b32_e32 v168, 0xff, v161
	s_delay_alu instid0(VALU_DEP_3) | instskip(NEXT) | instid1(VALU_DEP_3)
	v_dot4_i32_iu8 v147, v145, v147, v214 neg_lo:[1,1,0]
	v_perm_b32 v150, v156, v157, 0xc0c0500
	s_delay_alu instid0(VALU_DEP_3) | instskip(SKIP_1) | instid1(VALU_DEP_3)
	v_or_b32_e32 v158, v168, v158
	v_lshrrev_b16 v157, 8, v193
	v_dot4_i32_iu8 v150, v145, v150, v215 neg_lo:[1,1,0]
	s_delay_alu instid0(VALU_DEP_3) | instskip(SKIP_2) | instid1(VALU_DEP_3)
	v_perm_b32 v156, v158, v161, 0xc0c0500
	v_ashrrev_i32_e32 v158, s20, v187
	v_ashrrev_i32_e32 v161, s25, v185
	v_dot4_i32_iu8 v145, v145, v156, v216 neg_lo:[1,1,0]
	v_lshrrev_b16 v156, 8, v195
	s_delay_alu instid0(VALU_DEP_4) | instskip(NEXT) | instid1(VALU_DEP_2)
	v_lshlrev_b32_e32 v158, 2, v158
	v_sub_nc_u16 v156, v156, v157
	v_ashrrev_i32_e32 v157, s20, v181
	s_delay_alu instid0(VALU_DEP_3) | instskip(NEXT) | instid1(VALU_DEP_3)
	v_and_b32_e32 v158, 0x4040404, v158
	v_bfe_i32 v156, v156, 0, 16
	s_delay_alu instid0(VALU_DEP_3) | instskip(NEXT) | instid1(VALU_DEP_2)
	v_lshlrev_b32_e32 v157, 2, v157
	v_mul_i32_i24_e32 v144, v156, v144
	v_ashrrev_i32_e32 v156, s20, v160
	v_ashrrev_i32_e32 v160, s25, v183
	s_delay_alu instid0(VALU_DEP_4) | instskip(NEXT) | instid1(VALU_DEP_4)
	v_and_b32_e32 v157, 0x4040404, v157
	v_add3_u32 v144, v217, v144, v153
	v_ashrrev_i32_e32 v153, s25, v162
	v_lshlrev_b32_e32 v156, 2, v156
	s_delay_alu instid0(VALU_DEP_3) | instskip(NEXT) | instid1(VALU_DEP_3)
	v_add3_u32 v144, v196, v152, v144
	v_and_b32_e32 v162, 0x3030303, v153
	s_delay_alu instid0(VALU_DEP_3) | instskip(NEXT) | instid1(VALU_DEP_1)
	v_and_b32_e32 v156, 0x4040404, v156
	v_sub_nc_u16 v168, v162, v156
	v_lshrrev_b32_e32 v152, 24, v156
	s_delay_alu instid0(VALU_DEP_2) | instskip(NEXT) | instid1(VALU_DEP_1)
	v_bfe_i32 v168, v168, 0, 8
	v_mad_i32_i24 v154, v143, v168, v154
	v_and_b32_e32 v168, 0x3030303, v160
	s_delay_alu instid0(VALU_DEP_1) | instskip(NEXT) | instid1(VALU_DEP_1)
	v_sub_nc_u16 v170, v168, v157
	v_bfe_i32 v170, v170, 0, 8
	s_delay_alu instid0(VALU_DEP_1) | instskip(SKIP_2) | instid1(VALU_DEP_2)
	v_mad_i32_i24 v155, v143, v170, v155
	v_and_b32_e32 v170, 0x3030303, v161
	v_bfe_u32 v161, v161, 24, 2
	v_sub_nc_u16 v172, v170, v158
	s_delay_alu instid0(VALU_DEP_1) | instskip(NEXT) | instid1(VALU_DEP_1)
	v_bfe_i32 v172, v172, 0, 8
	v_mad_i32_i24 v143, v143, v172, v149
	v_lshrrev_b16 v149, 8, v208
	v_lshrrev_b16 v172, 8, v206
	s_delay_alu instid0(VALU_DEP_1) | instskip(SKIP_1) | instid1(VALU_DEP_2)
	v_sub_nc_u16 v149, v149, v172
	v_ashrrev_i32_e32 v172, s25, v179
	v_bfe_i32 v149, v149, 0, 16
	s_delay_alu instid0(VALU_DEP_1) | instskip(SKIP_2) | instid1(VALU_DEP_3)
	v_mul_i32_i24_e32 v141, v149, v141
	v_ashrrev_i32_e32 v149, s20, v169
	v_ashrrev_i32_e32 v169, s20, v177
	v_add3_u32 v141, v151, v141, v146
	v_ashrrev_i32_e32 v146, s25, v171
	s_delay_alu instid0(VALU_DEP_4)
	v_lshlrev_b32_e32 v149, 2, v149
	v_ashrrev_i32_e32 v151, s20, v173
	v_ashrrev_i32_e32 v171, s25, v175
	v_lshlrev_b32_e32 v169, 2, v169
	v_and_b32_e32 v173, 0x3030303, v146
	v_and_b32_e32 v149, 0x4040404, v149
	v_lshlrev_b32_e32 v151, 2, v151
	v_add3_u32 v148, v209, v148, v141
	v_and_b32_e32 v169, 0x4040404, v169
	s_delay_alu instid0(VALU_DEP_4) | instskip(NEXT) | instid1(VALU_DEP_4)
	v_sub_nc_u16 v174, v173, v149
	v_and_b32_e32 v151, 0x4040404, v151
	v_lshrrev_b32_e32 v141, 24, v149
	s_delay_alu instid0(VALU_DEP_3) | instskip(NEXT) | instid1(VALU_DEP_1)
	v_bfe_i32 v174, v174, 0, 8
	v_mad_i32_i24 v147, v142, v174, v147
	v_and_b32_e32 v174, 0x3030303, v171
	s_delay_alu instid0(VALU_DEP_1) | instskip(NEXT) | instid1(VALU_DEP_1)
	v_sub_nc_u16 v175, v174, v151
	v_bfe_i32 v175, v175, 0, 8
	s_delay_alu instid0(VALU_DEP_1) | instskip(SKIP_1) | instid1(VALU_DEP_1)
	v_mad_i32_i24 v150, v142, v175, v150
	v_and_b32_e32 v175, 0x3030303, v172
	v_sub_nc_u16 v176, v175, v169
	s_delay_alu instid0(VALU_DEP_1) | instskip(NEXT) | instid1(VALU_DEP_1)
	v_bfe_i32 v176, v176, 0, 8
	v_mad_i32_i24 v142, v142, v176, v145
	v_bfe_u32 v145, v153, 24, 2
	v_lshrrev_b32_e32 v153, 16, v156
	v_lshrrev_b16 v156, 8, v156
	s_delay_alu instid0(VALU_DEP_3) | instskip(SKIP_1) | instid1(VALU_DEP_2)
	v_sub_nc_u16 v145, v145, v152
	v_lshrrev_b32_e32 v152, 16, v162
	v_lshlrev_b16 v145, 8, v145
	s_delay_alu instid0(VALU_DEP_2) | instskip(SKIP_2) | instid1(VALU_DEP_2)
	v_sub_nc_u16 v152, v152, v153
	v_lshrrev_b16 v153, 8, v162
	v_lshrrev_b32_e32 v162, 16, v157
	v_sub_nc_u16 v153, v153, v156
	v_bfe_u32 v156, v160, 24, 2
	v_lshrrev_b32_e32 v160, 24, v157
	v_lshrrev_b16 v157, 8, v157
	s_delay_alu instid0(VALU_DEP_4) | instskip(NEXT) | instid1(VALU_DEP_3)
	v_lshlrev_b16 v153, 8, v153
	v_sub_nc_u16 v156, v156, v160
	v_lshrrev_b32_e32 v160, 16, v168
	s_delay_alu instid0(VALU_DEP_3) | instskip(NEXT) | instid1(VALU_DEP_3)
	v_perm_b32 v153, v153, v153, 0xc0c0c01
	v_lshlrev_b16 v156, 8, v156
	s_delay_alu instid0(VALU_DEP_3) | instskip(SKIP_2) | instid1(VALU_DEP_2)
	v_sub_nc_u16 v160, v160, v162
	v_lshrrev_b16 v162, 8, v168
	v_lshrrev_b32_e32 v168, 16, v158
	v_sub_nc_u16 v157, v162, v157
	v_lshrrev_b32_e32 v162, 24, v158
	v_lshrrev_b16 v158, 8, v158
	s_delay_alu instid0(VALU_DEP_2) | instskip(SKIP_1) | instid1(VALU_DEP_2)
	v_sub_nc_u16 v161, v161, v162
	v_lshrrev_b32_e32 v162, 16, v170
	v_lshlrev_b16 v161, 8, v161
	s_delay_alu instid0(VALU_DEP_2) | instskip(SKIP_1) | instid1(VALU_DEP_1)
	v_sub_nc_u16 v162, v162, v168
	v_lshrrev_b16 v168, 8, v170
	v_sub_nc_u16 v158, v168, v158
	v_and_b32_e32 v168, 0xff, v152
	s_delay_alu instid0(VALU_DEP_1) | instskip(SKIP_1) | instid1(VALU_DEP_2)
	v_or_b32_e32 v145, v168, v145
	v_and_b32_e32 v168, 0xff, v160
	v_perm_b32 v145, v145, v152, 0xc05000c
	s_delay_alu instid0(VALU_DEP_2) | instskip(SKIP_1) | instid1(VALU_DEP_3)
	v_or_b32_e32 v156, v168, v156
	v_and_b32_e32 v168, 0xff, v162
	v_or_b32_e32 v145, v145, v153
	v_lshlrev_b16 v153, 8, v157
	s_delay_alu instid0(VALU_DEP_4) | instskip(NEXT) | instid1(VALU_DEP_4)
	v_perm_b32 v152, v156, v160, 0xc05000c
	v_or_b32_e32 v161, v168, v161
	v_lshrrev_b16 v157, 8, v169
	v_dot4_i32_iu8 v145, v139, v145, v154 neg_lo:[1,1,0]
	v_perm_b32 v153, v153, v153, 0xc0c0c01
	v_lshrrev_b32_e32 v154, 16, v151
	v_perm_b32 v156, v161, v162, 0xc05000c
	s_delay_alu instid0(VALU_DEP_3) | instskip(SKIP_1) | instid1(VALU_DEP_2)
	v_or_b32_e32 v152, v152, v153
	v_lshlrev_b16 v153, 8, v158
	v_dot4_i32_iu8 v152, v139, v152, v155 neg_lo:[1,1,0]
	s_delay_alu instid0(VALU_DEP_2) | instskip(SKIP_1) | instid1(VALU_DEP_2)
	v_perm_b32 v153, v153, v153, 0xc0c0c01
	v_lshrrev_b32_e32 v155, 24, v169
	v_or_b32_e32 v153, v156, v153
	v_lshrrev_b32_e32 v156, 16, v169
	s_delay_alu instid0(VALU_DEP_2)
	v_dot4_i32_iu8 v143, v139, v153, v143 neg_lo:[1,1,0]
	v_bfe_u32 v139, v146, 24, 2
	v_lshrrev_b32_e32 v146, 16, v149
	v_lshrrev_b16 v149, 8, v149
	v_lshrrev_b32_e32 v153, 24, v151
	v_lshrrev_b16 v151, 8, v151
	v_sub_nc_u16 v139, v139, v141
	v_lshrrev_b32_e32 v141, 16, v173
	s_delay_alu instid0(VALU_DEP_2) | instskip(NEXT) | instid1(VALU_DEP_2)
	v_lshlrev_b16 v139, 8, v139
	v_sub_nc_u16 v141, v141, v146
	v_lshrrev_b16 v146, 8, v173
	s_delay_alu instid0(VALU_DEP_1) | instskip(SKIP_1) | instid1(VALU_DEP_2)
	v_sub_nc_u16 v146, v146, v149
	v_bfe_u32 v149, v171, 24, 2
	v_lshlrev_b16 v146, 8, v146
	s_delay_alu instid0(VALU_DEP_2) | instskip(SKIP_1) | instid1(VALU_DEP_3)
	v_sub_nc_u16 v149, v149, v153
	v_lshrrev_b32_e32 v153, 16, v174
	v_perm_b32 v146, v146, v146, 0xc0c0c01
	s_delay_alu instid0(VALU_DEP_3) | instskip(NEXT) | instid1(VALU_DEP_3)
	v_lshlrev_b16 v149, 8, v149
	v_sub_nc_u16 v153, v153, v154
	v_lshrrev_b16 v154, 8, v174
	s_delay_alu instid0(VALU_DEP_1) | instskip(SKIP_1) | instid1(VALU_DEP_1)
	v_sub_nc_u16 v151, v154, v151
	v_bfe_u32 v154, v172, 24, 2
	v_sub_nc_u16 v154, v154, v155
	v_lshrrev_b32_e32 v155, 16, v175
	s_delay_alu instid0(VALU_DEP_2) | instskip(NEXT) | instid1(VALU_DEP_2)
	v_lshlrev_b16 v154, 8, v154
	v_sub_nc_u16 v155, v155, v156
	v_lshrrev_b16 v156, 8, v175
	s_delay_alu instid0(VALU_DEP_1) | instskip(SKIP_1) | instid1(VALU_DEP_1)
	v_sub_nc_u16 v156, v156, v157
	v_and_b32_e32 v157, 0xff, v141
	v_or_b32_e32 v139, v157, v139
	v_and_b32_e32 v157, 0xff, v153
	s_delay_alu instid0(VALU_DEP_2) | instskip(NEXT) | instid1(VALU_DEP_2)
	v_perm_b32 v139, v139, v141, 0xc05000c
	v_or_b32_e32 v149, v157, v149
	v_and_b32_e32 v157, 0xff, v155
	s_delay_alu instid0(VALU_DEP_3) | instskip(SKIP_1) | instid1(VALU_DEP_4)
	v_or_b32_e32 v139, v139, v146
	v_lshlrev_b16 v146, 8, v151
	v_perm_b32 v141, v149, v153, 0xc05000c
	s_delay_alu instid0(VALU_DEP_4) | instskip(NEXT) | instid1(VALU_DEP_4)
	v_or_b32_e32 v154, v157, v154
	v_dot4_i32_iu8 v147, v138, v139, v147 neg_lo:[1,1,0]
	s_delay_alu instid0(VALU_DEP_4) | instskip(NEXT) | instid1(VALU_DEP_3)
	v_perm_b32 v146, v146, v146, 0xc0c0c01
	v_perm_b32 v149, v154, v155, 0xc05000c
	s_delay_alu instid0(VALU_DEP_2) | instskip(SKIP_1) | instid1(VALU_DEP_1)
	v_or_b32_e32 v141, v141, v146
	v_lshlrev_b16 v146, 8, v156
	v_perm_b32 v146, v146, v146, 0xc0c0c01
	s_delay_alu instid0(VALU_DEP_1) | instskip(NEXT) | instid1(VALU_DEP_4)
	v_or_b32_e32 v146, v149, v146
	v_dot4_i32_iu8 v149, v138, v141, v150 neg_lo:[1,1,0]
	s_delay_alu instid0(VALU_DEP_2) | instskip(SKIP_2) | instid1(VALU_DEP_2)
	v_dot4_i32_iu8 v142, v138, v146, v142 neg_lo:[1,1,0]
	v_and_b32_e32 v146, 0x3030303, v13
	v_bfe_u32 v13, v13, 24, 2
	v_sub_nc_u16 v138, v146, v11
	s_delay_alu instid0(VALU_DEP_1) | instskip(NEXT) | instid1(VALU_DEP_1)
	v_bfe_i32 v138, v138, 0, 8
	v_mad_i32_i24 v145, v137, v138, v145
	v_add_nc_u32_e32 v138, 0x1088, v140
	ds_load_2addr_b32 v[138:139], v138 offset1:1
	s_wait_dscnt 0x0
	v_ashrrev_i32_e32 v138, s25, v138
	s_delay_alu instid0(VALU_DEP_1) | instskip(SKIP_1) | instid1(VALU_DEP_2)
	v_and_b32_e32 v150, 0x3030303, v138
	v_bfe_u32 v138, v138, 24, 2
	v_sub_nc_u16 v140, v150, v15
	s_delay_alu instid0(VALU_DEP_1) | instskip(NEXT) | instid1(VALU_DEP_1)
	v_bfe_i32 v140, v140, 0, 8
	v_mad_i32_i24 v151, v137, v140, v152
	v_and_b32_e32 v152, 0x3030303, v21
	ds_load_2addr_b32 v[140:141], v212 offset0:6 offset1:7
	v_bfe_u32 v21, v21, 24, 2
	v_sub_nc_u16 v153, v152, v19
	s_delay_alu instid0(VALU_DEP_1) | instskip(NEXT) | instid1(VALU_DEP_1)
	v_bfe_i32 v153, v153, 0, 8
	v_mad_i32_i24 v137, v137, v153, v143
	v_and_b32_e32 v143, 0x3030303, v5
	v_bfe_u32 v5, v5, 24, 2
	s_delay_alu instid0(VALU_DEP_2) | instskip(SKIP_2) | instid1(VALU_DEP_2)
	v_sub_nc_u16 v153, v143, v0
	s_wait_dscnt 0x0
	v_ashrrev_i32_e32 v140, s20, v140
	v_bfe_i32 v153, v153, 0, 8
	s_delay_alu instid0(VALU_DEP_2) | instskip(NEXT) | instid1(VALU_DEP_2)
	v_lshlrev_b32_e32 v140, 2, v140
	v_mad_i32_i24 v147, v136, v153, v147
	v_and_b32_e32 v153, 0x3030303, v9
	s_delay_alu instid0(VALU_DEP_3) | instskip(SKIP_1) | instid1(VALU_DEP_3)
	v_and_b32_e32 v140, 0x4040404, v140
	v_bfe_u32 v9, v9, 24, 2
	v_sub_nc_u16 v154, v153, v7
	s_delay_alu instid0(VALU_DEP_1) | instskip(NEXT) | instid1(VALU_DEP_1)
	v_bfe_i32 v154, v154, 0, 8
	v_mad_i32_i24 v149, v136, v154, v149
	v_and_b32_e32 v154, 0x3030303, v17
	v_bfe_u32 v17, v17, 24, 2
	s_delay_alu instid0(VALU_DEP_2) | instskip(NEXT) | instid1(VALU_DEP_1)
	v_sub_nc_u16 v155, v154, v140
	v_bfe_i32 v155, v155, 0, 8
	s_delay_alu instid0(VALU_DEP_1) | instskip(SKIP_3) | instid1(VALU_DEP_3)
	v_mad_i32_i24 v136, v136, v155, v142
	v_lshrrev_b32_e32 v142, 24, v11
	v_lshrrev_b32_e32 v155, 16, v11
	v_lshrrev_b16 v11, 8, v11
	v_sub_nc_u16 v13, v13, v142
	v_lshrrev_b32_e32 v142, 16, v146
	v_lshrrev_b16 v146, 8, v146
	s_delay_alu instid0(VALU_DEP_3) | instskip(NEXT) | instid1(VALU_DEP_3)
	v_lshlrev_b16 v13, 8, v13
	v_sub_nc_u16 v142, v142, v155
	s_delay_alu instid0(VALU_DEP_3) | instskip(SKIP_3) | instid1(VALU_DEP_4)
	v_sub_nc_u16 v11, v146, v11
	v_lshrrev_b32_e32 v146, 24, v19
	v_lshrrev_b32_e32 v155, 16, v19
	v_lshrrev_b16 v19, 8, v19
	v_lshlrev_b16 v11, 8, v11
	s_delay_alu instid0(VALU_DEP_4) | instskip(SKIP_2) | instid1(VALU_DEP_4)
	v_sub_nc_u16 v21, v21, v146
	v_lshrrev_b32_e32 v146, 16, v152
	v_lshrrev_b16 v152, 8, v152
	v_perm_b32 v11, v11, v11, 0xc0c0c01
	s_delay_alu instid0(VALU_DEP_4) | instskip(NEXT) | instid1(VALU_DEP_4)
	v_lshlrev_b16 v21, 8, v21
	v_sub_nc_u16 v146, v146, v155
	s_delay_alu instid0(VALU_DEP_4) | instskip(SKIP_3) | instid1(VALU_DEP_3)
	v_sub_nc_u16 v19, v152, v19
	v_lshrrev_b32_e32 v152, 24, v15
	v_lshrrev_b32_e32 v155, 16, v15
	v_lshrrev_b16 v15, 8, v15
	v_sub_nc_u16 v138, v138, v152
	v_lshrrev_b32_e32 v152, 16, v150
	v_lshrrev_b16 v150, 8, v150
	s_delay_alu instid0(VALU_DEP_3) | instskip(NEXT) | instid1(VALU_DEP_3)
	v_lshlrev_b16 v138, 8, v138
	v_sub_nc_u16 v152, v152, v155
	s_delay_alu instid0(VALU_DEP_3) | instskip(SKIP_1) | instid1(VALU_DEP_2)
	v_sub_nc_u16 v15, v150, v15
	v_and_b32_e32 v150, 0xff, v142
	v_lshlrev_b16 v15, 8, v15
	s_delay_alu instid0(VALU_DEP_2) | instskip(SKIP_1) | instid1(VALU_DEP_3)
	v_or_b32_e32 v13, v150, v13
	v_and_b32_e32 v150, 0xff, v146
	v_perm_b32 v15, v15, v15, 0xc0c0c01
	s_delay_alu instid0(VALU_DEP_3) | instskip(NEXT) | instid1(VALU_DEP_3)
	v_perm_b32 v13, v13, v142, 0xc05000c
	v_or_b32_e32 v21, v150, v21
	v_and_b32_e32 v150, 0xff, v152
	s_delay_alu instid0(VALU_DEP_3) | instskip(SKIP_1) | instid1(VALU_DEP_4)
	v_or_b32_e32 v11, v13, v11
	v_lshlrev_b16 v13, 8, v19
	v_perm_b32 v21, v21, v146, 0xc05000c
	v_lshrrev_b32_e32 v19, 24, v0
	v_or_b32_e32 v138, v150, v138
	v_dot4_i32_iu8 v11, v135, v11, v145 neg_lo:[1,1,0]
	v_perm_b32 v13, v13, v13, 0xc0c0c01
	s_delay_alu instid0(VALU_DEP_4) | instskip(SKIP_2) | instid1(VALU_DEP_4)
	v_sub_nc_u16 v5, v5, v19
	v_lshrrev_b32_e32 v19, 16, v143
	v_perm_b32 v138, v138, v152, 0xc05000c
	v_or_b32_e32 v13, v21, v13
	v_lshrrev_b32_e32 v21, 16, v0
	v_lshrrev_b16 v0, 8, v0
	v_lshlrev_b16 v5, 8, v5
	v_or_b32_e32 v15, v138, v15
	v_dot4_i32_iu8 v13, v135, v13, v137 neg_lo:[1,1,0]
	v_sub_nc_u16 v19, v19, v21
	v_lshrrev_b16 v21, 8, v143
	v_lshrrev_b32_e32 v137, 16, v140
	v_dot4_i32_iu8 v15, v135, v15, v151 neg_lo:[1,1,0]
	v_lshrrev_b32_e32 v135, 16, v7
	v_lshrrev_b16 v138, 8, v140
	v_sub_nc_u16 v0, v21, v0
	v_lshrrev_b32_e32 v21, 24, v7
	v_lshrrev_b16 v7, 8, v7
	s_delay_alu instid0(VALU_DEP_3) | instskip(NEXT) | instid1(VALU_DEP_3)
	v_lshlrev_b16 v0, 8, v0
	v_sub_nc_u16 v9, v9, v21
	v_lshrrev_b32_e32 v21, 16, v153
	s_delay_alu instid0(VALU_DEP_3) | instskip(NEXT) | instid1(VALU_DEP_3)
	v_perm_b32 v0, v0, v0, 0xc0c0c01
	v_lshlrev_b16 v9, 8, v9
	s_delay_alu instid0(VALU_DEP_3) | instskip(SKIP_1) | instid1(VALU_DEP_1)
	v_sub_nc_u16 v21, v21, v135
	v_lshrrev_b16 v135, 8, v153
	v_sub_nc_u16 v7, v135, v7
	v_lshrrev_b32_e32 v135, 24, v140
	s_delay_alu instid0(VALU_DEP_1) | instskip(SKIP_1) | instid1(VALU_DEP_2)
	v_sub_nc_u16 v17, v17, v135
	v_lshrrev_b32_e32 v135, 16, v154
	v_lshlrev_b16 v17, 8, v17
	s_delay_alu instid0(VALU_DEP_2) | instskip(SKIP_1) | instid1(VALU_DEP_1)
	v_sub_nc_u16 v135, v135, v137
	v_lshrrev_b16 v137, 8, v154
	v_sub_nc_u16 v137, v137, v138
	v_and_b32_e32 v138, 0xff, v19
	s_delay_alu instid0(VALU_DEP_1) | instskip(SKIP_1) | instid1(VALU_DEP_2)
	v_or_b32_e32 v5, v138, v5
	v_and_b32_e32 v138, 0xff, v21
	v_perm_b32 v5, v5, v19, 0xc05000c
	s_delay_alu instid0(VALU_DEP_2) | instskip(SKIP_1) | instid1(VALU_DEP_3)
	v_or_b32_e32 v9, v138, v9
	v_and_b32_e32 v138, 0xff, v135
	v_or_b32_e32 v0, v5, v0
	v_lshlrev_b16 v5, 8, v7
	s_delay_alu instid0(VALU_DEP_3) | instskip(SKIP_2) | instid1(VALU_DEP_4)
	v_or_b32_e32 v17, v138, v17
	v_lshlrev_b16 v7, 8, v137
	v_perm_b32 v9, v9, v21, 0xc05000c
	v_perm_b32 v5, v5, v5, 0xc0c0c01
	s_delay_alu instid0(VALU_DEP_4) | instskip(NEXT) | instid1(VALU_DEP_4)
	v_perm_b32 v17, v17, v135, 0xc05000c
	v_perm_b32 v7, v7, v7, 0xc0c0c01
	s_delay_alu instid0(VALU_DEP_3) | instskip(SKIP_1) | instid1(VALU_DEP_3)
	v_or_b32_e32 v5, v9, v5
	v_dot4_i32_iu8 v9, v134, v0, v147 neg_lo:[1,1,0]
	v_or_b32_e32 v7, v17, v7
	v_lshrrev_b16 v0, 8, v167
	v_bfe_i32 v17, v167, 0, 8
	v_dot4_i32_iu8 v5, v134, v5, v149 neg_lo:[1,1,0]
	s_delay_alu instid0(VALU_DEP_4) | instskip(NEXT) | instid1(VALU_DEP_4)
	v_dot4_i32_iu8 v7, v134, v7, v136 neg_lo:[1,1,0]
	v_bfe_i32 v19, v0, 0, 8
	s_delay_alu instid0(VALU_DEP_4) | instskip(SKIP_1) | instid1(VALU_DEP_2)
	v_mul_lo_u32 v0, v148, v17
	v_ashrrev_i32_e32 v17, s25, v139
	v_mad_co_u64_u32 v[134:135], null, v144, v19, v[0:1]
	v_ashrrev_i32_e32 v0, s25, v14
	v_ashrrev_i32_e32 v14, s20, v20
	;; [unrolled: 1-line block ×4, first 2 shown]
	s_delay_alu instid0(VALU_DEP_4) | instskip(NEXT) | instid1(VALU_DEP_4)
	v_and_b32_e32 v20, 0x3030303, v0
	v_lshlrev_b32_e32 v14, 2, v14
	v_bfe_u32 v0, v0, 24, 2
	s_delay_alu instid0(VALU_DEP_4) | instskip(NEXT) | instid1(VALU_DEP_4)
	v_lshlrev_b32_e32 v1, 2, v1
	v_sub_nc_u16 v21, v20, v12
	s_delay_alu instid0(VALU_DEP_4) | instskip(NEXT) | instid1(VALU_DEP_3)
	v_and_b32_e32 v14, 0x4040404, v14
	v_and_b32_e32 v1, 0x4040404, v1
	s_delay_alu instid0(VALU_DEP_3) | instskip(NEXT) | instid1(VALU_DEP_1)
	v_bfe_i32 v21, v21, 0, 8
	v_mad_i32_i24 v11, v133, v21, v11
	v_and_b32_e32 v21, 0x3030303, v17
	v_bfe_u32 v17, v17, 24, 2
	s_delay_alu instid0(VALU_DEP_2) | instskip(NEXT) | instid1(VALU_DEP_1)
	v_sub_nc_u16 v22, v21, v16
	v_bfe_i32 v22, v22, 0, 8
	s_delay_alu instid0(VALU_DEP_1) | instskip(SKIP_2) | instid1(VALU_DEP_2)
	v_mad_i32_i24 v15, v133, v22, v15
	v_and_b32_e32 v22, 0x3030303, v19
	v_bfe_u32 v19, v19, 24, 2
	v_sub_nc_u16 v135, v22, v14
	s_delay_alu instid0(VALU_DEP_1) | instskip(NEXT) | instid1(VALU_DEP_1)
	v_bfe_i32 v135, v135, 0, 8
	v_mad_i32_i24 v13, v133, v135, v13
	v_and_b32_e32 v135, 0x3030303, v6
	v_ashrrev_i32_e32 v133, s20, v141
	v_bfe_u32 v6, v6, 24, 2
	s_add_co_i32 s20, s20, 1
	s_cmp_lt_u32 s22, 22
	v_sub_nc_u16 v136, v135, v1
	v_lshlrev_b32_e32 v133, 2, v133
	s_delay_alu instid0(VALU_DEP_2) | instskip(NEXT) | instid1(VALU_DEP_2)
	v_bfe_i32 v136, v136, 0, 8
	v_and_b32_e32 v133, 0x4040404, v133
	s_delay_alu instid0(VALU_DEP_2) | instskip(SKIP_2) | instid1(VALU_DEP_2)
	v_mad_i32_i24 v9, v132, v136, v9
	v_and_b32_e32 v136, 0x3030303, v10
	v_bfe_u32 v10, v10, 24, 2
	v_sub_nc_u16 v137, v136, v8
	s_delay_alu instid0(VALU_DEP_1) | instskip(NEXT) | instid1(VALU_DEP_1)
	v_bfe_i32 v137, v137, 0, 8
	v_mad_i32_i24 v5, v132, v137, v5
	v_and_b32_e32 v137, 0x3030303, v18
	s_delay_alu instid0(VALU_DEP_1) | instskip(NEXT) | instid1(VALU_DEP_1)
	v_sub_nc_u16 v138, v137, v133
	v_bfe_i32 v138, v138, 0, 8
	s_delay_alu instid0(VALU_DEP_1) | instskip(SKIP_3) | instid1(VALU_DEP_3)
	v_mad_i32_i24 v7, v132, v138, v7
	v_lshrrev_b32_e32 v132, 24, v12
	v_lshrrev_b32_e32 v138, 16, v12
	v_lshrrev_b16 v12, 8, v12
	v_sub_nc_u16 v0, v0, v132
	v_lshrrev_b32_e32 v132, 16, v20
	v_lshrrev_b16 v20, 8, v20
	s_delay_alu instid0(VALU_DEP_3) | instskip(NEXT) | instid1(VALU_DEP_3)
	v_lshlrev_b16 v0, 8, v0
	v_sub_nc_u16 v132, v132, v138
	s_delay_alu instid0(VALU_DEP_3) | instskip(SKIP_3) | instid1(VALU_DEP_4)
	v_sub_nc_u16 v12, v20, v12
	v_lshrrev_b32_e32 v20, 24, v14
	v_lshrrev_b32_e32 v138, 16, v14
	v_lshrrev_b16 v14, 8, v14
	v_lshlrev_b16 v12, 8, v12
	s_delay_alu instid0(VALU_DEP_4) | instskip(SKIP_2) | instid1(VALU_DEP_4)
	v_sub_nc_u16 v19, v19, v20
	v_lshrrev_b32_e32 v20, 16, v22
	v_lshrrev_b16 v22, 8, v22
	v_perm_b32 v12, v12, v12, 0xc0c0c01
	s_delay_alu instid0(VALU_DEP_4) | instskip(NEXT) | instid1(VALU_DEP_4)
	v_lshlrev_b16 v19, 8, v19
	v_sub_nc_u16 v20, v20, v138
	s_delay_alu instid0(VALU_DEP_4) | instskip(SKIP_3) | instid1(VALU_DEP_3)
	v_sub_nc_u16 v14, v22, v14
	v_lshrrev_b32_e32 v22, 24, v16
	v_lshrrev_b32_e32 v138, 16, v16
	v_lshrrev_b16 v16, 8, v16
	v_sub_nc_u16 v17, v17, v22
	v_lshrrev_b32_e32 v22, 16, v21
	v_lshrrev_b16 v21, 8, v21
	s_delay_alu instid0(VALU_DEP_3) | instskip(NEXT) | instid1(VALU_DEP_3)
	v_lshlrev_b16 v17, 8, v17
	v_sub_nc_u16 v22, v22, v138
	s_delay_alu instid0(VALU_DEP_3) | instskip(SKIP_1) | instid1(VALU_DEP_1)
	v_sub_nc_u16 v16, v21, v16
	v_and_b32_e32 v21, 0xff, v132
	v_or_b32_e32 v0, v21, v0
	v_and_b32_e32 v21, 0xff, v20
	s_delay_alu instid0(VALU_DEP_2) | instskip(NEXT) | instid1(VALU_DEP_2)
	v_perm_b32 v0, v0, v132, 0xc05000c
	v_or_b32_e32 v19, v21, v19
	v_and_b32_e32 v21, 0xff, v22
	s_delay_alu instid0(VALU_DEP_3) | instskip(SKIP_1) | instid1(VALU_DEP_3)
	v_or_b32_e32 v0, v0, v12
	v_lshlrev_b16 v12, 8, v14
	v_or_b32_e32 v17, v21, v17
	v_perm_b32 v19, v19, v20, 0xc05000c
	v_lshlrev_b16 v14, 8, v16
	v_dot4_i32_iu8 v0, v131, v0, v11 neg_lo:[1,1,0]
	v_perm_b32 v12, v12, v12, 0xc0c0c01
	v_perm_b32 v17, v17, v22, 0xc05000c
	v_lshrrev_b32_e32 v16, 24, v133
	v_perm_b32 v14, v14, v14, 0xc0c0c01
	s_delay_alu instid0(VALU_DEP_4) | instskip(NEXT) | instid1(VALU_DEP_2)
	v_or_b32_e32 v12, v19, v12
	v_or_b32_e32 v14, v17, v14
	v_lshrrev_b32_e32 v17, 16, v133
	s_delay_alu instid0(VALU_DEP_3) | instskip(SKIP_1) | instid1(VALU_DEP_4)
	v_dot4_i32_iu8 v12, v131, v12, v13 neg_lo:[1,1,0]
	v_lshrrev_b32_e32 v13, 24, v1
	v_dot4_i32_iu8 v11, v131, v14, v15 neg_lo:[1,1,0]
	v_lshrrev_b32_e32 v14, 16, v1
	v_lshrrev_b16 v1, 8, v1
	s_delay_alu instid0(VALU_DEP_4) | instskip(SKIP_2) | instid1(VALU_DEP_3)
	v_sub_nc_u16 v6, v6, v13
	v_lshrrev_b32_e32 v13, 16, v135
	v_lshrrev_b32_e32 v15, 16, v8
	v_lshlrev_b16 v6, 8, v6
	s_delay_alu instid0(VALU_DEP_3) | instskip(SKIP_1) | instid1(VALU_DEP_1)
	v_sub_nc_u16 v13, v13, v14
	v_lshrrev_b16 v14, 8, v135
	v_sub_nc_u16 v1, v14, v1
	v_lshrrev_b32_e32 v14, 24, v8
	v_lshrrev_b16 v8, 8, v8
	s_delay_alu instid0(VALU_DEP_3) | instskip(NEXT) | instid1(VALU_DEP_3)
	v_lshlrev_b16 v1, 8, v1
	v_sub_nc_u16 v10, v10, v14
	v_lshrrev_b32_e32 v14, 16, v136
	s_delay_alu instid0(VALU_DEP_3) | instskip(NEXT) | instid1(VALU_DEP_3)
	v_perm_b32 v1, v1, v1, 0xc0c0c01
	v_lshlrev_b16 v10, 8, v10
	s_delay_alu instid0(VALU_DEP_3) | instskip(SKIP_1) | instid1(VALU_DEP_1)
	v_sub_nc_u16 v14, v14, v15
	v_lshrrev_b16 v15, 8, v136
	v_sub_nc_u16 v8, v15, v8
	v_bfe_u32 v15, v18, 24, 2
	v_lshrrev_b16 v18, 8, v133
	s_delay_alu instid0(VALU_DEP_2) | instskip(SKIP_1) | instid1(VALU_DEP_2)
	v_sub_nc_u16 v15, v15, v16
	v_lshrrev_b32_e32 v16, 16, v137
	v_lshlrev_b16 v15, 8, v15
	s_delay_alu instid0(VALU_DEP_2) | instskip(SKIP_1) | instid1(VALU_DEP_1)
	v_sub_nc_u16 v16, v16, v17
	v_lshrrev_b16 v17, 8, v137
	v_sub_nc_u16 v17, v17, v18
	v_and_b32_e32 v18, 0xff, v13
	s_delay_alu instid0(VALU_DEP_1) | instskip(SKIP_1) | instid1(VALU_DEP_2)
	v_or_b32_e32 v6, v18, v6
	v_and_b32_e32 v18, 0xff, v14
	v_perm_b32 v6, v6, v13, 0xc05000c
	s_delay_alu instid0(VALU_DEP_2) | instskip(SKIP_1) | instid1(VALU_DEP_3)
	v_or_b32_e32 v10, v18, v10
	v_and_b32_e32 v18, 0xff, v16
	v_or_b32_e32 v1, v6, v1
	v_lshlrev_b16 v6, 8, v8
	s_delay_alu instid0(VALU_DEP_4) | instskip(NEXT) | instid1(VALU_DEP_4)
	v_perm_b32 v10, v10, v14, 0xc05000c
	v_or_b32_e32 v15, v18, v15
	v_lshlrev_b16 v8, 8, v17
	v_dot4_i32_iu8 v1, v130, v1, v9 neg_lo:[1,1,0]
	v_perm_b32 v6, v6, v6, 0xc0c0c01
	s_delay_alu instid0(VALU_DEP_4) | instskip(NEXT) | instid1(VALU_DEP_4)
	v_perm_b32 v13, v15, v16, 0xc05000c
	v_perm_b32 v8, v8, v8, 0xc0c0c01
	s_delay_alu instid0(VALU_DEP_3) | instskip(NEXT) | instid1(VALU_DEP_2)
	v_or_b32_e32 v6, v10, v6
	v_or_b32_e32 v8, v13, v8
	s_delay_alu instid0(VALU_DEP_2) | instskip(SKIP_1) | instid1(VALU_DEP_3)
	v_dot4_i32_iu8 v5, v130, v6, v5 neg_lo:[1,1,0]
	v_add_nc_u32_e32 v6, s21, v98
	v_dot4_i32_iu8 v7, v130, v8, v7 neg_lo:[1,1,0]
	v_add_nc_u32_e32 v8, s21, v96
	s_mov_b32 s21, s22
	ds_load_u16 v6, v6 offset:25330
	ds_load_u16 v8, v8 offset:27378
	s_wait_dscnt 0x1
	v_lshrrev_b16 v9, 8, v6
	v_bfe_i32 v6, v6, 0, 8
	s_delay_alu instid0(VALU_DEP_2) | instskip(NEXT) | instid1(VALU_DEP_2)
	v_bfe_i32 v9, v9, 0, 8
	v_mul_lo_u32 v0, v0, v6
	v_bfe_i32 v6, v166, 0, 8
	s_delay_alu instid0(VALU_DEP_2) | instskip(SKIP_3) | instid1(VALU_DEP_2)
	v_mad_co_u64_u32 v[0:1], null, v1, v9, v[0:1]
	v_lshrrev_b16 v1, 8, v166
	s_wait_dscnt 0x0
	v_bfe_i32 v9, v8, 0, 8
	v_bfe_i32 v10, v1, 0, 8
	v_mul_lo_u32 v1, v11, v6
	v_cvt_f32_i32_e32 v0, v0
	s_delay_alu instid0(VALU_DEP_2) | instskip(SKIP_4) | instid1(VALU_DEP_3)
	v_mad_co_u64_u32 v[5:6], null, v5, v10, v[1:2]
	ds_load_b32 v10, v129
	v_lshrrev_b16 v6, 8, v8
	v_mul_lo_u32 v1, v12, v9
	v_add_nc_u32_e32 v129, 4, v129
	v_bfe_i32 v6, v6, 0, 8
	v_cvt_f32_i32_e32 v5, v5
	s_delay_alu instid0(VALU_DEP_2) | instskip(NEXT) | instid1(VALU_DEP_1)
	v_mad_co_u64_u32 v[6:7], null, v7, v6, v[1:2]
	v_cvt_f32_i32_e32 v6, v6
	s_wait_dscnt 0x0
	v_mul_f32_e32 v1, v10, v159
	v_mul_f32_e32 v7, v10, v165
	;; [unrolled: 1-line block ×4, first 2 shown]
	v_cvt_f32_i32_e32 v10, v134
	v_fmac_f32_e32 v25, v1, v0
	s_delay_alu instid0(VALU_DEP_4) | instskip(NEXT) | instid1(VALU_DEP_3)
	v_dual_fmac_f32 v87, v7, v5 :: v_dual_fmac_f32 v86, v8, v6
	v_fmac_f32_e32 v2, v9, v10
	s_cbranch_scc1 .LBB189_27
; %bb.28:                               ;   in Loop: Header=BB189_5 Depth=1
	s_or_b32 s1, s16, 0x180
	s_wait_loadcnt 0x0
	s_wait_alu 0xfffe
	s_cmp_ge_i32 s1, s11
	s_barrier_signal -1
	s_barrier_wait -1
	global_inv scope:SCOPE_SE
	s_cbranch_scc1 .LBB189_4
; %bb.29:                               ;   in Loop: Header=BB189_5 Depth=1
	v_add_nc_u32_e32 v0, s17, v90
	s_delay_alu instid0(VALU_DEP_1)
	v_cmp_gt_i32_e64 s1, s5, v0
	s_and_b32 s16, s0, s1
	s_wait_alu 0xfffe
	s_and_saveexec_b32 s1, s16
	s_cbranch_execz .LBB189_31
; %bb.30:                               ;   in Loop: Header=BB189_5 Depth=1
	v_add_nc_u32_e32 v0, v91, v0
	s_delay_alu instid0(VALU_DEP_1)
	v_mad_co_i64_i32 v[0:1], null, v0, 36, v[3:4]
	global_load_b32 v0, v[0:1], off offset:4
	s_wait_loadcnt 0x0
	ds_store_b32 v84, v0
.LBB189_31:                             ;   in Loop: Header=BB189_5 Depth=1
	s_wait_alu 0xfffe
	s_or_b32 exec_lo, exec_lo, s1
	s_and_saveexec_b32 s16, vcc_lo
	s_cbranch_execz .LBB189_34
; %bb.32:                               ;   in Loop: Header=BB189_5 Depth=1
	v_or_b32_e32 v0, 12, v127
	s_delay_alu instid0(VALU_DEP_1)
	v_cmp_gt_i32_e64 s1, s5, v0
	s_and_b32 s1, s0, s1
	s_wait_alu 0xfffe
	s_and_b32 exec_lo, exec_lo, s1
	s_cbranch_execz .LBB189_34
; %bb.33:                               ;   in Loop: Header=BB189_5 Depth=1
	v_ashrrev_i32_e32 v0, 31, v127
	v_add_co_u32 v1, s1, v91, v127
	s_wait_alu 0xf1ff
	s_delay_alu instid0(VALU_DEP_2) | instskip(NEXT) | instid1(VALU_DEP_2)
	v_add_co_ci_u32_e64 v5, null, v94, v0, s1
	v_mad_co_u64_u32 v[0:1], null, v1, 36, s[2:3]
	s_delay_alu instid0(VALU_DEP_1)
	v_mad_i32_i24 v1, v5, 36, v1
	global_load_b32 v0, v[0:1], off offset:432
	s_wait_loadcnt 0x0
	v_cvt_f32_f16_e32 v0, v0
	ds_store_b32 v85, v0
.LBB189_34:                             ;   in Loop: Header=BB189_5 Depth=1
	s_wait_alu 0xfffe
	s_or_b32 exec_lo, exec_lo, s16
	v_dual_mov_b32 v127, v82 :: v_dual_mov_b32 v128, v83
	s_mov_b32 s1, 24
	s_mov_b32 s17, 22
	;; [unrolled: 1-line block ×3, first 2 shown]
	s_wait_loadcnt_dscnt 0x0
	s_barrier_signal -1
	s_barrier_wait -1
	global_inv scope:SCOPE_SE
.LBB189_35:                             ;   Parent Loop BB189_5 Depth=1
                                        ; =>  This Inner Loop Header: Depth=2
	ds_load_b128 v[5:8], v127
	ds_load_b128 v[16:19], v127 offset:16
	s_wait_alu 0xfffe
	s_add_co_i32 s20, s17, 2
	s_and_b32 s24, s1, -16
	s_wait_alu 0xfffe
	s_and_b32 s23, s20, 0x3ffffff8
	s_lshr_b32 s22, s20, 4
	s_wait_alu 0xfffe
	v_lshl_add_u32 v139, s23, 2, v92
	s_lshl_b32 s21, s22, 5
	s_sub_co_i32 s23, s17, 22
	s_add_co_i32 s17, s17, s24
	s_wait_alu 0xfffe
	s_addk_co_i32 s21, 0x4200
	v_add_nc_u32_e32 v0, 0x3188, v139
	v_add_nc_u32_e32 v20, s17, v93
	s_lshl_b32 s22, s22, 2
	v_add_nc_u32_e32 v22, 0x3198, v139
	s_wait_alu 0xfffe
	s_addk_co_i32 s22, 0x7380
	v_add3_u32 v179, s21, v111, v112
	v_add3_u32 v181, s21, v114, v115
	;; [unrolled: 1-line block ×3, first 2 shown]
	v_add_nc_u32_e32 v127, 32, v127
	s_wait_dscnt 0x1
	v_lshrrev_b16 v154, 8, v5
	s_wait_dscnt 0x0
	v_lshrrev_b16 v160, 8, v16
	v_lshrrev_b16 v159, 8, v17
	v_ashrrev_i32_e32 v15, 24, v16
	v_bfe_i32 v13, v16, 16, 8
	v_bfe_i32 v161, v16, 0, 8
	v_perm_b32 v144, v16, v16, 0xc0c0302
	v_ashrrev_i32_e32 v16, 24, v17
	v_bfe_i32 v14, v17, 16, 8
	v_bfe_i32 v141, v17, 0, 8
	v_perm_b32 v137, v17, v17, 0xc030201
	v_add3_u32 v17, s21, v122, v123
	v_lshrrev_b16 v151, 8, v6
	v_lshrrev_b16 v150, 8, v7
	;; [unrolled: 1-line block ×3, first 2 shown]
	v_ashrrev_i32_e32 v11, 24, v5
	v_bfe_i32 v9, v5, 16, 8
	v_bfe_i32 v155, v5, 0, 8
	v_perm_b32 v148, v5, v5, 0xc0c0302
	v_ashrrev_i32_e32 v12, 24, v6
	v_bfe_i32 v10, v6, 16, 8
	v_bfe_i32 v142, v6, 0, 8
	v_perm_b32 v138, v6, v6, 0xc030201
	;; [unrolled: 4-line block ×4, first 2 shown]
	v_lshrrev_b16 v158, 8, v18
	v_lshrrev_b16 v143, 8, v19
	v_ashrrev_i32_e32 v152, 24, v18
	v_bfe_i32 v156, v18, 16, 8
	v_bfe_i32 v135, v18, 0, 8
	v_perm_b32 v133, v18, v18, 0xc030201
	v_ashrrev_i32_e32 v153, 24, v19
	v_bfe_i32 v157, v19, 16, 8
	v_bfe_i32 v131, v19, 0, 8
	v_perm_b32 v129, v19, v19, 0xc030201
	ds_load_2addr_b32 v[0:1], v0 offset1:1
	ds_load_2addr_b32 v[18:19], v17 offset0:4 offset1:5
	ds_load_2addr_b32 v[7:8], v17 offset0:6 offset1:7
	;; [unrolled: 1-line block ×3, first 2 shown]
	ds_load_u16 v166, v20 offset:28402
	s_wait_alu 0xfffe
	v_add3_u32 v20, s22, v124, v125
	v_bfe_i32 v160, v160, 0, 8
	v_bfe_i32 v159, v159, 0, 8
	;; [unrolled: 1-line block ×4, first 2 shown]
	ds_load_b32 v162, v20
	v_add_nc_u32_e32 v20, 0x3190, v139
	ds_load_2addr_b32 v[20:21], v20 offset1:1
	ds_load_2addr_b32 v[163:164], v22 offset1:1
	v_bfe_i32 v151, v151, 0, 8
	v_bfe_i32 v150, v150, 0, 8
	;; [unrolled: 1-line block ×3, first 2 shown]
	s_wait_dscnt 0x7
	v_ashrrev_i32_e32 v202, s23, v0
	s_wait_dscnt 0x6
	v_ashrrev_i32_e32 v19, s16, v19
	v_ashrrev_i32_e32 v18, s16, v18
	s_wait_dscnt 0x5
	v_ashrrev_i32_e32 v7, s16, v7
	v_ashrrev_i32_e32 v8, s16, v8
	;; [unrolled: 1-line block ×3, first 2 shown]
	v_lshlrev_b32_e32 v19, 2, v19
	v_lshlrev_b32_e32 v18, 2, v18
	;; [unrolled: 1-line block ×4, first 2 shown]
	s_wait_dscnt 0x4
	v_ashrrev_i32_e32 v5, s16, v5
	v_and_b32_e32 v19, 0x4040404, v19
	v_and_b32_e32 v18, 0x4040404, v18
	v_and_b32_e32 v191, 0x4040404, v7
	v_and_b32_e32 v192, 0x4040404, v8
	s_wait_dscnt 0x1
	v_ashrrev_i32_e32 v21, s23, v21
	v_ashrrev_i32_e32 v20, s23, v20
	v_lshrrev_b32_e32 v165, 24, v19
	v_lshrrev_b32_e32 v167, 24, v18
	s_wait_dscnt 0x0
	v_ashrrev_i32_e32 v189, s23, v163
	v_bfe_u32 v22, v21, 24, 2
	v_and_b32_e32 v21, 0x3030303, v21
	v_ashrrev_i32_e32 v190, s23, v164
	v_ashrrev_i32_e32 v6, s16, v6
	v_and_b32_e32 v193, 0x3030303, v189
	v_sub_nc_u16 v22, v22, v165
	v_bfe_u32 v165, v20, 24, 2
	v_and_b32_e32 v20, 0x3030303, v20
	v_and_b32_e32 v194, 0x3030303, v190
	v_sub_nc_u16 v7, v193, v191
	v_bfe_i32 v22, v22, 0, 16
	v_sub_nc_u16 v165, v165, v167
	v_and_b32_e32 v206, 0x3030303, v202
	v_sub_nc_u16 v8, v194, v192
	v_bfe_i32 v7, v7, 0, 8
	v_mul_i32_i24_e32 v16, v22, v16
	v_bfe_i32 v22, v165, 0, 16
	v_and_b32_e32 v207, 0x3030303, v203
	v_bfe_i32 v8, v8, 0, 8
	v_mul_i32_i24_e32 v7, v7, v135
	v_lshrrev_b16 v213, 8, v191
	v_mad_i32_i24 v187, v22, v15, v16
	v_lshrrev_b32_e32 v15, 16, v21
	v_lshrrev_b32_e32 v16, 16, v19
	v_lshrrev_b32_e32 v22, 16, v18
	v_mul_i32_i24_e32 v8, v8, v131
	v_bfe_i32 v140, v140, 0, 8
	s_add_co_i32 s1, s1, 2
	v_sub_nc_u16 v15, v15, v16
	v_lshrrev_b32_e32 v16, 16, v20
	s_delay_alu instid0(VALU_DEP_2) | instskip(NEXT) | instid1(VALU_DEP_2)
	v_bfe_i32 v15, v15, 0, 8
	v_sub_nc_u16 v16, v16, v22
	s_delay_alu instid0(VALU_DEP_2) | instskip(NEXT) | instid1(VALU_DEP_2)
	v_mul_i32_i24_e32 v14, v15, v14
	v_bfe_i32 v15, v16, 0, 8
	s_delay_alu instid0(VALU_DEP_1) | instskip(SKIP_4) | instid1(VALU_DEP_4)
	v_mad_i32_i24 v188, v15, v13, v14
	v_sub_nc_u16 v13, v21, v19
	v_sub_nc_u16 v14, v20, v18
	v_add3_u32 v15, s22, v120, v121
	v_lshrrev_b16 v18, 8, v18
	v_bfe_i32 v13, v13, 0, 8
	s_delay_alu instid0(VALU_DEP_4) | instskip(NEXT) | instid1(VALU_DEP_2)
	v_bfe_i32 v14, v14, 0, 8
	v_mul_i32_i24_e32 v13, v13, v141
	s_delay_alu instid0(VALU_DEP_1) | instskip(NEXT) | instid1(VALU_DEP_1)
	v_mad_i32_i24 v13, v14, v161, v13
	v_add3_u32 v195, v13, v7, v8
	v_add_nc_u32_e32 v13, 0x3180, v139
	ds_load_2addr_b32 v[7:8], v17 offset1:1
	ds_load_2addr_b32 v[13:14], v13 offset1:1
	ds_load_b32 v163, v15
	s_wait_dscnt 0x2
	v_ashrrev_i32_e32 v8, s16, v8
	v_ashrrev_i32_e32 v7, s16, v7
	s_wait_dscnt 0x1
	v_ashrrev_i32_e32 v14, s23, v14
	v_ashrrev_i32_e32 v13, s23, v13
	v_lshlrev_b32_e32 v8, 2, v8
	v_lshlrev_b32_e32 v7, 2, v7
	s_delay_alu instid0(VALU_DEP_4) | instskip(NEXT) | instid1(VALU_DEP_4)
	v_and_b32_e32 v199, 0x3030303, v14
	v_and_b32_e32 v200, 0x3030303, v13
	s_delay_alu instid0(VALU_DEP_4) | instskip(NEXT) | instid1(VALU_DEP_4)
	v_and_b32_e32 v196, 0x4040404, v8
	v_and_b32_e32 v197, 0x4040404, v7
	v_bfe_u32 v8, v14, 24, 2
	v_bfe_u32 v7, v13, 24, 2
	s_delay_alu instid0(VALU_DEP_4) | instskip(NEXT) | instid1(VALU_DEP_4)
	v_sub_nc_u16 v0, v199, v196
	v_sub_nc_u16 v1, v200, v197
	v_lshrrev_b32_e32 v15, 24, v196
	s_delay_alu instid0(VALU_DEP_3) | instskip(NEXT) | instid1(VALU_DEP_3)
	v_bfe_i32 v0, v0, 0, 8
	v_bfe_i32 v1, v1, 0, 8
	s_delay_alu instid0(VALU_DEP_3) | instskip(SKIP_1) | instid1(VALU_DEP_4)
	v_sub_nc_u16 v8, v8, v15
	v_lshrrev_b32_e32 v15, 24, v197
	v_mul_i32_i24_e32 v0, v0, v142
	s_delay_alu instid0(VALU_DEP_3) | instskip(NEXT) | instid1(VALU_DEP_3)
	v_bfe_i32 v8, v8, 0, 16
	v_sub_nc_u16 v7, v7, v15
	s_delay_alu instid0(VALU_DEP_3) | instskip(SKIP_4) | instid1(VALU_DEP_4)
	v_mad_i32_i24 v0, v1, v155, v0
	v_lshlrev_b32_e32 v1, 2, v5
	v_lshlrev_b32_e32 v5, 2, v6
	v_mul_i32_i24_e32 v8, v8, v12
	v_bfe_i32 v7, v7, 0, 16
	v_and_b32_e32 v204, 0x4040404, v1
	s_delay_alu instid0(VALU_DEP_4) | instskip(NEXT) | instid1(VALU_DEP_3)
	v_and_b32_e32 v205, 0x4040404, v5
	v_mad_i32_i24 v198, v7, v11, v8
	v_lshrrev_b32_e32 v7, 16, v199
	s_delay_alu instid0(VALU_DEP_4) | instskip(NEXT) | instid1(VALU_DEP_4)
	v_sub_nc_u16 v1, v206, v204
	v_sub_nc_u16 v5, v207, v205
	v_lshrrev_b32_e32 v8, 16, v196
	v_lshrrev_b32_e32 v11, 16, v197
	v_lshrrev_b16 v197, 8, v197
	v_bfe_i32 v1, v1, 0, 8
	v_bfe_i32 v5, v5, 0, 8
	v_sub_nc_u16 v7, v7, v8
	v_lshrrev_b32_e32 v8, 16, v200
	v_lshrrev_b16 v200, 8, v200
	v_mul_i32_i24_e32 v1, v1, v136
	v_mul_i32_i24_e32 v5, v5, v132
	v_bfe_i32 v7, v7, 0, 8
	v_sub_nc_u16 v8, v8, v11
	v_lshrrev_b16 v199, 8, v199
	v_lshrrev_b16 v196, 8, v196
	v_add3_u32 v208, v0, v1, v5
	ds_load_2addr_b32 v[167:168], v179 offset0:4 offset1:5
	ds_load_2addr_b32 v[0:1], v179 offset0:6 offset1:7
	;; [unrolled: 1-line block ×3, first 2 shown]
	v_mul_i32_i24_e32 v7, v7, v10
	v_bfe_i32 v8, v8, 0, 8
	v_add_nc_u32_e32 v10, 0x1098, v139
	v_sub_nc_u16 v197, v200, v197
	v_sub_nc_u16 v196, v199, v196
	v_lshrrev_b16 v199, 8, v206
	v_mad_i32_i24 v201, v8, v9, v7
	v_lshrrev_b16 v200, 8, v204
	v_bfe_i32 v197, v197, 0, 16
	v_bfe_i32 v196, v196, 0, 16
	s_delay_alu instid0(VALU_DEP_3) | instskip(NEXT) | instid1(VALU_DEP_2)
	v_sub_nc_u16 v199, v199, v200
	v_mul_i32_i24_e32 v151, v196, v151
	s_wait_dscnt 0x2
	v_ashrrev_i32_e32 v5, s16, v167
	s_delay_alu instid0(VALU_DEP_3)
	v_bfe_i32 v196, v199, 0, 16
	s_wait_dscnt 0x0
	v_ashrrev_i32_e32 v11, s16, v11
	v_ashrrev_i32_e32 v0, s16, v0
	;; [unrolled: 1-line block ×3, first 2 shown]
	v_lshlrev_b32_e32 v5, 2, v5
	v_mul_i32_i24_e32 v150, v196, v150
	v_lshlrev_b32_e32 v11, 2, v11
	v_lshlrev_b32_e32 v0, 2, v0
	;; [unrolled: 1-line block ×3, first 2 shown]
	v_and_b32_e32 v167, 0x4040404, v5
	ds_load_2addr_b32 v[169:170], v139 offset0:4 offset1:5
	ds_load_2addr_b32 v[5:6], v139 offset0:6 offset1:7
	ds_load_2addr_b32 v[13:14], v139 offset0:2 offset1:3
	v_and_b32_e32 v11, 0x4040404, v11
	v_and_b32_e32 v0, 0x4040404, v0
	;; [unrolled: 1-line block ×3, first 2 shown]
	v_lshrrev_b16 v8, 8, v167
	s_wait_dscnt 0x2
	v_ashrrev_i32_e32 v169, s23, v169
	s_wait_dscnt 0x1
	v_ashrrev_i32_e32 v5, s23, v5
	;; [unrolled: 2-line block ×3, first 2 shown]
	v_ashrrev_i32_e32 v6, s23, v6
	v_and_b32_e32 v209, 0x3030303, v169
	s_delay_alu instid0(VALU_DEP_1) | instskip(NEXT) | instid1(VALU_DEP_1)
	v_lshrrev_b16 v7, 8, v209
	v_sub_nc_u16 v180, v7, v8
	v_add_nc_u32_e32 v7, s17, v97
	s_delay_alu instid0(VALU_DEP_2)
	v_lshlrev_b16 v180, 8, v180
	ds_load_u16 v165, v7 offset:26354
	v_add3_u32 v7, s22, v116, v117
	v_bfe_i32 v180, v180, 8, 8
	ds_load_b32 v164, v7
	ds_load_2addr_b32 v[171:172], v181 offset0:4 offset1:5
	ds_load_2addr_b32 v[7:8], v181 offset0:6 offset1:7
	;; [unrolled: 1-line block ×3, first 2 shown]
	s_wait_dscnt 0x2
	v_ashrrev_i32_e32 v9, s16, v171
	s_wait_dscnt 0x1
	v_ashrrev_i32_e32 v7, s16, v7
	;; [unrolled: 2-line block ×3, first 2 shown]
	v_ashrrev_i32_e32 v16, s16, v16
	v_ashrrev_i32_e32 v8, s16, v8
	v_lshlrev_b32_e32 v9, 2, v9
	v_lshlrev_b32_e32 v7, 2, v7
	;; [unrolled: 1-line block ×5, first 2 shown]
	v_and_b32_e32 v171, 0x4040404, v9
	v_add_nc_u32_e32 v9, 0x1090, v139
	ds_load_2addr_b32 v[173:174], v9 offset1:1
	ds_load_2addr_b32 v[9:10], v10 offset1:1
	v_lshrrev_b16 v22, 8, v171
	v_and_b32_e32 v15, 0x4040404, v15
	v_and_b32_e32 v7, 0x4040404, v7
	;; [unrolled: 1-line block ×4, first 2 shown]
	s_wait_dscnt 0x1
	v_ashrrev_i32_e32 v173, s23, v173
	s_wait_dscnt 0x0
	v_ashrrev_i32_e32 v9, s23, v9
	v_ashrrev_i32_e32 v10, s23, v10
	s_delay_alu instid0(VALU_DEP_3) | instskip(NEXT) | instid1(VALU_DEP_1)
	v_and_b32_e32 v210, 0x3030303, v173
	v_lshrrev_b16 v17, 8, v210
	v_sub_nc_u16 v214, v210, v171
	s_delay_alu instid0(VALU_DEP_2) | instskip(SKIP_1) | instid1(VALU_DEP_3)
	v_sub_nc_u16 v182, v17, v22
	v_lshrrev_b16 v17, 8, v20
	v_bfe_i32 v214, v214, 0, 8
	s_delay_alu instid0(VALU_DEP_2)
	v_sub_nc_u16 v183, v17, v18
	v_lshrrev_b16 v18, 8, v19
	ds_load_2addr_b32 v[175:176], v211 offset0:4 offset1:5
	ds_load_2addr_b32 v[19:20], v211 offset0:2 offset1:3
	v_lshrrev_b16 v17, 8, v21
	v_add_nc_u32_e32 v21, 0x2108, v139
	v_mul_i32_i24_e32 v214, v161, v214
	s_delay_alu instid0(VALU_DEP_3)
	v_sub_nc_u16 v184, v17, v18
	v_add_nc_u32_e32 v18, 0x2118, v139
	s_wait_dscnt 0x1
	v_ashrrev_i32_e32 v17, s16, v175
	s_wait_dscnt 0x0
	v_ashrrev_i32_e32 v19, s16, v19
	s_delay_alu instid0(VALU_DEP_2) | instskip(NEXT) | instid1(VALU_DEP_2)
	v_lshlrev_b32_e32 v17, 2, v17
	v_lshlrev_b32_e32 v19, 2, v19
	s_delay_alu instid0(VALU_DEP_2)
	v_and_b32_e32 v175, 0x4040404, v17
	v_add_nc_u32_e32 v17, 0x2110, v139
	ds_load_2addr_b32 v[177:178], v17 offset1:1
	ds_load_2addr_b32 v[17:18], v18 offset1:1
	;; [unrolled: 1-line block ×3, first 2 shown]
	v_lshrrev_b16 v186, 8, v175
	v_and_b32_e32 v19, 0x4040404, v19
	s_wait_dscnt 0x2
	v_ashrrev_i32_e32 v177, s23, v177
	s_wait_dscnt 0x1
	v_ashrrev_i32_e32 v17, s23, v17
	;; [unrolled: 2-line block ×3, first 2 shown]
	v_ashrrev_i32_e32 v18, s23, v18
	v_and_b32_e32 v212, 0x3030303, v177
	s_delay_alu instid0(VALU_DEP_1) | instskip(SKIP_1) | instid1(VALU_DEP_2)
	v_lshrrev_b16 v185, 8, v212
	v_sub_nc_u16 v215, v212, v175
	v_sub_nc_u16 v185, v185, v186
	v_lshrrev_b16 v186, 8, v193
	s_delay_alu instid0(VALU_DEP_3) | instskip(NEXT) | instid1(VALU_DEP_2)
	v_bfe_i32 v215, v215, 0, 8
	v_sub_nc_u16 v186, v186, v213
	v_sub_nc_u16 v213, v209, v167
	s_delay_alu instid0(VALU_DEP_1) | instskip(NEXT) | instid1(VALU_DEP_1)
	v_bfe_i32 v213, v213, 0, 8
	v_mul_i32_i24_e32 v213, v161, v213
	v_mul_i32_i24_e32 v161, v161, v215
	s_delay_alu instid0(VALU_DEP_2) | instskip(SKIP_2) | instid1(VALU_DEP_2)
	v_mad_i32_i24 v213, v160, v180, v213
	v_lshlrev_b16 v180, 8, v182
	v_add_nc_u32_e32 v182, 0x1080, v139
	v_bfe_i32 v180, v180, 8, 8
	s_delay_alu instid0(VALU_DEP_1) | instskip(SKIP_1) | instid1(VALU_DEP_1)
	v_mad_i32_i24 v214, v160, v180, v214
	v_lshlrev_b16 v180, 8, v185
	v_bfe_i32 v180, v180, 8, 8
	s_delay_alu instid0(VALU_DEP_1) | instskip(SKIP_1) | instid1(VALU_DEP_1)
	v_mad_i32_i24 v215, v160, v180, v161
	v_bfe_i32 v161, v183, 0, 16
	v_mul_i32_i24_e32 v160, v161, v160
	v_bfe_i32 v161, v184, 0, 16
	s_delay_alu instid0(VALU_DEP_1) | instskip(SKIP_1) | instid1(VALU_DEP_1)
	v_mul_i32_i24_e32 v159, v161, v159
	v_bfe_i32 v161, v186, 0, 16
	v_mul_i32_i24_e32 v158, v161, v158
	s_delay_alu instid0(VALU_DEP_1)
	v_add3_u32 v216, v160, v159, v158
	ds_load_2addr_b32 v[158:159], v179 offset1:1
	ds_load_2addr_b32 v[160:161], v139 offset1:1
	s_wait_dscnt 0x1
	v_ashrrev_i32_e32 v158, s16, v158
	s_wait_dscnt 0x0
	v_ashrrev_i32_e32 v160, s23, v160
	s_delay_alu instid0(VALU_DEP_2) | instskip(NEXT) | instid1(VALU_DEP_2)
	v_lshlrev_b32_e32 v158, 2, v158
	v_and_b32_e32 v218, 0x3030303, v160
	s_delay_alu instid0(VALU_DEP_2) | instskip(NEXT) | instid1(VALU_DEP_2)
	v_and_b32_e32 v217, 0x4040404, v158
	v_lshrrev_b16 v158, 8, v218
	s_delay_alu instid0(VALU_DEP_2) | instskip(SKIP_1) | instid1(VALU_DEP_2)
	v_lshrrev_b16 v179, 8, v217
	v_sub_nc_u16 v200, v218, v217
	v_sub_nc_u16 v219, v158, v179
	v_add3_u32 v158, s22, v126, v113
	s_delay_alu instid0(VALU_DEP_3) | instskip(NEXT) | instid1(VALU_DEP_3)
	v_bfe_i32 v200, v200, 0, 8
	v_lshlrev_b16 v219, 8, v219
	ds_load_b32 v158, v158
	ds_load_2addr_b32 v[179:180], v181 offset1:1
	ds_load_2addr_b32 v[181:182], v182 offset1:1
	v_mul_i32_i24_e32 v200, v155, v200
	v_bfe_i32 v219, v219, 8, 8
	s_delay_alu instid0(VALU_DEP_1) | instskip(SKIP_4) | instid1(VALU_DEP_2)
	v_mad_i32_i24 v200, v154, v219, v200
	s_wait_dscnt 0x1
	v_ashrrev_i32_e32 v179, s16, v179
	s_wait_dscnt 0x0
	v_ashrrev_i32_e32 v181, s23, v181
	v_lshlrev_b32_e32 v179, 2, v179
	s_delay_alu instid0(VALU_DEP_2) | instskip(NEXT) | instid1(VALU_DEP_2)
	v_and_b32_e32 v220, 0x3030303, v181
	v_and_b32_e32 v179, 0x4040404, v179
	s_delay_alu instid0(VALU_DEP_2) | instskip(NEXT) | instid1(VALU_DEP_2)
	v_lshrrev_b16 v183, 8, v220
	v_lshrrev_b16 v184, 8, v179
	s_delay_alu instid0(VALU_DEP_1) | instskip(SKIP_4) | instid1(VALU_DEP_1)
	v_sub_nc_u16 v221, v183, v184
	v_add_nc_u32_e32 v183, 0x2100, v139
	ds_load_2addr_b32 v[183:184], v183 offset1:1
	ds_load_2addr_b32 v[185:186], v211 offset1:1
	v_lshlrev_b16 v219, 8, v221
	v_bfe_i32 v219, v219, 8, 8
	s_wait_dscnt 0x1
	v_ashrrev_i32_e32 v183, s23, v183
	s_wait_dscnt 0x0
	v_ashrrev_i32_e32 v185, s16, v185
	s_delay_alu instid0(VALU_DEP_2) | instskip(NEXT) | instid1(VALU_DEP_2)
	v_and_b32_e32 v222, 0x3030303, v183
	v_lshlrev_b32_e32 v185, 2, v185
	s_delay_alu instid0(VALU_DEP_2) | instskip(NEXT) | instid1(VALU_DEP_2)
	v_lshrrev_b16 v223, 8, v222
	v_and_b32_e32 v185, 0x4040404, v185
	s_delay_alu instid0(VALU_DEP_1) | instskip(SKIP_1) | instid1(VALU_DEP_2)
	v_lshrrev_b16 v224, 8, v185
	v_sub_nc_u16 v225, v222, v185
	v_sub_nc_u16 v223, v223, v224
	;; [unrolled: 1-line block ×3, first 2 shown]
	s_delay_alu instid0(VALU_DEP_3) | instskip(NEXT) | instid1(VALU_DEP_3)
	v_bfe_i32 v225, v225, 0, 8
	v_lshlrev_b16 v221, 8, v223
	s_delay_alu instid0(VALU_DEP_3) | instskip(NEXT) | instid1(VALU_DEP_2)
	v_bfe_i32 v224, v224, 0, 8
	v_bfe_i32 v221, v221, 8, 8
	s_delay_alu instid0(VALU_DEP_2) | instskip(SKIP_1) | instid1(VALU_DEP_2)
	v_mul_i32_i24_e32 v224, v155, v224
	v_mul_i32_i24_e32 v155, v155, v225
	v_mad_i32_i24 v219, v154, v219, v224
	s_delay_alu instid0(VALU_DEP_2) | instskip(SKIP_1) | instid1(VALU_DEP_1)
	v_mad_i32_i24 v155, v154, v221, v155
	v_mul_i32_i24_e32 v154, v197, v154
	v_add3_u32 v150, v154, v151, v150
	v_lshrrev_b32_e32 v151, 16, v193
	v_lshrrev_b32_e32 v154, 16, v191
	;; [unrolled: 1-line block ×3, first 2 shown]
	s_delay_alu instid0(VALU_DEP_2) | instskip(SKIP_1) | instid1(VALU_DEP_2)
	v_sub_nc_u16 v151, v151, v154
	v_lshrrev_b32_e32 v154, 16, v194
	v_bfe_i32 v151, v151, 0, 8
	s_delay_alu instid0(VALU_DEP_2) | instskip(NEXT) | instid1(VALU_DEP_2)
	v_sub_nc_u16 v154, v154, v193
	v_mul_i32_i24_e32 v151, v151, v156
	s_delay_alu instid0(VALU_DEP_2) | instskip(SKIP_1) | instid1(VALU_DEP_2)
	v_bfe_i32 v154, v154, 0, 8
	v_lshrrev_b32_e32 v156, 24, v191
	v_mul_i32_i24_e32 v154, v154, v157
	v_lshrrev_b32_e32 v157, 24, v192
	s_delay_alu instid0(VALU_DEP_2) | instskip(SKIP_1) | instid1(VALU_DEP_1)
	v_add3_u32 v151, v188, v151, v154
	v_bfe_u32 v154, v189, 24, 2
	v_sub_nc_u16 v154, v154, v156
	v_bfe_u32 v156, v190, 24, 2
	s_delay_alu instid0(VALU_DEP_2) | instskip(NEXT) | instid1(VALU_DEP_2)
	v_bfe_i32 v154, v154, 0, 16
	v_sub_nc_u16 v156, v156, v157
	v_lshrrev_b32_e32 v157, 24, v179
	s_delay_alu instid0(VALU_DEP_3) | instskip(NEXT) | instid1(VALU_DEP_3)
	v_mul_i32_i24_e32 v152, v154, v152
	v_bfe_i32 v154, v156, 0, 16
	v_lshrrev_b32_e32 v156, 16, v217
	s_delay_alu instid0(VALU_DEP_2) | instskip(SKIP_1) | instid1(VALU_DEP_2)
	v_mul_i32_i24_e32 v153, v154, v153
	v_lshrrev_b32_e32 v154, 24, v217
	v_add3_u32 v152, v187, v152, v153
	v_bfe_u32 v153, v160, 24, 2
	v_lshrrev_b32_e32 v160, 16, v179
	v_lshrrev_b32_e32 v179, 24, v185
	s_delay_alu instid0(VALU_DEP_3) | instskip(SKIP_1) | instid1(VALU_DEP_2)
	v_sub_nc_u16 v153, v153, v154
	v_lshrrev_b32_e32 v154, 16, v218
	v_lshlrev_b16 v153, 8, v153
	s_delay_alu instid0(VALU_DEP_2) | instskip(SKIP_2) | instid1(VALU_DEP_2)
	v_sub_nc_u16 v154, v154, v156
	v_bfe_u32 v156, v181, 24, 2
	v_lshrrev_b32_e32 v181, 16, v185
	v_sub_nc_u16 v156, v156, v157
	v_lshrrev_b32_e32 v157, 16, v220
	s_delay_alu instid0(VALU_DEP_2) | instskip(NEXT) | instid1(VALU_DEP_2)
	v_lshlrev_b16 v156, 8, v156
	v_sub_nc_u16 v157, v157, v160
	v_bfe_u32 v160, v183, 24, 2
	s_delay_alu instid0(VALU_DEP_1) | instskip(SKIP_1) | instid1(VALU_DEP_2)
	v_sub_nc_u16 v160, v160, v179
	v_lshrrev_b32_e32 v179, 16, v222
	v_lshlrev_b16 v160, 8, v160
	s_delay_alu instid0(VALU_DEP_2) | instskip(SKIP_1) | instid1(VALU_DEP_1)
	v_sub_nc_u16 v179, v179, v181
	v_and_b32_e32 v181, 0xff, v154
	v_or_b32_e32 v153, v181, v153
	v_and_b32_e32 v181, 0xff, v157
	s_delay_alu instid0(VALU_DEP_2) | instskip(NEXT) | instid1(VALU_DEP_2)
	v_perm_b32 v153, v153, v154, 0xc0c0500
	v_or_b32_e32 v156, v181, v156
	v_and_b32_e32 v181, 0xff, v179
	s_delay_alu instid0(VALU_DEP_3) | instskip(NEXT) | instid1(VALU_DEP_3)
	v_dot4_i32_iu8 v153, v148, v153, v200 neg_lo:[1,1,0]
	v_perm_b32 v154, v156, v157, 0xc0c0500
	s_delay_alu instid0(VALU_DEP_3) | instskip(SKIP_1) | instid1(VALU_DEP_3)
	v_or_b32_e32 v160, v181, v160
	v_lshrrev_b32_e32 v157, 16, v205
	v_dot4_i32_iu8 v154, v148, v154, v219 neg_lo:[1,1,0]
	s_delay_alu instid0(VALU_DEP_3) | instskip(SKIP_1) | instid1(VALU_DEP_2)
	v_perm_b32 v156, v160, v179, 0xc0c0500
	v_lshrrev_b32_e32 v160, 24, v175
	v_dot4_i32_iu8 v148, v148, v156, v155 neg_lo:[1,1,0]
	v_lshrrev_b32_e32 v155, 16, v206
	v_lshrrev_b32_e32 v156, 16, v204
	s_delay_alu instid0(VALU_DEP_1) | instskip(SKIP_1) | instid1(VALU_DEP_2)
	v_sub_nc_u16 v155, v155, v156
	v_lshrrev_b32_e32 v156, 16, v207
	v_bfe_i32 v155, v155, 0, 8
	s_delay_alu instid0(VALU_DEP_2) | instskip(SKIP_1) | instid1(VALU_DEP_3)
	v_sub_nc_u16 v156, v156, v157
	v_lshrrev_b32_e32 v157, 16, v171
	v_mul_i32_i24_e32 v147, v155, v147
	s_delay_alu instid0(VALU_DEP_3) | instskip(SKIP_1) | instid1(VALU_DEP_2)
	v_bfe_i32 v155, v156, 0, 8
	v_lshrrev_b32_e32 v156, 24, v205
	v_mul_i32_i24_e32 v149, v155, v149
	v_lshrrev_b32_e32 v155, 24, v204
	s_delay_alu instid0(VALU_DEP_2) | instskip(SKIP_1) | instid1(VALU_DEP_1)
	v_add3_u32 v147, v201, v147, v149
	v_bfe_u32 v149, v202, 24, 2
	v_sub_nc_u16 v149, v149, v155
	v_bfe_u32 v155, v203, 24, 2
	s_delay_alu instid0(VALU_DEP_2) | instskip(NEXT) | instid1(VALU_DEP_2)
	v_bfe_i32 v149, v149, 0, 16
	v_sub_nc_u16 v155, v155, v156
	v_lshrrev_b32_e32 v156, 24, v171
	s_delay_alu instid0(VALU_DEP_3) | instskip(NEXT) | instid1(VALU_DEP_3)
	v_mul_i32_i24_e32 v145, v149, v145
	v_bfe_i32 v149, v155, 0, 16
	v_lshrrev_b32_e32 v155, 16, v167
	s_delay_alu instid0(VALU_DEP_2) | instskip(SKIP_2) | instid1(VALU_DEP_3)
	v_mul_i32_i24_e32 v146, v149, v146
	v_lshrrev_b32_e32 v149, 24, v167
	v_lshrrev_b32_e32 v167, 16, v175
	v_add3_u32 v145, v198, v145, v146
	v_bfe_u32 v146, v169, 24, 2
	s_delay_alu instid0(VALU_DEP_1) | instskip(SKIP_1) | instid1(VALU_DEP_2)
	v_sub_nc_u16 v146, v146, v149
	v_lshrrev_b32_e32 v149, 16, v209
	v_lshlrev_b16 v146, 8, v146
	s_delay_alu instid0(VALU_DEP_2) | instskip(SKIP_1) | instid1(VALU_DEP_1)
	v_sub_nc_u16 v149, v149, v155
	v_bfe_u32 v155, v173, 24, 2
	v_sub_nc_u16 v155, v155, v156
	v_lshrrev_b32_e32 v156, 16, v210
	s_delay_alu instid0(VALU_DEP_2) | instskip(NEXT) | instid1(VALU_DEP_2)
	v_lshlrev_b16 v155, 8, v155
	v_sub_nc_u16 v156, v156, v157
	v_bfe_u32 v157, v177, 24, 2
	s_delay_alu instid0(VALU_DEP_1) | instskip(SKIP_1) | instid1(VALU_DEP_2)
	v_sub_nc_u16 v157, v157, v160
	v_lshrrev_b32_e32 v160, 16, v212
	v_lshlrev_b16 v157, 8, v157
	s_delay_alu instid0(VALU_DEP_2) | instskip(SKIP_1) | instid1(VALU_DEP_1)
	v_sub_nc_u16 v160, v160, v167
	v_and_b32_e32 v167, 0xff, v149
	v_or_b32_e32 v146, v167, v146
	v_and_b32_e32 v167, 0xff, v156
	s_delay_alu instid0(VALU_DEP_2) | instskip(NEXT) | instid1(VALU_DEP_2)
	v_perm_b32 v146, v146, v149, 0xc0c0500
	v_or_b32_e32 v155, v167, v155
	v_and_b32_e32 v167, 0xff, v160
	s_delay_alu instid0(VALU_DEP_3) | instskip(NEXT) | instid1(VALU_DEP_3)
	v_dot4_i32_iu8 v146, v144, v146, v213 neg_lo:[1,1,0]
	v_perm_b32 v149, v155, v156, 0xc0c0500
	s_delay_alu instid0(VALU_DEP_3) | instskip(SKIP_1) | instid1(VALU_DEP_3)
	v_or_b32_e32 v157, v167, v157
	v_lshrrev_b16 v156, 8, v192
	v_dot4_i32_iu8 v149, v144, v149, v214 neg_lo:[1,1,0]
	s_delay_alu instid0(VALU_DEP_3) | instskip(SKIP_2) | instid1(VALU_DEP_3)
	v_perm_b32 v155, v157, v160, 0xc0c0500
	v_ashrrev_i32_e32 v157, s16, v186
	v_ashrrev_i32_e32 v160, s23, v184
	v_dot4_i32_iu8 v144, v144, v155, v215 neg_lo:[1,1,0]
	v_lshrrev_b16 v155, 8, v194
	s_delay_alu instid0(VALU_DEP_4) | instskip(NEXT) | instid1(VALU_DEP_2)
	v_lshlrev_b32_e32 v157, 2, v157
	v_sub_nc_u16 v155, v155, v156
	v_ashrrev_i32_e32 v156, s16, v180
	s_delay_alu instid0(VALU_DEP_3) | instskip(NEXT) | instid1(VALU_DEP_3)
	v_and_b32_e32 v157, 0x4040404, v157
	v_bfe_i32 v155, v155, 0, 16
	s_delay_alu instid0(VALU_DEP_3) | instskip(NEXT) | instid1(VALU_DEP_2)
	v_lshlrev_b32_e32 v156, 2, v156
	v_mul_i32_i24_e32 v143, v155, v143
	v_ashrrev_i32_e32 v155, s16, v159
	v_ashrrev_i32_e32 v159, s23, v182
	s_delay_alu instid0(VALU_DEP_4) | instskip(NEXT) | instid1(VALU_DEP_4)
	v_and_b32_e32 v156, 0x4040404, v156
	v_add3_u32 v143, v216, v143, v152
	v_ashrrev_i32_e32 v152, s23, v161
	v_lshlrev_b32_e32 v155, 2, v155
	s_delay_alu instid0(VALU_DEP_3) | instskip(NEXT) | instid1(VALU_DEP_3)
	v_add3_u32 v143, v195, v151, v143
	v_and_b32_e32 v161, 0x3030303, v152
	s_delay_alu instid0(VALU_DEP_3) | instskip(NEXT) | instid1(VALU_DEP_1)
	v_and_b32_e32 v155, 0x4040404, v155
	v_sub_nc_u16 v167, v161, v155
	v_lshrrev_b32_e32 v151, 24, v155
	s_delay_alu instid0(VALU_DEP_2) | instskip(NEXT) | instid1(VALU_DEP_1)
	v_bfe_i32 v167, v167, 0, 8
	v_mad_i32_i24 v153, v142, v167, v153
	v_and_b32_e32 v167, 0x3030303, v159
	s_delay_alu instid0(VALU_DEP_1) | instskip(NEXT) | instid1(VALU_DEP_1)
	v_sub_nc_u16 v169, v167, v156
	v_bfe_i32 v169, v169, 0, 8
	s_delay_alu instid0(VALU_DEP_1) | instskip(SKIP_2) | instid1(VALU_DEP_2)
	v_mad_i32_i24 v154, v142, v169, v154
	v_and_b32_e32 v169, 0x3030303, v160
	v_bfe_u32 v160, v160, 24, 2
	v_sub_nc_u16 v171, v169, v157
	s_delay_alu instid0(VALU_DEP_1) | instskip(NEXT) | instid1(VALU_DEP_1)
	v_bfe_i32 v171, v171, 0, 8
	v_mad_i32_i24 v142, v142, v171, v148
	v_lshrrev_b16 v148, 8, v207
	v_lshrrev_b16 v171, 8, v205
	s_delay_alu instid0(VALU_DEP_1) | instskip(SKIP_1) | instid1(VALU_DEP_2)
	v_sub_nc_u16 v148, v148, v171
	v_ashrrev_i32_e32 v171, s23, v178
	v_bfe_i32 v148, v148, 0, 16
	s_delay_alu instid0(VALU_DEP_1) | instskip(SKIP_2) | instid1(VALU_DEP_3)
	v_mul_i32_i24_e32 v140, v148, v140
	v_ashrrev_i32_e32 v148, s16, v168
	v_ashrrev_i32_e32 v168, s16, v176
	v_add3_u32 v140, v150, v140, v145
	v_ashrrev_i32_e32 v145, s23, v170
	s_delay_alu instid0(VALU_DEP_4)
	v_lshlrev_b32_e32 v148, 2, v148
	v_ashrrev_i32_e32 v150, s16, v172
	v_ashrrev_i32_e32 v170, s23, v174
	v_lshlrev_b32_e32 v168, 2, v168
	v_and_b32_e32 v172, 0x3030303, v145
	v_and_b32_e32 v148, 0x4040404, v148
	v_lshlrev_b32_e32 v150, 2, v150
	v_add3_u32 v147, v208, v147, v140
	v_and_b32_e32 v168, 0x4040404, v168
	s_delay_alu instid0(VALU_DEP_4) | instskip(NEXT) | instid1(VALU_DEP_4)
	v_sub_nc_u16 v173, v172, v148
	v_and_b32_e32 v150, 0x4040404, v150
	v_lshrrev_b32_e32 v140, 24, v148
	s_delay_alu instid0(VALU_DEP_3) | instskip(NEXT) | instid1(VALU_DEP_1)
	v_bfe_i32 v173, v173, 0, 8
	v_mad_i32_i24 v146, v141, v173, v146
	v_and_b32_e32 v173, 0x3030303, v170
	s_delay_alu instid0(VALU_DEP_1) | instskip(NEXT) | instid1(VALU_DEP_1)
	v_sub_nc_u16 v174, v173, v150
	v_bfe_i32 v174, v174, 0, 8
	s_delay_alu instid0(VALU_DEP_1) | instskip(SKIP_1) | instid1(VALU_DEP_1)
	v_mad_i32_i24 v149, v141, v174, v149
	v_and_b32_e32 v174, 0x3030303, v171
	v_sub_nc_u16 v175, v174, v168
	s_delay_alu instid0(VALU_DEP_1) | instskip(NEXT) | instid1(VALU_DEP_1)
	v_bfe_i32 v175, v175, 0, 8
	v_mad_i32_i24 v141, v141, v175, v144
	v_bfe_u32 v144, v152, 24, 2
	v_lshrrev_b32_e32 v152, 16, v155
	v_lshrrev_b16 v155, 8, v155
	s_delay_alu instid0(VALU_DEP_3) | instskip(SKIP_1) | instid1(VALU_DEP_2)
	v_sub_nc_u16 v144, v144, v151
	v_lshrrev_b32_e32 v151, 16, v161
	v_lshlrev_b16 v144, 8, v144
	s_delay_alu instid0(VALU_DEP_2) | instskip(SKIP_2) | instid1(VALU_DEP_2)
	v_sub_nc_u16 v151, v151, v152
	v_lshrrev_b16 v152, 8, v161
	v_lshrrev_b32_e32 v161, 16, v156
	v_sub_nc_u16 v152, v152, v155
	v_bfe_u32 v155, v159, 24, 2
	v_lshrrev_b32_e32 v159, 24, v156
	v_lshrrev_b16 v156, 8, v156
	s_delay_alu instid0(VALU_DEP_4) | instskip(NEXT) | instid1(VALU_DEP_3)
	v_lshlrev_b16 v152, 8, v152
	v_sub_nc_u16 v155, v155, v159
	v_lshrrev_b32_e32 v159, 16, v167
	s_delay_alu instid0(VALU_DEP_3) | instskip(NEXT) | instid1(VALU_DEP_3)
	v_perm_b32 v152, v152, v152, 0xc0c0c01
	v_lshlrev_b16 v155, 8, v155
	s_delay_alu instid0(VALU_DEP_3) | instskip(SKIP_2) | instid1(VALU_DEP_2)
	v_sub_nc_u16 v159, v159, v161
	v_lshrrev_b16 v161, 8, v167
	v_lshrrev_b32_e32 v167, 16, v157
	v_sub_nc_u16 v156, v161, v156
	v_lshrrev_b32_e32 v161, 24, v157
	v_lshrrev_b16 v157, 8, v157
	s_delay_alu instid0(VALU_DEP_2) | instskip(SKIP_1) | instid1(VALU_DEP_2)
	v_sub_nc_u16 v160, v160, v161
	v_lshrrev_b32_e32 v161, 16, v169
	v_lshlrev_b16 v160, 8, v160
	s_delay_alu instid0(VALU_DEP_2) | instskip(SKIP_1) | instid1(VALU_DEP_1)
	v_sub_nc_u16 v161, v161, v167
	v_lshrrev_b16 v167, 8, v169
	v_sub_nc_u16 v157, v167, v157
	v_and_b32_e32 v167, 0xff, v151
	s_delay_alu instid0(VALU_DEP_1) | instskip(SKIP_1) | instid1(VALU_DEP_2)
	v_or_b32_e32 v144, v167, v144
	v_and_b32_e32 v167, 0xff, v159
	v_perm_b32 v144, v144, v151, 0xc05000c
	s_delay_alu instid0(VALU_DEP_2) | instskip(SKIP_1) | instid1(VALU_DEP_3)
	v_or_b32_e32 v155, v167, v155
	v_and_b32_e32 v167, 0xff, v161
	v_or_b32_e32 v144, v144, v152
	v_lshlrev_b16 v152, 8, v156
	s_delay_alu instid0(VALU_DEP_4) | instskip(NEXT) | instid1(VALU_DEP_4)
	v_perm_b32 v151, v155, v159, 0xc05000c
	v_or_b32_e32 v160, v167, v160
	v_lshrrev_b16 v156, 8, v168
	v_dot4_i32_iu8 v144, v138, v144, v153 neg_lo:[1,1,0]
	v_perm_b32 v152, v152, v152, 0xc0c0c01
	v_lshrrev_b32_e32 v153, 16, v150
	v_perm_b32 v155, v160, v161, 0xc05000c
	s_delay_alu instid0(VALU_DEP_3) | instskip(SKIP_1) | instid1(VALU_DEP_2)
	v_or_b32_e32 v151, v151, v152
	v_lshlrev_b16 v152, 8, v157
	v_dot4_i32_iu8 v151, v138, v151, v154 neg_lo:[1,1,0]
	s_delay_alu instid0(VALU_DEP_2) | instskip(SKIP_1) | instid1(VALU_DEP_2)
	v_perm_b32 v152, v152, v152, 0xc0c0c01
	v_lshrrev_b32_e32 v154, 24, v168
	v_or_b32_e32 v152, v155, v152
	v_lshrrev_b32_e32 v155, 16, v168
	s_delay_alu instid0(VALU_DEP_2)
	v_dot4_i32_iu8 v142, v138, v152, v142 neg_lo:[1,1,0]
	v_bfe_u32 v138, v145, 24, 2
	v_lshrrev_b32_e32 v145, 16, v148
	v_lshrrev_b16 v148, 8, v148
	v_lshrrev_b32_e32 v152, 24, v150
	v_lshrrev_b16 v150, 8, v150
	v_sub_nc_u16 v138, v138, v140
	v_lshrrev_b32_e32 v140, 16, v172
	s_delay_alu instid0(VALU_DEP_2) | instskip(NEXT) | instid1(VALU_DEP_2)
	v_lshlrev_b16 v138, 8, v138
	v_sub_nc_u16 v140, v140, v145
	v_lshrrev_b16 v145, 8, v172
	s_delay_alu instid0(VALU_DEP_1) | instskip(SKIP_1) | instid1(VALU_DEP_2)
	v_sub_nc_u16 v145, v145, v148
	v_bfe_u32 v148, v170, 24, 2
	v_lshlrev_b16 v145, 8, v145
	s_delay_alu instid0(VALU_DEP_2) | instskip(SKIP_1) | instid1(VALU_DEP_3)
	v_sub_nc_u16 v148, v148, v152
	v_lshrrev_b32_e32 v152, 16, v173
	v_perm_b32 v145, v145, v145, 0xc0c0c01
	s_delay_alu instid0(VALU_DEP_3) | instskip(NEXT) | instid1(VALU_DEP_3)
	v_lshlrev_b16 v148, 8, v148
	v_sub_nc_u16 v152, v152, v153
	v_lshrrev_b16 v153, 8, v173
	s_delay_alu instid0(VALU_DEP_1) | instskip(SKIP_1) | instid1(VALU_DEP_1)
	v_sub_nc_u16 v150, v153, v150
	v_bfe_u32 v153, v171, 24, 2
	v_sub_nc_u16 v153, v153, v154
	v_lshrrev_b32_e32 v154, 16, v174
	s_delay_alu instid0(VALU_DEP_2) | instskip(NEXT) | instid1(VALU_DEP_2)
	v_lshlrev_b16 v153, 8, v153
	v_sub_nc_u16 v154, v154, v155
	v_lshrrev_b16 v155, 8, v174
	s_delay_alu instid0(VALU_DEP_1) | instskip(SKIP_1) | instid1(VALU_DEP_1)
	v_sub_nc_u16 v155, v155, v156
	v_and_b32_e32 v156, 0xff, v140
	v_or_b32_e32 v138, v156, v138
	v_and_b32_e32 v156, 0xff, v152
	s_delay_alu instid0(VALU_DEP_2) | instskip(NEXT) | instid1(VALU_DEP_2)
	v_perm_b32 v138, v138, v140, 0xc05000c
	v_or_b32_e32 v148, v156, v148
	v_and_b32_e32 v156, 0xff, v154
	s_delay_alu instid0(VALU_DEP_3) | instskip(SKIP_1) | instid1(VALU_DEP_4)
	v_or_b32_e32 v138, v138, v145
	v_lshlrev_b16 v145, 8, v150
	v_perm_b32 v140, v148, v152, 0xc05000c
	s_delay_alu instid0(VALU_DEP_4) | instskip(NEXT) | instid1(VALU_DEP_4)
	v_or_b32_e32 v153, v156, v153
	v_dot4_i32_iu8 v146, v137, v138, v146 neg_lo:[1,1,0]
	s_delay_alu instid0(VALU_DEP_4) | instskip(NEXT) | instid1(VALU_DEP_3)
	v_perm_b32 v145, v145, v145, 0xc0c0c01
	v_perm_b32 v148, v153, v154, 0xc05000c
	s_delay_alu instid0(VALU_DEP_2) | instskip(SKIP_1) | instid1(VALU_DEP_1)
	v_or_b32_e32 v140, v140, v145
	v_lshlrev_b16 v145, 8, v155
	v_perm_b32 v145, v145, v145, 0xc0c0c01
	s_delay_alu instid0(VALU_DEP_1) | instskip(NEXT) | instid1(VALU_DEP_4)
	v_or_b32_e32 v145, v148, v145
	v_dot4_i32_iu8 v148, v137, v140, v149 neg_lo:[1,1,0]
	s_delay_alu instid0(VALU_DEP_2) | instskip(SKIP_2) | instid1(VALU_DEP_2)
	v_dot4_i32_iu8 v141, v137, v145, v141 neg_lo:[1,1,0]
	v_and_b32_e32 v145, 0x3030303, v13
	v_bfe_u32 v13, v13, 24, 2
	v_sub_nc_u16 v137, v145, v11
	s_delay_alu instid0(VALU_DEP_1) | instskip(NEXT) | instid1(VALU_DEP_1)
	v_bfe_i32 v137, v137, 0, 8
	v_mad_i32_i24 v144, v136, v137, v144
	v_add_nc_u32_e32 v137, 0x1088, v139
	ds_load_2addr_b32 v[137:138], v137 offset1:1
	s_wait_dscnt 0x0
	v_ashrrev_i32_e32 v137, s23, v137
	s_delay_alu instid0(VALU_DEP_1) | instskip(SKIP_1) | instid1(VALU_DEP_2)
	v_and_b32_e32 v149, 0x3030303, v137
	v_bfe_u32 v137, v137, 24, 2
	v_sub_nc_u16 v139, v149, v15
	s_delay_alu instid0(VALU_DEP_1) | instskip(NEXT) | instid1(VALU_DEP_1)
	v_bfe_i32 v139, v139, 0, 8
	v_mad_i32_i24 v150, v136, v139, v151
	v_and_b32_e32 v151, 0x3030303, v21
	ds_load_2addr_b32 v[139:140], v211 offset0:6 offset1:7
	v_bfe_u32 v21, v21, 24, 2
	v_sub_nc_u16 v152, v151, v19
	s_delay_alu instid0(VALU_DEP_1) | instskip(NEXT) | instid1(VALU_DEP_1)
	v_bfe_i32 v152, v152, 0, 8
	v_mad_i32_i24 v136, v136, v152, v142
	v_and_b32_e32 v142, 0x3030303, v5
	v_bfe_u32 v5, v5, 24, 2
	s_delay_alu instid0(VALU_DEP_2) | instskip(SKIP_2) | instid1(VALU_DEP_2)
	v_sub_nc_u16 v152, v142, v0
	s_wait_dscnt 0x0
	v_ashrrev_i32_e32 v139, s16, v139
	v_bfe_i32 v152, v152, 0, 8
	s_delay_alu instid0(VALU_DEP_2) | instskip(NEXT) | instid1(VALU_DEP_2)
	v_lshlrev_b32_e32 v139, 2, v139
	v_mad_i32_i24 v146, v135, v152, v146
	v_and_b32_e32 v152, 0x3030303, v9
	s_delay_alu instid0(VALU_DEP_3) | instskip(SKIP_1) | instid1(VALU_DEP_3)
	v_and_b32_e32 v139, 0x4040404, v139
	v_bfe_u32 v9, v9, 24, 2
	v_sub_nc_u16 v153, v152, v7
	s_delay_alu instid0(VALU_DEP_1) | instskip(NEXT) | instid1(VALU_DEP_1)
	v_bfe_i32 v153, v153, 0, 8
	v_mad_i32_i24 v148, v135, v153, v148
	v_and_b32_e32 v153, 0x3030303, v17
	v_bfe_u32 v17, v17, 24, 2
	s_delay_alu instid0(VALU_DEP_2) | instskip(NEXT) | instid1(VALU_DEP_1)
	v_sub_nc_u16 v154, v153, v139
	v_bfe_i32 v154, v154, 0, 8
	s_delay_alu instid0(VALU_DEP_1) | instskip(SKIP_3) | instid1(VALU_DEP_3)
	v_mad_i32_i24 v135, v135, v154, v141
	v_lshrrev_b32_e32 v141, 24, v11
	v_lshrrev_b32_e32 v154, 16, v11
	v_lshrrev_b16 v11, 8, v11
	v_sub_nc_u16 v13, v13, v141
	v_lshrrev_b32_e32 v141, 16, v145
	v_lshrrev_b16 v145, 8, v145
	s_delay_alu instid0(VALU_DEP_3) | instskip(NEXT) | instid1(VALU_DEP_3)
	v_lshlrev_b16 v13, 8, v13
	v_sub_nc_u16 v141, v141, v154
	s_delay_alu instid0(VALU_DEP_3) | instskip(SKIP_3) | instid1(VALU_DEP_4)
	v_sub_nc_u16 v11, v145, v11
	v_lshrrev_b32_e32 v145, 24, v19
	v_lshrrev_b32_e32 v154, 16, v19
	v_lshrrev_b16 v19, 8, v19
	v_lshlrev_b16 v11, 8, v11
	s_delay_alu instid0(VALU_DEP_4) | instskip(SKIP_2) | instid1(VALU_DEP_4)
	v_sub_nc_u16 v21, v21, v145
	v_lshrrev_b32_e32 v145, 16, v151
	v_lshrrev_b16 v151, 8, v151
	v_perm_b32 v11, v11, v11, 0xc0c0c01
	s_delay_alu instid0(VALU_DEP_4) | instskip(NEXT) | instid1(VALU_DEP_4)
	v_lshlrev_b16 v21, 8, v21
	v_sub_nc_u16 v145, v145, v154
	s_delay_alu instid0(VALU_DEP_4) | instskip(SKIP_3) | instid1(VALU_DEP_3)
	v_sub_nc_u16 v19, v151, v19
	v_lshrrev_b32_e32 v151, 24, v15
	v_lshrrev_b32_e32 v154, 16, v15
	v_lshrrev_b16 v15, 8, v15
	v_sub_nc_u16 v137, v137, v151
	v_lshrrev_b32_e32 v151, 16, v149
	v_lshrrev_b16 v149, 8, v149
	s_delay_alu instid0(VALU_DEP_3) | instskip(NEXT) | instid1(VALU_DEP_3)
	v_lshlrev_b16 v137, 8, v137
	v_sub_nc_u16 v151, v151, v154
	s_delay_alu instid0(VALU_DEP_3) | instskip(SKIP_1) | instid1(VALU_DEP_2)
	v_sub_nc_u16 v15, v149, v15
	v_and_b32_e32 v149, 0xff, v141
	v_lshlrev_b16 v15, 8, v15
	s_delay_alu instid0(VALU_DEP_2) | instskip(SKIP_1) | instid1(VALU_DEP_3)
	v_or_b32_e32 v13, v149, v13
	v_and_b32_e32 v149, 0xff, v145
	v_perm_b32 v15, v15, v15, 0xc0c0c01
	s_delay_alu instid0(VALU_DEP_3) | instskip(NEXT) | instid1(VALU_DEP_3)
	v_perm_b32 v13, v13, v141, 0xc05000c
	v_or_b32_e32 v21, v149, v21
	v_and_b32_e32 v149, 0xff, v151
	s_delay_alu instid0(VALU_DEP_3) | instskip(SKIP_1) | instid1(VALU_DEP_4)
	v_or_b32_e32 v11, v13, v11
	v_lshlrev_b16 v13, 8, v19
	v_perm_b32 v21, v21, v145, 0xc05000c
	v_lshrrev_b32_e32 v19, 24, v0
	v_or_b32_e32 v137, v149, v137
	v_dot4_i32_iu8 v11, v134, v11, v144 neg_lo:[1,1,0]
	v_perm_b32 v13, v13, v13, 0xc0c0c01
	s_delay_alu instid0(VALU_DEP_4) | instskip(SKIP_2) | instid1(VALU_DEP_4)
	v_sub_nc_u16 v5, v5, v19
	v_lshrrev_b32_e32 v19, 16, v142
	v_perm_b32 v137, v137, v151, 0xc05000c
	v_or_b32_e32 v13, v21, v13
	v_lshrrev_b32_e32 v21, 16, v0
	v_lshrrev_b16 v0, 8, v0
	v_lshlrev_b16 v5, 8, v5
	v_or_b32_e32 v15, v137, v15
	v_dot4_i32_iu8 v13, v134, v13, v136 neg_lo:[1,1,0]
	v_sub_nc_u16 v19, v19, v21
	v_lshrrev_b16 v21, 8, v142
	v_lshrrev_b32_e32 v136, 16, v139
	v_dot4_i32_iu8 v15, v134, v15, v150 neg_lo:[1,1,0]
	v_lshrrev_b32_e32 v134, 16, v7
	v_lshrrev_b16 v137, 8, v139
	v_sub_nc_u16 v0, v21, v0
	v_lshrrev_b32_e32 v21, 24, v7
	v_lshrrev_b16 v7, 8, v7
	s_delay_alu instid0(VALU_DEP_3) | instskip(NEXT) | instid1(VALU_DEP_3)
	v_lshlrev_b16 v0, 8, v0
	v_sub_nc_u16 v9, v9, v21
	v_lshrrev_b32_e32 v21, 16, v152
	s_delay_alu instid0(VALU_DEP_3) | instskip(NEXT) | instid1(VALU_DEP_3)
	v_perm_b32 v0, v0, v0, 0xc0c0c01
	v_lshlrev_b16 v9, 8, v9
	s_delay_alu instid0(VALU_DEP_3) | instskip(SKIP_1) | instid1(VALU_DEP_1)
	v_sub_nc_u16 v21, v21, v134
	v_lshrrev_b16 v134, 8, v152
	v_sub_nc_u16 v7, v134, v7
	v_lshrrev_b32_e32 v134, 24, v139
	s_delay_alu instid0(VALU_DEP_1) | instskip(SKIP_1) | instid1(VALU_DEP_2)
	v_sub_nc_u16 v17, v17, v134
	v_lshrrev_b32_e32 v134, 16, v153
	v_lshlrev_b16 v17, 8, v17
	s_delay_alu instid0(VALU_DEP_2) | instskip(SKIP_1) | instid1(VALU_DEP_1)
	v_sub_nc_u16 v134, v134, v136
	v_lshrrev_b16 v136, 8, v153
	v_sub_nc_u16 v136, v136, v137
	v_and_b32_e32 v137, 0xff, v19
	s_delay_alu instid0(VALU_DEP_1) | instskip(SKIP_1) | instid1(VALU_DEP_2)
	v_or_b32_e32 v5, v137, v5
	v_and_b32_e32 v137, 0xff, v21
	v_perm_b32 v5, v5, v19, 0xc05000c
	s_delay_alu instid0(VALU_DEP_2) | instskip(SKIP_1) | instid1(VALU_DEP_3)
	v_or_b32_e32 v9, v137, v9
	v_and_b32_e32 v137, 0xff, v134
	v_or_b32_e32 v0, v5, v0
	v_lshlrev_b16 v5, 8, v7
	s_delay_alu instid0(VALU_DEP_3) | instskip(SKIP_2) | instid1(VALU_DEP_4)
	v_or_b32_e32 v17, v137, v17
	v_lshlrev_b16 v7, 8, v136
	v_perm_b32 v9, v9, v21, 0xc05000c
	v_perm_b32 v5, v5, v5, 0xc0c0c01
	s_delay_alu instid0(VALU_DEP_4) | instskip(NEXT) | instid1(VALU_DEP_4)
	v_perm_b32 v17, v17, v134, 0xc05000c
	v_perm_b32 v7, v7, v7, 0xc0c0c01
	s_delay_alu instid0(VALU_DEP_3) | instskip(SKIP_1) | instid1(VALU_DEP_3)
	v_or_b32_e32 v5, v9, v5
	v_dot4_i32_iu8 v9, v133, v0, v146 neg_lo:[1,1,0]
	v_or_b32_e32 v7, v17, v7
	v_lshrrev_b16 v0, 8, v166
	v_bfe_i32 v17, v166, 0, 8
	v_dot4_i32_iu8 v5, v133, v5, v148 neg_lo:[1,1,0]
	s_delay_alu instid0(VALU_DEP_4) | instskip(NEXT) | instid1(VALU_DEP_4)
	v_dot4_i32_iu8 v7, v133, v7, v135 neg_lo:[1,1,0]
	v_bfe_i32 v19, v0, 0, 8
	s_delay_alu instid0(VALU_DEP_4) | instskip(SKIP_1) | instid1(VALU_DEP_2)
	v_mul_lo_u32 v0, v147, v17
	v_ashrrev_i32_e32 v17, s23, v138
	v_mad_co_u64_u32 v[133:134], null, v143, v19, v[0:1]
	v_ashrrev_i32_e32 v0, s23, v14
	v_ashrrev_i32_e32 v14, s16, v20
	;; [unrolled: 1-line block ×4, first 2 shown]
	s_delay_alu instid0(VALU_DEP_4) | instskip(NEXT) | instid1(VALU_DEP_4)
	v_and_b32_e32 v20, 0x3030303, v0
	v_lshlrev_b32_e32 v14, 2, v14
	v_bfe_u32 v0, v0, 24, 2
	s_delay_alu instid0(VALU_DEP_4) | instskip(NEXT) | instid1(VALU_DEP_4)
	v_lshlrev_b32_e32 v1, 2, v1
	v_sub_nc_u16 v21, v20, v12
	s_delay_alu instid0(VALU_DEP_4) | instskip(NEXT) | instid1(VALU_DEP_3)
	v_and_b32_e32 v14, 0x4040404, v14
	v_and_b32_e32 v1, 0x4040404, v1
	s_delay_alu instid0(VALU_DEP_3) | instskip(NEXT) | instid1(VALU_DEP_1)
	v_bfe_i32 v21, v21, 0, 8
	v_mad_i32_i24 v11, v132, v21, v11
	v_and_b32_e32 v21, 0x3030303, v17
	v_bfe_u32 v17, v17, 24, 2
	s_delay_alu instid0(VALU_DEP_2) | instskip(NEXT) | instid1(VALU_DEP_1)
	v_sub_nc_u16 v22, v21, v16
	v_bfe_i32 v22, v22, 0, 8
	s_delay_alu instid0(VALU_DEP_1) | instskip(SKIP_2) | instid1(VALU_DEP_2)
	v_mad_i32_i24 v15, v132, v22, v15
	v_and_b32_e32 v22, 0x3030303, v19
	v_bfe_u32 v19, v19, 24, 2
	v_sub_nc_u16 v134, v22, v14
	s_delay_alu instid0(VALU_DEP_1) | instskip(NEXT) | instid1(VALU_DEP_1)
	v_bfe_i32 v134, v134, 0, 8
	v_mad_i32_i24 v13, v132, v134, v13
	v_and_b32_e32 v134, 0x3030303, v6
	v_ashrrev_i32_e32 v132, s16, v140
	v_bfe_u32 v6, v6, 24, 2
	s_add_co_i32 s16, s16, 1
	s_cmp_lt_u32 s20, 30
	v_sub_nc_u16 v135, v134, v1
	v_lshlrev_b32_e32 v132, 2, v132
	s_delay_alu instid0(VALU_DEP_2) | instskip(NEXT) | instid1(VALU_DEP_2)
	v_bfe_i32 v135, v135, 0, 8
	v_and_b32_e32 v132, 0x4040404, v132
	s_delay_alu instid0(VALU_DEP_2) | instskip(SKIP_2) | instid1(VALU_DEP_2)
	v_mad_i32_i24 v9, v131, v135, v9
	v_and_b32_e32 v135, 0x3030303, v10
	v_bfe_u32 v10, v10, 24, 2
	v_sub_nc_u16 v136, v135, v8
	s_delay_alu instid0(VALU_DEP_1) | instskip(NEXT) | instid1(VALU_DEP_1)
	v_bfe_i32 v136, v136, 0, 8
	v_mad_i32_i24 v5, v131, v136, v5
	v_and_b32_e32 v136, 0x3030303, v18
	s_delay_alu instid0(VALU_DEP_1) | instskip(NEXT) | instid1(VALU_DEP_1)
	v_sub_nc_u16 v137, v136, v132
	v_bfe_i32 v137, v137, 0, 8
	s_delay_alu instid0(VALU_DEP_1) | instskip(SKIP_3) | instid1(VALU_DEP_3)
	v_mad_i32_i24 v7, v131, v137, v7
	v_lshrrev_b32_e32 v131, 24, v12
	v_lshrrev_b32_e32 v137, 16, v12
	v_lshrrev_b16 v12, 8, v12
	v_sub_nc_u16 v0, v0, v131
	v_lshrrev_b32_e32 v131, 16, v20
	v_lshrrev_b16 v20, 8, v20
	s_delay_alu instid0(VALU_DEP_3) | instskip(NEXT) | instid1(VALU_DEP_3)
	v_lshlrev_b16 v0, 8, v0
	v_sub_nc_u16 v131, v131, v137
	s_delay_alu instid0(VALU_DEP_3) | instskip(SKIP_3) | instid1(VALU_DEP_4)
	v_sub_nc_u16 v12, v20, v12
	v_lshrrev_b32_e32 v20, 24, v14
	v_lshrrev_b32_e32 v137, 16, v14
	v_lshrrev_b16 v14, 8, v14
	v_lshlrev_b16 v12, 8, v12
	s_delay_alu instid0(VALU_DEP_4) | instskip(SKIP_2) | instid1(VALU_DEP_4)
	v_sub_nc_u16 v19, v19, v20
	v_lshrrev_b32_e32 v20, 16, v22
	v_lshrrev_b16 v22, 8, v22
	v_perm_b32 v12, v12, v12, 0xc0c0c01
	s_delay_alu instid0(VALU_DEP_4) | instskip(NEXT) | instid1(VALU_DEP_4)
	v_lshlrev_b16 v19, 8, v19
	v_sub_nc_u16 v20, v20, v137
	s_delay_alu instid0(VALU_DEP_4) | instskip(SKIP_3) | instid1(VALU_DEP_3)
	v_sub_nc_u16 v14, v22, v14
	v_lshrrev_b32_e32 v22, 24, v16
	v_lshrrev_b32_e32 v137, 16, v16
	v_lshrrev_b16 v16, 8, v16
	v_sub_nc_u16 v17, v17, v22
	v_lshrrev_b32_e32 v22, 16, v21
	v_lshrrev_b16 v21, 8, v21
	s_delay_alu instid0(VALU_DEP_3) | instskip(NEXT) | instid1(VALU_DEP_3)
	v_lshlrev_b16 v17, 8, v17
	v_sub_nc_u16 v22, v22, v137
	s_delay_alu instid0(VALU_DEP_3) | instskip(SKIP_1) | instid1(VALU_DEP_1)
	v_sub_nc_u16 v16, v21, v16
	v_and_b32_e32 v21, 0xff, v131
	v_or_b32_e32 v0, v21, v0
	v_and_b32_e32 v21, 0xff, v20
	s_delay_alu instid0(VALU_DEP_2) | instskip(NEXT) | instid1(VALU_DEP_2)
	v_perm_b32 v0, v0, v131, 0xc05000c
	v_or_b32_e32 v19, v21, v19
	v_and_b32_e32 v21, 0xff, v22
	s_delay_alu instid0(VALU_DEP_3) | instskip(SKIP_1) | instid1(VALU_DEP_3)
	v_or_b32_e32 v0, v0, v12
	v_lshlrev_b16 v12, 8, v14
	v_or_b32_e32 v17, v21, v17
	v_perm_b32 v19, v19, v20, 0xc05000c
	v_lshlrev_b16 v14, 8, v16
	v_dot4_i32_iu8 v0, v130, v0, v11 neg_lo:[1,1,0]
	v_perm_b32 v12, v12, v12, 0xc0c0c01
	v_perm_b32 v17, v17, v22, 0xc05000c
	v_lshrrev_b32_e32 v16, 24, v132
	v_perm_b32 v14, v14, v14, 0xc0c0c01
	s_delay_alu instid0(VALU_DEP_4) | instskip(NEXT) | instid1(VALU_DEP_2)
	v_or_b32_e32 v12, v19, v12
	v_or_b32_e32 v14, v17, v14
	v_lshrrev_b32_e32 v17, 16, v132
	s_delay_alu instid0(VALU_DEP_3) | instskip(SKIP_1) | instid1(VALU_DEP_4)
	v_dot4_i32_iu8 v12, v130, v12, v13 neg_lo:[1,1,0]
	v_lshrrev_b32_e32 v13, 24, v1
	v_dot4_i32_iu8 v11, v130, v14, v15 neg_lo:[1,1,0]
	v_lshrrev_b32_e32 v14, 16, v1
	v_lshrrev_b16 v1, 8, v1
	s_delay_alu instid0(VALU_DEP_4) | instskip(SKIP_2) | instid1(VALU_DEP_3)
	v_sub_nc_u16 v6, v6, v13
	v_lshrrev_b32_e32 v13, 16, v134
	v_lshrrev_b32_e32 v15, 16, v8
	v_lshlrev_b16 v6, 8, v6
	s_delay_alu instid0(VALU_DEP_3) | instskip(SKIP_1) | instid1(VALU_DEP_1)
	v_sub_nc_u16 v13, v13, v14
	v_lshrrev_b16 v14, 8, v134
	v_sub_nc_u16 v1, v14, v1
	v_lshrrev_b32_e32 v14, 24, v8
	v_lshrrev_b16 v8, 8, v8
	s_delay_alu instid0(VALU_DEP_3) | instskip(NEXT) | instid1(VALU_DEP_3)
	v_lshlrev_b16 v1, 8, v1
	v_sub_nc_u16 v10, v10, v14
	v_lshrrev_b32_e32 v14, 16, v135
	s_delay_alu instid0(VALU_DEP_3) | instskip(NEXT) | instid1(VALU_DEP_3)
	v_perm_b32 v1, v1, v1, 0xc0c0c01
	v_lshlrev_b16 v10, 8, v10
	s_delay_alu instid0(VALU_DEP_3) | instskip(SKIP_1) | instid1(VALU_DEP_1)
	v_sub_nc_u16 v14, v14, v15
	v_lshrrev_b16 v15, 8, v135
	v_sub_nc_u16 v8, v15, v8
	v_bfe_u32 v15, v18, 24, 2
	v_lshrrev_b16 v18, 8, v132
	s_delay_alu instid0(VALU_DEP_2) | instskip(SKIP_1) | instid1(VALU_DEP_2)
	v_sub_nc_u16 v15, v15, v16
	v_lshrrev_b32_e32 v16, 16, v136
	v_lshlrev_b16 v15, 8, v15
	s_delay_alu instid0(VALU_DEP_2) | instskip(SKIP_1) | instid1(VALU_DEP_1)
	v_sub_nc_u16 v16, v16, v17
	v_lshrrev_b16 v17, 8, v136
	v_sub_nc_u16 v17, v17, v18
	v_and_b32_e32 v18, 0xff, v13
	s_delay_alu instid0(VALU_DEP_1) | instskip(SKIP_1) | instid1(VALU_DEP_2)
	v_or_b32_e32 v6, v18, v6
	v_and_b32_e32 v18, 0xff, v14
	v_perm_b32 v6, v6, v13, 0xc05000c
	s_delay_alu instid0(VALU_DEP_2) | instskip(SKIP_1) | instid1(VALU_DEP_3)
	v_or_b32_e32 v10, v18, v10
	v_and_b32_e32 v18, 0xff, v16
	v_or_b32_e32 v1, v6, v1
	v_lshlrev_b16 v6, 8, v8
	s_delay_alu instid0(VALU_DEP_4) | instskip(NEXT) | instid1(VALU_DEP_4)
	v_perm_b32 v10, v10, v14, 0xc05000c
	v_or_b32_e32 v15, v18, v15
	v_lshlrev_b16 v8, 8, v17
	v_dot4_i32_iu8 v1, v129, v1, v9 neg_lo:[1,1,0]
	v_perm_b32 v6, v6, v6, 0xc0c0c01
	s_delay_alu instid0(VALU_DEP_4) | instskip(NEXT) | instid1(VALU_DEP_4)
	v_perm_b32 v13, v15, v16, 0xc05000c
	v_perm_b32 v8, v8, v8, 0xc0c0c01
	s_delay_alu instid0(VALU_DEP_3) | instskip(NEXT) | instid1(VALU_DEP_2)
	v_or_b32_e32 v6, v10, v6
	v_or_b32_e32 v8, v13, v8
	s_delay_alu instid0(VALU_DEP_2) | instskip(SKIP_1) | instid1(VALU_DEP_3)
	v_dot4_i32_iu8 v5, v129, v6, v5 neg_lo:[1,1,0]
	v_add_nc_u32_e32 v6, s17, v98
	v_dot4_i32_iu8 v7, v129, v8, v7 neg_lo:[1,1,0]
	v_add_nc_u32_e32 v8, s17, v96
	s_mov_b32 s17, s20
	ds_load_u16 v6, v6 offset:25330
	ds_load_u16 v8, v8 offset:27378
	s_wait_dscnt 0x1
	v_lshrrev_b16 v9, 8, v6
	v_bfe_i32 v6, v6, 0, 8
	s_delay_alu instid0(VALU_DEP_2) | instskip(NEXT) | instid1(VALU_DEP_2)
	v_bfe_i32 v9, v9, 0, 8
	v_mul_lo_u32 v0, v0, v6
	v_bfe_i32 v6, v165, 0, 8
	s_delay_alu instid0(VALU_DEP_2) | instskip(SKIP_3) | instid1(VALU_DEP_2)
	v_mad_co_u64_u32 v[0:1], null, v1, v9, v[0:1]
	v_lshrrev_b16 v1, 8, v165
	s_wait_dscnt 0x0
	v_bfe_i32 v9, v8, 0, 8
	v_bfe_i32 v10, v1, 0, 8
	v_mul_lo_u32 v1, v11, v6
	v_cvt_f32_i32_e32 v0, v0
	s_delay_alu instid0(VALU_DEP_2) | instskip(SKIP_4) | instid1(VALU_DEP_3)
	v_mad_co_u64_u32 v[5:6], null, v5, v10, v[1:2]
	ds_load_b32 v10, v128
	v_lshrrev_b16 v6, 8, v8
	v_mul_lo_u32 v1, v12, v9
	v_add_nc_u32_e32 v128, 4, v128
	v_bfe_i32 v6, v6, 0, 8
	v_cvt_f32_i32_e32 v5, v5
	s_delay_alu instid0(VALU_DEP_2) | instskip(NEXT) | instid1(VALU_DEP_1)
	v_mad_co_u64_u32 v[6:7], null, v7, v6, v[1:2]
	v_cvt_f32_i32_e32 v6, v6
	s_wait_dscnt 0x0
	v_mul_f32_e32 v1, v10, v158
	v_mul_f32_e32 v7, v10, v164
	;; [unrolled: 1-line block ×4, first 2 shown]
	v_cvt_f32_i32_e32 v10, v133
	v_fmac_f32_e32 v25, v1, v0
	s_delay_alu instid0(VALU_DEP_4) | instskip(NEXT) | instid1(VALU_DEP_3)
	v_dual_fmac_f32 v87, v7, v5 :: v_dual_fmac_f32 v86, v8, v6
	v_fmac_f32_e32 v2, v9, v10
	s_cbranch_scc1 .LBB189_35
; %bb.36:                               ;   in Loop: Header=BB189_5 Depth=1
	s_wait_loadcnt 0x0
	s_barrier_signal -1
	s_barrier_wait -1
	global_inv scope:SCOPE_SE
	s_branch .LBB189_4
.LBB189_37:
	s_mul_i32 s0, s7, s4
	s_wait_loadcnt 0x0
	s_wait_alu 0xfffe
	v_cmp_gt_i32_e32 vcc_lo, s0, v23
	s_and_saveexec_b32 s0, vcc_lo
	s_cbranch_execz .LBB189_46
; %bb.38:
	v_mul_lo_u32 v0, v23, s6
	v_add_nc_u32_e32 v1, s18, v24
	s_mov_b32 s0, exec_lo
	s_delay_alu instid0(VALU_DEP_1)
	v_cmpx_gt_u32_e64 s6, v1
	s_cbranch_execz .LBB189_40
; %bb.39:
	s_delay_alu instid0(VALU_DEP_3) | instskip(NEXT) | instid1(VALU_DEP_1)
	v_dual_mov_b32 v4, 0 :: v_dual_add_nc_u32 v3, v0, v1
	v_lshlrev_b64_e32 v[3:4], 2, v[3:4]
	s_delay_alu instid0(VALU_DEP_1) | instskip(SKIP_1) | instid1(VALU_DEP_2)
	v_add_co_u32 v3, vcc_lo, s8, v3
	s_wait_alu 0xfffd
	v_add_co_ci_u32_e64 v4, null, s9, v4, vcc_lo
	global_store_b32 v[3:4], v25, off
.LBB189_40:
	s_wait_alu 0xfffe
	s_or_b32 exec_lo, exec_lo, s0
	v_add_nc_u32_e32 v3, 32, v1
	s_mov_b32 s0, exec_lo
	s_delay_alu instid0(VALU_DEP_1)
	v_cmpx_gt_u32_e64 s6, v3
	s_cbranch_execz .LBB189_42
; %bb.41:
	v_dual_mov_b32 v4, 0 :: v_dual_add_nc_u32 v3, v0, v3
	s_delay_alu instid0(VALU_DEP_1) | instskip(NEXT) | instid1(VALU_DEP_1)
	v_lshlrev_b64_e32 v[3:4], 2, v[3:4]
	v_add_co_u32 v3, vcc_lo, s8, v3
	s_wait_alu 0xfffd
	s_delay_alu instid0(VALU_DEP_2)
	v_add_co_ci_u32_e64 v4, null, s9, v4, vcc_lo
	global_store_b32 v[3:4], v87, off
.LBB189_42:
	s_wait_alu 0xfffe
	s_or_b32 exec_lo, exec_lo, s0
	v_add_nc_u32_e32 v3, 64, v1
	s_mov_b32 s0, exec_lo
	s_delay_alu instid0(VALU_DEP_1)
	v_cmpx_gt_u32_e64 s6, v3
	s_cbranch_execz .LBB189_44
; %bb.43:
	v_dual_mov_b32 v4, 0 :: v_dual_add_nc_u32 v3, v0, v3
	s_delay_alu instid0(VALU_DEP_1) | instskip(NEXT) | instid1(VALU_DEP_1)
	v_lshlrev_b64_e32 v[3:4], 2, v[3:4]
	v_add_co_u32 v3, vcc_lo, s8, v3
	s_wait_alu 0xfffd
	s_delay_alu instid0(VALU_DEP_2)
	v_add_co_ci_u32_e64 v4, null, s9, v4, vcc_lo
	global_store_b32 v[3:4], v86, off
.LBB189_44:
	s_wait_alu 0xfffe
	s_or_b32 exec_lo, exec_lo, s0
	v_add_nc_u32_e32 v1, 0x60, v1
	s_delay_alu instid0(VALU_DEP_1)
	v_cmp_gt_u32_e32 vcc_lo, s6, v1
	s_and_b32 exec_lo, exec_lo, vcc_lo
	s_cbranch_execz .LBB189_46
; %bb.45:
	v_dual_mov_b32 v1, 0 :: v_dual_add_nc_u32 v0, v0, v1
	s_delay_alu instid0(VALU_DEP_1) | instskip(NEXT) | instid1(VALU_DEP_1)
	v_lshlrev_b64_e32 v[0:1], 2, v[0:1]
	v_add_co_u32 v0, vcc_lo, s8, v0
	s_wait_alu 0xfffd
	s_delay_alu instid0(VALU_DEP_2)
	v_add_co_ci_u32_e64 v1, null, s9, v1, vcc_lo
	global_store_b32 v[0:1], v2, off
.LBB189_46:
	s_nop 0
	s_sendmsg sendmsg(MSG_DEALLOC_VGPRS)
	s_endpgm
	.section	.rodata,"a",@progbits
	.p2align	6, 0x0
	.amdhsa_kernel _ZL8moe_q3_KIfLb0EEvPKvS1_PT_PKiS5_S5_iiiiiii
		.amdhsa_group_segment_fixed_size 31776
		.amdhsa_private_segment_fixed_size 0
		.amdhsa_kernarg_size 76
		.amdhsa_user_sgpr_count 2
		.amdhsa_user_sgpr_dispatch_ptr 0
		.amdhsa_user_sgpr_queue_ptr 0
		.amdhsa_user_sgpr_kernarg_segment_ptr 1
		.amdhsa_user_sgpr_dispatch_id 0
		.amdhsa_user_sgpr_private_segment_size 0
		.amdhsa_wavefront_size32 1
		.amdhsa_uses_dynamic_stack 0
		.amdhsa_enable_private_segment 0
		.amdhsa_system_sgpr_workgroup_id_x 1
		.amdhsa_system_sgpr_workgroup_id_y 1
		.amdhsa_system_sgpr_workgroup_id_z 0
		.amdhsa_system_sgpr_workgroup_info 0
		.amdhsa_system_vgpr_workitem_id 1
		.amdhsa_next_free_vgpr 227
		.amdhsa_next_free_sgpr 27
		.amdhsa_reserve_vcc 1
		.amdhsa_float_round_mode_32 0
		.amdhsa_float_round_mode_16_64 0
		.amdhsa_float_denorm_mode_32 3
		.amdhsa_float_denorm_mode_16_64 3
		.amdhsa_fp16_overflow 0
		.amdhsa_workgroup_processor_mode 1
		.amdhsa_memory_ordered 1
		.amdhsa_forward_progress 1
		.amdhsa_inst_pref_size 255
		.amdhsa_round_robin_scheduling 0
		.amdhsa_exception_fp_ieee_invalid_op 0
		.amdhsa_exception_fp_denorm_src 0
		.amdhsa_exception_fp_ieee_div_zero 0
		.amdhsa_exception_fp_ieee_overflow 0
		.amdhsa_exception_fp_ieee_underflow 0
		.amdhsa_exception_fp_ieee_inexact 0
		.amdhsa_exception_int_div_zero 0
	.end_amdhsa_kernel
	.section	.text._ZL8moe_q3_KIfLb0EEvPKvS1_PT_PKiS5_S5_iiiiiii,"axG",@progbits,_ZL8moe_q3_KIfLb0EEvPKvS1_PT_PKiS5_S5_iiiiiii,comdat
.Lfunc_end189:
	.size	_ZL8moe_q3_KIfLb0EEvPKvS1_PT_PKiS5_S5_iiiiiii, .Lfunc_end189-_ZL8moe_q3_KIfLb0EEvPKvS1_PT_PKiS5_S5_iiiiiii
                                        ; -- End function
	.set _ZL8moe_q3_KIfLb0EEvPKvS1_PT_PKiS5_S5_iiiiiii.num_vgpr, 227
	.set _ZL8moe_q3_KIfLb0EEvPKvS1_PT_PKiS5_S5_iiiiiii.num_agpr, 0
	.set _ZL8moe_q3_KIfLb0EEvPKvS1_PT_PKiS5_S5_iiiiiii.numbered_sgpr, 27
	.set _ZL8moe_q3_KIfLb0EEvPKvS1_PT_PKiS5_S5_iiiiiii.num_named_barrier, 0
	.set _ZL8moe_q3_KIfLb0EEvPKvS1_PT_PKiS5_S5_iiiiiii.private_seg_size, 0
	.set _ZL8moe_q3_KIfLb0EEvPKvS1_PT_PKiS5_S5_iiiiiii.uses_vcc, 1
	.set _ZL8moe_q3_KIfLb0EEvPKvS1_PT_PKiS5_S5_iiiiiii.uses_flat_scratch, 0
	.set _ZL8moe_q3_KIfLb0EEvPKvS1_PT_PKiS5_S5_iiiiiii.has_dyn_sized_stack, 0
	.set _ZL8moe_q3_KIfLb0EEvPKvS1_PT_PKiS5_S5_iiiiiii.has_recursion, 0
	.set _ZL8moe_q3_KIfLb0EEvPKvS1_PT_PKiS5_S5_iiiiiii.has_indirect_call, 0
	.section	.AMDGPU.csdata,"",@progbits
; Kernel info:
; codeLenInByte = 36028
; TotalNumSgprs: 29
; NumVgprs: 227
; ScratchSize: 0
; MemoryBound: 0
; FloatMode: 240
; IeeeMode: 1
; LDSByteSize: 31776 bytes/workgroup (compile time only)
; SGPRBlocks: 0
; VGPRBlocks: 28
; NumSGPRsForWavesPerEU: 29
; NumVGPRsForWavesPerEU: 227
; Occupancy: 6
; WaveLimiterHint : 1
; COMPUTE_PGM_RSRC2:SCRATCH_EN: 0
; COMPUTE_PGM_RSRC2:USER_SGPR: 2
; COMPUTE_PGM_RSRC2:TRAP_HANDLER: 0
; COMPUTE_PGM_RSRC2:TGID_X_EN: 1
; COMPUTE_PGM_RSRC2:TGID_Y_EN: 1
; COMPUTE_PGM_RSRC2:TGID_Z_EN: 0
; COMPUTE_PGM_RSRC2:TIDIG_COMP_CNT: 1
	.section	.text._ZL8moe_q3_KIfLb1EEvPKvS1_PT_PKiS5_S5_iiiiiii,"axG",@progbits,_ZL8moe_q3_KIfLb1EEvPKvS1_PT_PKiS5_S5_iiiiiii,comdat
	.globl	_ZL8moe_q3_KIfLb1EEvPKvS1_PT_PKiS5_S5_iiiiiii ; -- Begin function _ZL8moe_q3_KIfLb1EEvPKvS1_PT_PKiS5_S5_iiiiiii
	.p2align	8
	.type	_ZL8moe_q3_KIfLb1EEvPKvS1_PT_PKiS5_S5_iiiiiii,@function
_ZL8moe_q3_KIfLb1EEvPKvS1_PT_PKiS5_S5_iiiiiii: ; @_ZL8moe_q3_KIfLb1EEvPKvS1_PT_PKiS5_S5_iiiiiii
; %bb.0:
	s_load_b128 s[4:7], s[0:1], 0x18
	s_mov_b32 s2, ttmp7
	s_mov_b32 s3, 0
	s_delay_alu instid0(SALU_CYCLE_1)
	s_lshl_b64 s[2:3], s[2:3], 2
	s_wait_kmcnt 0x0
	s_add_nc_u64 s[2:3], s[6:7], s[2:3]
	s_load_b32 s14, s[2:3], 0x0
	s_wait_kmcnt 0x0
	s_cmp_gt_u32 s14, 0xff
	s_cbranch_scc1 .LBB190_46
; %bb.1:
	s_load_b64 s[2:3], s[0:1], 0x28
	s_wait_kmcnt 0x0
	s_load_b32 s3, s[2:3], 0x0
	s_lshl_b32 s2, ttmp7, 3
	s_wait_kmcnt 0x0
	s_cmp_gt_u32 s2, s3
	s_cbranch_scc1 .LBB190_46
; %bb.2:
	v_bfe_u32 v18, v0, 10, 10
	v_mov_b32_e32 v17, 0
	s_lshl_b32 s11, ttmp9, 7
	s_delay_alu instid0(VALU_DEP_2) | instskip(NEXT) | instid1(VALU_DEP_2)
	v_add_nc_u32_e32 v16, s2, v18
	v_dual_mov_b32 v88, v17 :: v_dual_and_b32 v41, 0x3ff, v0
	v_dual_mov_b32 v89, v17 :: v_dual_mov_b32 v42, v17
	s_delay_alu instid0(VALU_DEP_3) | instskip(NEXT) | instid1(VALU_DEP_1)
	v_lshlrev_b64_e32 v[1:2], 2, v[16:17]
	v_add_co_u32 v1, vcc_lo, s4, v1
	s_delay_alu instid0(VALU_DEP_1)
	v_add_co_ci_u32_e64 v2, null, s5, v2, vcc_lo
	global_load_b32 v40, v[1:2], off
	s_clause 0x2
	s_load_b128 s[4:7], s[0:1], 0x30
	s_load_b64 s[12:13], s[0:1], 0x10
	s_load_b96 s[8:10], s[0:1], 0x40
	s_wait_kmcnt 0x0
	s_cmp_lt_i32 s5, 0x100
	s_cbranch_scc1 .LBB190_37
; %bb.3:
	v_lshlrev_b32_e32 v21, 4, v18
	v_bfe_u32 v53, v0, 1, 9
	s_ashr_i32 s16, s8, 31
	s_not_b32 s17, s11
	v_and_b32_e32 v20, 15, v0
	s_load_b128 s[0:3], s[0:1], 0x0
	v_add_nc_u32_e32 v13, v53, v21
	s_lshr_b32 s20, s16, 27
	s_add_co_i32 s16, s6, s17
	v_cmp_lt_u32_e32 vcc_lo, 7, v20
	v_and_b32_e32 v39, 3, v0
	v_dual_mov_b32 v42, 0 :: v_dual_and_b32 v13, 0x7f, v13
	v_add_nc_u32_e32 v1, 8, v18
	s_ashr_i32 s15, s5, 31
	v_add_nc_u32_e32 v4, 16, v18
	s_delay_alu instid0(VALU_DEP_3)
	v_min_i32_e32 v22, s16, v13
	v_add_nc_u32_e32 v5, 24, v18
	s_mul_i32 s14, s14, s4
	s_lshr_b32 s4, s15, 24
	v_add_nc_u32_e32 v6, 32, v18
	v_ashrrev_i32_e32 v17, 31, v22
	v_min_i32_e32 v2, s16, v18
	v_add_nc_u32_e32 v7, 40, v18
	s_wait_alu 0xfffd
	v_cndmask_b32_e64 v64, 0, 1, vcc_lo
	v_add_nc_u16 v75, v39, -2
	v_cmp_gt_u32_e32 vcc_lo, 2, v39
	v_lshlrev_b32_e32 v19, 2, v41
	s_wait_alu 0xfffe
	s_add_co_i32 s4, s5, s4
	v_min_i32_e32 v3, s16, v1
	v_add_nc_u32_e32 v8, 48, v18
	v_min_i32_e32 v4, s16, v4
	v_add_nc_u32_e32 v9, 56, v18
	s_wait_alu 0xfffe
	s_ashr_i32 s4, s4, 8
	v_min_i32_e32 v5, s16, v5
	v_add_nc_u32_e32 v10, 64, v18
	v_min_i32_e32 v6, s16, v6
	v_add_nc_u32_e32 v11, 0x48, v18
	v_lshrrev_b32_e32 v17, 28, v17
	v_bfe_u32 v72, v0, 3, 7
	s_wait_alu 0xfffe
	v_mul_lo_u32 v45, v2, s4
	v_min_i32_e32 v7, s16, v7
	v_add_nc_u32_e32 v12, 0x50, v18
	s_wait_alu 0xfffd
	v_cndmask_b32_e32 v76, v75, v39, vcc_lo
	v_mad_co_u64_u32 v[1:2], null, 0x84, v2, v[19:20]
	v_mul_lo_u32 v46, v3, s4
	v_mad_co_u64_u32 v[2:3], null, 0x84, v3, v[19:20]
	v_min_i32_e32 v8, s16, v8
	v_add_nc_u32_e32 v14, 0x58, v18
	v_mul_lo_u32 v47, v4, s4
	v_mad_co_u64_u32 v[3:4], null, 0x84, v4, v[19:20]
	v_min_i32_e32 v9, s16, v9
	v_add_nc_u32_e32 v15, 0x60, v18
	s_mul_i32 s18, s4, s11
	v_mul_lo_u32 v48, v5, s4
	v_mad_co_u64_u32 v[4:5], null, 0x84, v5, v[19:20]
	v_min_i32_e32 v10, s16, v10
	v_add_nc_u32_e32 v16, 0x68, v18
	v_mul_lo_u32 v49, v6, s4
	v_mad_co_u64_u32 v[5:6], null, 0x84, v6, v[19:20]
	v_min_i32_e32 v11, s16, v11
	v_add_nc_u32_e32 v23, 0x70, v18
	v_add_nc_u32_e32 v17, v22, v17
	v_lshl_add_u32 v81, v18, 2, v72
	s_ashr_i32 s15, s14, 31
	s_ashr_i32 s19, s18, 31
	v_mul_lo_u32 v50, v7, s4
	v_mad_co_u64_u32 v[6:7], null, 0x84, v7, v[19:20]
	v_min_i32_e32 v12, s16, v12
	v_mul_lo_u32 v51, v8, s4
	v_mad_co_u64_u32 v[7:8], null, 0x84, v8, v[19:20]
	v_min_i32_e32 v14, s16, v14
	s_mul_u64 s[18:19], s[18:19], 0x6e
	s_wait_kmcnt 0x0
	s_add_nc_u64 s[0:1], s[0:1], s[14:15]
	v_mul_lo_u32 v52, v9, s4
	v_mad_co_u64_u32 v[8:9], null, 0x84, v9, v[19:20]
	v_min_i32_e32 v15, s16, v15
	v_mul_lo_u32 v54, v10, s4
	v_mad_co_u64_u32 v[9:10], null, 0x84, v10, v[19:20]
	v_min_i32_e32 v16, s16, v16
	s_add_nc_u64 s[14:15], s[0:1], s[18:19]
	v_mul_lo_u32 v55, v11, s4
	v_mad_co_u64_u32 v[10:11], null, 0x84, v11, v[19:20]
	v_min_i32_e32 v23, s16, v23
	v_and_b32_e32 v61, 1, v0
	v_ashrrev_i32_e32 v17, 4, v17
	v_min_i32_e32 v82, s16, v81
	s_abs_i32 s1, s10
	v_mul_lo_u32 v56, v12, s4
	v_mad_co_u64_u32 v[11:12], null, 0x84, v12, v[19:20]
	v_mad_co_u64_u32 v[12:13], null, 0x84, v14, v[19:20]
	s_cvt_f32_u32 s0, s1
	v_mul_lo_u32 v57, v14, s4
	v_mad_co_u64_u32 v[13:14], null, 0x84, v15, v[19:20]
	v_mul_lo_u32 v58, v15, s4
	v_mad_co_u64_u32 v[14:15], null, 0x84, v16, v[19:20]
	v_mul_lo_u32 v59, v16, s4
	v_mul_lo_u32 v60, v23, s4
	v_mad_co_u64_u32 v[15:16], null, 0x84, v23, v[19:20]
	v_lshlrev_b32_e32 v23, 2, v17
	v_lshlrev_b32_e32 v26, 2, v61
	v_ashrrev_i32_e32 v77, 31, v82
	v_add_nc_u32_e32 v78, 32, v81
	v_rcp_iflag_f32_e32 v85, s0
	v_add_nc_u32_e32 v84, 64, v81
	v_add3_u32 v23, v23, v26, 0x7380
	v_and_b32_e32 v26, 7, v0
	v_lshrrev_b32_e32 v80, 30, v77
	v_min_i32_e32 v83, s16, v78
	v_add_nc_u32_e32 v81, 0x60, v81
	v_and_b32_e32 v79, 0xff, v76
	v_lshlrev_b32_e32 v65, 2, v26
	v_cmp_lt_u32_e32 vcc_lo, 3, v26
	v_add_nc_u32_e32 v26, v82, v80
	v_ashrrev_i32_e32 v80, 31, v83
	v_min_i32_e32 v87, s16, v81
	v_readfirstlane_b32 s0, v85
	v_lshlrev_b32_e32 v78, 2, v79
	v_lshlrev_b32_e32 v79, 1, v39
	v_lshrrev_b32_e32 v39, 30, v80
	v_ashrrev_i32_e32 v85, 31, v87
	s_mul_f32 s0, s0, 0x4f7ffffe
	v_min_i32_e32 v84, s16, v84
	v_mul_lo_u32 v81, v83, s4
	v_add_nc_u32_e32 v39, v83, v39
	v_lshlrev_b32_e32 v89, 5, v83
	v_lshrrev_b32_e32 v83, 30, v85
	s_wait_loadcnt 0x0
	v_sub_nc_u32_e32 v85, 0, v40
	s_wait_alu 0xfffe
	s_cvt_u32_f32 s0, s0
	s_add_co_i32 s6, s8, s20
	s_sub_co_i32 s8, 0, s1
	v_ashrrev_i32_e32 v86, 31, v84
	s_wait_alu 0xfffe
	s_mul_i32 s8, s8, s0
	v_max_i32_e32 v90, v40, v85
	s_mul_hi_u32 s8, s0, s8
	v_mul_lo_u32 v80, v82, s4
	v_lshlrev_b32_e32 v88, 5, v82
	v_lshrrev_b32_e32 v82, 30, v86
	s_add_co_i32 s0, s0, s8
	v_bfe_u32 v43, v0, 4, 6
	s_wait_alu 0xfffe
	v_mul_hi_u32 v91, v90, s0
	v_add_nc_u32_e32 v83, v87, v83
	v_add_nc_u32_e32 v82, v84, v82
	;; [unrolled: 1-line block ×3, first 2 shown]
	v_lshl_add_u32 v25, v18, 1, v43
	v_lshlrev_b32_e32 v112, 5, v84
	v_and_b32_e32 v39, -4, v39
	v_and_b32_e32 v86, -4, v82
	v_mul_lo_u32 v82, v84, s4
	v_lshl_add_u32 v84, v18, 7, 0x77a0
	v_mul_lo_u32 v18, v91, s1
	v_and_b32_e32 v85, -4, v83
	v_min_i32_e32 v24, s16, v24
	v_add3_u32 v39, v39, v65, 0x6300
	v_mul_lo_u32 v83, v87, s4
	v_and_b32_e32 v94, 28, v19
	v_add3_u32 v113, v85, v65, 0x6300
	v_add_nc_u32_e32 v85, 0x7ba0, v21
	v_sub_nc_u32_e32 v18, v90, v18
	v_lshlrev_b32_e32 v21, 5, v87
	v_dual_mov_b32 v89, 0 :: v_dual_add_nc_u32 v110, v39, v89
	v_mad_co_u64_u32 v[16:17], null, 0x84, v24, v[19:20]
	v_add_nc_u32_e32 v87, v85, v19
	v_add_nc_u32_e32 v19, 1, v91
	v_subrev_nc_u32_e32 v90, s1, v18
	v_cmp_le_u32_e64 s0, s1, v18
	v_add_nc_u32_e32 v17, 16, v25
	v_min_i32_e32 v27, s16, v25
	v_add_nc_u32_e32 v28, 32, v25
	v_add_nc_u32_e32 v29, 48, v25
	s_wait_alu 0xf1ff
	v_cndmask_b32_e64 v19, v91, v19, s0
	v_cndmask_b32_e64 v18, v18, v90, s0
	v_min_i32_e32 v17, s16, v17
	v_add_nc_u32_e32 v31, 64, v25
	v_add_nc_u32_e32 v33, 0x50, v25
	;; [unrolled: 1-line block ×4, first 2 shown]
	v_xor_b32_e32 v91, s10, v40
	v_add_nc_u32_e32 v90, 1, v19
	v_cmp_le_u32_e64 s0, s1, v18
	v_lshlrev_b32_e32 v44, 2, v20
	v_lshrrev_b32_e32 v20, 31, v17
	v_min_i32_e32 v28, s16, v28
	v_min_i32_e32 v29, s16, v29
	;; [unrolled: 1-line block ×6, first 2 shown]
	v_ashrrev_i32_e32 v91, 31, v91
	s_wait_alu 0xf1ff
	v_cndmask_b32_e64 v18, v19, v90, s0
	v_mul_lo_u32 v62, v24, s4
	v_lshrrev_b32_e32 v24, 31, v27
	v_add_lshl_u32 v20, v17, v20, 1
	v_lshrrev_b32_e32 v30, 31, v28
	v_lshrrev_b32_e32 v32, 31, v29
	;; [unrolled: 1-line block ×6, first 2 shown]
	v_xor_b32_e32 v18, v18, v91
	v_add_lshl_u32 v24, v27, v24, 1
	v_and_b32_e32 v20, -4, v20
	v_add_lshl_u32 v30, v28, v30, 1
	v_add_lshl_u32 v32, v29, v32, 1
	;; [unrolled: 1-line block ×6, first 2 shown]
	v_add_nc_u32_e32 v19, 0x60, v41
	v_sub_nc_u32_e32 v18, v18, v91
	s_ashr_i32 s6, s6, 5
	v_and_b32_e32 v24, -4, v24
	v_mul_lo_u32 v67, v17, s4
	v_add3_u32 v20, v20, v44, 0x4200
	v_lshlrev_b32_e32 v17, 6, v17
	v_and_b32_e32 v30, -4, v30
	v_and_b32_e32 v32, -4, v32
	;; [unrolled: 1-line block ×7, first 2 shown]
	v_mul_u32_u24_e32 v95, 33, v41
	v_add_nc_u32_e32 v96, 32, v41
	v_lshlrev_b32_e32 v99, 5, v41
	v_add_nc_u32_e32 v97, 64, v41
	v_and_b32_e32 v98, 0x1fc, v19
	v_mul_lo_u32 v93, v18, s6
	v_mul_lo_u32 v63, v22, s4
	v_lshlrev_b32_e32 v22, 3, v22
	v_mul_lo_u32 v66, v27, s4
	v_lshlrev_b32_e32 v27, 6, v27
	;; [unrolled: 2-line block ×8, first 2 shown]
	v_lshlrev_b32_e32 v75, 1, v41
	v_add3_u32 v26, v26, v65, 0x6300
	v_add3_u32 v111, v86, v65, 0x6300
	v_and_b32_e32 v86, 31, v0
	v_lshlrev_b32_e32 v114, 4, v41
	v_lshlrev_b32_e32 v115, 4, v96
	v_lshrrev_b32_e32 v116, 1, v96
	v_lshlrev_b32_e32 v117, 1, v96
	v_lshrrev_b32_e32 v118, 4, v96
	;; [unrolled: 2-line block ×6, first 2 shown]
	v_lshrrev_b32_e32 v91, 3, v97
	v_cmp_gt_i32_e64 s0, s7, v18
	v_add_co_u32 v18, s1, s2, v94
	v_lshlrev_b32_e32 v94, 2, v95
	v_add_nc_u32_e32 v95, v99, v98
	v_and_b32_e32 v97, 0x1fc, v97
	v_and_b32_e32 v98, 0x1fc, v96
	;; [unrolled: 1-line block ×3, first 2 shown]
	v_dual_mov_b32 v17, 0 :: v_dual_add_nc_u32 v102, v20, v17
	v_add3_u32 v24, v24, v44, 0x4200
	v_add3_u32 v30, v30, v44, 0x4200
	;; [unrolled: 1-line block ×7, first 2 shown]
	s_wait_alu 0xfffd
	v_cndmask_b32_e64 v76, 0, 1, vcc_lo
	v_cmp_gt_u32_e32 vcc_lo, 4, v41
	v_and_b32_e32 v77, 4, v75
	v_lshl_add_u32 v86, v86, 2, v84
	v_lshrrev_b32_e32 v90, 3, v96
	v_lshrrev_b32_e32 v92, 3, v19
	s_wait_alu 0xf1ff
	v_add_co_ci_u32_e64 v19, null, s3, 0, s1
	v_ashrrev_i32_e32 v0, 31, v93
	v_add_nc_u32_e32 v96, 0x6f00, v95
	v_add_nc_u32_e32 v97, v99, v97
	v_add_nc_u32_e32 v98, v99, v98
	v_add_nc_u32_e32 v99, v99, v100
	v_add_nc_u32_e32 v100, v23, v22
	v_add_nc_u32_e32 v101, v24, v27
	v_add_nc_u32_e32 v103, v30, v28
	v_add_nc_u32_e32 v104, v32, v29
	v_add_nc_u32_e32 v105, v34, v31
	v_add_nc_u32_e32 v106, v36, v33
	v_add_nc_u32_e32 v107, v37, v35
	v_add_nc_u32_e32 v108, v38, v25
	v_add_nc_u32_e32 v109, v26, v88
	v_add_nc_u32_e32 v111, v111, v112
	v_add_nc_u32_e32 v112, v113, v21
	v_lshlrev_b32_e32 v113, 2, v114
	v_lshlrev_b32_e32 v114, 2, v116
	;; [unrolled: 1-line block ×12, first 2 shown]
	v_dual_mov_b32 v88, 0 :: v_dual_lshlrev_b32 v125, 2, v125
	s_mov_b32 s17, 0
	s_and_b32 s8, vcc_lo, s0
	s_wait_alu 0xfffe
	s_mov_b32 s16, s17
	s_branch .LBB190_5
.LBB190_4:                              ;   in Loop: Header=BB190_5 Depth=1
	s_add_co_i32 s16, s16, 2
	s_wait_alu 0xfffe
	s_cmp_ge_i32 s16, s4
	s_cbranch_scc1 .LBB190_37
.LBB190_5:                              ; =>This Loop Header: Depth=1
                                        ;     Child Loop BB190_11 Depth 2
                                        ;     Child Loop BB190_19 Depth 2
	;; [unrolled: 1-line block ×4, first 2 shown]
	s_wait_alu 0xfffe
	s_mul_u64 s[18:19], s[16:17], 0x6e
	s_wait_alu 0xfffe
	s_add_nc_u64 s[18:19], s[14:15], s[18:19]
	s_wait_alu 0xfffe
	v_mad_co_u64_u32 v[20:21], null, 0x6e, v43, s[18:19]
	s_delay_alu instid0(VALU_DEP_1) | instskip(SKIP_3) | instid1(VALU_DEP_4)
	v_mad_co_i64_i32 v[22:23], null, 0x6e, v45, v[20:21]
	v_mad_co_i64_i32 v[24:25], null, 0x6e, v46, v[20:21]
	;; [unrolled: 1-line block ×4, first 2 shown]
	v_add_co_u32 v22, s1, v22, v44
	v_mad_co_i64_i32 v[30:31], null, 0x6e, v49, v[20:21]
	s_wait_alu 0xf1ff
	v_add_co_ci_u32_e64 v23, null, 0, v23, s1
	v_add_co_u32 v24, s1, v24, v44
	v_mad_co_i64_i32 v[32:33], null, 0x6e, v50, v[20:21]
	s_wait_alu 0xf1ff
	v_add_co_ci_u32_e64 v25, null, 0, v25, s1
	;; [unrolled: 4-line block ×4, first 2 shown]
	v_add_co_u32 v30, s1, v30, v44
	s_wait_alu 0xf1ff
	v_add_co_ci_u32_e64 v31, null, 0, v31, s1
	v_add_co_u32 v32, s1, v32, v44
	s_wait_alu 0xf1ff
	v_add_co_ci_u32_e64 v33, null, 0, v33, s1
	;; [unrolled: 3-line block ×3, first 2 shown]
	v_add_co_u32 v36, s1, v36, v44
	v_mad_co_i64_i32 v[38:39], null, 0x6e, v54, v[20:21]
	s_wait_alu 0xf1ff
	v_add_co_ci_u32_e64 v37, null, 0, v37, s1
	s_clause 0x7
	global_load_b32 v128, v[22:23], off offset:32
	global_load_b32 v129, v[24:25], off offset:32
	;; [unrolled: 1-line block ×8, first 2 shown]
	v_mad_co_i64_i32 v[22:23], null, 0x6e, v55, v[20:21]
	v_mad_co_i64_i32 v[26:27], null, 0x6e, v56, v[20:21]
	;; [unrolled: 1-line block ×3, first 2 shown]
	v_add_co_u32 v24, s1, v38, v44
	v_mad_co_i64_i32 v[30:31], null, 0x6e, v58, v[20:21]
	s_wait_alu 0xf1ff
	v_add_co_ci_u32_e64 v25, null, 0, v39, s1
	v_add_co_u32 v22, s1, v22, v44
	v_mad_co_i64_i32 v[32:33], null, 0x6e, v59, v[20:21]
	s_wait_alu 0xf1ff
	v_add_co_ci_u32_e64 v23, null, 0, v23, s1
	;; [unrolled: 4-line block ×4, first 2 shown]
	v_add_co_u32 v30, s1, v30, v44
	v_mad_co_u64_u32 v[36:37], null, 0x6e, v64, s[18:19]
	s_wait_alu 0xf1ff
	v_add_co_ci_u32_e64 v31, null, 0, v31, s1
	v_add_co_u32 v32, s1, v32, v44
	s_wait_alu 0xf1ff
	v_add_co_ci_u32_e64 v33, null, 0, v33, s1
	v_add_co_u32 v34, s1, v34, v44
	;; [unrolled: 3-line block ×3, first 2 shown]
	v_mad_co_i64_i32 v[38:39], null, 0x6e, v63, s[18:19]
	s_wait_alu 0xf1ff
	v_add_co_ci_u32_e64 v21, null, 0, v21, s1
	v_add_co_u32 v36, s1, v36, v65
	s_wait_alu 0xf1ff
	v_add_co_ci_u32_e64 v37, null, 0, v37, s1
	s_clause 0x7
	global_load_b32 v136, v[24:25], off offset:32
	global_load_b32 v137, v[22:23], off offset:32
	;; [unrolled: 1-line block ×8, first 2 shown]
	v_mad_co_u64_u32 v[30:31], null, 0x6e, v76, s[18:19]
	v_mad_co_u64_u32 v[20:21], null, 0x6e, v61, v[38:39]
	v_mad_co_i64_i32 v[22:23], null, 0x6e, v66, v[36:37]
	v_mad_co_i64_i32 v[24:25], null, 0x6e, v67, v[36:37]
	;; [unrolled: 1-line block ×8, first 2 shown]
	s_clause 0x7
	global_load_u16 v144, v[20:21], off offset:108
	global_load_b32 v145, v[22:23], off
	global_load_b32 v146, v[24:25], off
	;; [unrolled: 1-line block ×7, first 2 shown]
	v_mad_co_i64_i32 v[22:23], null, 0x6e, v81, v[30:31]
	v_mad_co_i64_i32 v[26:27], null, 0x6e, v82, v[30:31]
	;; [unrolled: 1-line block ×4, first 2 shown]
	v_add_co_u32 v24, s1, v126, v78
	s_wait_alu 0xf1ff
	v_add_co_ci_u32_e64 v25, null, 0, v127, s1
	v_add_co_u32 v30, s1, v22, v78
	s_wait_alu 0xf1ff
	v_add_co_ci_u32_e64 v31, null, 0, v23, s1
	;; [unrolled: 3-line block ×4, first 2 shown]
	s_clause 0x8
	global_load_b32 v20, v[20:21], off
	global_load_b32 v21, v[24:25], off offset:96
	global_load_b32 v24, v[28:29], off offset:104
	;; [unrolled: 1-line block ×8, first 2 shown]
	s_lshl_b32 s18, s16, 8
	s_wait_loadcnt 0x20
	ds_store_b32 v1, v128
	s_wait_loadcnt 0x1f
	ds_store_b32 v2, v129
	;; [unrolled: 2-line block ×16, first 2 shown]
	s_wait_alu 0xfffe
	s_cmp_lt_i32 s18, s5
	s_wait_loadcnt 0x10
	v_cvt_f32_f16_e64 v29, v144
	s_wait_loadcnt 0xf
	v_not_b32_e32 v30, v145
	s_wait_loadcnt 0xe
	v_not_b32_e32 v31, v146
	;; [unrolled: 2-line block ×6, first 2 shown]
	ds_store_b32 v100, v29
	ds_store_b32 v101, v30
	;; [unrolled: 1-line block ×6, first 2 shown]
	s_wait_loadcnt 0x9
	v_not_b32_e32 v36, v38
	ds_store_b32 v106, v35
	ds_store_b32 v107, v36
	s_wait_loadcnt 0x8
	v_not_b32_e32 v20, v20
	s_wait_loadcnt 0x7
	v_ashrrev_i32_e32 v21, v77, v21
	s_wait_loadcnt 0x6
	v_ashrrev_i32_e32 v24, v79, v24
	;; [unrolled: 2-line block ×8, first 2 shown]
	v_and_b32_e32 v21, 0xf0f0f0f, v21
	v_lshlrev_b32_e32 v23, 4, v23
	v_and_b32_e32 v26, 0xf0f0f0f, v26
	v_lshlrev_b32_e32 v22, 4, v22
	;; [unrolled: 2-line block ×4, first 2 shown]
	v_and_or_b32 v21, 0x30303030, v23, v21
	v_and_or_b32 v22, 0x30303030, v22, v26
	;; [unrolled: 1-line block ×3, first 2 shown]
	s_delay_alu instid0(VALU_DEP_4) | instskip(NEXT) | instid1(VALU_DEP_4)
	v_and_or_b32 v24, 0x30303030, v24, v28
	v_lshrrev_b32_e32 v25, 16, v21
	v_and_b32_e32 v26, 0x3f00, v21
	v_lshlrev_b16 v21, 8, v21
	v_lshrrev_b32_e32 v27, 16, v22
	v_lshrrev_b32_e32 v29, 16, v23
	v_and_b32_e32 v28, 0x3f00, v22
	v_lshlrev_b16 v22, 8, v22
	v_lshrrev_b32_e32 v31, 16, v24
	v_and_b32_e32 v33, 0x3f00, v25
	v_lshlrev_b16 v25, 8, v25
	v_add_nc_u16 v21, 0xe000, v21
	v_and_b32_e32 v34, 0x3f00, v27
	v_lshlrev_b16 v27, 8, v27
	v_and_b32_e32 v30, 0x3f00, v23
	v_lshlrev_b16 v23, 8, v23
	;; [unrolled: 2-line block ×4, first 2 shown]
	v_add_nc_u16 v22, 0xe000, v22
	v_and_b32_e32 v37, 0x3f00, v31
	v_lshlrev_b16 v31, 8, v31
	v_add_nc_u16 v25, 0xe000, v25
	v_lshrrev_b16 v21, 8, v21
	v_add_nc_u16 v27, 0xe000, v27
	v_add_nc_u16 v23, 0xe000, v23
	;; [unrolled: 1-line block ×4, first 2 shown]
	v_lshrrev_b16 v22, 8, v22
	v_add_nc_u16 v31, 0xe000, v31
	v_lshrrev_b16 v25, 8, v25
	v_or_b32_e32 v21, v26, v21
	v_lshrrev_b16 v26, 8, v27
	v_lshrrev_b16 v23, 8, v23
	;; [unrolled: 1-line block ×4, first 2 shown]
	v_or_b32_e32 v22, v28, v22
	v_lshrrev_b16 v28, 8, v31
	v_or_b32_e32 v25, v33, v25
	v_or_b32_e32 v26, v34, v26
	;; [unrolled: 1-line block ×6, first 2 shown]
	v_add_nc_u16 v21, 0xe000, v21
	v_add_nc_u16 v25, 0xe000, v25
	;; [unrolled: 1-line block ×8, first 2 shown]
	v_and_b32_e32 v21, 0xffff, v21
	v_lshlrev_b32_e32 v25, 16, v25
	v_and_b32_e32 v22, 0xffff, v22
	v_lshlrev_b32_e32 v26, 16, v26
	;; [unrolled: 2-line block ×4, first 2 shown]
	v_or_b32_e32 v21, v21, v25
	v_or_b32_e32 v22, v22, v26
	;; [unrolled: 1-line block ×3, first 2 shown]
	s_delay_alu instid0(VALU_DEP_4)
	v_or_b32_e32 v24, v24, v28
	ds_store_b32 v108, v20
	ds_store_b32 v109, v21
	;; [unrolled: 1-line block ×5, first 2 shown]
	s_cbranch_scc0 .LBB190_4
; %bb.6:                                ;   in Loop: Header=BB190_5 Depth=1
	s_lshl_b32 s19, s16, 3
	s_wait_alu 0xfffe
	v_add_nc_u32_e32 v20, s19, v72
	s_delay_alu instid0(VALU_DEP_1)
	v_cmp_gt_i32_e64 s1, s6, v20
	s_and_b32 s20, s0, s1
	s_wait_alu 0xfffe
	s_and_saveexec_b32 s1, s20
	s_cbranch_execz .LBB190_8
; %bb.7:                                ;   in Loop: Header=BB190_5 Depth=1
	v_add_nc_u32_e32 v20, v93, v20
	s_delay_alu instid0(VALU_DEP_1)
	v_mad_co_i64_i32 v[20:21], null, v20, 36, v[18:19]
	global_load_b32 v20, v[20:21], off offset:4
	s_wait_loadcnt 0x0
	ds_store_b32 v86, v20
.LBB190_8:                              ;   in Loop: Header=BB190_5 Depth=1
	s_wait_alu 0xfffe
	s_or_b32 exec_lo, exec_lo, s1
	v_add_nc_u32_e32 v129, s19, v41
	s_delay_alu instid0(VALU_DEP_1)
	v_cmp_gt_i32_e64 s1, s6, v129
	s_and_b32 s20, s8, s1
	s_wait_alu 0xfffe
	s_and_saveexec_b32 s1, s20
	s_cbranch_execz .LBB190_10
; %bb.9:                                ;   in Loop: Header=BB190_5 Depth=1
	v_add_nc_u32_e32 v20, v93, v129
	s_delay_alu instid0(VALU_DEP_1)
	v_mad_co_i64_i32 v[20:21], null, v20, 36, s[2:3]
	global_load_b32 v20, v[20:21], off
	s_wait_loadcnt 0x0
	v_cvt_f32_f16_e32 v20, v20
	ds_store_b32 v87, v20
.LBB190_10:                             ;   in Loop: Header=BB190_5 Depth=1
	s_wait_alu 0xfffe
	s_or_b32 exec_lo, exec_lo, s1
	v_dual_mov_b32 v130, v85 :: v_dual_mov_b32 v131, v84
	s_mov_b32 s22, -2
	s_mov_b32 s1, 0
	s_mov_b32 s20, 0
	s_wait_dscnt 0x0
	s_barrier_signal -1
	s_barrier_wait -1
	global_inv scope:SCOPE_SE
.LBB190_11:                             ;   Parent Loop BB190_5 Depth=1
                                        ; =>  This Inner Loop Header: Depth=2
	ds_load_b128 v[20:23], v131
	ds_load_b128 v[33:36], v131 offset:16
	s_wait_alu 0xfffe
	s_add_co_i32 s21, s22, 2
	v_add_nc_u32_e32 v131, 32, v131
	s_wait_alu 0xfffe
	s_and_b32 s25, s21, 0x3ffffff8
	s_lshr_b32 s24, s21, 4
	s_wait_alu 0xfffe
	v_lshl_add_u32 v142, s25, 2, v94
	s_and_b32 s25, s20, -16
	s_lshl_b32 s23, s24, 5
	s_wait_alu 0xfffe
	s_add_co_i32 s22, s22, s25
	s_addk_co_i32 s23, 0x4200
	s_wait_alu 0xfffe
	v_add_nc_u32_e32 v37, s22, v96
	s_lshl_b32 s24, s24, 2
	v_add_nc_u32_e32 v39, 0x3198, v142
	s_wait_alu 0xfffe
	s_addk_co_i32 s24, 0x7380
	v_add3_u32 v181, s23, v114, v115
	v_add3_u32 v214, s23, v118, v119
	s_add_co_i32 s20, s20, 2
	s_wait_dscnt 0x1
	v_lshrrev_b16 v155, 8, v20
	v_ashrrev_i32_e32 v28, 24, v20
	v_bfe_i32 v26, v20, 16, 8
	v_bfe_i32 v158, v20, 0, 8
	v_perm_b32 v151, v20, v20, 0xc0c0302
	v_add_nc_u32_e32 v20, 0x3188, v142
	s_wait_dscnt 0x0
	v_lshrrev_b16 v127, 8, v33
	v_lshrrev_b16 v161, 8, v34
	v_ashrrev_i32_e32 v32, 24, v33
	v_bfe_i32 v30, v33, 16, 8
	v_bfe_i32 v162, v33, 0, 8
	v_perm_b32 v147, v33, v33, 0xc0c0302
	v_ashrrev_i32_e32 v33, 24, v34
	v_bfe_i32 v31, v34, 16, 8
	v_bfe_i32 v144, v34, 0, 8
	v_perm_b32 v140, v34, v34, 0xc030201
	v_add3_u32 v34, s23, v122, v123
	v_lshrrev_b16 v157, 8, v21
	v_lshrrev_b16 v153, 8, v22
	v_lshrrev_b16 v143, 8, v23
	v_ashrrev_i32_e32 v29, 24, v21
	v_bfe_i32 v27, v21, 16, 8
	v_bfe_i32 v145, v21, 0, 8
	v_perm_b32 v141, v21, v21, 0xc030201
	v_ashrrev_i32_e32 v148, 24, v22
	v_bfe_i32 v150, v22, 16, 8
	v_bfe_i32 v139, v22, 0, 8
	v_perm_b32 v137, v22, v22, 0xc030201
	v_ashrrev_i32_e32 v149, 24, v23
	v_bfe_i32 v152, v23, 16, 8
	v_bfe_i32 v135, v23, 0, 8
	v_perm_b32 v133, v23, v23, 0xc030201
	v_lshrrev_b16 v128, 8, v35
	v_lshrrev_b16 v146, 8, v36
	v_ashrrev_i32_e32 v154, 24, v35
	v_bfe_i32 v159, v35, 16, 8
	v_bfe_i32 v138, v35, 0, 8
	v_perm_b32 v136, v35, v35, 0xc030201
	v_ashrrev_i32_e32 v156, 24, v36
	v_bfe_i32 v160, v36, 16, 8
	v_bfe_i32 v134, v36, 0, 8
	v_perm_b32 v132, v36, v36, 0xc030201
	ds_load_2addr_b32 v[20:21], v20 offset1:1
	ds_load_2addr_b32 v[35:36], v34 offset0:4 offset1:5
	ds_load_2addr_b32 v[24:25], v34 offset0:6 offset1:7
	ds_load_2addr_b32 v[22:23], v34 offset0:2 offset1:3
	ds_load_u16 v166, v37 offset:2
	s_wait_alu 0xfffe
	v_add3_u32 v37, s24, v124, v125
	v_bfe_i32 v127, v127, 0, 8
	v_bfe_i32 v161, v161, 0, 8
	;; [unrolled: 1-line block ×4, first 2 shown]
	ds_load_b32 v163, v37
	v_add_nc_u32_e32 v37, 0x3190, v142
	ds_load_2addr_b32 v[37:38], v37 offset1:1
	ds_load_2addr_b32 v[164:165], v39 offset1:1
	v_bfe_i32 v155, v155, 0, 8
	v_bfe_i32 v153, v153, 0, 8
	;; [unrolled: 1-line block ×3, first 2 shown]
	s_wait_dscnt 0x7
	v_ashrrev_i32_e32 v204, s21, v20
	s_wait_dscnt 0x6
	v_ashrrev_i32_e32 v36, s1, v36
	v_ashrrev_i32_e32 v35, s1, v35
	s_wait_dscnt 0x5
	v_ashrrev_i32_e32 v24, s1, v24
	v_ashrrev_i32_e32 v25, s1, v25
	;; [unrolled: 1-line block ×3, first 2 shown]
	v_lshlrev_b32_e32 v36, 2, v36
	v_lshlrev_b32_e32 v35, 2, v35
	;; [unrolled: 1-line block ×4, first 2 shown]
	s_wait_dscnt 0x4
	v_ashrrev_i32_e32 v22, s1, v22
	v_and_b32_e32 v36, 0x4040404, v36
	v_and_b32_e32 v35, 0x4040404, v35
	;; [unrolled: 1-line block ×4, first 2 shown]
	s_wait_dscnt 0x1
	v_ashrrev_i32_e32 v38, s21, v38
	v_ashrrev_i32_e32 v37, s21, v37
	v_lshrrev_b32_e32 v126, 24, v36
	v_lshrrev_b32_e32 v167, 24, v35
	s_wait_dscnt 0x0
	v_ashrrev_i32_e32 v191, s21, v164
	v_bfe_u32 v39, v38, 24, 2
	v_and_b32_e32 v38, 0x3030303, v38
	v_ashrrev_i32_e32 v192, s21, v165
	v_ashrrev_i32_e32 v23, s1, v23
	v_and_b32_e32 v195, 0x3030303, v191
	v_sub_nc_u16 v39, v39, v126
	v_bfe_u32 v126, v37, 24, 2
	v_and_b32_e32 v37, 0x3030303, v37
	v_and_b32_e32 v196, 0x3030303, v192
	v_sub_nc_u16 v24, v195, v193
	v_bfe_i32 v39, v39, 0, 16
	v_sub_nc_u16 v126, v126, v167
	v_and_b32_e32 v208, 0x3030303, v204
	v_sub_nc_u16 v25, v196, v194
	v_bfe_i32 v24, v24, 0, 8
	v_mul_i32_i24_e32 v33, v39, v33
	v_bfe_i32 v39, v126, 0, 16
	v_and_b32_e32 v209, 0x3030303, v205
	v_bfe_i32 v25, v25, 0, 8
	v_mul_i32_i24_e32 v24, v24, v138
	v_lshlrev_b32_e32 v126, 2, v53
	v_mad_i32_i24 v189, v39, v32, v33
	v_lshrrev_b32_e32 v32, 16, v38
	v_lshrrev_b32_e32 v33, 16, v36
	;; [unrolled: 1-line block ×3, first 2 shown]
	v_mul_i32_i24_e32 v25, v25, v134
	v_add3_u32 v179, s23, v126, v113
	v_lshrrev_b16 v187, 8, v193
	v_sub_nc_u16 v32, v32, v33
	v_lshrrev_b32_e32 v33, 16, v37
	v_bfe_i32 v143, v143, 0, 8
	s_delay_alu instid0(VALU_DEP_3) | instskip(NEXT) | instid1(VALU_DEP_3)
	v_bfe_i32 v32, v32, 0, 8
	v_sub_nc_u16 v33, v33, v39
	s_delay_alu instid0(VALU_DEP_2) | instskip(NEXT) | instid1(VALU_DEP_2)
	v_mul_i32_i24_e32 v31, v32, v31
	v_bfe_i32 v32, v33, 0, 8
	s_delay_alu instid0(VALU_DEP_1) | instskip(SKIP_4) | instid1(VALU_DEP_4)
	v_mad_i32_i24 v190, v32, v30, v31
	v_sub_nc_u16 v30, v38, v36
	v_sub_nc_u16 v31, v37, v35
	v_add3_u32 v32, s24, v120, v121
	v_lshrrev_b16 v35, 8, v35
	v_bfe_i32 v30, v30, 0, 8
	s_delay_alu instid0(VALU_DEP_4) | instskip(NEXT) | instid1(VALU_DEP_2)
	v_bfe_i32 v31, v31, 0, 8
	v_mul_i32_i24_e32 v30, v30, v144
	s_delay_alu instid0(VALU_DEP_1) | instskip(NEXT) | instid1(VALU_DEP_1)
	v_mad_i32_i24 v30, v31, v162, v30
	v_add3_u32 v197, v30, v24, v25
	v_add_nc_u32_e32 v30, 0x3180, v142
	ds_load_2addr_b32 v[24:25], v34 offset1:1
	ds_load_2addr_b32 v[30:31], v30 offset1:1
	ds_load_b32 v164, v32
	s_wait_dscnt 0x2
	v_ashrrev_i32_e32 v25, s1, v25
	v_ashrrev_i32_e32 v24, s1, v24
	s_wait_dscnt 0x1
	v_ashrrev_i32_e32 v31, s21, v31
	v_ashrrev_i32_e32 v30, s21, v30
	v_lshlrev_b32_e32 v25, 2, v25
	v_lshlrev_b32_e32 v24, 2, v24
	s_delay_alu instid0(VALU_DEP_4) | instskip(NEXT) | instid1(VALU_DEP_4)
	v_and_b32_e32 v201, 0x3030303, v31
	v_and_b32_e32 v202, 0x3030303, v30
	s_delay_alu instid0(VALU_DEP_4) | instskip(NEXT) | instid1(VALU_DEP_4)
	v_and_b32_e32 v198, 0x4040404, v25
	v_and_b32_e32 v199, 0x4040404, v24
	v_bfe_u32 v25, v31, 24, 2
	v_bfe_u32 v24, v30, 24, 2
	s_delay_alu instid0(VALU_DEP_4) | instskip(NEXT) | instid1(VALU_DEP_4)
	v_sub_nc_u16 v20, v201, v198
	v_sub_nc_u16 v21, v202, v199
	v_lshrrev_b32_e32 v32, 24, v198
	s_delay_alu instid0(VALU_DEP_3) | instskip(NEXT) | instid1(VALU_DEP_3)
	v_bfe_i32 v20, v20, 0, 8
	v_bfe_i32 v21, v21, 0, 8
	s_delay_alu instid0(VALU_DEP_3) | instskip(SKIP_1) | instid1(VALU_DEP_4)
	v_sub_nc_u16 v25, v25, v32
	v_lshrrev_b32_e32 v32, 24, v199
	v_mul_i32_i24_e32 v20, v20, v145
	s_delay_alu instid0(VALU_DEP_3) | instskip(NEXT) | instid1(VALU_DEP_3)
	v_bfe_i32 v25, v25, 0, 16
	v_sub_nc_u16 v24, v24, v32
	s_delay_alu instid0(VALU_DEP_3) | instskip(SKIP_4) | instid1(VALU_DEP_4)
	v_mad_i32_i24 v20, v21, v158, v20
	v_lshlrev_b32_e32 v21, 2, v22
	v_lshlrev_b32_e32 v22, 2, v23
	v_mul_i32_i24_e32 v25, v25, v29
	v_bfe_i32 v24, v24, 0, 16
	v_and_b32_e32 v206, 0x4040404, v21
	s_delay_alu instid0(VALU_DEP_4) | instskip(NEXT) | instid1(VALU_DEP_3)
	v_and_b32_e32 v207, 0x4040404, v22
	v_mad_i32_i24 v200, v24, v28, v25
	v_lshrrev_b32_e32 v24, 16, v201
	s_delay_alu instid0(VALU_DEP_4) | instskip(NEXT) | instid1(VALU_DEP_4)
	v_sub_nc_u16 v21, v208, v206
	v_sub_nc_u16 v22, v209, v207
	v_lshrrev_b32_e32 v25, 16, v198
	v_lshrrev_b32_e32 v28, 16, v199
	v_lshrrev_b16 v199, 8, v199
	v_bfe_i32 v21, v21, 0, 8
	v_bfe_i32 v22, v22, 0, 8
	v_sub_nc_u16 v24, v24, v25
	v_lshrrev_b32_e32 v25, 16, v202
	v_lshrrev_b16 v202, 8, v202
	v_mul_i32_i24_e32 v21, v21, v139
	v_mul_i32_i24_e32 v22, v22, v135
	v_bfe_i32 v24, v24, 0, 8
	v_sub_nc_u16 v25, v25, v28
	v_lshrrev_b16 v201, 8, v201
	v_lshrrev_b16 v198, 8, v198
	v_add3_u32 v210, v20, v21, v22
	ds_load_2addr_b32 v[167:168], v179 offset0:4 offset1:5
	ds_load_2addr_b32 v[20:21], v179 offset0:6 offset1:7
	;; [unrolled: 1-line block ×3, first 2 shown]
	v_mul_i32_i24_e32 v24, v24, v27
	v_bfe_i32 v25, v25, 0, 8
	v_add_nc_u32_e32 v27, 0x1098, v142
	v_sub_nc_u16 v199, v202, v199
	v_sub_nc_u16 v198, v201, v198
	v_lshrrev_b16 v201, 8, v208
	v_mad_i32_i24 v203, v25, v26, v24
	v_lshrrev_b16 v202, 8, v206
	v_bfe_i32 v199, v199, 0, 16
	v_bfe_i32 v198, v198, 0, 16
	s_delay_alu instid0(VALU_DEP_3) | instskip(NEXT) | instid1(VALU_DEP_2)
	v_sub_nc_u16 v201, v201, v202
	v_mul_i32_i24_e32 v157, v198, v157
	s_wait_dscnt 0x2
	v_ashrrev_i32_e32 v22, s1, v167
	s_wait_dscnt 0x1
	v_ashrrev_i32_e32 v20, s1, v20
	s_wait_dscnt 0x0
	v_ashrrev_i32_e32 v28, s1, v28
	v_ashrrev_i32_e32 v29, s1, v29
	v_lshlrev_b32_e32 v22, 2, v22
	v_lshlrev_b32_e32 v20, 2, v20
	s_delay_alu instid0(VALU_DEP_4) | instskip(NEXT) | instid1(VALU_DEP_4)
	v_lshlrev_b32_e32 v28, 2, v28
	v_lshlrev_b32_e32 v29, 2, v29
	s_delay_alu instid0(VALU_DEP_4)
	v_and_b32_e32 v211, 0x4040404, v22
	ds_load_2addr_b32 v[169:170], v142 offset0:4 offset1:5
	ds_load_2addr_b32 v[22:23], v142 offset0:6 offset1:7
	;; [unrolled: 1-line block ×3, first 2 shown]
	v_and_b32_e32 v28, 0x4040404, v28
	v_and_b32_e32 v20, 0x4040404, v20
	;; [unrolled: 1-line block ×3, first 2 shown]
	v_lshrrev_b16 v25, 8, v211
	s_wait_dscnt 0x2
	v_ashrrev_i32_e32 v169, s21, v169
	s_wait_dscnt 0x1
	v_ashrrev_i32_e32 v22, s21, v22
	;; [unrolled: 2-line block ×3, first 2 shown]
	v_ashrrev_i32_e32 v23, s21, v23
	v_and_b32_e32 v212, 0x3030303, v169
	s_delay_alu instid0(VALU_DEP_1) | instskip(NEXT) | instid1(VALU_DEP_1)
	v_lshrrev_b16 v24, 8, v212
	v_sub_nc_u16 v180, v24, v25
	v_add_nc_u32_e32 v24, s22, v98
	s_delay_alu instid0(VALU_DEP_2)
	v_lshlrev_b16 v180, 8, v180
	ds_load_u16 v167, v24 offset:26370
	v_add3_u32 v24, s24, v116, v117
	v_bfe_i32 v180, v180, 8, 8
	ds_load_b32 v165, v24
	ds_load_2addr_b32 v[171:172], v181 offset0:4 offset1:5
	ds_load_2addr_b32 v[24:25], v181 offset0:6 offset1:7
	;; [unrolled: 1-line block ×3, first 2 shown]
	s_wait_dscnt 0x2
	v_ashrrev_i32_e32 v26, s1, v171
	s_wait_dscnt 0x1
	v_ashrrev_i32_e32 v24, s1, v24
	s_wait_dscnt 0x0
	v_ashrrev_i32_e32 v32, s1, v32
	v_ashrrev_i32_e32 v33, s1, v33
	v_ashrrev_i32_e32 v25, s1, v25
	v_lshlrev_b32_e32 v26, 2, v26
	v_lshlrev_b32_e32 v24, 2, v24
	;; [unrolled: 1-line block ×5, first 2 shown]
	v_and_b32_e32 v171, 0x4040404, v26
	v_add_nc_u32_e32 v26, 0x1090, v142
	ds_load_2addr_b32 v[173:174], v26 offset1:1
	ds_load_2addr_b32 v[26:27], v27 offset1:1
	v_lshrrev_b16 v39, 8, v171
	v_and_b32_e32 v32, 0x4040404, v32
	v_and_b32_e32 v24, 0x4040404, v24
	;; [unrolled: 1-line block ×4, first 2 shown]
	s_wait_dscnt 0x1
	v_ashrrev_i32_e32 v173, s21, v173
	s_wait_dscnt 0x0
	v_ashrrev_i32_e32 v26, s21, v26
	v_ashrrev_i32_e32 v27, s21, v27
	s_delay_alu instid0(VALU_DEP_3) | instskip(NEXT) | instid1(VALU_DEP_1)
	v_and_b32_e32 v213, 0x3030303, v173
	v_lshrrev_b16 v34, 8, v213
	v_sub_nc_u16 v188, v213, v171
	s_delay_alu instid0(VALU_DEP_2) | instskip(SKIP_1) | instid1(VALU_DEP_3)
	v_sub_nc_u16 v182, v34, v39
	v_lshrrev_b16 v34, 8, v37
	v_bfe_i32 v188, v188, 0, 8
	s_delay_alu instid0(VALU_DEP_2)
	v_sub_nc_u16 v183, v34, v35
	v_lshrrev_b16 v35, 8, v36
	ds_load_2addr_b32 v[175:176], v214 offset0:4 offset1:5
	ds_load_2addr_b32 v[36:37], v214 offset0:2 offset1:3
	v_lshrrev_b16 v34, 8, v38
	v_add_nc_u32_e32 v38, 0x2108, v142
	v_mul_i32_i24_e32 v188, v162, v188
	s_delay_alu instid0(VALU_DEP_3) | instskip(SKIP_1) | instid1(VALU_DEP_2)
	v_sub_nc_u16 v184, v34, v35
	v_add_nc_u32_e32 v35, 0x2118, v142
	v_bfe_i32 v184, v184, 0, 16
	s_delay_alu instid0(VALU_DEP_1) | instskip(SKIP_4) | instid1(VALU_DEP_2)
	v_mul_i32_i24_e32 v161, v184, v161
	s_wait_dscnt 0x1
	v_ashrrev_i32_e32 v34, s1, v175
	s_wait_dscnt 0x0
	v_ashrrev_i32_e32 v36, s1, v36
	v_lshlrev_b32_e32 v34, 2, v34
	s_delay_alu instid0(VALU_DEP_2) | instskip(NEXT) | instid1(VALU_DEP_2)
	v_lshlrev_b32_e32 v36, 2, v36
	v_and_b32_e32 v175, 0x4040404, v34
	v_add_nc_u32_e32 v34, 0x2110, v142
	ds_load_2addr_b32 v[177:178], v34 offset1:1
	ds_load_2addr_b32 v[34:35], v35 offset1:1
	;; [unrolled: 1-line block ×3, first 2 shown]
	v_lshrrev_b16 v186, 8, v175
	v_and_b32_e32 v36, 0x4040404, v36
	s_wait_dscnt 0x2
	v_ashrrev_i32_e32 v177, s21, v177
	s_wait_dscnt 0x1
	v_ashrrev_i32_e32 v34, s21, v34
	;; [unrolled: 2-line block ×3, first 2 shown]
	v_ashrrev_i32_e32 v35, s21, v35
	v_and_b32_e32 v215, 0x3030303, v177
	s_delay_alu instid0(VALU_DEP_1) | instskip(SKIP_1) | instid1(VALU_DEP_2)
	v_lshrrev_b16 v185, 8, v215
	v_sub_nc_u16 v216, v215, v175
	v_sub_nc_u16 v185, v185, v186
	v_lshrrev_b16 v186, 8, v195
	s_delay_alu instid0(VALU_DEP_3) | instskip(NEXT) | instid1(VALU_DEP_2)
	v_bfe_i32 v216, v216, 0, 8
	v_sub_nc_u16 v186, v186, v187
	v_sub_nc_u16 v187, v212, v211
	s_delay_alu instid0(VALU_DEP_2) | instskip(NEXT) | instid1(VALU_DEP_2)
	v_bfe_i32 v184, v186, 0, 16
	v_bfe_i32 v187, v187, 0, 8
	s_delay_alu instid0(VALU_DEP_2) | instskip(NEXT) | instid1(VALU_DEP_2)
	v_mul_i32_i24_e32 v128, v184, v128
	v_mul_i32_i24_e32 v187, v162, v187
	;; [unrolled: 1-line block ×3, first 2 shown]
	s_delay_alu instid0(VALU_DEP_2) | instskip(SKIP_1) | instid1(VALU_DEP_1)
	v_mad_i32_i24 v216, v127, v180, v187
	v_lshlrev_b16 v180, 8, v182
	v_bfe_i32 v180, v180, 8, 8
	s_delay_alu instid0(VALU_DEP_1) | instskip(SKIP_1) | instid1(VALU_DEP_1)
	v_mad_i32_i24 v217, v127, v180, v188
	v_lshlrev_b16 v180, 8, v185
	v_bfe_i32 v180, v180, 8, 8
	s_delay_alu instid0(VALU_DEP_1) | instskip(SKIP_2) | instid1(VALU_DEP_2)
	v_mad_i32_i24 v218, v127, v180, v162
	v_bfe_i32 v162, v183, 0, 16
	v_add_nc_u32_e32 v183, 0x1080, v142
	v_mul_i32_i24_e32 v127, v162, v127
	s_delay_alu instid0(VALU_DEP_1)
	v_add3_u32 v219, v127, v161, v128
	ds_load_2addr_b32 v[161:162], v179 offset1:1
	ds_load_2addr_b32 v[179:180], v142 offset1:1
	s_wait_dscnt 0x1
	v_ashrrev_i32_e32 v127, s1, v161
	s_wait_dscnt 0x0
	v_ashrrev_i32_e32 v179, s21, v179
	s_delay_alu instid0(VALU_DEP_2) | instskip(NEXT) | instid1(VALU_DEP_2)
	v_lshlrev_b32_e32 v127, 2, v127
	v_and_b32_e32 v221, 0x3030303, v179
	s_delay_alu instid0(VALU_DEP_2) | instskip(NEXT) | instid1(VALU_DEP_2)
	v_and_b32_e32 v220, 0x4040404, v127
	v_lshrrev_b16 v127, 8, v221
	s_delay_alu instid0(VALU_DEP_2) | instskip(SKIP_1) | instid1(VALU_DEP_2)
	v_lshrrev_b16 v128, 8, v220
	v_sub_nc_u16 v202, v221, v220
	v_sub_nc_u16 v222, v127, v128
	v_lshlrev_b32_e32 v127, 2, v43
	v_lshlrev_b32_e32 v128, 2, v75
	s_delay_alu instid0(VALU_DEP_4) | instskip(NEXT) | instid1(VALU_DEP_4)
	v_bfe_i32 v202, v202, 0, 8
	v_lshlrev_b16 v198, 8, v222
	s_delay_alu instid0(VALU_DEP_3) | instskip(NEXT) | instid1(VALU_DEP_3)
	v_add3_u32 v161, s24, v127, v128
	v_mul_i32_i24_e32 v202, v158, v202
	s_delay_alu instid0(VALU_DEP_3)
	v_bfe_i32 v198, v198, 8, 8
	ds_load_b32 v161, v161
	ds_load_2addr_b32 v[181:182], v181 offset1:1
	ds_load_2addr_b32 v[183:184], v183 offset1:1
	v_mad_i32_i24 v198, v155, v198, v202
	s_wait_dscnt 0x1
	v_ashrrev_i32_e32 v181, s1, v181
	s_wait_dscnt 0x0
	v_ashrrev_i32_e32 v183, s21, v183
	s_delay_alu instid0(VALU_DEP_2) | instskip(NEXT) | instid1(VALU_DEP_2)
	v_lshlrev_b32_e32 v181, 2, v181
	v_and_b32_e32 v223, 0x3030303, v183
	s_delay_alu instid0(VALU_DEP_2) | instskip(NEXT) | instid1(VALU_DEP_2)
	v_and_b32_e32 v181, 0x4040404, v181
	v_lshrrev_b16 v185, 8, v223
	s_delay_alu instid0(VALU_DEP_2) | instskip(NEXT) | instid1(VALU_DEP_1)
	v_lshrrev_b16 v186, 8, v181
	v_sub_nc_u16 v224, v185, v186
	v_add_nc_u32_e32 v185, 0x2100, v142
	ds_load_2addr_b32 v[185:186], v185 offset1:1
	ds_load_2addr_b32 v[187:188], v214 offset1:1
	v_lshlrev_b16 v202, 8, v224
	s_delay_alu instid0(VALU_DEP_1) | instskip(SKIP_4) | instid1(VALU_DEP_2)
	v_bfe_i32 v202, v202, 8, 8
	s_wait_dscnt 0x1
	v_ashrrev_i32_e32 v185, s21, v185
	s_wait_dscnt 0x0
	v_ashrrev_i32_e32 v187, s1, v187
	v_and_b32_e32 v225, 0x3030303, v185
	s_delay_alu instid0(VALU_DEP_2) | instskip(NEXT) | instid1(VALU_DEP_2)
	v_lshlrev_b32_e32 v187, 2, v187
	v_lshrrev_b16 v226, 8, v225
	s_delay_alu instid0(VALU_DEP_2) | instskip(NEXT) | instid1(VALU_DEP_1)
	v_and_b32_e32 v187, 0x4040404, v187
	v_lshrrev_b16 v227, 8, v187
	v_sub_nc_u16 v228, v225, v187
	s_delay_alu instid0(VALU_DEP_2) | instskip(SKIP_1) | instid1(VALU_DEP_3)
	v_sub_nc_u16 v226, v226, v227
	v_sub_nc_u16 v227, v223, v181
	v_bfe_i32 v228, v228, 0, 8
	s_delay_alu instid0(VALU_DEP_3) | instskip(NEXT) | instid1(VALU_DEP_3)
	v_lshlrev_b16 v222, 8, v226
	v_bfe_i32 v227, v227, 0, 8
	s_delay_alu instid0(VALU_DEP_2) | instskip(NEXT) | instid1(VALU_DEP_2)
	v_bfe_i32 v222, v222, 8, 8
	v_mul_i32_i24_e32 v227, v158, v227
	v_mul_i32_i24_e32 v158, v158, v228
	s_delay_alu instid0(VALU_DEP_2) | instskip(NEXT) | instid1(VALU_DEP_2)
	v_mad_i32_i24 v202, v155, v202, v227
	v_mad_i32_i24 v158, v155, v222, v158
	v_mul_i32_i24_e32 v155, v199, v155
	v_bfe_i32 v199, v201, 0, 16
	s_delay_alu instid0(VALU_DEP_1) | instskip(NEXT) | instid1(VALU_DEP_1)
	v_mul_i32_i24_e32 v153, v199, v153
	v_add3_u32 v153, v155, v157, v153
	v_lshrrev_b32_e32 v155, 16, v195
	v_lshrrev_b32_e32 v157, 16, v193
	;; [unrolled: 1-line block ×3, first 2 shown]
	s_delay_alu instid0(VALU_DEP_2) | instskip(SKIP_1) | instid1(VALU_DEP_2)
	v_sub_nc_u16 v155, v155, v157
	v_lshrrev_b32_e32 v157, 16, v196
	v_bfe_i32 v155, v155, 0, 8
	s_delay_alu instid0(VALU_DEP_2) | instskip(NEXT) | instid1(VALU_DEP_2)
	v_sub_nc_u16 v157, v157, v195
	v_mul_i32_i24_e32 v155, v155, v159
	s_delay_alu instid0(VALU_DEP_2) | instskip(SKIP_1) | instid1(VALU_DEP_2)
	v_bfe_i32 v157, v157, 0, 8
	v_lshrrev_b32_e32 v159, 24, v193
	v_mul_i32_i24_e32 v157, v157, v160
	v_lshrrev_b32_e32 v160, 24, v194
	s_delay_alu instid0(VALU_DEP_2) | instskip(SKIP_1) | instid1(VALU_DEP_1)
	v_add3_u32 v155, v190, v155, v157
	v_bfe_u32 v157, v191, 24, 2
	v_sub_nc_u16 v157, v157, v159
	v_bfe_u32 v159, v192, 24, 2
	s_delay_alu instid0(VALU_DEP_2) | instskip(NEXT) | instid1(VALU_DEP_2)
	v_bfe_i32 v157, v157, 0, 16
	v_sub_nc_u16 v159, v159, v160
	v_lshrrev_b32_e32 v160, 24, v181
	s_delay_alu instid0(VALU_DEP_3) | instskip(NEXT) | instid1(VALU_DEP_3)
	v_mul_i32_i24_e32 v154, v157, v154
	v_bfe_i32 v157, v159, 0, 16
	v_lshrrev_b32_e32 v159, 16, v220
	s_delay_alu instid0(VALU_DEP_2) | instskip(SKIP_1) | instid1(VALU_DEP_2)
	v_mul_i32_i24_e32 v156, v157, v156
	v_lshrrev_b32_e32 v157, 24, v220
	v_add3_u32 v154, v189, v154, v156
	v_bfe_u32 v156, v179, 24, 2
	v_lshrrev_b32_e32 v179, 16, v181
	v_lshrrev_b32_e32 v181, 24, v187
	s_delay_alu instid0(VALU_DEP_3) | instskip(SKIP_1) | instid1(VALU_DEP_2)
	v_sub_nc_u16 v156, v156, v157
	v_lshrrev_b32_e32 v157, 16, v221
	v_lshlrev_b16 v156, 8, v156
	s_delay_alu instid0(VALU_DEP_2) | instskip(SKIP_2) | instid1(VALU_DEP_2)
	v_sub_nc_u16 v157, v157, v159
	v_bfe_u32 v159, v183, 24, 2
	v_lshrrev_b32_e32 v183, 16, v187
	v_sub_nc_u16 v159, v159, v160
	v_lshrrev_b32_e32 v160, 16, v223
	s_delay_alu instid0(VALU_DEP_2) | instskip(NEXT) | instid1(VALU_DEP_2)
	v_lshlrev_b16 v159, 8, v159
	v_sub_nc_u16 v160, v160, v179
	v_bfe_u32 v179, v185, 24, 2
	s_delay_alu instid0(VALU_DEP_1) | instskip(SKIP_1) | instid1(VALU_DEP_2)
	v_sub_nc_u16 v179, v179, v181
	v_lshrrev_b32_e32 v181, 16, v225
	v_lshlrev_b16 v179, 8, v179
	s_delay_alu instid0(VALU_DEP_2) | instskip(SKIP_1) | instid1(VALU_DEP_1)
	v_sub_nc_u16 v181, v181, v183
	v_and_b32_e32 v183, 0xff, v157
	v_or_b32_e32 v156, v183, v156
	v_and_b32_e32 v183, 0xff, v160
	s_delay_alu instid0(VALU_DEP_2) | instskip(NEXT) | instid1(VALU_DEP_2)
	v_perm_b32 v156, v156, v157, 0xc0c0500
	v_or_b32_e32 v159, v183, v159
	v_and_b32_e32 v183, 0xff, v181
	s_delay_alu instid0(VALU_DEP_3) | instskip(NEXT) | instid1(VALU_DEP_3)
	v_dot4_i32_iu8 v156, v151, v156, v198 neg_lo:[1,1,0]
	v_perm_b32 v157, v159, v160, 0xc0c0500
	s_delay_alu instid0(VALU_DEP_3) | instskip(SKIP_1) | instid1(VALU_DEP_3)
	v_or_b32_e32 v179, v183, v179
	v_lshrrev_b32_e32 v160, 16, v207
	v_dot4_i32_iu8 v157, v151, v157, v202 neg_lo:[1,1,0]
	s_delay_alu instid0(VALU_DEP_3) | instskip(NEXT) | instid1(VALU_DEP_1)
	v_perm_b32 v159, v179, v181, 0xc0c0500
	v_dot4_i32_iu8 v151, v151, v159, v158 neg_lo:[1,1,0]
	v_lshrrev_b32_e32 v158, 16, v208
	v_lshrrev_b32_e32 v159, 16, v206
	s_delay_alu instid0(VALU_DEP_1) | instskip(SKIP_1) | instid1(VALU_DEP_2)
	v_sub_nc_u16 v158, v158, v159
	v_lshrrev_b32_e32 v159, 16, v209
	v_bfe_i32 v158, v158, 0, 8
	s_delay_alu instid0(VALU_DEP_2) | instskip(SKIP_1) | instid1(VALU_DEP_3)
	v_sub_nc_u16 v159, v159, v160
	v_lshrrev_b32_e32 v160, 16, v171
	v_mul_i32_i24_e32 v150, v158, v150
	s_delay_alu instid0(VALU_DEP_3) | instskip(SKIP_1) | instid1(VALU_DEP_2)
	v_bfe_i32 v158, v159, 0, 8
	v_lshrrev_b32_e32 v159, 24, v207
	v_mul_i32_i24_e32 v152, v158, v152
	v_lshrrev_b32_e32 v158, 24, v206
	s_delay_alu instid0(VALU_DEP_2) | instskip(SKIP_1) | instid1(VALU_DEP_1)
	v_add3_u32 v150, v203, v150, v152
	v_bfe_u32 v152, v204, 24, 2
	v_sub_nc_u16 v152, v152, v158
	v_bfe_u32 v158, v205, 24, 2
	s_delay_alu instid0(VALU_DEP_2) | instskip(NEXT) | instid1(VALU_DEP_2)
	v_bfe_i32 v152, v152, 0, 16
	v_sub_nc_u16 v158, v158, v159
	v_lshrrev_b32_e32 v159, 24, v171
	v_lshrrev_b32_e32 v171, 16, v175
	s_delay_alu instid0(VALU_DEP_4) | instskip(NEXT) | instid1(VALU_DEP_4)
	v_mul_i32_i24_e32 v148, v152, v148
	v_bfe_i32 v152, v158, 0, 16
	v_lshrrev_b32_e32 v158, 16, v211
	s_delay_alu instid0(VALU_DEP_2) | instskip(SKIP_1) | instid1(VALU_DEP_2)
	v_mul_i32_i24_e32 v149, v152, v149
	v_lshrrev_b32_e32 v152, 24, v211
	v_add3_u32 v148, v200, v148, v149
	v_bfe_u32 v149, v169, 24, 2
	v_lshrrev_b32_e32 v169, 24, v175
	s_delay_alu instid0(VALU_DEP_2) | instskip(SKIP_1) | instid1(VALU_DEP_2)
	v_sub_nc_u16 v149, v149, v152
	v_lshrrev_b32_e32 v152, 16, v212
	v_lshlrev_b16 v149, 8, v149
	s_delay_alu instid0(VALU_DEP_2) | instskip(SKIP_1) | instid1(VALU_DEP_1)
	v_sub_nc_u16 v152, v152, v158
	v_bfe_u32 v158, v173, 24, 2
	v_sub_nc_u16 v158, v158, v159
	v_lshrrev_b32_e32 v159, 16, v213
	s_delay_alu instid0(VALU_DEP_2) | instskip(NEXT) | instid1(VALU_DEP_2)
	v_lshlrev_b16 v158, 8, v158
	v_sub_nc_u16 v159, v159, v160
	v_bfe_u32 v160, v177, 24, 2
	s_delay_alu instid0(VALU_DEP_1) | instskip(SKIP_1) | instid1(VALU_DEP_2)
	v_sub_nc_u16 v160, v160, v169
	v_lshrrev_b32_e32 v169, 16, v215
	v_lshlrev_b16 v160, 8, v160
	s_delay_alu instid0(VALU_DEP_2) | instskip(SKIP_1) | instid1(VALU_DEP_1)
	v_sub_nc_u16 v169, v169, v171
	v_and_b32_e32 v171, 0xff, v152
	v_or_b32_e32 v149, v171, v149
	v_and_b32_e32 v171, 0xff, v159
	s_delay_alu instid0(VALU_DEP_2) | instskip(NEXT) | instid1(VALU_DEP_2)
	v_perm_b32 v149, v149, v152, 0xc0c0500
	v_or_b32_e32 v158, v171, v158
	v_and_b32_e32 v171, 0xff, v169
	s_delay_alu instid0(VALU_DEP_3) | instskip(NEXT) | instid1(VALU_DEP_3)
	v_dot4_i32_iu8 v149, v147, v149, v216 neg_lo:[1,1,0]
	v_perm_b32 v152, v158, v159, 0xc0c0500
	s_delay_alu instid0(VALU_DEP_3) | instskip(SKIP_1) | instid1(VALU_DEP_3)
	v_or_b32_e32 v160, v171, v160
	v_lshrrev_b16 v159, 8, v194
	v_dot4_i32_iu8 v152, v147, v152, v217 neg_lo:[1,1,0]
	s_delay_alu instid0(VALU_DEP_3) | instskip(SKIP_2) | instid1(VALU_DEP_3)
	v_perm_b32 v158, v160, v169, 0xc0c0500
	v_ashrrev_i32_e32 v160, s1, v188
	v_ashrrev_i32_e32 v169, s21, v186
	v_dot4_i32_iu8 v147, v147, v158, v218 neg_lo:[1,1,0]
	v_lshrrev_b16 v158, 8, v196
	s_delay_alu instid0(VALU_DEP_4) | instskip(NEXT) | instid1(VALU_DEP_2)
	v_lshlrev_b32_e32 v160, 2, v160
	v_sub_nc_u16 v158, v158, v159
	v_ashrrev_i32_e32 v159, s1, v182
	s_delay_alu instid0(VALU_DEP_3) | instskip(NEXT) | instid1(VALU_DEP_3)
	v_and_b32_e32 v160, 0x4040404, v160
	v_bfe_i32 v158, v158, 0, 16
	s_delay_alu instid0(VALU_DEP_3) | instskip(NEXT) | instid1(VALU_DEP_2)
	v_lshlrev_b32_e32 v159, 2, v159
	v_mul_i32_i24_e32 v146, v158, v146
	v_ashrrev_i32_e32 v158, s1, v162
	v_ashrrev_i32_e32 v162, s21, v184
	s_delay_alu instid0(VALU_DEP_4) | instskip(NEXT) | instid1(VALU_DEP_4)
	v_and_b32_e32 v159, 0x4040404, v159
	v_add3_u32 v146, v219, v146, v154
	v_ashrrev_i32_e32 v154, s21, v180
	v_lshlrev_b32_e32 v158, 2, v158
	s_delay_alu instid0(VALU_DEP_3) | instskip(NEXT) | instid1(VALU_DEP_3)
	v_add3_u32 v146, v197, v155, v146
	v_and_b32_e32 v171, 0x3030303, v154
	s_delay_alu instid0(VALU_DEP_3) | instskip(NEXT) | instid1(VALU_DEP_1)
	v_and_b32_e32 v158, 0x4040404, v158
	v_sub_nc_u16 v173, v171, v158
	v_lshrrev_b32_e32 v155, 16, v158
	s_delay_alu instid0(VALU_DEP_2) | instskip(NEXT) | instid1(VALU_DEP_1)
	v_bfe_i32 v173, v173, 0, 8
	v_mad_i32_i24 v156, v145, v173, v156
	v_and_b32_e32 v173, 0x3030303, v162
	s_delay_alu instid0(VALU_DEP_1) | instskip(NEXT) | instid1(VALU_DEP_1)
	v_sub_nc_u16 v175, v173, v159
	v_bfe_i32 v175, v175, 0, 8
	s_delay_alu instid0(VALU_DEP_1) | instskip(SKIP_2) | instid1(VALU_DEP_2)
	v_mad_i32_i24 v157, v145, v175, v157
	v_and_b32_e32 v175, 0x3030303, v169
	v_bfe_u32 v169, v169, 24, 2
	v_sub_nc_u16 v177, v175, v160
	s_delay_alu instid0(VALU_DEP_1) | instskip(NEXT) | instid1(VALU_DEP_1)
	v_bfe_i32 v177, v177, 0, 8
	v_mad_i32_i24 v145, v145, v177, v151
	v_lshrrev_b16 v151, 8, v209
	v_lshrrev_b16 v177, 8, v207
	s_delay_alu instid0(VALU_DEP_1) | instskip(NEXT) | instid1(VALU_DEP_1)
	v_sub_nc_u16 v151, v151, v177
	v_bfe_i32 v151, v151, 0, 16
	s_delay_alu instid0(VALU_DEP_1) | instskip(SKIP_2) | instid1(VALU_DEP_3)
	v_mul_i32_i24_e32 v143, v151, v143
	v_ashrrev_i32_e32 v151, s1, v168
	v_ashrrev_i32_e32 v168, s1, v176
	v_add3_u32 v143, v153, v143, v148
	v_ashrrev_i32_e32 v148, s21, v170
	s_delay_alu instid0(VALU_DEP_4)
	v_lshlrev_b32_e32 v151, 2, v151
	v_ashrrev_i32_e32 v170, s21, v174
	v_ashrrev_i32_e32 v153, s1, v172
	;; [unrolled: 1-line block ×3, first 2 shown]
	v_and_b32_e32 v174, 0x3030303, v148
	v_and_b32_e32 v151, 0x4040404, v151
	v_lshlrev_b32_e32 v168, 2, v168
	v_lshlrev_b32_e32 v153, 2, v153
	v_add3_u32 v150, v210, v150, v143
	s_delay_alu instid0(VALU_DEP_4) | instskip(NEXT) | instid1(VALU_DEP_4)
	v_sub_nc_u16 v176, v174, v151
	v_and_b32_e32 v168, 0x4040404, v168
	s_delay_alu instid0(VALU_DEP_4) | instskip(SKIP_1) | instid1(VALU_DEP_4)
	v_and_b32_e32 v153, 0x4040404, v153
	v_lshrrev_b32_e32 v143, 24, v151
	v_bfe_i32 v176, v176, 0, 8
	s_delay_alu instid0(VALU_DEP_1) | instskip(SKIP_1) | instid1(VALU_DEP_1)
	v_mad_i32_i24 v149, v144, v176, v149
	v_and_b32_e32 v176, 0x3030303, v170
	v_sub_nc_u16 v177, v176, v153
	s_delay_alu instid0(VALU_DEP_1) | instskip(NEXT) | instid1(VALU_DEP_1)
	v_bfe_i32 v177, v177, 0, 8
	v_mad_i32_i24 v152, v144, v177, v152
	v_and_b32_e32 v177, 0x3030303, v172
	s_delay_alu instid0(VALU_DEP_1) | instskip(NEXT) | instid1(VALU_DEP_1)
	v_sub_nc_u16 v178, v177, v168
	v_bfe_i32 v178, v178, 0, 8
	s_delay_alu instid0(VALU_DEP_1) | instskip(SKIP_3) | instid1(VALU_DEP_2)
	v_mad_i32_i24 v144, v144, v178, v147
	v_bfe_u32 v147, v154, 24, 2
	v_lshrrev_b32_e32 v154, 24, v158
	v_lshrrev_b16 v158, 8, v158
	v_sub_nc_u16 v147, v147, v154
	v_lshrrev_b32_e32 v154, 16, v171
	s_delay_alu instid0(VALU_DEP_2) | instskip(NEXT) | instid1(VALU_DEP_2)
	v_lshlrev_b16 v147, 8, v147
	v_sub_nc_u16 v154, v154, v155
	v_lshrrev_b16 v155, 8, v171
	v_lshrrev_b32_e32 v171, 16, v159
	s_delay_alu instid0(VALU_DEP_2) | instskip(SKIP_3) | instid1(VALU_DEP_4)
	v_sub_nc_u16 v155, v155, v158
	v_bfe_u32 v158, v162, 24, 2
	v_lshrrev_b32_e32 v162, 24, v159
	v_lshrrev_b16 v159, 8, v159
	v_lshlrev_b16 v155, 8, v155
	s_delay_alu instid0(VALU_DEP_3) | instskip(SKIP_1) | instid1(VALU_DEP_3)
	v_sub_nc_u16 v158, v158, v162
	v_lshrrev_b32_e32 v162, 16, v173
	v_perm_b32 v155, v155, v155, 0xc0c0c01
	s_delay_alu instid0(VALU_DEP_3) | instskip(NEXT) | instid1(VALU_DEP_3)
	v_lshlrev_b16 v158, 8, v158
	v_sub_nc_u16 v162, v162, v171
	v_lshrrev_b16 v171, 8, v173
	v_lshrrev_b32_e32 v173, 16, v160
	s_delay_alu instid0(VALU_DEP_2) | instskip(SKIP_2) | instid1(VALU_DEP_2)
	v_sub_nc_u16 v159, v171, v159
	v_lshrrev_b32_e32 v171, 24, v160
	v_lshrrev_b16 v160, 8, v160
	v_sub_nc_u16 v169, v169, v171
	v_lshrrev_b32_e32 v171, 16, v175
	s_delay_alu instid0(VALU_DEP_2) | instskip(NEXT) | instid1(VALU_DEP_2)
	v_lshlrev_b16 v169, 8, v169
	v_sub_nc_u16 v171, v171, v173
	v_lshrrev_b16 v173, 8, v175
	s_delay_alu instid0(VALU_DEP_1) | instskip(SKIP_1) | instid1(VALU_DEP_1)
	v_sub_nc_u16 v160, v173, v160
	v_and_b32_e32 v173, 0xff, v154
	v_or_b32_e32 v147, v173, v147
	v_and_b32_e32 v173, 0xff, v162
	s_delay_alu instid0(VALU_DEP_2) | instskip(NEXT) | instid1(VALU_DEP_2)
	v_perm_b32 v147, v147, v154, 0xc05000c
	v_or_b32_e32 v158, v173, v158
	v_and_b32_e32 v173, 0xff, v171
	s_delay_alu instid0(VALU_DEP_3) | instskip(SKIP_1) | instid1(VALU_DEP_4)
	v_or_b32_e32 v147, v147, v155
	v_lshlrev_b16 v155, 8, v159
	v_perm_b32 v154, v158, v162, 0xc05000c
	s_delay_alu instid0(VALU_DEP_4)
	v_or_b32_e32 v169, v173, v169
	v_lshrrev_b16 v159, 8, v168
	v_dot4_i32_iu8 v147, v141, v147, v156 neg_lo:[1,1,0]
	v_perm_b32 v155, v155, v155, 0xc0c0c01
	v_lshrrev_b32_e32 v156, 16, v153
	v_perm_b32 v158, v169, v171, 0xc05000c
	s_delay_alu instid0(VALU_DEP_3) | instskip(SKIP_1) | instid1(VALU_DEP_2)
	v_or_b32_e32 v154, v154, v155
	v_lshlrev_b16 v155, 8, v160
	v_dot4_i32_iu8 v154, v141, v154, v157 neg_lo:[1,1,0]
	s_delay_alu instid0(VALU_DEP_2) | instskip(SKIP_1) | instid1(VALU_DEP_2)
	v_perm_b32 v155, v155, v155, 0xc0c0c01
	v_lshrrev_b32_e32 v157, 24, v168
	v_or_b32_e32 v155, v158, v155
	v_lshrrev_b32_e32 v158, 16, v168
	s_delay_alu instid0(VALU_DEP_2)
	v_dot4_i32_iu8 v145, v141, v155, v145 neg_lo:[1,1,0]
	v_bfe_u32 v141, v148, 24, 2
	v_lshrrev_b32_e32 v148, 16, v151
	v_lshrrev_b16 v151, 8, v151
	v_lshrrev_b32_e32 v155, 24, v153
	v_lshrrev_b16 v153, 8, v153
	v_sub_nc_u16 v141, v141, v143
	v_lshrrev_b32_e32 v143, 16, v174
	s_delay_alu instid0(VALU_DEP_2) | instskip(NEXT) | instid1(VALU_DEP_2)
	v_lshlrev_b16 v141, 8, v141
	v_sub_nc_u16 v143, v143, v148
	v_lshrrev_b16 v148, 8, v174
	s_delay_alu instid0(VALU_DEP_1) | instskip(SKIP_1) | instid1(VALU_DEP_2)
	v_sub_nc_u16 v148, v148, v151
	v_bfe_u32 v151, v170, 24, 2
	v_lshlrev_b16 v148, 8, v148
	s_delay_alu instid0(VALU_DEP_2) | instskip(SKIP_1) | instid1(VALU_DEP_3)
	v_sub_nc_u16 v151, v151, v155
	v_lshrrev_b32_e32 v155, 16, v176
	v_perm_b32 v148, v148, v148, 0xc0c0c01
	s_delay_alu instid0(VALU_DEP_3) | instskip(NEXT) | instid1(VALU_DEP_3)
	v_lshlrev_b16 v151, 8, v151
	v_sub_nc_u16 v155, v155, v156
	v_lshrrev_b16 v156, 8, v176
	s_delay_alu instid0(VALU_DEP_1) | instskip(SKIP_1) | instid1(VALU_DEP_1)
	v_sub_nc_u16 v153, v156, v153
	v_bfe_u32 v156, v172, 24, 2
	v_sub_nc_u16 v156, v156, v157
	v_lshrrev_b32_e32 v157, 16, v177
	s_delay_alu instid0(VALU_DEP_2) | instskip(NEXT) | instid1(VALU_DEP_2)
	v_lshlrev_b16 v156, 8, v156
	v_sub_nc_u16 v157, v157, v158
	v_lshrrev_b16 v158, 8, v177
	s_delay_alu instid0(VALU_DEP_1) | instskip(SKIP_1) | instid1(VALU_DEP_1)
	v_sub_nc_u16 v158, v158, v159
	v_and_b32_e32 v159, 0xff, v143
	v_or_b32_e32 v141, v159, v141
	v_and_b32_e32 v159, 0xff, v155
	s_delay_alu instid0(VALU_DEP_2) | instskip(NEXT) | instid1(VALU_DEP_2)
	v_perm_b32 v141, v141, v143, 0xc05000c
	v_or_b32_e32 v151, v159, v151
	v_and_b32_e32 v159, 0xff, v157
	s_delay_alu instid0(VALU_DEP_3) | instskip(SKIP_1) | instid1(VALU_DEP_4)
	v_or_b32_e32 v141, v141, v148
	v_lshlrev_b16 v148, 8, v153
	v_perm_b32 v143, v151, v155, 0xc05000c
	s_delay_alu instid0(VALU_DEP_4) | instskip(NEXT) | instid1(VALU_DEP_4)
	v_or_b32_e32 v156, v159, v156
	v_dot4_i32_iu8 v149, v140, v141, v149 neg_lo:[1,1,0]
	s_delay_alu instid0(VALU_DEP_4) | instskip(NEXT) | instid1(VALU_DEP_3)
	v_perm_b32 v148, v148, v148, 0xc0c0c01
	v_perm_b32 v151, v156, v157, 0xc05000c
	s_delay_alu instid0(VALU_DEP_2) | instskip(SKIP_1) | instid1(VALU_DEP_1)
	v_or_b32_e32 v143, v143, v148
	v_lshlrev_b16 v148, 8, v158
	v_perm_b32 v148, v148, v148, 0xc0c0c01
	s_delay_alu instid0(VALU_DEP_1) | instskip(NEXT) | instid1(VALU_DEP_4)
	v_or_b32_e32 v148, v151, v148
	v_dot4_i32_iu8 v151, v140, v143, v152 neg_lo:[1,1,0]
	s_delay_alu instid0(VALU_DEP_2) | instskip(SKIP_2) | instid1(VALU_DEP_2)
	v_dot4_i32_iu8 v144, v140, v148, v144 neg_lo:[1,1,0]
	v_and_b32_e32 v148, 0x3030303, v30
	v_bfe_u32 v30, v30, 24, 2
	v_sub_nc_u16 v140, v148, v28
	s_delay_alu instid0(VALU_DEP_1) | instskip(NEXT) | instid1(VALU_DEP_1)
	v_bfe_i32 v140, v140, 0, 8
	v_mad_i32_i24 v147, v139, v140, v147
	v_add_nc_u32_e32 v140, 0x1088, v142
	ds_load_2addr_b32 v[140:141], v140 offset1:1
	s_wait_dscnt 0x0
	v_ashrrev_i32_e32 v140, s21, v140
	s_delay_alu instid0(VALU_DEP_1) | instskip(SKIP_1) | instid1(VALU_DEP_2)
	v_and_b32_e32 v152, 0x3030303, v140
	v_bfe_u32 v140, v140, 24, 2
	v_sub_nc_u16 v142, v152, v32
	s_delay_alu instid0(VALU_DEP_1) | instskip(NEXT) | instid1(VALU_DEP_1)
	v_bfe_i32 v142, v142, 0, 8
	v_mad_i32_i24 v153, v139, v142, v154
	v_and_b32_e32 v154, 0x3030303, v38
	ds_load_2addr_b32 v[142:143], v214 offset0:6 offset1:7
	v_bfe_u32 v38, v38, 24, 2
	v_sub_nc_u16 v155, v154, v36
	s_delay_alu instid0(VALU_DEP_1) | instskip(NEXT) | instid1(VALU_DEP_1)
	v_bfe_i32 v155, v155, 0, 8
	v_mad_i32_i24 v139, v139, v155, v145
	v_and_b32_e32 v145, 0x3030303, v22
	v_bfe_u32 v22, v22, 24, 2
	s_delay_alu instid0(VALU_DEP_2) | instskip(SKIP_2) | instid1(VALU_DEP_2)
	v_sub_nc_u16 v155, v145, v20
	s_wait_dscnt 0x0
	v_ashrrev_i32_e32 v142, s1, v142
	v_bfe_i32 v155, v155, 0, 8
	s_delay_alu instid0(VALU_DEP_2) | instskip(NEXT) | instid1(VALU_DEP_2)
	v_lshlrev_b32_e32 v142, 2, v142
	v_mad_i32_i24 v149, v138, v155, v149
	v_and_b32_e32 v155, 0x3030303, v26
	s_delay_alu instid0(VALU_DEP_3) | instskip(SKIP_1) | instid1(VALU_DEP_3)
	v_and_b32_e32 v142, 0x4040404, v142
	v_bfe_u32 v26, v26, 24, 2
	v_sub_nc_u16 v156, v155, v24
	s_delay_alu instid0(VALU_DEP_1) | instskip(NEXT) | instid1(VALU_DEP_1)
	v_bfe_i32 v156, v156, 0, 8
	v_mad_i32_i24 v151, v138, v156, v151
	v_and_b32_e32 v156, 0x3030303, v34
	v_bfe_u32 v34, v34, 24, 2
	s_delay_alu instid0(VALU_DEP_2) | instskip(NEXT) | instid1(VALU_DEP_1)
	v_sub_nc_u16 v157, v156, v142
	v_bfe_i32 v157, v157, 0, 8
	s_delay_alu instid0(VALU_DEP_1) | instskip(SKIP_3) | instid1(VALU_DEP_3)
	v_mad_i32_i24 v138, v138, v157, v144
	v_lshrrev_b32_e32 v144, 24, v28
	v_lshrrev_b32_e32 v157, 16, v28
	v_lshrrev_b16 v28, 8, v28
	v_sub_nc_u16 v30, v30, v144
	v_lshrrev_b32_e32 v144, 16, v148
	v_lshrrev_b16 v148, 8, v148
	s_delay_alu instid0(VALU_DEP_3) | instskip(NEXT) | instid1(VALU_DEP_3)
	v_lshlrev_b16 v30, 8, v30
	v_sub_nc_u16 v144, v144, v157
	s_delay_alu instid0(VALU_DEP_3) | instskip(SKIP_3) | instid1(VALU_DEP_4)
	v_sub_nc_u16 v28, v148, v28
	v_lshrrev_b32_e32 v148, 24, v36
	v_lshrrev_b32_e32 v157, 16, v36
	v_lshrrev_b16 v36, 8, v36
	v_lshlrev_b16 v28, 8, v28
	s_delay_alu instid0(VALU_DEP_4) | instskip(SKIP_2) | instid1(VALU_DEP_4)
	v_sub_nc_u16 v38, v38, v148
	v_lshrrev_b32_e32 v148, 16, v154
	v_lshrrev_b16 v154, 8, v154
	v_perm_b32 v28, v28, v28, 0xc0c0c01
	s_delay_alu instid0(VALU_DEP_4) | instskip(NEXT) | instid1(VALU_DEP_4)
	v_lshlrev_b16 v38, 8, v38
	v_sub_nc_u16 v148, v148, v157
	s_delay_alu instid0(VALU_DEP_4) | instskip(SKIP_3) | instid1(VALU_DEP_3)
	v_sub_nc_u16 v36, v154, v36
	v_lshrrev_b32_e32 v154, 24, v32
	v_lshrrev_b32_e32 v157, 16, v32
	v_lshrrev_b16 v32, 8, v32
	v_sub_nc_u16 v140, v140, v154
	v_lshrrev_b32_e32 v154, 16, v152
	v_lshrrev_b16 v152, 8, v152
	s_delay_alu instid0(VALU_DEP_3) | instskip(NEXT) | instid1(VALU_DEP_3)
	v_lshlrev_b16 v140, 8, v140
	v_sub_nc_u16 v154, v154, v157
	s_delay_alu instid0(VALU_DEP_3) | instskip(SKIP_1) | instid1(VALU_DEP_2)
	v_sub_nc_u16 v32, v152, v32
	v_and_b32_e32 v152, 0xff, v144
	v_lshlrev_b16 v32, 8, v32
	s_delay_alu instid0(VALU_DEP_2) | instskip(SKIP_1) | instid1(VALU_DEP_3)
	v_or_b32_e32 v30, v152, v30
	v_and_b32_e32 v152, 0xff, v148
	v_perm_b32 v32, v32, v32, 0xc0c0c01
	s_delay_alu instid0(VALU_DEP_3) | instskip(NEXT) | instid1(VALU_DEP_3)
	v_perm_b32 v30, v30, v144, 0xc05000c
	v_or_b32_e32 v38, v152, v38
	v_and_b32_e32 v152, 0xff, v154
	s_delay_alu instid0(VALU_DEP_3) | instskip(SKIP_1) | instid1(VALU_DEP_4)
	v_or_b32_e32 v28, v30, v28
	v_lshlrev_b16 v30, 8, v36
	v_perm_b32 v38, v38, v148, 0xc05000c
	v_lshrrev_b32_e32 v36, 24, v20
	v_or_b32_e32 v140, v152, v140
	v_dot4_i32_iu8 v28, v137, v28, v147 neg_lo:[1,1,0]
	v_perm_b32 v30, v30, v30, 0xc0c0c01
	s_delay_alu instid0(VALU_DEP_4) | instskip(SKIP_2) | instid1(VALU_DEP_4)
	v_sub_nc_u16 v22, v22, v36
	v_lshrrev_b32_e32 v36, 16, v145
	v_perm_b32 v140, v140, v154, 0xc05000c
	v_or_b32_e32 v30, v38, v30
	v_lshrrev_b32_e32 v38, 16, v20
	v_lshrrev_b16 v20, 8, v20
	v_lshlrev_b16 v22, 8, v22
	v_or_b32_e32 v32, v140, v32
	v_dot4_i32_iu8 v30, v137, v30, v139 neg_lo:[1,1,0]
	v_sub_nc_u16 v36, v36, v38
	v_lshrrev_b16 v38, 8, v145
	v_lshrrev_b32_e32 v139, 16, v142
	v_dot4_i32_iu8 v32, v137, v32, v153 neg_lo:[1,1,0]
	v_lshrrev_b32_e32 v137, 16, v24
	v_lshrrev_b16 v140, 8, v142
	v_sub_nc_u16 v20, v38, v20
	v_lshrrev_b32_e32 v38, 24, v24
	v_lshrrev_b16 v24, 8, v24
	s_delay_alu instid0(VALU_DEP_3) | instskip(NEXT) | instid1(VALU_DEP_3)
	v_lshlrev_b16 v20, 8, v20
	v_sub_nc_u16 v26, v26, v38
	v_lshrrev_b32_e32 v38, 16, v155
	s_delay_alu instid0(VALU_DEP_3) | instskip(NEXT) | instid1(VALU_DEP_3)
	v_perm_b32 v20, v20, v20, 0xc0c0c01
	v_lshlrev_b16 v26, 8, v26
	s_delay_alu instid0(VALU_DEP_3) | instskip(SKIP_1) | instid1(VALU_DEP_1)
	v_sub_nc_u16 v38, v38, v137
	v_lshrrev_b16 v137, 8, v155
	v_sub_nc_u16 v24, v137, v24
	v_lshrrev_b32_e32 v137, 24, v142
	s_delay_alu instid0(VALU_DEP_1) | instskip(SKIP_1) | instid1(VALU_DEP_2)
	v_sub_nc_u16 v34, v34, v137
	v_lshrrev_b32_e32 v137, 16, v156
	v_lshlrev_b16 v34, 8, v34
	s_delay_alu instid0(VALU_DEP_2) | instskip(SKIP_1) | instid1(VALU_DEP_1)
	v_sub_nc_u16 v137, v137, v139
	v_lshrrev_b16 v139, 8, v156
	v_sub_nc_u16 v139, v139, v140
	v_and_b32_e32 v140, 0xff, v36
	s_delay_alu instid0(VALU_DEP_1) | instskip(SKIP_1) | instid1(VALU_DEP_2)
	v_or_b32_e32 v22, v140, v22
	v_and_b32_e32 v140, 0xff, v38
	v_perm_b32 v22, v22, v36, 0xc05000c
	s_delay_alu instid0(VALU_DEP_2) | instskip(SKIP_1) | instid1(VALU_DEP_3)
	v_or_b32_e32 v26, v140, v26
	v_and_b32_e32 v140, 0xff, v137
	v_or_b32_e32 v20, v22, v20
	v_lshlrev_b16 v22, 8, v24
	s_delay_alu instid0(VALU_DEP_3) | instskip(SKIP_2) | instid1(VALU_DEP_4)
	v_or_b32_e32 v34, v140, v34
	v_lshlrev_b16 v24, 8, v139
	v_perm_b32 v26, v26, v38, 0xc05000c
	v_perm_b32 v22, v22, v22, 0xc0c0c01
	s_delay_alu instid0(VALU_DEP_4) | instskip(NEXT) | instid1(VALU_DEP_4)
	v_perm_b32 v34, v34, v137, 0xc05000c
	v_perm_b32 v24, v24, v24, 0xc0c0c01
	s_delay_alu instid0(VALU_DEP_3) | instskip(SKIP_1) | instid1(VALU_DEP_3)
	v_or_b32_e32 v22, v26, v22
	v_dot4_i32_iu8 v26, v136, v20, v149 neg_lo:[1,1,0]
	v_or_b32_e32 v24, v34, v24
	v_lshrrev_b16 v20, 8, v166
	v_bfe_i32 v34, v166, 0, 8
	v_dot4_i32_iu8 v22, v136, v22, v151 neg_lo:[1,1,0]
	s_delay_alu instid0(VALU_DEP_4) | instskip(NEXT) | instid1(VALU_DEP_4)
	v_dot4_i32_iu8 v24, v136, v24, v138 neg_lo:[1,1,0]
	v_bfe_i32 v36, v20, 0, 8
	s_delay_alu instid0(VALU_DEP_4) | instskip(SKIP_1) | instid1(VALU_DEP_2)
	v_mul_lo_u32 v20, v150, v34
	v_ashrrev_i32_e32 v34, s21, v141
	v_mad_co_u64_u32 v[136:137], null, v146, v36, v[20:21]
	v_ashrrev_i32_e32 v20, s21, v31
	v_ashrrev_i32_e32 v31, s1, v37
	;; [unrolled: 1-line block ×4, first 2 shown]
	s_delay_alu instid0(VALU_DEP_4) | instskip(NEXT) | instid1(VALU_DEP_4)
	v_and_b32_e32 v37, 0x3030303, v20
	v_lshlrev_b32_e32 v31, 2, v31
	v_bfe_u32 v20, v20, 24, 2
	s_delay_alu instid0(VALU_DEP_4) | instskip(NEXT) | instid1(VALU_DEP_4)
	v_lshlrev_b32_e32 v21, 2, v21
	v_sub_nc_u16 v38, v37, v29
	s_delay_alu instid0(VALU_DEP_4) | instskip(NEXT) | instid1(VALU_DEP_3)
	v_and_b32_e32 v31, 0x4040404, v31
	v_and_b32_e32 v21, 0x4040404, v21
	s_delay_alu instid0(VALU_DEP_3) | instskip(NEXT) | instid1(VALU_DEP_1)
	v_bfe_i32 v38, v38, 0, 8
	v_mad_i32_i24 v28, v135, v38, v28
	v_and_b32_e32 v38, 0x3030303, v34
	v_bfe_u32 v34, v34, 24, 2
	s_delay_alu instid0(VALU_DEP_2) | instskip(NEXT) | instid1(VALU_DEP_1)
	v_sub_nc_u16 v39, v38, v33
	v_bfe_i32 v39, v39, 0, 8
	s_delay_alu instid0(VALU_DEP_1) | instskip(SKIP_2) | instid1(VALU_DEP_2)
	v_mad_i32_i24 v32, v135, v39, v32
	v_and_b32_e32 v39, 0x3030303, v36
	v_bfe_u32 v36, v36, 24, 2
	v_sub_nc_u16 v137, v39, v31
	s_delay_alu instid0(VALU_DEP_1) | instskip(NEXT) | instid1(VALU_DEP_1)
	v_bfe_i32 v137, v137, 0, 8
	v_mad_i32_i24 v30, v135, v137, v30
	v_and_b32_e32 v137, 0x3030303, v23
	v_ashrrev_i32_e32 v135, s1, v143
	v_bfe_u32 v23, v23, 24, 2
	s_add_co_i32 s1, s1, 1
	s_cmp_lt_u32 s21, 6
	v_sub_nc_u16 v138, v137, v21
	v_lshlrev_b32_e32 v135, 2, v135
	s_delay_alu instid0(VALU_DEP_2) | instskip(NEXT) | instid1(VALU_DEP_2)
	v_bfe_i32 v138, v138, 0, 8
	v_and_b32_e32 v135, 0x4040404, v135
	s_delay_alu instid0(VALU_DEP_2) | instskip(SKIP_2) | instid1(VALU_DEP_2)
	v_mad_i32_i24 v26, v134, v138, v26
	v_and_b32_e32 v138, 0x3030303, v27
	v_bfe_u32 v27, v27, 24, 2
	v_sub_nc_u16 v139, v138, v25
	s_delay_alu instid0(VALU_DEP_1) | instskip(NEXT) | instid1(VALU_DEP_1)
	v_bfe_i32 v139, v139, 0, 8
	v_mad_i32_i24 v22, v134, v139, v22
	v_and_b32_e32 v139, 0x3030303, v35
	s_delay_alu instid0(VALU_DEP_1) | instskip(NEXT) | instid1(VALU_DEP_1)
	v_sub_nc_u16 v140, v139, v135
	v_bfe_i32 v140, v140, 0, 8
	s_delay_alu instid0(VALU_DEP_1) | instskip(SKIP_3) | instid1(VALU_DEP_3)
	v_mad_i32_i24 v24, v134, v140, v24
	v_lshrrev_b32_e32 v134, 24, v29
	v_lshrrev_b32_e32 v140, 16, v29
	v_lshrrev_b16 v29, 8, v29
	v_sub_nc_u16 v20, v20, v134
	v_lshrrev_b32_e32 v134, 16, v37
	v_lshrrev_b16 v37, 8, v37
	s_delay_alu instid0(VALU_DEP_3) | instskip(NEXT) | instid1(VALU_DEP_3)
	v_lshlrev_b16 v20, 8, v20
	v_sub_nc_u16 v134, v134, v140
	s_delay_alu instid0(VALU_DEP_3) | instskip(SKIP_3) | instid1(VALU_DEP_4)
	v_sub_nc_u16 v29, v37, v29
	v_lshrrev_b32_e32 v37, 24, v31
	v_lshrrev_b32_e32 v140, 16, v31
	v_lshrrev_b16 v31, 8, v31
	v_lshlrev_b16 v29, 8, v29
	s_delay_alu instid0(VALU_DEP_4) | instskip(SKIP_2) | instid1(VALU_DEP_4)
	v_sub_nc_u16 v36, v36, v37
	v_lshrrev_b32_e32 v37, 16, v39
	v_lshrrev_b16 v39, 8, v39
	v_perm_b32 v29, v29, v29, 0xc0c0c01
	s_delay_alu instid0(VALU_DEP_4) | instskip(NEXT) | instid1(VALU_DEP_4)
	v_lshlrev_b16 v36, 8, v36
	v_sub_nc_u16 v37, v37, v140
	s_delay_alu instid0(VALU_DEP_4) | instskip(SKIP_3) | instid1(VALU_DEP_3)
	v_sub_nc_u16 v31, v39, v31
	v_lshrrev_b32_e32 v39, 24, v33
	v_lshrrev_b32_e32 v140, 16, v33
	v_lshrrev_b16 v33, 8, v33
	v_sub_nc_u16 v34, v34, v39
	v_lshrrev_b32_e32 v39, 16, v38
	v_lshrrev_b16 v38, 8, v38
	s_delay_alu instid0(VALU_DEP_3) | instskip(NEXT) | instid1(VALU_DEP_3)
	v_lshlrev_b16 v34, 8, v34
	v_sub_nc_u16 v39, v39, v140
	s_delay_alu instid0(VALU_DEP_3) | instskip(SKIP_1) | instid1(VALU_DEP_1)
	v_sub_nc_u16 v33, v38, v33
	v_and_b32_e32 v38, 0xff, v134
	v_or_b32_e32 v20, v38, v20
	v_and_b32_e32 v38, 0xff, v37
	s_delay_alu instid0(VALU_DEP_2) | instskip(NEXT) | instid1(VALU_DEP_2)
	v_perm_b32 v20, v20, v134, 0xc05000c
	v_or_b32_e32 v36, v38, v36
	v_and_b32_e32 v38, 0xff, v39
	s_delay_alu instid0(VALU_DEP_3) | instskip(SKIP_1) | instid1(VALU_DEP_3)
	v_or_b32_e32 v20, v20, v29
	v_lshlrev_b16 v29, 8, v31
	v_or_b32_e32 v34, v38, v34
	v_perm_b32 v36, v36, v37, 0xc05000c
	v_lshlrev_b16 v31, 8, v33
	v_dot4_i32_iu8 v20, v133, v20, v28 neg_lo:[1,1,0]
	v_perm_b32 v29, v29, v29, 0xc0c0c01
	v_perm_b32 v34, v34, v39, 0xc05000c
	v_lshrrev_b32_e32 v33, 24, v135
	v_perm_b32 v31, v31, v31, 0xc0c0c01
	s_delay_alu instid0(VALU_DEP_4) | instskip(NEXT) | instid1(VALU_DEP_2)
	v_or_b32_e32 v29, v36, v29
	v_or_b32_e32 v31, v34, v31
	v_lshrrev_b32_e32 v34, 16, v135
	s_delay_alu instid0(VALU_DEP_3) | instskip(SKIP_1) | instid1(VALU_DEP_4)
	v_dot4_i32_iu8 v29, v133, v29, v30 neg_lo:[1,1,0]
	v_lshrrev_b32_e32 v30, 24, v21
	v_dot4_i32_iu8 v28, v133, v31, v32 neg_lo:[1,1,0]
	v_lshrrev_b32_e32 v31, 16, v21
	v_lshrrev_b16 v21, 8, v21
	s_delay_alu instid0(VALU_DEP_4) | instskip(SKIP_2) | instid1(VALU_DEP_3)
	v_sub_nc_u16 v23, v23, v30
	v_lshrrev_b32_e32 v30, 16, v137
	v_lshrrev_b32_e32 v32, 16, v25
	v_lshlrev_b16 v23, 8, v23
	s_delay_alu instid0(VALU_DEP_3) | instskip(SKIP_1) | instid1(VALU_DEP_1)
	v_sub_nc_u16 v30, v30, v31
	v_lshrrev_b16 v31, 8, v137
	v_sub_nc_u16 v21, v31, v21
	v_lshrrev_b32_e32 v31, 24, v25
	v_lshrrev_b16 v25, 8, v25
	s_delay_alu instid0(VALU_DEP_3) | instskip(NEXT) | instid1(VALU_DEP_3)
	v_lshlrev_b16 v21, 8, v21
	v_sub_nc_u16 v27, v27, v31
	v_lshrrev_b32_e32 v31, 16, v138
	s_delay_alu instid0(VALU_DEP_3) | instskip(NEXT) | instid1(VALU_DEP_3)
	v_perm_b32 v21, v21, v21, 0xc0c0c01
	v_lshlrev_b16 v27, 8, v27
	s_delay_alu instid0(VALU_DEP_3) | instskip(SKIP_1) | instid1(VALU_DEP_1)
	v_sub_nc_u16 v31, v31, v32
	v_lshrrev_b16 v32, 8, v138
	v_sub_nc_u16 v25, v32, v25
	v_bfe_u32 v32, v35, 24, 2
	v_lshrrev_b16 v35, 8, v135
	s_delay_alu instid0(VALU_DEP_2) | instskip(SKIP_1) | instid1(VALU_DEP_2)
	v_sub_nc_u16 v32, v32, v33
	v_lshrrev_b32_e32 v33, 16, v139
	v_lshlrev_b16 v32, 8, v32
	s_delay_alu instid0(VALU_DEP_2) | instskip(SKIP_1) | instid1(VALU_DEP_1)
	v_sub_nc_u16 v33, v33, v34
	v_lshrrev_b16 v34, 8, v139
	v_sub_nc_u16 v34, v34, v35
	v_and_b32_e32 v35, 0xff, v30
	s_delay_alu instid0(VALU_DEP_1) | instskip(SKIP_1) | instid1(VALU_DEP_2)
	v_or_b32_e32 v23, v35, v23
	v_and_b32_e32 v35, 0xff, v31
	v_perm_b32 v23, v23, v30, 0xc05000c
	s_delay_alu instid0(VALU_DEP_2) | instskip(SKIP_1) | instid1(VALU_DEP_3)
	v_or_b32_e32 v27, v35, v27
	v_and_b32_e32 v35, 0xff, v33
	v_or_b32_e32 v21, v23, v21
	v_lshlrev_b16 v23, 8, v25
	s_delay_alu instid0(VALU_DEP_3)
	v_or_b32_e32 v32, v35, v32
	v_lshlrev_b16 v25, 8, v34
	v_perm_b32 v27, v27, v31, 0xc05000c
	v_dot4_i32_iu8 v21, v132, v21, v26 neg_lo:[1,1,0]
	v_perm_b32 v23, v23, v23, 0xc0c0c01
	v_perm_b32 v30, v32, v33, 0xc05000c
	;; [unrolled: 1-line block ×3, first 2 shown]
	s_delay_alu instid0(VALU_DEP_3) | instskip(SKIP_1) | instid1(VALU_DEP_3)
	v_or_b32_e32 v23, v27, v23
	v_cvt_f32_i32_e32 v27, v136
	v_or_b32_e32 v25, v30, v25
	s_delay_alu instid0(VALU_DEP_3) | instskip(NEXT) | instid1(VALU_DEP_2)
	v_dot4_i32_iu8 v22, v132, v23, v22 neg_lo:[1,1,0]
	v_dot4_i32_iu8 v23, v132, v25, v24 neg_lo:[1,1,0]
	v_add_nc_u32_e32 v24, s22, v99
	ds_load_u16 v24, v24 offset:25346
	s_wait_dscnt 0x0
	v_lshrrev_b16 v25, 8, v24
	v_bfe_i32 v24, v24, 0, 8
	s_delay_alu instid0(VALU_DEP_2) | instskip(NEXT) | instid1(VALU_DEP_2)
	v_bfe_i32 v25, v25, 0, 8
	v_mul_lo_u32 v20, v20, v24
	v_bfe_i32 v24, v167, 0, 8
	s_delay_alu instid0(VALU_DEP_2) | instskip(SKIP_1) | instid1(VALU_DEP_1)
	v_mad_co_u64_u32 v[20:21], null, v21, v25, v[20:21]
	v_lshrrev_b16 v21, 8, v167
	v_bfe_i32 v25, v21, 0, 8
	s_delay_alu instid0(VALU_DEP_4) | instskip(NEXT) | instid1(VALU_DEP_4)
	v_mul_lo_u32 v21, v28, v24
	v_cvt_f32_i32_e32 v20, v20
	s_delay_alu instid0(VALU_DEP_2)
	v_mad_co_u64_u32 v[21:22], null, v22, v25, v[21:22]
	v_add_nc_u32_e32 v22, s22, v97
	s_mov_b32 s22, s21
	ds_load_u16 v22, v22 offset:27394
	v_cvt_f32_i32_e32 v21, v21
	s_wait_dscnt 0x0
	v_lshrrev_b16 v24, 8, v22
	v_bfe_i32 v22, v22, 0, 8
	s_delay_alu instid0(VALU_DEP_2) | instskip(NEXT) | instid1(VALU_DEP_2)
	v_bfe_i32 v24, v24, 0, 8
	v_mul_lo_u32 v22, v29, v22
	s_delay_alu instid0(VALU_DEP_1)
	v_mad_co_u64_u32 v[22:23], null, v23, v24, v[22:23]
	ds_load_b32 v23, v130
	v_add_nc_u32_e32 v130, 4, v130
	v_cvt_f32_i32_e32 v22, v22
	s_wait_dscnt 0x0
	v_mul_f32_e32 v24, v23, v163
	v_mul_f32_e32 v25, v23, v161
	;; [unrolled: 1-line block ×4, first 2 shown]
	s_delay_alu instid0(VALU_DEP_3) | instskip(NEXT) | instid1(VALU_DEP_2)
	v_dual_fmac_f32 v17, v24, v27 :: v_dual_fmac_f32 v42, v25, v20
	v_dual_fmac_f32 v89, v26, v21 :: v_dual_fmac_f32 v88, v23, v22
	s_cbranch_scc1 .LBB190_11
; %bb.12:                               ;   in Loop: Header=BB190_5 Depth=1
	s_or_b32 s1, s18, 0x80
	s_wait_loadcnt 0x0
	s_wait_alu 0xfffe
	s_cmp_ge_i32 s1, s5
	s_barrier_signal -1
	s_barrier_wait -1
	global_inv scope:SCOPE_SE
	s_cbranch_scc1 .LBB190_4
; %bb.13:                               ;   in Loop: Header=BB190_5 Depth=1
	v_add_nc_u32_e32 v20, s19, v90
	s_delay_alu instid0(VALU_DEP_1)
	v_cmp_gt_i32_e64 s1, s6, v20
	s_and_b32 s20, s0, s1
	s_wait_alu 0xfffe
	s_and_saveexec_b32 s1, s20
	s_cbranch_execz .LBB190_15
; %bb.14:                               ;   in Loop: Header=BB190_5 Depth=1
	v_add_nc_u32_e32 v20, v93, v20
	s_delay_alu instid0(VALU_DEP_1)
	v_mad_co_i64_i32 v[20:21], null, v20, 36, v[18:19]
	global_load_b32 v20, v[20:21], off offset:4
	s_wait_loadcnt 0x0
	ds_store_b32 v86, v20
.LBB190_15:                             ;   in Loop: Header=BB190_5 Depth=1
	s_wait_alu 0xfffe
	s_or_b32 exec_lo, exec_lo, s1
	s_and_saveexec_b32 s20, vcc_lo
	s_cbranch_execz .LBB190_18
; %bb.16:                               ;   in Loop: Header=BB190_5 Depth=1
	v_or_b32_e32 v20, 4, v129
	s_delay_alu instid0(VALU_DEP_1)
	v_cmp_gt_i32_e64 s1, s6, v20
	s_and_b32 s1, s0, s1
	s_wait_alu 0xfffe
	s_and_b32 exec_lo, exec_lo, s1
	s_cbranch_execz .LBB190_18
; %bb.17:                               ;   in Loop: Header=BB190_5 Depth=1
	v_ashrrev_i32_e32 v20, 31, v129
	v_add_co_u32 v21, s1, v93, v129
	s_wait_alu 0xf1ff
	s_delay_alu instid0(VALU_DEP_2) | instskip(NEXT) | instid1(VALU_DEP_2)
	v_add_co_ci_u32_e64 v22, null, v0, v20, s1
	v_mad_co_u64_u32 v[20:21], null, v21, 36, s[2:3]
	s_delay_alu instid0(VALU_DEP_1)
	v_mad_i32_i24 v21, v22, 36, v21
	global_load_b32 v20, v[20:21], off offset:144
	s_wait_loadcnt 0x0
	v_cvt_f32_f16_e32 v20, v20
	ds_store_b32 v87, v20
.LBB190_18:                             ;   in Loop: Header=BB190_5 Depth=1
	s_wait_alu 0xfffe
	s_or_b32 exec_lo, exec_lo, s20
	v_dual_mov_b32 v130, v84 :: v_dual_mov_b32 v131, v85
	s_mov_b32 s1, 8
	s_mov_b32 s21, 6
	;; [unrolled: 1-line block ×3, first 2 shown]
	s_wait_loadcnt_dscnt 0x0
	s_barrier_signal -1
	s_barrier_wait -1
	global_inv scope:SCOPE_SE
.LBB190_19:                             ;   Parent Loop BB190_5 Depth=1
                                        ; =>  This Inner Loop Header: Depth=2
	ds_load_b128 v[20:23], v130
	ds_load_b128 v[33:36], v130 offset:16
	s_wait_alu 0xfffe
	s_add_co_i32 s22, s21, 2
	s_and_b32 s26, s1, -16
	s_wait_alu 0xfffe
	s_and_b32 s25, s22, 0x3ffffff8
	s_lshr_b32 s24, s22, 4
	s_wait_alu 0xfffe
	v_lshl_add_u32 v142, s25, 2, v94
	s_lshl_b32 s23, s24, 5
	s_add_co_i32 s25, s21, -6
	s_add_co_i32 s21, s21, s26
	s_wait_alu 0xfffe
	s_addk_co_i32 s23, 0x4200
	v_add_nc_u32_e32 v37, s21, v95
	s_lshl_b32 s24, s24, 2
	v_add_nc_u32_e32 v39, 0x3198, v142
	s_wait_alu 0xfffe
	s_addk_co_i32 s24, 0x7380
	v_add3_u32 v182, s23, v126, v113
	v_add3_u32 v184, s23, v114, v115
	;; [unrolled: 1-line block ×3, first 2 shown]
	v_add_nc_u32_e32 v130, 32, v130
	s_add_co_i32 s1, s1, 2
	s_wait_dscnt 0x1
	v_lshrrev_b16 v157, 8, v20
	v_ashrrev_i32_e32 v28, 24, v20
	v_bfe_i32 v26, v20, 16, 8
	v_bfe_i32 v158, v20, 0, 8
	v_perm_b32 v151, v20, v20, 0xc0c0302
	v_add_nc_u32_e32 v20, 0x3188, v142
	s_wait_dscnt 0x0
	v_lshrrev_b16 v163, 8, v33
	v_lshrrev_b16 v162, 8, v34
	v_ashrrev_i32_e32 v32, 24, v33
	v_bfe_i32 v30, v33, 16, 8
	v_bfe_i32 v164, v33, 0, 8
	v_perm_b32 v147, v33, v33, 0xc0c0302
	v_ashrrev_i32_e32 v33, 24, v34
	v_bfe_i32 v31, v34, 16, 8
	v_bfe_i32 v144, v34, 0, 8
	v_perm_b32 v140, v34, v34, 0xc030201
	v_add3_u32 v34, s23, v122, v123
	v_lshrrev_b16 v154, 8, v21
	v_lshrrev_b16 v153, 8, v22
	;; [unrolled: 1-line block ×3, first 2 shown]
	v_ashrrev_i32_e32 v29, 24, v21
	v_bfe_i32 v27, v21, 16, 8
	v_bfe_i32 v145, v21, 0, 8
	v_perm_b32 v141, v21, v21, 0xc030201
	v_ashrrev_i32_e32 v148, 24, v22
	v_bfe_i32 v150, v22, 16, 8
	v_bfe_i32 v139, v22, 0, 8
	v_perm_b32 v137, v22, v22, 0xc030201
	;; [unrolled: 4-line block ×3, first 2 shown]
	v_lshrrev_b16 v161, 8, v35
	v_lshrrev_b16 v146, 8, v36
	v_ashrrev_i32_e32 v155, 24, v35
	v_bfe_i32 v159, v35, 16, 8
	v_bfe_i32 v138, v35, 0, 8
	v_perm_b32 v136, v35, v35, 0xc030201
	v_ashrrev_i32_e32 v156, 24, v36
	v_bfe_i32 v160, v36, 16, 8
	v_bfe_i32 v134, v36, 0, 8
	v_perm_b32 v132, v36, v36, 0xc030201
	ds_load_2addr_b32 v[20:21], v20 offset1:1
	ds_load_2addr_b32 v[35:36], v34 offset0:4 offset1:5
	ds_load_2addr_b32 v[24:25], v34 offset0:6 offset1:7
	;; [unrolled: 1-line block ×3, first 2 shown]
	ds_load_u16 v169, v37 offset:28418
	s_wait_alu 0xfffe
	v_add3_u32 v37, s24, v124, v125
	v_bfe_i32 v163, v163, 0, 8
	v_bfe_i32 v162, v162, 0, 8
	;; [unrolled: 1-line block ×4, first 2 shown]
	ds_load_b32 v165, v37
	v_add_nc_u32_e32 v37, 0x3190, v142
	ds_load_2addr_b32 v[37:38], v37 offset1:1
	ds_load_2addr_b32 v[166:167], v39 offset1:1
	v_bfe_i32 v154, v154, 0, 8
	v_bfe_i32 v153, v153, 0, 8
	;; [unrolled: 1-line block ×3, first 2 shown]
	s_wait_dscnt 0x7
	v_ashrrev_i32_e32 v205, s25, v20
	s_wait_dscnt 0x6
	v_ashrrev_i32_e32 v36, s20, v36
	v_ashrrev_i32_e32 v35, s20, v35
	s_wait_dscnt 0x5
	v_ashrrev_i32_e32 v24, s20, v24
	v_ashrrev_i32_e32 v25, s20, v25
	v_ashrrev_i32_e32 v206, s25, v21
	v_lshlrev_b32_e32 v36, 2, v36
	v_lshlrev_b32_e32 v35, 2, v35
	;; [unrolled: 1-line block ×4, first 2 shown]
	s_wait_dscnt 0x4
	v_ashrrev_i32_e32 v22, s20, v22
	v_and_b32_e32 v36, 0x4040404, v36
	v_and_b32_e32 v35, 0x4040404, v35
	;; [unrolled: 1-line block ×4, first 2 shown]
	s_wait_dscnt 0x1
	v_ashrrev_i32_e32 v38, s25, v38
	v_ashrrev_i32_e32 v37, s25, v37
	v_lshrrev_b32_e32 v168, 24, v36
	v_lshrrev_b32_e32 v170, 24, v35
	s_wait_dscnt 0x0
	v_ashrrev_i32_e32 v192, s25, v166
	v_bfe_u32 v39, v38, 24, 2
	v_and_b32_e32 v38, 0x3030303, v38
	v_ashrrev_i32_e32 v193, s25, v167
	v_ashrrev_i32_e32 v23, s20, v23
	v_and_b32_e32 v196, 0x3030303, v192
	v_sub_nc_u16 v39, v39, v168
	v_bfe_u32 v168, v37, 24, 2
	v_and_b32_e32 v37, 0x3030303, v37
	v_and_b32_e32 v197, 0x3030303, v193
	v_sub_nc_u16 v24, v196, v194
	v_bfe_i32 v39, v39, 0, 16
	v_sub_nc_u16 v168, v168, v170
	v_and_b32_e32 v209, 0x3030303, v205
	v_sub_nc_u16 v25, v197, v195
	v_bfe_i32 v24, v24, 0, 8
	v_mul_i32_i24_e32 v33, v39, v33
	v_bfe_i32 v39, v168, 0, 16
	v_and_b32_e32 v210, 0x3030303, v206
	v_bfe_i32 v25, v25, 0, 8
	v_mul_i32_i24_e32 v24, v24, v138
	v_lshrrev_b16 v216, 8, v194
	v_mad_i32_i24 v190, v39, v32, v33
	v_lshrrev_b32_e32 v32, 16, v38
	v_lshrrev_b32_e32 v33, 16, v36
	v_lshrrev_b32_e32 v39, 16, v35
	v_mul_i32_i24_e32 v25, v25, v134
	v_bfe_i32 v143, v143, 0, 8
	s_delay_alu instid0(VALU_DEP_4) | instskip(SKIP_1) | instid1(VALU_DEP_2)
	v_sub_nc_u16 v32, v32, v33
	v_lshrrev_b32_e32 v33, 16, v37
	v_bfe_i32 v32, v32, 0, 8
	s_delay_alu instid0(VALU_DEP_2) | instskip(NEXT) | instid1(VALU_DEP_2)
	v_sub_nc_u16 v33, v33, v39
	v_mul_i32_i24_e32 v31, v32, v31
	s_delay_alu instid0(VALU_DEP_2) | instskip(NEXT) | instid1(VALU_DEP_1)
	v_bfe_i32 v32, v33, 0, 8
	v_mad_i32_i24 v191, v32, v30, v31
	v_sub_nc_u16 v30, v38, v36
	v_sub_nc_u16 v31, v37, v35
	v_add3_u32 v32, s24, v120, v121
	v_lshrrev_b16 v35, 8, v35
	s_delay_alu instid0(VALU_DEP_4) | instskip(NEXT) | instid1(VALU_DEP_4)
	v_bfe_i32 v30, v30, 0, 8
	v_bfe_i32 v31, v31, 0, 8
	s_delay_alu instid0(VALU_DEP_2) | instskip(NEXT) | instid1(VALU_DEP_1)
	v_mul_i32_i24_e32 v30, v30, v144
	v_mad_i32_i24 v30, v31, v164, v30
	s_delay_alu instid0(VALU_DEP_1)
	v_add3_u32 v198, v30, v24, v25
	v_add_nc_u32_e32 v30, 0x3180, v142
	ds_load_2addr_b32 v[24:25], v34 offset1:1
	ds_load_2addr_b32 v[30:31], v30 offset1:1
	ds_load_b32 v166, v32
	s_wait_dscnt 0x2
	v_ashrrev_i32_e32 v25, s20, v25
	v_ashrrev_i32_e32 v24, s20, v24
	s_wait_dscnt 0x1
	v_ashrrev_i32_e32 v31, s25, v31
	v_ashrrev_i32_e32 v30, s25, v30
	v_lshlrev_b32_e32 v25, 2, v25
	v_lshlrev_b32_e32 v24, 2, v24
	s_delay_alu instid0(VALU_DEP_4) | instskip(NEXT) | instid1(VALU_DEP_4)
	v_and_b32_e32 v202, 0x3030303, v31
	v_and_b32_e32 v203, 0x3030303, v30
	s_delay_alu instid0(VALU_DEP_4) | instskip(NEXT) | instid1(VALU_DEP_4)
	v_and_b32_e32 v199, 0x4040404, v25
	v_and_b32_e32 v200, 0x4040404, v24
	v_bfe_u32 v25, v31, 24, 2
	v_bfe_u32 v24, v30, 24, 2
	s_delay_alu instid0(VALU_DEP_4) | instskip(NEXT) | instid1(VALU_DEP_4)
	v_sub_nc_u16 v20, v202, v199
	v_sub_nc_u16 v21, v203, v200
	v_lshrrev_b32_e32 v32, 24, v199
	s_delay_alu instid0(VALU_DEP_3) | instskip(NEXT) | instid1(VALU_DEP_3)
	v_bfe_i32 v20, v20, 0, 8
	v_bfe_i32 v21, v21, 0, 8
	s_delay_alu instid0(VALU_DEP_3) | instskip(SKIP_1) | instid1(VALU_DEP_4)
	v_sub_nc_u16 v25, v25, v32
	v_lshrrev_b32_e32 v32, 24, v200
	v_mul_i32_i24_e32 v20, v20, v145
	s_delay_alu instid0(VALU_DEP_3) | instskip(NEXT) | instid1(VALU_DEP_3)
	v_bfe_i32 v25, v25, 0, 16
	v_sub_nc_u16 v24, v24, v32
	s_delay_alu instid0(VALU_DEP_3) | instskip(SKIP_4) | instid1(VALU_DEP_4)
	v_mad_i32_i24 v20, v21, v158, v20
	v_lshlrev_b32_e32 v21, 2, v22
	v_lshlrev_b32_e32 v22, 2, v23
	v_mul_i32_i24_e32 v25, v25, v29
	v_bfe_i32 v24, v24, 0, 16
	v_and_b32_e32 v207, 0x4040404, v21
	s_delay_alu instid0(VALU_DEP_4) | instskip(NEXT) | instid1(VALU_DEP_3)
	v_and_b32_e32 v208, 0x4040404, v22
	v_mad_i32_i24 v201, v24, v28, v25
	v_lshrrev_b32_e32 v24, 16, v202
	s_delay_alu instid0(VALU_DEP_4) | instskip(NEXT) | instid1(VALU_DEP_4)
	v_sub_nc_u16 v21, v209, v207
	v_sub_nc_u16 v22, v210, v208
	v_lshrrev_b32_e32 v25, 16, v199
	v_lshrrev_b32_e32 v28, 16, v200
	v_lshrrev_b16 v200, 8, v200
	v_bfe_i32 v21, v21, 0, 8
	v_bfe_i32 v22, v22, 0, 8
	v_sub_nc_u16 v24, v24, v25
	v_lshrrev_b32_e32 v25, 16, v203
	v_lshrrev_b16 v203, 8, v203
	v_mul_i32_i24_e32 v21, v21, v139
	v_mul_i32_i24_e32 v22, v22, v135
	v_bfe_i32 v24, v24, 0, 8
	v_sub_nc_u16 v25, v25, v28
	v_lshrrev_b16 v202, 8, v202
	v_lshrrev_b16 v199, 8, v199
	v_add3_u32 v211, v20, v21, v22
	ds_load_2addr_b32 v[170:171], v182 offset0:4 offset1:5
	ds_load_2addr_b32 v[20:21], v182 offset0:6 offset1:7
	ds_load_2addr_b32 v[28:29], v182 offset0:2 offset1:3
	v_mul_i32_i24_e32 v24, v24, v27
	v_bfe_i32 v25, v25, 0, 8
	v_add_nc_u32_e32 v27, 0x1098, v142
	v_sub_nc_u16 v200, v203, v200
	v_sub_nc_u16 v199, v202, v199
	v_lshrrev_b16 v202, 8, v209
	v_mad_i32_i24 v204, v25, v26, v24
	v_lshrrev_b16 v203, 8, v207
	v_bfe_i32 v200, v200, 0, 16
	v_bfe_i32 v199, v199, 0, 16
	s_delay_alu instid0(VALU_DEP_3) | instskip(NEXT) | instid1(VALU_DEP_2)
	v_sub_nc_u16 v202, v202, v203
	v_mul_i32_i24_e32 v154, v199, v154
	s_wait_dscnt 0x2
	v_ashrrev_i32_e32 v22, s20, v170
	s_delay_alu instid0(VALU_DEP_3)
	v_bfe_i32 v199, v202, 0, 16
	s_wait_dscnt 0x0
	v_ashrrev_i32_e32 v28, s20, v28
	v_ashrrev_i32_e32 v20, s20, v20
	;; [unrolled: 1-line block ×3, first 2 shown]
	v_lshlrev_b32_e32 v22, 2, v22
	v_mul_i32_i24_e32 v153, v199, v153
	v_lshlrev_b32_e32 v28, 2, v28
	v_lshlrev_b32_e32 v20, 2, v20
	;; [unrolled: 1-line block ×3, first 2 shown]
	v_and_b32_e32 v170, 0x4040404, v22
	ds_load_2addr_b32 v[172:173], v142 offset0:4 offset1:5
	ds_load_2addr_b32 v[22:23], v142 offset0:6 offset1:7
	;; [unrolled: 1-line block ×3, first 2 shown]
	v_and_b32_e32 v28, 0x4040404, v28
	v_and_b32_e32 v20, 0x4040404, v20
	;; [unrolled: 1-line block ×3, first 2 shown]
	v_lshrrev_b16 v25, 8, v170
	s_wait_dscnt 0x2
	v_ashrrev_i32_e32 v172, s25, v172
	s_wait_dscnt 0x1
	v_ashrrev_i32_e32 v22, s25, v22
	;; [unrolled: 2-line block ×3, first 2 shown]
	v_ashrrev_i32_e32 v23, s25, v23
	v_and_b32_e32 v212, 0x3030303, v172
	s_delay_alu instid0(VALU_DEP_1) | instskip(NEXT) | instid1(VALU_DEP_1)
	v_lshrrev_b16 v24, 8, v212
	v_sub_nc_u16 v183, v24, v25
	v_add_nc_u32_e32 v24, s21, v98
	s_delay_alu instid0(VALU_DEP_2)
	v_lshlrev_b16 v183, 8, v183
	ds_load_u16 v168, v24 offset:26370
	v_add3_u32 v24, s24, v116, v117
	v_bfe_i32 v183, v183, 8, 8
	ds_load_b32 v167, v24
	ds_load_2addr_b32 v[174:175], v184 offset0:4 offset1:5
	ds_load_2addr_b32 v[24:25], v184 offset0:6 offset1:7
	;; [unrolled: 1-line block ×3, first 2 shown]
	s_wait_dscnt 0x2
	v_ashrrev_i32_e32 v26, s20, v174
	s_wait_dscnt 0x1
	v_ashrrev_i32_e32 v24, s20, v24
	;; [unrolled: 2-line block ×3, first 2 shown]
	v_ashrrev_i32_e32 v33, s20, v33
	v_ashrrev_i32_e32 v25, s20, v25
	v_lshlrev_b32_e32 v26, 2, v26
	v_lshlrev_b32_e32 v24, 2, v24
	;; [unrolled: 1-line block ×5, first 2 shown]
	v_and_b32_e32 v174, 0x4040404, v26
	v_add_nc_u32_e32 v26, 0x1090, v142
	ds_load_2addr_b32 v[176:177], v26 offset1:1
	ds_load_2addr_b32 v[26:27], v27 offset1:1
	v_lshrrev_b16 v39, 8, v174
	v_and_b32_e32 v32, 0x4040404, v32
	v_and_b32_e32 v24, 0x4040404, v24
	;; [unrolled: 1-line block ×4, first 2 shown]
	s_wait_dscnt 0x1
	v_ashrrev_i32_e32 v176, s25, v176
	s_wait_dscnt 0x0
	v_ashrrev_i32_e32 v26, s25, v26
	v_ashrrev_i32_e32 v27, s25, v27
	s_delay_alu instid0(VALU_DEP_3) | instskip(NEXT) | instid1(VALU_DEP_1)
	v_and_b32_e32 v213, 0x3030303, v176
	v_lshrrev_b16 v34, 8, v213
	v_sub_nc_u16 v217, v213, v174
	s_delay_alu instid0(VALU_DEP_2) | instskip(SKIP_1) | instid1(VALU_DEP_3)
	v_sub_nc_u16 v185, v34, v39
	v_lshrrev_b16 v34, 8, v37
	v_bfe_i32 v217, v217, 0, 8
	s_delay_alu instid0(VALU_DEP_2)
	v_sub_nc_u16 v186, v34, v35
	v_lshrrev_b16 v35, 8, v36
	ds_load_2addr_b32 v[178:179], v214 offset0:4 offset1:5
	ds_load_2addr_b32 v[36:37], v214 offset0:2 offset1:3
	v_lshrrev_b16 v34, 8, v38
	v_add_nc_u32_e32 v38, 0x2108, v142
	v_mul_i32_i24_e32 v217, v164, v217
	s_delay_alu instid0(VALU_DEP_3)
	v_sub_nc_u16 v187, v34, v35
	v_add_nc_u32_e32 v35, 0x2118, v142
	s_wait_dscnt 0x1
	v_ashrrev_i32_e32 v34, s20, v178
	s_wait_dscnt 0x0
	v_ashrrev_i32_e32 v36, s20, v36
	s_delay_alu instid0(VALU_DEP_2) | instskip(NEXT) | instid1(VALU_DEP_2)
	v_lshlrev_b32_e32 v34, 2, v34
	v_lshlrev_b32_e32 v36, 2, v36
	s_delay_alu instid0(VALU_DEP_2)
	v_and_b32_e32 v178, 0x4040404, v34
	v_add_nc_u32_e32 v34, 0x2110, v142
	ds_load_2addr_b32 v[180:181], v34 offset1:1
	ds_load_2addr_b32 v[34:35], v35 offset1:1
	;; [unrolled: 1-line block ×3, first 2 shown]
	v_lshrrev_b16 v189, 8, v178
	v_and_b32_e32 v36, 0x4040404, v36
	s_wait_dscnt 0x2
	v_ashrrev_i32_e32 v180, s25, v180
	s_wait_dscnt 0x1
	v_ashrrev_i32_e32 v34, s25, v34
	;; [unrolled: 2-line block ×3, first 2 shown]
	v_ashrrev_i32_e32 v35, s25, v35
	v_and_b32_e32 v215, 0x3030303, v180
	s_delay_alu instid0(VALU_DEP_1) | instskip(SKIP_1) | instid1(VALU_DEP_2)
	v_lshrrev_b16 v188, 8, v215
	v_sub_nc_u16 v218, v215, v178
	v_sub_nc_u16 v188, v188, v189
	v_lshrrev_b16 v189, 8, v196
	s_delay_alu instid0(VALU_DEP_3) | instskip(NEXT) | instid1(VALU_DEP_2)
	v_bfe_i32 v218, v218, 0, 8
	v_sub_nc_u16 v189, v189, v216
	v_sub_nc_u16 v216, v212, v170
	s_delay_alu instid0(VALU_DEP_1) | instskip(NEXT) | instid1(VALU_DEP_1)
	v_bfe_i32 v216, v216, 0, 8
	v_mul_i32_i24_e32 v216, v164, v216
	v_mul_i32_i24_e32 v164, v164, v218
	s_delay_alu instid0(VALU_DEP_2) | instskip(SKIP_2) | instid1(VALU_DEP_2)
	v_mad_i32_i24 v216, v163, v183, v216
	v_lshlrev_b16 v183, 8, v185
	v_add_nc_u32_e32 v185, 0x1080, v142
	v_bfe_i32 v183, v183, 8, 8
	s_delay_alu instid0(VALU_DEP_1) | instskip(SKIP_1) | instid1(VALU_DEP_1)
	v_mad_i32_i24 v217, v163, v183, v217
	v_lshlrev_b16 v183, 8, v188
	v_bfe_i32 v183, v183, 8, 8
	s_delay_alu instid0(VALU_DEP_1) | instskip(SKIP_1) | instid1(VALU_DEP_1)
	v_mad_i32_i24 v218, v163, v183, v164
	v_bfe_i32 v164, v186, 0, 16
	v_mul_i32_i24_e32 v163, v164, v163
	v_bfe_i32 v164, v187, 0, 16
	s_delay_alu instid0(VALU_DEP_1) | instskip(SKIP_1) | instid1(VALU_DEP_1)
	v_mul_i32_i24_e32 v162, v164, v162
	v_bfe_i32 v164, v189, 0, 16
	v_mul_i32_i24_e32 v161, v164, v161
	s_delay_alu instid0(VALU_DEP_1)
	v_add3_u32 v219, v163, v162, v161
	ds_load_2addr_b32 v[161:162], v182 offset1:1
	ds_load_2addr_b32 v[163:164], v142 offset1:1
	s_wait_dscnt 0x1
	v_ashrrev_i32_e32 v161, s20, v161
	s_wait_dscnt 0x0
	v_ashrrev_i32_e32 v163, s25, v163
	s_delay_alu instid0(VALU_DEP_2) | instskip(NEXT) | instid1(VALU_DEP_2)
	v_lshlrev_b32_e32 v161, 2, v161
	v_and_b32_e32 v221, 0x3030303, v163
	s_delay_alu instid0(VALU_DEP_2) | instskip(NEXT) | instid1(VALU_DEP_2)
	v_and_b32_e32 v220, 0x4040404, v161
	v_lshrrev_b16 v161, 8, v221
	s_delay_alu instid0(VALU_DEP_2) | instskip(SKIP_1) | instid1(VALU_DEP_2)
	v_lshrrev_b16 v182, 8, v220
	v_sub_nc_u16 v203, v221, v220
	v_sub_nc_u16 v222, v161, v182
	v_add3_u32 v161, s24, v127, v128
	s_delay_alu instid0(VALU_DEP_3) | instskip(NEXT) | instid1(VALU_DEP_3)
	v_bfe_i32 v203, v203, 0, 8
	v_lshlrev_b16 v222, 8, v222
	ds_load_b32 v161, v161
	ds_load_2addr_b32 v[182:183], v184 offset1:1
	ds_load_2addr_b32 v[184:185], v185 offset1:1
	v_mul_i32_i24_e32 v203, v158, v203
	v_bfe_i32 v222, v222, 8, 8
	s_delay_alu instid0(VALU_DEP_1) | instskip(SKIP_4) | instid1(VALU_DEP_2)
	v_mad_i32_i24 v203, v157, v222, v203
	s_wait_dscnt 0x1
	v_ashrrev_i32_e32 v182, s20, v182
	s_wait_dscnt 0x0
	v_ashrrev_i32_e32 v184, s25, v184
	v_lshlrev_b32_e32 v182, 2, v182
	s_delay_alu instid0(VALU_DEP_2) | instskip(NEXT) | instid1(VALU_DEP_2)
	v_and_b32_e32 v223, 0x3030303, v184
	v_and_b32_e32 v182, 0x4040404, v182
	s_delay_alu instid0(VALU_DEP_2) | instskip(NEXT) | instid1(VALU_DEP_2)
	v_lshrrev_b16 v186, 8, v223
	v_lshrrev_b16 v187, 8, v182
	s_delay_alu instid0(VALU_DEP_1) | instskip(SKIP_4) | instid1(VALU_DEP_1)
	v_sub_nc_u16 v224, v186, v187
	v_add_nc_u32_e32 v186, 0x2100, v142
	ds_load_2addr_b32 v[186:187], v186 offset1:1
	ds_load_2addr_b32 v[188:189], v214 offset1:1
	v_lshlrev_b16 v222, 8, v224
	v_bfe_i32 v222, v222, 8, 8
	s_wait_dscnt 0x1
	v_ashrrev_i32_e32 v186, s25, v186
	s_wait_dscnt 0x0
	v_ashrrev_i32_e32 v188, s20, v188
	s_delay_alu instid0(VALU_DEP_2) | instskip(NEXT) | instid1(VALU_DEP_2)
	v_and_b32_e32 v225, 0x3030303, v186
	v_lshlrev_b32_e32 v188, 2, v188
	s_delay_alu instid0(VALU_DEP_2) | instskip(NEXT) | instid1(VALU_DEP_2)
	v_lshrrev_b16 v226, 8, v225
	v_and_b32_e32 v188, 0x4040404, v188
	s_delay_alu instid0(VALU_DEP_1) | instskip(SKIP_1) | instid1(VALU_DEP_2)
	v_lshrrev_b16 v227, 8, v188
	v_sub_nc_u16 v228, v225, v188
	v_sub_nc_u16 v226, v226, v227
	;; [unrolled: 1-line block ×3, first 2 shown]
	s_delay_alu instid0(VALU_DEP_3) | instskip(NEXT) | instid1(VALU_DEP_3)
	v_bfe_i32 v228, v228, 0, 8
	v_lshlrev_b16 v224, 8, v226
	s_delay_alu instid0(VALU_DEP_3) | instskip(NEXT) | instid1(VALU_DEP_2)
	v_bfe_i32 v227, v227, 0, 8
	v_bfe_i32 v224, v224, 8, 8
	s_delay_alu instid0(VALU_DEP_2) | instskip(SKIP_1) | instid1(VALU_DEP_2)
	v_mul_i32_i24_e32 v227, v158, v227
	v_mul_i32_i24_e32 v158, v158, v228
	v_mad_i32_i24 v222, v157, v222, v227
	s_delay_alu instid0(VALU_DEP_2) | instskip(SKIP_1) | instid1(VALU_DEP_1)
	v_mad_i32_i24 v158, v157, v224, v158
	v_mul_i32_i24_e32 v157, v200, v157
	v_add3_u32 v153, v157, v154, v153
	v_lshrrev_b32_e32 v154, 16, v196
	v_lshrrev_b32_e32 v157, 16, v194
	;; [unrolled: 1-line block ×3, first 2 shown]
	s_delay_alu instid0(VALU_DEP_2) | instskip(SKIP_1) | instid1(VALU_DEP_2)
	v_sub_nc_u16 v154, v154, v157
	v_lshrrev_b32_e32 v157, 16, v197
	v_bfe_i32 v154, v154, 0, 8
	s_delay_alu instid0(VALU_DEP_2) | instskip(NEXT) | instid1(VALU_DEP_2)
	v_sub_nc_u16 v157, v157, v196
	v_mul_i32_i24_e32 v154, v154, v159
	s_delay_alu instid0(VALU_DEP_2) | instskip(SKIP_1) | instid1(VALU_DEP_2)
	v_bfe_i32 v157, v157, 0, 8
	v_lshrrev_b32_e32 v159, 24, v194
	v_mul_i32_i24_e32 v157, v157, v160
	v_lshrrev_b32_e32 v160, 24, v195
	s_delay_alu instid0(VALU_DEP_2) | instskip(SKIP_1) | instid1(VALU_DEP_1)
	v_add3_u32 v154, v191, v154, v157
	v_bfe_u32 v157, v192, 24, 2
	v_sub_nc_u16 v157, v157, v159
	v_bfe_u32 v159, v193, 24, 2
	s_delay_alu instid0(VALU_DEP_2) | instskip(NEXT) | instid1(VALU_DEP_2)
	v_bfe_i32 v157, v157, 0, 16
	v_sub_nc_u16 v159, v159, v160
	v_lshrrev_b32_e32 v160, 24, v182
	s_delay_alu instid0(VALU_DEP_3) | instskip(NEXT) | instid1(VALU_DEP_3)
	v_mul_i32_i24_e32 v155, v157, v155
	v_bfe_i32 v157, v159, 0, 16
	v_lshrrev_b32_e32 v159, 16, v220
	s_delay_alu instid0(VALU_DEP_2) | instskip(SKIP_1) | instid1(VALU_DEP_2)
	v_mul_i32_i24_e32 v156, v157, v156
	v_lshrrev_b32_e32 v157, 24, v220
	v_add3_u32 v155, v190, v155, v156
	v_bfe_u32 v156, v163, 24, 2
	v_lshrrev_b32_e32 v163, 16, v182
	v_lshrrev_b32_e32 v182, 24, v188
	s_delay_alu instid0(VALU_DEP_3) | instskip(SKIP_1) | instid1(VALU_DEP_2)
	v_sub_nc_u16 v156, v156, v157
	v_lshrrev_b32_e32 v157, 16, v221
	v_lshlrev_b16 v156, 8, v156
	s_delay_alu instid0(VALU_DEP_2) | instskip(SKIP_2) | instid1(VALU_DEP_2)
	v_sub_nc_u16 v157, v157, v159
	v_bfe_u32 v159, v184, 24, 2
	v_lshrrev_b32_e32 v184, 16, v188
	v_sub_nc_u16 v159, v159, v160
	v_lshrrev_b32_e32 v160, 16, v223
	s_delay_alu instid0(VALU_DEP_2) | instskip(NEXT) | instid1(VALU_DEP_2)
	v_lshlrev_b16 v159, 8, v159
	v_sub_nc_u16 v160, v160, v163
	v_bfe_u32 v163, v186, 24, 2
	s_delay_alu instid0(VALU_DEP_1) | instskip(SKIP_1) | instid1(VALU_DEP_2)
	v_sub_nc_u16 v163, v163, v182
	v_lshrrev_b32_e32 v182, 16, v225
	v_lshlrev_b16 v163, 8, v163
	s_delay_alu instid0(VALU_DEP_2) | instskip(SKIP_1) | instid1(VALU_DEP_1)
	v_sub_nc_u16 v182, v182, v184
	v_and_b32_e32 v184, 0xff, v157
	v_or_b32_e32 v156, v184, v156
	v_and_b32_e32 v184, 0xff, v160
	s_delay_alu instid0(VALU_DEP_2) | instskip(NEXT) | instid1(VALU_DEP_2)
	v_perm_b32 v156, v156, v157, 0xc0c0500
	v_or_b32_e32 v159, v184, v159
	v_and_b32_e32 v184, 0xff, v182
	s_delay_alu instid0(VALU_DEP_3) | instskip(NEXT) | instid1(VALU_DEP_3)
	v_dot4_i32_iu8 v156, v151, v156, v203 neg_lo:[1,1,0]
	v_perm_b32 v157, v159, v160, 0xc0c0500
	s_delay_alu instid0(VALU_DEP_3) | instskip(SKIP_1) | instid1(VALU_DEP_3)
	v_or_b32_e32 v163, v184, v163
	v_lshrrev_b32_e32 v160, 16, v208
	v_dot4_i32_iu8 v157, v151, v157, v222 neg_lo:[1,1,0]
	s_delay_alu instid0(VALU_DEP_3) | instskip(SKIP_1) | instid1(VALU_DEP_2)
	v_perm_b32 v159, v163, v182, 0xc0c0500
	v_lshrrev_b32_e32 v163, 24, v178
	v_dot4_i32_iu8 v151, v151, v159, v158 neg_lo:[1,1,0]
	v_lshrrev_b32_e32 v158, 16, v209
	v_lshrrev_b32_e32 v159, 16, v207
	s_delay_alu instid0(VALU_DEP_1) | instskip(SKIP_1) | instid1(VALU_DEP_2)
	v_sub_nc_u16 v158, v158, v159
	v_lshrrev_b32_e32 v159, 16, v210
	v_bfe_i32 v158, v158, 0, 8
	s_delay_alu instid0(VALU_DEP_2) | instskip(SKIP_1) | instid1(VALU_DEP_3)
	v_sub_nc_u16 v159, v159, v160
	v_lshrrev_b32_e32 v160, 16, v174
	v_mul_i32_i24_e32 v150, v158, v150
	s_delay_alu instid0(VALU_DEP_3) | instskip(SKIP_1) | instid1(VALU_DEP_2)
	v_bfe_i32 v158, v159, 0, 8
	v_lshrrev_b32_e32 v159, 24, v208
	v_mul_i32_i24_e32 v152, v158, v152
	v_lshrrev_b32_e32 v158, 24, v207
	s_delay_alu instid0(VALU_DEP_2) | instskip(SKIP_1) | instid1(VALU_DEP_1)
	v_add3_u32 v150, v204, v150, v152
	v_bfe_u32 v152, v205, 24, 2
	v_sub_nc_u16 v152, v152, v158
	v_bfe_u32 v158, v206, 24, 2
	s_delay_alu instid0(VALU_DEP_2) | instskip(NEXT) | instid1(VALU_DEP_2)
	v_bfe_i32 v152, v152, 0, 16
	v_sub_nc_u16 v158, v158, v159
	v_lshrrev_b32_e32 v159, 24, v174
	s_delay_alu instid0(VALU_DEP_3) | instskip(NEXT) | instid1(VALU_DEP_3)
	v_mul_i32_i24_e32 v148, v152, v148
	v_bfe_i32 v152, v158, 0, 16
	v_lshrrev_b32_e32 v158, 16, v170
	s_delay_alu instid0(VALU_DEP_2) | instskip(SKIP_2) | instid1(VALU_DEP_3)
	v_mul_i32_i24_e32 v149, v152, v149
	v_lshrrev_b32_e32 v152, 24, v170
	v_lshrrev_b32_e32 v170, 16, v178
	v_add3_u32 v148, v201, v148, v149
	v_bfe_u32 v149, v172, 24, 2
	s_delay_alu instid0(VALU_DEP_1) | instskip(SKIP_1) | instid1(VALU_DEP_2)
	v_sub_nc_u16 v149, v149, v152
	v_lshrrev_b32_e32 v152, 16, v212
	v_lshlrev_b16 v149, 8, v149
	s_delay_alu instid0(VALU_DEP_2) | instskip(SKIP_1) | instid1(VALU_DEP_1)
	v_sub_nc_u16 v152, v152, v158
	v_bfe_u32 v158, v176, 24, 2
	v_sub_nc_u16 v158, v158, v159
	v_lshrrev_b32_e32 v159, 16, v213
	s_delay_alu instid0(VALU_DEP_2) | instskip(NEXT) | instid1(VALU_DEP_2)
	v_lshlrev_b16 v158, 8, v158
	v_sub_nc_u16 v159, v159, v160
	v_bfe_u32 v160, v180, 24, 2
	s_delay_alu instid0(VALU_DEP_1) | instskip(SKIP_1) | instid1(VALU_DEP_2)
	v_sub_nc_u16 v160, v160, v163
	v_lshrrev_b32_e32 v163, 16, v215
	v_lshlrev_b16 v160, 8, v160
	s_delay_alu instid0(VALU_DEP_2) | instskip(SKIP_1) | instid1(VALU_DEP_1)
	v_sub_nc_u16 v163, v163, v170
	v_and_b32_e32 v170, 0xff, v152
	v_or_b32_e32 v149, v170, v149
	v_and_b32_e32 v170, 0xff, v159
	s_delay_alu instid0(VALU_DEP_2) | instskip(NEXT) | instid1(VALU_DEP_2)
	v_perm_b32 v149, v149, v152, 0xc0c0500
	v_or_b32_e32 v158, v170, v158
	v_and_b32_e32 v170, 0xff, v163
	s_delay_alu instid0(VALU_DEP_3) | instskip(NEXT) | instid1(VALU_DEP_3)
	v_dot4_i32_iu8 v149, v147, v149, v216 neg_lo:[1,1,0]
	v_perm_b32 v152, v158, v159, 0xc0c0500
	s_delay_alu instid0(VALU_DEP_3) | instskip(SKIP_1) | instid1(VALU_DEP_3)
	v_or_b32_e32 v160, v170, v160
	v_lshrrev_b16 v159, 8, v195
	v_dot4_i32_iu8 v152, v147, v152, v217 neg_lo:[1,1,0]
	s_delay_alu instid0(VALU_DEP_3) | instskip(SKIP_2) | instid1(VALU_DEP_3)
	v_perm_b32 v158, v160, v163, 0xc0c0500
	v_ashrrev_i32_e32 v160, s20, v189
	v_ashrrev_i32_e32 v163, s25, v187
	v_dot4_i32_iu8 v147, v147, v158, v218 neg_lo:[1,1,0]
	v_lshrrev_b16 v158, 8, v197
	s_delay_alu instid0(VALU_DEP_4) | instskip(NEXT) | instid1(VALU_DEP_2)
	v_lshlrev_b32_e32 v160, 2, v160
	v_sub_nc_u16 v158, v158, v159
	v_ashrrev_i32_e32 v159, s20, v183
	s_delay_alu instid0(VALU_DEP_3) | instskip(NEXT) | instid1(VALU_DEP_3)
	v_and_b32_e32 v160, 0x4040404, v160
	v_bfe_i32 v158, v158, 0, 16
	s_delay_alu instid0(VALU_DEP_3) | instskip(NEXT) | instid1(VALU_DEP_2)
	v_lshlrev_b32_e32 v159, 2, v159
	v_mul_i32_i24_e32 v146, v158, v146
	v_ashrrev_i32_e32 v158, s20, v162
	v_ashrrev_i32_e32 v162, s25, v185
	s_delay_alu instid0(VALU_DEP_4) | instskip(NEXT) | instid1(VALU_DEP_4)
	v_and_b32_e32 v159, 0x4040404, v159
	v_add3_u32 v146, v219, v146, v155
	v_ashrrev_i32_e32 v155, s25, v164
	v_lshlrev_b32_e32 v158, 2, v158
	s_delay_alu instid0(VALU_DEP_3) | instskip(NEXT) | instid1(VALU_DEP_3)
	v_add3_u32 v146, v198, v154, v146
	v_and_b32_e32 v164, 0x3030303, v155
	s_delay_alu instid0(VALU_DEP_3) | instskip(NEXT) | instid1(VALU_DEP_1)
	v_and_b32_e32 v158, 0x4040404, v158
	v_sub_nc_u16 v170, v164, v158
	v_lshrrev_b32_e32 v154, 24, v158
	s_delay_alu instid0(VALU_DEP_2) | instskip(NEXT) | instid1(VALU_DEP_1)
	v_bfe_i32 v170, v170, 0, 8
	v_mad_i32_i24 v156, v145, v170, v156
	v_and_b32_e32 v170, 0x3030303, v162
	s_delay_alu instid0(VALU_DEP_1) | instskip(NEXT) | instid1(VALU_DEP_1)
	v_sub_nc_u16 v172, v170, v159
	v_bfe_i32 v172, v172, 0, 8
	s_delay_alu instid0(VALU_DEP_1) | instskip(SKIP_2) | instid1(VALU_DEP_2)
	v_mad_i32_i24 v157, v145, v172, v157
	v_and_b32_e32 v172, 0x3030303, v163
	v_bfe_u32 v163, v163, 24, 2
	v_sub_nc_u16 v174, v172, v160
	s_delay_alu instid0(VALU_DEP_1) | instskip(NEXT) | instid1(VALU_DEP_1)
	v_bfe_i32 v174, v174, 0, 8
	v_mad_i32_i24 v145, v145, v174, v151
	v_lshrrev_b16 v151, 8, v210
	v_lshrrev_b16 v174, 8, v208
	s_delay_alu instid0(VALU_DEP_1) | instskip(SKIP_1) | instid1(VALU_DEP_2)
	v_sub_nc_u16 v151, v151, v174
	v_ashrrev_i32_e32 v174, s25, v181
	v_bfe_i32 v151, v151, 0, 16
	s_delay_alu instid0(VALU_DEP_1) | instskip(SKIP_2) | instid1(VALU_DEP_3)
	v_mul_i32_i24_e32 v143, v151, v143
	v_ashrrev_i32_e32 v151, s20, v171
	v_ashrrev_i32_e32 v171, s20, v179
	v_add3_u32 v143, v153, v143, v148
	v_ashrrev_i32_e32 v148, s25, v173
	s_delay_alu instid0(VALU_DEP_4)
	v_lshlrev_b32_e32 v151, 2, v151
	v_ashrrev_i32_e32 v153, s20, v175
	v_ashrrev_i32_e32 v173, s25, v177
	v_lshlrev_b32_e32 v171, 2, v171
	v_and_b32_e32 v175, 0x3030303, v148
	v_and_b32_e32 v151, 0x4040404, v151
	v_lshlrev_b32_e32 v153, 2, v153
	v_add3_u32 v150, v211, v150, v143
	v_and_b32_e32 v171, 0x4040404, v171
	s_delay_alu instid0(VALU_DEP_4) | instskip(NEXT) | instid1(VALU_DEP_4)
	v_sub_nc_u16 v176, v175, v151
	v_and_b32_e32 v153, 0x4040404, v153
	v_lshrrev_b32_e32 v143, 24, v151
	s_delay_alu instid0(VALU_DEP_3) | instskip(NEXT) | instid1(VALU_DEP_1)
	v_bfe_i32 v176, v176, 0, 8
	v_mad_i32_i24 v149, v144, v176, v149
	v_and_b32_e32 v176, 0x3030303, v173
	s_delay_alu instid0(VALU_DEP_1) | instskip(NEXT) | instid1(VALU_DEP_1)
	v_sub_nc_u16 v177, v176, v153
	v_bfe_i32 v177, v177, 0, 8
	s_delay_alu instid0(VALU_DEP_1) | instskip(SKIP_1) | instid1(VALU_DEP_1)
	v_mad_i32_i24 v152, v144, v177, v152
	v_and_b32_e32 v177, 0x3030303, v174
	v_sub_nc_u16 v178, v177, v171
	s_delay_alu instid0(VALU_DEP_1) | instskip(NEXT) | instid1(VALU_DEP_1)
	v_bfe_i32 v178, v178, 0, 8
	v_mad_i32_i24 v144, v144, v178, v147
	v_bfe_u32 v147, v155, 24, 2
	v_lshrrev_b32_e32 v155, 16, v158
	v_lshrrev_b16 v158, 8, v158
	s_delay_alu instid0(VALU_DEP_3) | instskip(SKIP_1) | instid1(VALU_DEP_2)
	v_sub_nc_u16 v147, v147, v154
	v_lshrrev_b32_e32 v154, 16, v164
	v_lshlrev_b16 v147, 8, v147
	s_delay_alu instid0(VALU_DEP_2) | instskip(SKIP_2) | instid1(VALU_DEP_2)
	v_sub_nc_u16 v154, v154, v155
	v_lshrrev_b16 v155, 8, v164
	v_lshrrev_b32_e32 v164, 16, v159
	v_sub_nc_u16 v155, v155, v158
	v_bfe_u32 v158, v162, 24, 2
	v_lshrrev_b32_e32 v162, 24, v159
	v_lshrrev_b16 v159, 8, v159
	s_delay_alu instid0(VALU_DEP_4) | instskip(NEXT) | instid1(VALU_DEP_3)
	v_lshlrev_b16 v155, 8, v155
	v_sub_nc_u16 v158, v158, v162
	v_lshrrev_b32_e32 v162, 16, v170
	s_delay_alu instid0(VALU_DEP_3) | instskip(NEXT) | instid1(VALU_DEP_3)
	v_perm_b32 v155, v155, v155, 0xc0c0c01
	v_lshlrev_b16 v158, 8, v158
	s_delay_alu instid0(VALU_DEP_3) | instskip(SKIP_2) | instid1(VALU_DEP_2)
	v_sub_nc_u16 v162, v162, v164
	v_lshrrev_b16 v164, 8, v170
	v_lshrrev_b32_e32 v170, 16, v160
	v_sub_nc_u16 v159, v164, v159
	v_lshrrev_b32_e32 v164, 24, v160
	v_lshrrev_b16 v160, 8, v160
	s_delay_alu instid0(VALU_DEP_2) | instskip(SKIP_1) | instid1(VALU_DEP_2)
	v_sub_nc_u16 v163, v163, v164
	v_lshrrev_b32_e32 v164, 16, v172
	v_lshlrev_b16 v163, 8, v163
	s_delay_alu instid0(VALU_DEP_2) | instskip(SKIP_1) | instid1(VALU_DEP_1)
	v_sub_nc_u16 v164, v164, v170
	v_lshrrev_b16 v170, 8, v172
	v_sub_nc_u16 v160, v170, v160
	v_and_b32_e32 v170, 0xff, v154
	s_delay_alu instid0(VALU_DEP_1) | instskip(SKIP_1) | instid1(VALU_DEP_2)
	v_or_b32_e32 v147, v170, v147
	v_and_b32_e32 v170, 0xff, v162
	v_perm_b32 v147, v147, v154, 0xc05000c
	s_delay_alu instid0(VALU_DEP_2) | instskip(SKIP_1) | instid1(VALU_DEP_3)
	v_or_b32_e32 v158, v170, v158
	v_and_b32_e32 v170, 0xff, v164
	v_or_b32_e32 v147, v147, v155
	v_lshlrev_b16 v155, 8, v159
	s_delay_alu instid0(VALU_DEP_4) | instskip(NEXT) | instid1(VALU_DEP_4)
	v_perm_b32 v154, v158, v162, 0xc05000c
	v_or_b32_e32 v163, v170, v163
	v_lshrrev_b16 v159, 8, v171
	v_dot4_i32_iu8 v147, v141, v147, v156 neg_lo:[1,1,0]
	v_perm_b32 v155, v155, v155, 0xc0c0c01
	v_lshrrev_b32_e32 v156, 16, v153
	v_perm_b32 v158, v163, v164, 0xc05000c
	s_delay_alu instid0(VALU_DEP_3) | instskip(SKIP_1) | instid1(VALU_DEP_2)
	v_or_b32_e32 v154, v154, v155
	v_lshlrev_b16 v155, 8, v160
	v_dot4_i32_iu8 v154, v141, v154, v157 neg_lo:[1,1,0]
	s_delay_alu instid0(VALU_DEP_2) | instskip(SKIP_1) | instid1(VALU_DEP_2)
	v_perm_b32 v155, v155, v155, 0xc0c0c01
	v_lshrrev_b32_e32 v157, 24, v171
	v_or_b32_e32 v155, v158, v155
	v_lshrrev_b32_e32 v158, 16, v171
	s_delay_alu instid0(VALU_DEP_2)
	v_dot4_i32_iu8 v145, v141, v155, v145 neg_lo:[1,1,0]
	v_bfe_u32 v141, v148, 24, 2
	v_lshrrev_b32_e32 v148, 16, v151
	v_lshrrev_b16 v151, 8, v151
	v_lshrrev_b32_e32 v155, 24, v153
	v_lshrrev_b16 v153, 8, v153
	v_sub_nc_u16 v141, v141, v143
	v_lshrrev_b32_e32 v143, 16, v175
	s_delay_alu instid0(VALU_DEP_2) | instskip(NEXT) | instid1(VALU_DEP_2)
	v_lshlrev_b16 v141, 8, v141
	v_sub_nc_u16 v143, v143, v148
	v_lshrrev_b16 v148, 8, v175
	s_delay_alu instid0(VALU_DEP_1) | instskip(SKIP_1) | instid1(VALU_DEP_2)
	v_sub_nc_u16 v148, v148, v151
	v_bfe_u32 v151, v173, 24, 2
	v_lshlrev_b16 v148, 8, v148
	s_delay_alu instid0(VALU_DEP_2) | instskip(SKIP_1) | instid1(VALU_DEP_3)
	v_sub_nc_u16 v151, v151, v155
	v_lshrrev_b32_e32 v155, 16, v176
	v_perm_b32 v148, v148, v148, 0xc0c0c01
	s_delay_alu instid0(VALU_DEP_3) | instskip(NEXT) | instid1(VALU_DEP_3)
	v_lshlrev_b16 v151, 8, v151
	v_sub_nc_u16 v155, v155, v156
	v_lshrrev_b16 v156, 8, v176
	s_delay_alu instid0(VALU_DEP_1) | instskip(SKIP_1) | instid1(VALU_DEP_1)
	v_sub_nc_u16 v153, v156, v153
	v_bfe_u32 v156, v174, 24, 2
	v_sub_nc_u16 v156, v156, v157
	v_lshrrev_b32_e32 v157, 16, v177
	s_delay_alu instid0(VALU_DEP_2) | instskip(NEXT) | instid1(VALU_DEP_2)
	v_lshlrev_b16 v156, 8, v156
	v_sub_nc_u16 v157, v157, v158
	v_lshrrev_b16 v158, 8, v177
	s_delay_alu instid0(VALU_DEP_1) | instskip(SKIP_1) | instid1(VALU_DEP_1)
	v_sub_nc_u16 v158, v158, v159
	v_and_b32_e32 v159, 0xff, v143
	v_or_b32_e32 v141, v159, v141
	v_and_b32_e32 v159, 0xff, v155
	s_delay_alu instid0(VALU_DEP_2) | instskip(NEXT) | instid1(VALU_DEP_2)
	v_perm_b32 v141, v141, v143, 0xc05000c
	v_or_b32_e32 v151, v159, v151
	v_and_b32_e32 v159, 0xff, v157
	s_delay_alu instid0(VALU_DEP_3) | instskip(SKIP_1) | instid1(VALU_DEP_4)
	v_or_b32_e32 v141, v141, v148
	v_lshlrev_b16 v148, 8, v153
	v_perm_b32 v143, v151, v155, 0xc05000c
	s_delay_alu instid0(VALU_DEP_4) | instskip(NEXT) | instid1(VALU_DEP_4)
	v_or_b32_e32 v156, v159, v156
	v_dot4_i32_iu8 v149, v140, v141, v149 neg_lo:[1,1,0]
	s_delay_alu instid0(VALU_DEP_4) | instskip(NEXT) | instid1(VALU_DEP_3)
	v_perm_b32 v148, v148, v148, 0xc0c0c01
	v_perm_b32 v151, v156, v157, 0xc05000c
	s_delay_alu instid0(VALU_DEP_2) | instskip(SKIP_1) | instid1(VALU_DEP_1)
	v_or_b32_e32 v143, v143, v148
	v_lshlrev_b16 v148, 8, v158
	v_perm_b32 v148, v148, v148, 0xc0c0c01
	s_delay_alu instid0(VALU_DEP_1) | instskip(NEXT) | instid1(VALU_DEP_4)
	v_or_b32_e32 v148, v151, v148
	v_dot4_i32_iu8 v151, v140, v143, v152 neg_lo:[1,1,0]
	s_delay_alu instid0(VALU_DEP_2) | instskip(SKIP_2) | instid1(VALU_DEP_2)
	v_dot4_i32_iu8 v144, v140, v148, v144 neg_lo:[1,1,0]
	v_and_b32_e32 v148, 0x3030303, v30
	v_bfe_u32 v30, v30, 24, 2
	v_sub_nc_u16 v140, v148, v28
	s_delay_alu instid0(VALU_DEP_1) | instskip(NEXT) | instid1(VALU_DEP_1)
	v_bfe_i32 v140, v140, 0, 8
	v_mad_i32_i24 v147, v139, v140, v147
	v_add_nc_u32_e32 v140, 0x1088, v142
	ds_load_2addr_b32 v[140:141], v140 offset1:1
	s_wait_dscnt 0x0
	v_ashrrev_i32_e32 v140, s25, v140
	s_delay_alu instid0(VALU_DEP_1) | instskip(SKIP_1) | instid1(VALU_DEP_2)
	v_and_b32_e32 v152, 0x3030303, v140
	v_bfe_u32 v140, v140, 24, 2
	v_sub_nc_u16 v142, v152, v32
	s_delay_alu instid0(VALU_DEP_1) | instskip(NEXT) | instid1(VALU_DEP_1)
	v_bfe_i32 v142, v142, 0, 8
	v_mad_i32_i24 v153, v139, v142, v154
	v_and_b32_e32 v154, 0x3030303, v38
	ds_load_2addr_b32 v[142:143], v214 offset0:6 offset1:7
	v_bfe_u32 v38, v38, 24, 2
	v_sub_nc_u16 v155, v154, v36
	s_delay_alu instid0(VALU_DEP_1) | instskip(NEXT) | instid1(VALU_DEP_1)
	v_bfe_i32 v155, v155, 0, 8
	v_mad_i32_i24 v139, v139, v155, v145
	v_and_b32_e32 v145, 0x3030303, v22
	v_bfe_u32 v22, v22, 24, 2
	s_delay_alu instid0(VALU_DEP_2) | instskip(SKIP_2) | instid1(VALU_DEP_2)
	v_sub_nc_u16 v155, v145, v20
	s_wait_dscnt 0x0
	v_ashrrev_i32_e32 v142, s20, v142
	v_bfe_i32 v155, v155, 0, 8
	s_delay_alu instid0(VALU_DEP_2) | instskip(NEXT) | instid1(VALU_DEP_2)
	v_lshlrev_b32_e32 v142, 2, v142
	v_mad_i32_i24 v149, v138, v155, v149
	v_and_b32_e32 v155, 0x3030303, v26
	s_delay_alu instid0(VALU_DEP_3) | instskip(SKIP_1) | instid1(VALU_DEP_3)
	v_and_b32_e32 v142, 0x4040404, v142
	v_bfe_u32 v26, v26, 24, 2
	v_sub_nc_u16 v156, v155, v24
	s_delay_alu instid0(VALU_DEP_1) | instskip(NEXT) | instid1(VALU_DEP_1)
	v_bfe_i32 v156, v156, 0, 8
	v_mad_i32_i24 v151, v138, v156, v151
	v_and_b32_e32 v156, 0x3030303, v34
	v_bfe_u32 v34, v34, 24, 2
	s_delay_alu instid0(VALU_DEP_2) | instskip(NEXT) | instid1(VALU_DEP_1)
	v_sub_nc_u16 v157, v156, v142
	v_bfe_i32 v157, v157, 0, 8
	s_delay_alu instid0(VALU_DEP_1) | instskip(SKIP_3) | instid1(VALU_DEP_3)
	v_mad_i32_i24 v138, v138, v157, v144
	v_lshrrev_b32_e32 v144, 24, v28
	v_lshrrev_b32_e32 v157, 16, v28
	v_lshrrev_b16 v28, 8, v28
	v_sub_nc_u16 v30, v30, v144
	v_lshrrev_b32_e32 v144, 16, v148
	v_lshrrev_b16 v148, 8, v148
	s_delay_alu instid0(VALU_DEP_3) | instskip(NEXT) | instid1(VALU_DEP_3)
	v_lshlrev_b16 v30, 8, v30
	v_sub_nc_u16 v144, v144, v157
	s_delay_alu instid0(VALU_DEP_3) | instskip(SKIP_3) | instid1(VALU_DEP_4)
	v_sub_nc_u16 v28, v148, v28
	v_lshrrev_b32_e32 v148, 24, v36
	v_lshrrev_b32_e32 v157, 16, v36
	v_lshrrev_b16 v36, 8, v36
	v_lshlrev_b16 v28, 8, v28
	s_delay_alu instid0(VALU_DEP_4) | instskip(SKIP_2) | instid1(VALU_DEP_4)
	v_sub_nc_u16 v38, v38, v148
	v_lshrrev_b32_e32 v148, 16, v154
	v_lshrrev_b16 v154, 8, v154
	v_perm_b32 v28, v28, v28, 0xc0c0c01
	s_delay_alu instid0(VALU_DEP_4) | instskip(NEXT) | instid1(VALU_DEP_4)
	v_lshlrev_b16 v38, 8, v38
	v_sub_nc_u16 v148, v148, v157
	s_delay_alu instid0(VALU_DEP_4) | instskip(SKIP_3) | instid1(VALU_DEP_3)
	v_sub_nc_u16 v36, v154, v36
	v_lshrrev_b32_e32 v154, 24, v32
	v_lshrrev_b32_e32 v157, 16, v32
	v_lshrrev_b16 v32, 8, v32
	v_sub_nc_u16 v140, v140, v154
	v_lshrrev_b32_e32 v154, 16, v152
	v_lshrrev_b16 v152, 8, v152
	s_delay_alu instid0(VALU_DEP_3) | instskip(NEXT) | instid1(VALU_DEP_3)
	v_lshlrev_b16 v140, 8, v140
	v_sub_nc_u16 v154, v154, v157
	s_delay_alu instid0(VALU_DEP_3) | instskip(SKIP_1) | instid1(VALU_DEP_2)
	v_sub_nc_u16 v32, v152, v32
	v_and_b32_e32 v152, 0xff, v144
	v_lshlrev_b16 v32, 8, v32
	s_delay_alu instid0(VALU_DEP_2) | instskip(SKIP_1) | instid1(VALU_DEP_3)
	v_or_b32_e32 v30, v152, v30
	v_and_b32_e32 v152, 0xff, v148
	v_perm_b32 v32, v32, v32, 0xc0c0c01
	s_delay_alu instid0(VALU_DEP_3) | instskip(NEXT) | instid1(VALU_DEP_3)
	v_perm_b32 v30, v30, v144, 0xc05000c
	v_or_b32_e32 v38, v152, v38
	v_and_b32_e32 v152, 0xff, v154
	s_delay_alu instid0(VALU_DEP_3) | instskip(SKIP_1) | instid1(VALU_DEP_4)
	v_or_b32_e32 v28, v30, v28
	v_lshlrev_b16 v30, 8, v36
	v_perm_b32 v38, v38, v148, 0xc05000c
	v_lshrrev_b32_e32 v36, 24, v20
	v_or_b32_e32 v140, v152, v140
	v_dot4_i32_iu8 v28, v137, v28, v147 neg_lo:[1,1,0]
	v_perm_b32 v30, v30, v30, 0xc0c0c01
	s_delay_alu instid0(VALU_DEP_4) | instskip(SKIP_2) | instid1(VALU_DEP_4)
	v_sub_nc_u16 v22, v22, v36
	v_lshrrev_b32_e32 v36, 16, v145
	v_perm_b32 v140, v140, v154, 0xc05000c
	v_or_b32_e32 v30, v38, v30
	v_lshrrev_b32_e32 v38, 16, v20
	v_lshrrev_b16 v20, 8, v20
	v_lshlrev_b16 v22, 8, v22
	v_or_b32_e32 v32, v140, v32
	v_dot4_i32_iu8 v30, v137, v30, v139 neg_lo:[1,1,0]
	v_sub_nc_u16 v36, v36, v38
	v_lshrrev_b16 v38, 8, v145
	v_lshrrev_b32_e32 v139, 16, v142
	v_dot4_i32_iu8 v32, v137, v32, v153 neg_lo:[1,1,0]
	v_lshrrev_b32_e32 v137, 16, v24
	v_lshrrev_b16 v140, 8, v142
	v_sub_nc_u16 v20, v38, v20
	v_lshrrev_b32_e32 v38, 24, v24
	v_lshrrev_b16 v24, 8, v24
	s_delay_alu instid0(VALU_DEP_3) | instskip(NEXT) | instid1(VALU_DEP_3)
	v_lshlrev_b16 v20, 8, v20
	v_sub_nc_u16 v26, v26, v38
	v_lshrrev_b32_e32 v38, 16, v155
	s_delay_alu instid0(VALU_DEP_3) | instskip(NEXT) | instid1(VALU_DEP_3)
	v_perm_b32 v20, v20, v20, 0xc0c0c01
	v_lshlrev_b16 v26, 8, v26
	s_delay_alu instid0(VALU_DEP_3) | instskip(SKIP_1) | instid1(VALU_DEP_1)
	v_sub_nc_u16 v38, v38, v137
	v_lshrrev_b16 v137, 8, v155
	v_sub_nc_u16 v24, v137, v24
	v_lshrrev_b32_e32 v137, 24, v142
	s_delay_alu instid0(VALU_DEP_1) | instskip(SKIP_1) | instid1(VALU_DEP_2)
	v_sub_nc_u16 v34, v34, v137
	v_lshrrev_b32_e32 v137, 16, v156
	v_lshlrev_b16 v34, 8, v34
	s_delay_alu instid0(VALU_DEP_2) | instskip(SKIP_1) | instid1(VALU_DEP_1)
	v_sub_nc_u16 v137, v137, v139
	v_lshrrev_b16 v139, 8, v156
	v_sub_nc_u16 v139, v139, v140
	v_and_b32_e32 v140, 0xff, v36
	s_delay_alu instid0(VALU_DEP_1) | instskip(SKIP_1) | instid1(VALU_DEP_2)
	v_or_b32_e32 v22, v140, v22
	v_and_b32_e32 v140, 0xff, v38
	v_perm_b32 v22, v22, v36, 0xc05000c
	s_delay_alu instid0(VALU_DEP_2) | instskip(SKIP_1) | instid1(VALU_DEP_3)
	v_or_b32_e32 v26, v140, v26
	v_and_b32_e32 v140, 0xff, v137
	v_or_b32_e32 v20, v22, v20
	v_lshlrev_b16 v22, 8, v24
	s_delay_alu instid0(VALU_DEP_3) | instskip(SKIP_2) | instid1(VALU_DEP_4)
	v_or_b32_e32 v34, v140, v34
	v_lshlrev_b16 v24, 8, v139
	v_perm_b32 v26, v26, v38, 0xc05000c
	v_perm_b32 v22, v22, v22, 0xc0c0c01
	s_delay_alu instid0(VALU_DEP_4) | instskip(NEXT) | instid1(VALU_DEP_4)
	v_perm_b32 v34, v34, v137, 0xc05000c
	v_perm_b32 v24, v24, v24, 0xc0c0c01
	s_delay_alu instid0(VALU_DEP_3) | instskip(SKIP_1) | instid1(VALU_DEP_3)
	v_or_b32_e32 v22, v26, v22
	v_dot4_i32_iu8 v26, v136, v20, v149 neg_lo:[1,1,0]
	v_or_b32_e32 v24, v34, v24
	v_lshrrev_b16 v20, 8, v169
	v_bfe_i32 v34, v169, 0, 8
	v_dot4_i32_iu8 v22, v136, v22, v151 neg_lo:[1,1,0]
	s_delay_alu instid0(VALU_DEP_4) | instskip(NEXT) | instid1(VALU_DEP_4)
	v_dot4_i32_iu8 v24, v136, v24, v138 neg_lo:[1,1,0]
	v_bfe_i32 v36, v20, 0, 8
	s_delay_alu instid0(VALU_DEP_4) | instskip(SKIP_1) | instid1(VALU_DEP_2)
	v_mul_lo_u32 v20, v150, v34
	v_ashrrev_i32_e32 v34, s25, v141
	v_mad_co_u64_u32 v[136:137], null, v146, v36, v[20:21]
	v_ashrrev_i32_e32 v20, s25, v31
	v_ashrrev_i32_e32 v31, s20, v37
	;; [unrolled: 1-line block ×4, first 2 shown]
	s_delay_alu instid0(VALU_DEP_4) | instskip(NEXT) | instid1(VALU_DEP_4)
	v_and_b32_e32 v37, 0x3030303, v20
	v_lshlrev_b32_e32 v31, 2, v31
	v_bfe_u32 v20, v20, 24, 2
	s_delay_alu instid0(VALU_DEP_4) | instskip(NEXT) | instid1(VALU_DEP_4)
	v_lshlrev_b32_e32 v21, 2, v21
	v_sub_nc_u16 v38, v37, v29
	s_delay_alu instid0(VALU_DEP_4) | instskip(NEXT) | instid1(VALU_DEP_3)
	v_and_b32_e32 v31, 0x4040404, v31
	v_and_b32_e32 v21, 0x4040404, v21
	s_delay_alu instid0(VALU_DEP_3) | instskip(NEXT) | instid1(VALU_DEP_1)
	v_bfe_i32 v38, v38, 0, 8
	v_mad_i32_i24 v28, v135, v38, v28
	v_and_b32_e32 v38, 0x3030303, v34
	v_bfe_u32 v34, v34, 24, 2
	s_delay_alu instid0(VALU_DEP_2) | instskip(NEXT) | instid1(VALU_DEP_1)
	v_sub_nc_u16 v39, v38, v33
	v_bfe_i32 v39, v39, 0, 8
	s_delay_alu instid0(VALU_DEP_1) | instskip(SKIP_2) | instid1(VALU_DEP_2)
	v_mad_i32_i24 v32, v135, v39, v32
	v_and_b32_e32 v39, 0x3030303, v36
	v_bfe_u32 v36, v36, 24, 2
	v_sub_nc_u16 v137, v39, v31
	s_delay_alu instid0(VALU_DEP_1) | instskip(NEXT) | instid1(VALU_DEP_1)
	v_bfe_i32 v137, v137, 0, 8
	v_mad_i32_i24 v30, v135, v137, v30
	v_and_b32_e32 v137, 0x3030303, v23
	v_ashrrev_i32_e32 v135, s20, v143
	v_bfe_u32 v23, v23, 24, 2
	s_add_co_i32 s20, s20, 1
	s_cmp_lt_u32 s22, 14
	v_sub_nc_u16 v138, v137, v21
	v_lshlrev_b32_e32 v135, 2, v135
	s_delay_alu instid0(VALU_DEP_2) | instskip(NEXT) | instid1(VALU_DEP_2)
	v_bfe_i32 v138, v138, 0, 8
	v_and_b32_e32 v135, 0x4040404, v135
	s_delay_alu instid0(VALU_DEP_2) | instskip(SKIP_2) | instid1(VALU_DEP_2)
	v_mad_i32_i24 v26, v134, v138, v26
	v_and_b32_e32 v138, 0x3030303, v27
	v_bfe_u32 v27, v27, 24, 2
	v_sub_nc_u16 v139, v138, v25
	s_delay_alu instid0(VALU_DEP_1) | instskip(NEXT) | instid1(VALU_DEP_1)
	v_bfe_i32 v139, v139, 0, 8
	v_mad_i32_i24 v22, v134, v139, v22
	v_and_b32_e32 v139, 0x3030303, v35
	s_delay_alu instid0(VALU_DEP_1) | instskip(NEXT) | instid1(VALU_DEP_1)
	v_sub_nc_u16 v140, v139, v135
	v_bfe_i32 v140, v140, 0, 8
	s_delay_alu instid0(VALU_DEP_1) | instskip(SKIP_3) | instid1(VALU_DEP_3)
	v_mad_i32_i24 v24, v134, v140, v24
	v_lshrrev_b32_e32 v134, 24, v29
	v_lshrrev_b32_e32 v140, 16, v29
	v_lshrrev_b16 v29, 8, v29
	v_sub_nc_u16 v20, v20, v134
	v_lshrrev_b32_e32 v134, 16, v37
	v_lshrrev_b16 v37, 8, v37
	s_delay_alu instid0(VALU_DEP_3) | instskip(NEXT) | instid1(VALU_DEP_3)
	v_lshlrev_b16 v20, 8, v20
	v_sub_nc_u16 v134, v134, v140
	s_delay_alu instid0(VALU_DEP_3) | instskip(SKIP_3) | instid1(VALU_DEP_4)
	v_sub_nc_u16 v29, v37, v29
	v_lshrrev_b32_e32 v37, 24, v31
	v_lshrrev_b32_e32 v140, 16, v31
	v_lshrrev_b16 v31, 8, v31
	v_lshlrev_b16 v29, 8, v29
	s_delay_alu instid0(VALU_DEP_4) | instskip(SKIP_2) | instid1(VALU_DEP_4)
	v_sub_nc_u16 v36, v36, v37
	v_lshrrev_b32_e32 v37, 16, v39
	v_lshrrev_b16 v39, 8, v39
	v_perm_b32 v29, v29, v29, 0xc0c0c01
	s_delay_alu instid0(VALU_DEP_4) | instskip(NEXT) | instid1(VALU_DEP_4)
	v_lshlrev_b16 v36, 8, v36
	v_sub_nc_u16 v37, v37, v140
	s_delay_alu instid0(VALU_DEP_4) | instskip(SKIP_3) | instid1(VALU_DEP_3)
	v_sub_nc_u16 v31, v39, v31
	v_lshrrev_b32_e32 v39, 24, v33
	v_lshrrev_b32_e32 v140, 16, v33
	v_lshrrev_b16 v33, 8, v33
	v_sub_nc_u16 v34, v34, v39
	v_lshrrev_b32_e32 v39, 16, v38
	v_lshrrev_b16 v38, 8, v38
	s_delay_alu instid0(VALU_DEP_3) | instskip(NEXT) | instid1(VALU_DEP_3)
	v_lshlrev_b16 v34, 8, v34
	v_sub_nc_u16 v39, v39, v140
	s_delay_alu instid0(VALU_DEP_3) | instskip(SKIP_1) | instid1(VALU_DEP_1)
	v_sub_nc_u16 v33, v38, v33
	v_and_b32_e32 v38, 0xff, v134
	v_or_b32_e32 v20, v38, v20
	v_and_b32_e32 v38, 0xff, v37
	s_delay_alu instid0(VALU_DEP_2) | instskip(NEXT) | instid1(VALU_DEP_2)
	v_perm_b32 v20, v20, v134, 0xc05000c
	v_or_b32_e32 v36, v38, v36
	v_and_b32_e32 v38, 0xff, v39
	s_delay_alu instid0(VALU_DEP_3) | instskip(SKIP_1) | instid1(VALU_DEP_3)
	v_or_b32_e32 v20, v20, v29
	v_lshlrev_b16 v29, 8, v31
	v_or_b32_e32 v34, v38, v34
	v_perm_b32 v36, v36, v37, 0xc05000c
	v_lshlrev_b16 v31, 8, v33
	v_dot4_i32_iu8 v20, v133, v20, v28 neg_lo:[1,1,0]
	v_perm_b32 v29, v29, v29, 0xc0c0c01
	v_perm_b32 v34, v34, v39, 0xc05000c
	v_lshrrev_b32_e32 v33, 24, v135
	v_perm_b32 v31, v31, v31, 0xc0c0c01
	s_delay_alu instid0(VALU_DEP_4) | instskip(NEXT) | instid1(VALU_DEP_2)
	v_or_b32_e32 v29, v36, v29
	v_or_b32_e32 v31, v34, v31
	v_lshrrev_b32_e32 v34, 16, v135
	s_delay_alu instid0(VALU_DEP_3) | instskip(SKIP_1) | instid1(VALU_DEP_4)
	v_dot4_i32_iu8 v29, v133, v29, v30 neg_lo:[1,1,0]
	v_lshrrev_b32_e32 v30, 24, v21
	v_dot4_i32_iu8 v28, v133, v31, v32 neg_lo:[1,1,0]
	v_lshrrev_b32_e32 v31, 16, v21
	v_lshrrev_b16 v21, 8, v21
	s_delay_alu instid0(VALU_DEP_4) | instskip(SKIP_2) | instid1(VALU_DEP_3)
	v_sub_nc_u16 v23, v23, v30
	v_lshrrev_b32_e32 v30, 16, v137
	v_lshrrev_b32_e32 v32, 16, v25
	v_lshlrev_b16 v23, 8, v23
	s_delay_alu instid0(VALU_DEP_3) | instskip(SKIP_1) | instid1(VALU_DEP_1)
	v_sub_nc_u16 v30, v30, v31
	v_lshrrev_b16 v31, 8, v137
	v_sub_nc_u16 v21, v31, v21
	v_lshrrev_b32_e32 v31, 24, v25
	v_lshrrev_b16 v25, 8, v25
	s_delay_alu instid0(VALU_DEP_3) | instskip(NEXT) | instid1(VALU_DEP_3)
	v_lshlrev_b16 v21, 8, v21
	v_sub_nc_u16 v27, v27, v31
	v_lshrrev_b32_e32 v31, 16, v138
	s_delay_alu instid0(VALU_DEP_3) | instskip(NEXT) | instid1(VALU_DEP_3)
	v_perm_b32 v21, v21, v21, 0xc0c0c01
	v_lshlrev_b16 v27, 8, v27
	s_delay_alu instid0(VALU_DEP_3) | instskip(SKIP_1) | instid1(VALU_DEP_1)
	v_sub_nc_u16 v31, v31, v32
	v_lshrrev_b16 v32, 8, v138
	v_sub_nc_u16 v25, v32, v25
	v_bfe_u32 v32, v35, 24, 2
	v_lshrrev_b16 v35, 8, v135
	s_delay_alu instid0(VALU_DEP_2) | instskip(SKIP_1) | instid1(VALU_DEP_2)
	v_sub_nc_u16 v32, v32, v33
	v_lshrrev_b32_e32 v33, 16, v139
	v_lshlrev_b16 v32, 8, v32
	s_delay_alu instid0(VALU_DEP_2) | instskip(SKIP_1) | instid1(VALU_DEP_1)
	v_sub_nc_u16 v33, v33, v34
	v_lshrrev_b16 v34, 8, v139
	v_sub_nc_u16 v34, v34, v35
	v_and_b32_e32 v35, 0xff, v30
	s_delay_alu instid0(VALU_DEP_1) | instskip(SKIP_1) | instid1(VALU_DEP_2)
	v_or_b32_e32 v23, v35, v23
	v_and_b32_e32 v35, 0xff, v31
	v_perm_b32 v23, v23, v30, 0xc05000c
	s_delay_alu instid0(VALU_DEP_2) | instskip(SKIP_1) | instid1(VALU_DEP_3)
	v_or_b32_e32 v27, v35, v27
	v_and_b32_e32 v35, 0xff, v33
	v_or_b32_e32 v21, v23, v21
	v_lshlrev_b16 v23, 8, v25
	s_delay_alu instid0(VALU_DEP_4) | instskip(NEXT) | instid1(VALU_DEP_4)
	v_perm_b32 v27, v27, v31, 0xc05000c
	v_or_b32_e32 v32, v35, v32
	v_lshlrev_b16 v25, 8, v34
	v_dot4_i32_iu8 v21, v132, v21, v26 neg_lo:[1,1,0]
	v_perm_b32 v23, v23, v23, 0xc0c0c01
	s_delay_alu instid0(VALU_DEP_4) | instskip(NEXT) | instid1(VALU_DEP_4)
	v_perm_b32 v30, v32, v33, 0xc05000c
	v_perm_b32 v25, v25, v25, 0xc0c0c01
	s_delay_alu instid0(VALU_DEP_3) | instskip(NEXT) | instid1(VALU_DEP_2)
	v_or_b32_e32 v23, v27, v23
	v_or_b32_e32 v25, v30, v25
	s_delay_alu instid0(VALU_DEP_2) | instskip(SKIP_1) | instid1(VALU_DEP_3)
	v_dot4_i32_iu8 v22, v132, v23, v22 neg_lo:[1,1,0]
	v_add_nc_u32_e32 v23, s21, v99
	v_dot4_i32_iu8 v24, v132, v25, v24 neg_lo:[1,1,0]
	v_add_nc_u32_e32 v25, s21, v97
	s_mov_b32 s21, s22
	ds_load_u16 v23, v23 offset:25346
	ds_load_u16 v25, v25 offset:27394
	s_wait_dscnt 0x1
	v_lshrrev_b16 v26, 8, v23
	v_bfe_i32 v23, v23, 0, 8
	s_delay_alu instid0(VALU_DEP_2) | instskip(NEXT) | instid1(VALU_DEP_2)
	v_bfe_i32 v26, v26, 0, 8
	v_mul_lo_u32 v20, v20, v23
	s_wait_dscnt 0x0
	v_bfe_i32 v23, v25, 0, 8
	v_lshrrev_b16 v25, 8, v25
	s_delay_alu instid0(VALU_DEP_3) | instskip(SKIP_2) | instid1(VALU_DEP_2)
	v_mad_co_u64_u32 v[20:21], null, v21, v26, v[20:21]
	v_lshrrev_b16 v21, 8, v168
	v_bfe_i32 v26, v168, 0, 8
	v_bfe_i32 v27, v21, 0, 8
	s_delay_alu instid0(VALU_DEP_2)
	v_mul_lo_u32 v21, v28, v26
	ds_load_b32 v26, v131
	v_cvt_f32_i32_e32 v20, v20
	v_add_nc_u32_e32 v131, 4, v131
	v_mad_co_u64_u32 v[21:22], null, v22, v27, v[21:22]
	v_mul_lo_u32 v22, v29, v23
	v_bfe_i32 v23, v25, 0, 8
	v_cvt_f32_i32_e32 v27, v136
	s_delay_alu instid0(VALU_DEP_4) | instskip(NEXT) | instid1(VALU_DEP_3)
	v_cvt_f32_i32_e32 v21, v21
	v_mad_co_u64_u32 v[22:23], null, v24, v23, v[22:23]
	s_wait_dscnt 0x0
	v_mul_f32_e32 v23, v26, v161
	v_mul_f32_e32 v24, v26, v167
	;; [unrolled: 1-line block ×4, first 2 shown]
	v_cvt_f32_i32_e32 v22, v22
	s_delay_alu instid0(VALU_DEP_4) | instskip(NEXT) | instid1(VALU_DEP_2)
	v_dual_fmac_f32 v42, v23, v20 :: v_dual_fmac_f32 v89, v24, v21
	v_dual_fmac_f32 v17, v26, v27 :: v_dual_fmac_f32 v88, v25, v22
	s_cbranch_scc1 .LBB190_19
; %bb.20:                               ;   in Loop: Header=BB190_5 Depth=1
	s_or_b32 s1, s18, 0x100
	s_wait_loadcnt 0x0
	s_wait_alu 0xfffe
	s_cmp_ge_i32 s1, s5
	s_barrier_signal -1
	s_barrier_wait -1
	global_inv scope:SCOPE_SE
	s_cbranch_scc1 .LBB190_4
; %bb.21:                               ;   in Loop: Header=BB190_5 Depth=1
	v_add_nc_u32_e32 v20, s19, v91
	s_delay_alu instid0(VALU_DEP_1)
	v_cmp_gt_i32_e64 s1, s6, v20
	s_and_b32 s20, s0, s1
	s_wait_alu 0xfffe
	s_and_saveexec_b32 s1, s20
	s_cbranch_execz .LBB190_23
; %bb.22:                               ;   in Loop: Header=BB190_5 Depth=1
	v_add_nc_u32_e32 v20, v93, v20
	s_delay_alu instid0(VALU_DEP_1)
	v_mad_co_i64_i32 v[20:21], null, v20, 36, v[18:19]
	global_load_b32 v20, v[20:21], off offset:4
	s_wait_loadcnt 0x0
	ds_store_b32 v86, v20
.LBB190_23:                             ;   in Loop: Header=BB190_5 Depth=1
	s_wait_alu 0xfffe
	s_or_b32 exec_lo, exec_lo, s1
	s_and_saveexec_b32 s20, vcc_lo
	s_cbranch_execz .LBB190_26
; %bb.24:                               ;   in Loop: Header=BB190_5 Depth=1
	v_or_b32_e32 v20, 8, v129
	s_delay_alu instid0(VALU_DEP_1)
	v_cmp_gt_i32_e64 s1, s6, v20
	s_and_b32 s1, s0, s1
	s_wait_alu 0xfffe
	s_and_b32 exec_lo, exec_lo, s1
	s_cbranch_execz .LBB190_26
; %bb.25:                               ;   in Loop: Header=BB190_5 Depth=1
	v_ashrrev_i32_e32 v20, 31, v129
	v_add_co_u32 v21, s1, v93, v129
	s_wait_alu 0xf1ff
	s_delay_alu instid0(VALU_DEP_2) | instskip(NEXT) | instid1(VALU_DEP_2)
	v_add_co_ci_u32_e64 v22, null, v0, v20, s1
	v_mad_co_u64_u32 v[20:21], null, v21, 36, s[2:3]
	s_delay_alu instid0(VALU_DEP_1)
	v_mad_i32_i24 v21, v22, 36, v21
	global_load_b32 v20, v[20:21], off offset:288
	s_wait_loadcnt 0x0
	v_cvt_f32_f16_e32 v20, v20
	ds_store_b32 v87, v20
.LBB190_26:                             ;   in Loop: Header=BB190_5 Depth=1
	s_wait_alu 0xfffe
	s_or_b32 exec_lo, exec_lo, s20
	v_dual_mov_b32 v130, v84 :: v_dual_mov_b32 v131, v85
	s_mov_b32 s1, 16
	s_mov_b32 s21, 14
	;; [unrolled: 1-line block ×3, first 2 shown]
	s_wait_loadcnt_dscnt 0x0
	s_barrier_signal -1
	s_barrier_wait -1
	global_inv scope:SCOPE_SE
.LBB190_27:                             ;   Parent Loop BB190_5 Depth=1
                                        ; =>  This Inner Loop Header: Depth=2
	ds_load_b128 v[20:23], v130
	ds_load_b128 v[33:36], v130 offset:16
	s_wait_alu 0xfffe
	s_add_co_i32 s22, s21, 2
	s_and_b32 s26, s1, -16
	s_wait_alu 0xfffe
	s_and_b32 s25, s22, 0x3ffffff8
	s_lshr_b32 s24, s22, 4
	s_wait_alu 0xfffe
	v_lshl_add_u32 v142, s25, 2, v94
	s_lshl_b32 s23, s24, 5
	s_add_co_i32 s25, s21, -14
	s_add_co_i32 s21, s21, s26
	s_wait_alu 0xfffe
	s_addk_co_i32 s23, 0x4200
	v_add_nc_u32_e32 v37, s21, v95
	s_lshl_b32 s24, s24, 2
	v_add_nc_u32_e32 v39, 0x3198, v142
	s_wait_alu 0xfffe
	s_addk_co_i32 s24, 0x7380
	v_add3_u32 v182, s23, v126, v113
	v_add3_u32 v184, s23, v114, v115
	;; [unrolled: 1-line block ×3, first 2 shown]
	v_add_nc_u32_e32 v130, 32, v130
	s_add_co_i32 s1, s1, 2
	s_wait_dscnt 0x1
	v_lshrrev_b16 v157, 8, v20
	v_ashrrev_i32_e32 v28, 24, v20
	v_bfe_i32 v26, v20, 16, 8
	v_bfe_i32 v158, v20, 0, 8
	v_perm_b32 v151, v20, v20, 0xc0c0302
	v_add_nc_u32_e32 v20, 0x3188, v142
	s_wait_dscnt 0x0
	v_lshrrev_b16 v163, 8, v33
	v_lshrrev_b16 v162, 8, v34
	v_ashrrev_i32_e32 v32, 24, v33
	v_bfe_i32 v30, v33, 16, 8
	v_bfe_i32 v164, v33, 0, 8
	v_perm_b32 v147, v33, v33, 0xc0c0302
	v_ashrrev_i32_e32 v33, 24, v34
	v_bfe_i32 v31, v34, 16, 8
	v_bfe_i32 v144, v34, 0, 8
	v_perm_b32 v140, v34, v34, 0xc030201
	v_add3_u32 v34, s23, v122, v123
	v_lshrrev_b16 v154, 8, v21
	v_lshrrev_b16 v153, 8, v22
	;; [unrolled: 1-line block ×3, first 2 shown]
	v_ashrrev_i32_e32 v29, 24, v21
	v_bfe_i32 v27, v21, 16, 8
	v_bfe_i32 v145, v21, 0, 8
	v_perm_b32 v141, v21, v21, 0xc030201
	v_ashrrev_i32_e32 v148, 24, v22
	v_bfe_i32 v150, v22, 16, 8
	v_bfe_i32 v139, v22, 0, 8
	v_perm_b32 v137, v22, v22, 0xc030201
	;; [unrolled: 4-line block ×3, first 2 shown]
	v_lshrrev_b16 v161, 8, v35
	v_lshrrev_b16 v146, 8, v36
	v_ashrrev_i32_e32 v155, 24, v35
	v_bfe_i32 v159, v35, 16, 8
	v_bfe_i32 v138, v35, 0, 8
	v_perm_b32 v136, v35, v35, 0xc030201
	v_ashrrev_i32_e32 v156, 24, v36
	v_bfe_i32 v160, v36, 16, 8
	v_bfe_i32 v134, v36, 0, 8
	v_perm_b32 v132, v36, v36, 0xc030201
	ds_load_2addr_b32 v[20:21], v20 offset1:1
	ds_load_2addr_b32 v[35:36], v34 offset0:4 offset1:5
	ds_load_2addr_b32 v[24:25], v34 offset0:6 offset1:7
	;; [unrolled: 1-line block ×3, first 2 shown]
	ds_load_u16 v169, v37 offset:28402
	s_wait_alu 0xfffe
	v_add3_u32 v37, s24, v124, v125
	v_bfe_i32 v163, v163, 0, 8
	v_bfe_i32 v162, v162, 0, 8
	;; [unrolled: 1-line block ×4, first 2 shown]
	ds_load_b32 v165, v37
	v_add_nc_u32_e32 v37, 0x3190, v142
	ds_load_2addr_b32 v[37:38], v37 offset1:1
	ds_load_2addr_b32 v[166:167], v39 offset1:1
	v_bfe_i32 v154, v154, 0, 8
	v_bfe_i32 v153, v153, 0, 8
	;; [unrolled: 1-line block ×3, first 2 shown]
	s_wait_dscnt 0x7
	v_ashrrev_i32_e32 v205, s25, v20
	s_wait_dscnt 0x6
	v_ashrrev_i32_e32 v36, s20, v36
	v_ashrrev_i32_e32 v35, s20, v35
	s_wait_dscnt 0x5
	v_ashrrev_i32_e32 v24, s20, v24
	v_ashrrev_i32_e32 v25, s20, v25
	;; [unrolled: 1-line block ×3, first 2 shown]
	v_lshlrev_b32_e32 v36, 2, v36
	v_lshlrev_b32_e32 v35, 2, v35
	;; [unrolled: 1-line block ×4, first 2 shown]
	s_wait_dscnt 0x4
	v_ashrrev_i32_e32 v22, s20, v22
	v_and_b32_e32 v36, 0x4040404, v36
	v_and_b32_e32 v35, 0x4040404, v35
	;; [unrolled: 1-line block ×4, first 2 shown]
	s_wait_dscnt 0x1
	v_ashrrev_i32_e32 v38, s25, v38
	v_ashrrev_i32_e32 v37, s25, v37
	v_lshrrev_b32_e32 v168, 24, v36
	v_lshrrev_b32_e32 v170, 24, v35
	s_wait_dscnt 0x0
	v_ashrrev_i32_e32 v192, s25, v166
	v_bfe_u32 v39, v38, 24, 2
	v_and_b32_e32 v38, 0x3030303, v38
	v_ashrrev_i32_e32 v193, s25, v167
	v_ashrrev_i32_e32 v23, s20, v23
	v_and_b32_e32 v196, 0x3030303, v192
	v_sub_nc_u16 v39, v39, v168
	v_bfe_u32 v168, v37, 24, 2
	v_and_b32_e32 v37, 0x3030303, v37
	v_and_b32_e32 v197, 0x3030303, v193
	v_sub_nc_u16 v24, v196, v194
	v_bfe_i32 v39, v39, 0, 16
	v_sub_nc_u16 v168, v168, v170
	v_and_b32_e32 v209, 0x3030303, v205
	v_sub_nc_u16 v25, v197, v195
	v_bfe_i32 v24, v24, 0, 8
	v_mul_i32_i24_e32 v33, v39, v33
	v_bfe_i32 v39, v168, 0, 16
	v_and_b32_e32 v210, 0x3030303, v206
	v_bfe_i32 v25, v25, 0, 8
	v_mul_i32_i24_e32 v24, v24, v138
	v_lshrrev_b16 v216, 8, v194
	v_mad_i32_i24 v190, v39, v32, v33
	v_lshrrev_b32_e32 v32, 16, v38
	v_lshrrev_b32_e32 v33, 16, v36
	;; [unrolled: 1-line block ×3, first 2 shown]
	v_mul_i32_i24_e32 v25, v25, v134
	v_bfe_i32 v143, v143, 0, 8
	s_delay_alu instid0(VALU_DEP_4) | instskip(SKIP_1) | instid1(VALU_DEP_2)
	v_sub_nc_u16 v32, v32, v33
	v_lshrrev_b32_e32 v33, 16, v37
	v_bfe_i32 v32, v32, 0, 8
	s_delay_alu instid0(VALU_DEP_2) | instskip(NEXT) | instid1(VALU_DEP_2)
	v_sub_nc_u16 v33, v33, v39
	v_mul_i32_i24_e32 v31, v32, v31
	s_delay_alu instid0(VALU_DEP_2) | instskip(NEXT) | instid1(VALU_DEP_1)
	v_bfe_i32 v32, v33, 0, 8
	v_mad_i32_i24 v191, v32, v30, v31
	v_sub_nc_u16 v30, v38, v36
	v_sub_nc_u16 v31, v37, v35
	v_add3_u32 v32, s24, v120, v121
	v_lshrrev_b16 v35, 8, v35
	s_delay_alu instid0(VALU_DEP_4) | instskip(NEXT) | instid1(VALU_DEP_4)
	v_bfe_i32 v30, v30, 0, 8
	v_bfe_i32 v31, v31, 0, 8
	s_delay_alu instid0(VALU_DEP_2) | instskip(NEXT) | instid1(VALU_DEP_1)
	v_mul_i32_i24_e32 v30, v30, v144
	v_mad_i32_i24 v30, v31, v164, v30
	s_delay_alu instid0(VALU_DEP_1)
	v_add3_u32 v198, v30, v24, v25
	v_add_nc_u32_e32 v30, 0x3180, v142
	ds_load_2addr_b32 v[24:25], v34 offset1:1
	ds_load_2addr_b32 v[30:31], v30 offset1:1
	ds_load_b32 v166, v32
	s_wait_dscnt 0x2
	v_ashrrev_i32_e32 v25, s20, v25
	v_ashrrev_i32_e32 v24, s20, v24
	s_wait_dscnt 0x1
	v_ashrrev_i32_e32 v31, s25, v31
	v_ashrrev_i32_e32 v30, s25, v30
	v_lshlrev_b32_e32 v25, 2, v25
	v_lshlrev_b32_e32 v24, 2, v24
	s_delay_alu instid0(VALU_DEP_4) | instskip(NEXT) | instid1(VALU_DEP_4)
	v_and_b32_e32 v202, 0x3030303, v31
	v_and_b32_e32 v203, 0x3030303, v30
	s_delay_alu instid0(VALU_DEP_4) | instskip(NEXT) | instid1(VALU_DEP_4)
	v_and_b32_e32 v199, 0x4040404, v25
	v_and_b32_e32 v200, 0x4040404, v24
	v_bfe_u32 v25, v31, 24, 2
	v_bfe_u32 v24, v30, 24, 2
	s_delay_alu instid0(VALU_DEP_4) | instskip(NEXT) | instid1(VALU_DEP_4)
	v_sub_nc_u16 v20, v202, v199
	v_sub_nc_u16 v21, v203, v200
	v_lshrrev_b32_e32 v32, 24, v199
	s_delay_alu instid0(VALU_DEP_3) | instskip(NEXT) | instid1(VALU_DEP_3)
	v_bfe_i32 v20, v20, 0, 8
	v_bfe_i32 v21, v21, 0, 8
	s_delay_alu instid0(VALU_DEP_3) | instskip(SKIP_1) | instid1(VALU_DEP_4)
	v_sub_nc_u16 v25, v25, v32
	v_lshrrev_b32_e32 v32, 24, v200
	v_mul_i32_i24_e32 v20, v20, v145
	s_delay_alu instid0(VALU_DEP_3) | instskip(NEXT) | instid1(VALU_DEP_3)
	v_bfe_i32 v25, v25, 0, 16
	v_sub_nc_u16 v24, v24, v32
	s_delay_alu instid0(VALU_DEP_3) | instskip(SKIP_4) | instid1(VALU_DEP_4)
	v_mad_i32_i24 v20, v21, v158, v20
	v_lshlrev_b32_e32 v21, 2, v22
	v_lshlrev_b32_e32 v22, 2, v23
	v_mul_i32_i24_e32 v25, v25, v29
	v_bfe_i32 v24, v24, 0, 16
	v_and_b32_e32 v207, 0x4040404, v21
	s_delay_alu instid0(VALU_DEP_4) | instskip(NEXT) | instid1(VALU_DEP_3)
	v_and_b32_e32 v208, 0x4040404, v22
	v_mad_i32_i24 v201, v24, v28, v25
	v_lshrrev_b32_e32 v24, 16, v202
	s_delay_alu instid0(VALU_DEP_4) | instskip(NEXT) | instid1(VALU_DEP_4)
	v_sub_nc_u16 v21, v209, v207
	v_sub_nc_u16 v22, v210, v208
	v_lshrrev_b32_e32 v25, 16, v199
	v_lshrrev_b32_e32 v28, 16, v200
	v_lshrrev_b16 v200, 8, v200
	v_bfe_i32 v21, v21, 0, 8
	v_bfe_i32 v22, v22, 0, 8
	v_sub_nc_u16 v24, v24, v25
	v_lshrrev_b32_e32 v25, 16, v203
	v_lshrrev_b16 v203, 8, v203
	v_mul_i32_i24_e32 v21, v21, v139
	v_mul_i32_i24_e32 v22, v22, v135
	v_bfe_i32 v24, v24, 0, 8
	v_sub_nc_u16 v25, v25, v28
	v_lshrrev_b16 v202, 8, v202
	v_lshrrev_b16 v199, 8, v199
	v_add3_u32 v211, v20, v21, v22
	ds_load_2addr_b32 v[170:171], v182 offset0:4 offset1:5
	ds_load_2addr_b32 v[20:21], v182 offset0:6 offset1:7
	;; [unrolled: 1-line block ×3, first 2 shown]
	v_mul_i32_i24_e32 v24, v24, v27
	v_bfe_i32 v25, v25, 0, 8
	v_add_nc_u32_e32 v27, 0x1098, v142
	v_sub_nc_u16 v200, v203, v200
	v_sub_nc_u16 v199, v202, v199
	v_lshrrev_b16 v202, 8, v209
	v_mad_i32_i24 v204, v25, v26, v24
	v_lshrrev_b16 v203, 8, v207
	v_bfe_i32 v200, v200, 0, 16
	v_bfe_i32 v199, v199, 0, 16
	s_delay_alu instid0(VALU_DEP_3) | instskip(NEXT) | instid1(VALU_DEP_2)
	v_sub_nc_u16 v202, v202, v203
	v_mul_i32_i24_e32 v154, v199, v154
	s_wait_dscnt 0x2
	v_ashrrev_i32_e32 v22, s20, v170
	s_delay_alu instid0(VALU_DEP_3)
	v_bfe_i32 v199, v202, 0, 16
	s_wait_dscnt 0x0
	v_ashrrev_i32_e32 v28, s20, v28
	v_ashrrev_i32_e32 v20, s20, v20
	;; [unrolled: 1-line block ×3, first 2 shown]
	v_lshlrev_b32_e32 v22, 2, v22
	v_mul_i32_i24_e32 v153, v199, v153
	v_lshlrev_b32_e32 v28, 2, v28
	v_lshlrev_b32_e32 v20, 2, v20
	;; [unrolled: 1-line block ×3, first 2 shown]
	v_and_b32_e32 v170, 0x4040404, v22
	ds_load_2addr_b32 v[172:173], v142 offset0:4 offset1:5
	ds_load_2addr_b32 v[22:23], v142 offset0:6 offset1:7
	ds_load_2addr_b32 v[30:31], v142 offset0:2 offset1:3
	v_and_b32_e32 v28, 0x4040404, v28
	v_and_b32_e32 v20, 0x4040404, v20
	;; [unrolled: 1-line block ×3, first 2 shown]
	v_lshrrev_b16 v25, 8, v170
	s_wait_dscnt 0x2
	v_ashrrev_i32_e32 v172, s25, v172
	s_wait_dscnt 0x1
	v_ashrrev_i32_e32 v22, s25, v22
	;; [unrolled: 2-line block ×3, first 2 shown]
	v_ashrrev_i32_e32 v23, s25, v23
	v_and_b32_e32 v212, 0x3030303, v172
	s_delay_alu instid0(VALU_DEP_1) | instskip(NEXT) | instid1(VALU_DEP_1)
	v_lshrrev_b16 v24, 8, v212
	v_sub_nc_u16 v183, v24, v25
	v_add_nc_u32_e32 v24, s21, v98
	s_delay_alu instid0(VALU_DEP_2)
	v_lshlrev_b16 v183, 8, v183
	ds_load_u16 v168, v24 offset:26354
	v_add3_u32 v24, s24, v116, v117
	v_bfe_i32 v183, v183, 8, 8
	ds_load_b32 v167, v24
	ds_load_2addr_b32 v[174:175], v184 offset0:4 offset1:5
	ds_load_2addr_b32 v[24:25], v184 offset0:6 offset1:7
	;; [unrolled: 1-line block ×3, first 2 shown]
	s_wait_dscnt 0x2
	v_ashrrev_i32_e32 v26, s20, v174
	s_wait_dscnt 0x1
	v_ashrrev_i32_e32 v24, s20, v24
	;; [unrolled: 2-line block ×3, first 2 shown]
	v_ashrrev_i32_e32 v33, s20, v33
	v_ashrrev_i32_e32 v25, s20, v25
	v_lshlrev_b32_e32 v26, 2, v26
	v_lshlrev_b32_e32 v24, 2, v24
	;; [unrolled: 1-line block ×5, first 2 shown]
	v_and_b32_e32 v174, 0x4040404, v26
	v_add_nc_u32_e32 v26, 0x1090, v142
	ds_load_2addr_b32 v[176:177], v26 offset1:1
	ds_load_2addr_b32 v[26:27], v27 offset1:1
	v_lshrrev_b16 v39, 8, v174
	v_and_b32_e32 v32, 0x4040404, v32
	v_and_b32_e32 v24, 0x4040404, v24
	;; [unrolled: 1-line block ×4, first 2 shown]
	s_wait_dscnt 0x1
	v_ashrrev_i32_e32 v176, s25, v176
	s_wait_dscnt 0x0
	v_ashrrev_i32_e32 v26, s25, v26
	v_ashrrev_i32_e32 v27, s25, v27
	s_delay_alu instid0(VALU_DEP_3) | instskip(NEXT) | instid1(VALU_DEP_1)
	v_and_b32_e32 v213, 0x3030303, v176
	v_lshrrev_b16 v34, 8, v213
	v_sub_nc_u16 v217, v213, v174
	s_delay_alu instid0(VALU_DEP_2) | instskip(SKIP_1) | instid1(VALU_DEP_3)
	v_sub_nc_u16 v185, v34, v39
	v_lshrrev_b16 v34, 8, v37
	v_bfe_i32 v217, v217, 0, 8
	s_delay_alu instid0(VALU_DEP_2)
	v_sub_nc_u16 v186, v34, v35
	v_lshrrev_b16 v35, 8, v36
	ds_load_2addr_b32 v[178:179], v214 offset0:4 offset1:5
	ds_load_2addr_b32 v[36:37], v214 offset0:2 offset1:3
	v_lshrrev_b16 v34, 8, v38
	v_add_nc_u32_e32 v38, 0x2108, v142
	v_mul_i32_i24_e32 v217, v164, v217
	s_delay_alu instid0(VALU_DEP_3)
	v_sub_nc_u16 v187, v34, v35
	v_add_nc_u32_e32 v35, 0x2118, v142
	s_wait_dscnt 0x1
	v_ashrrev_i32_e32 v34, s20, v178
	s_wait_dscnt 0x0
	v_ashrrev_i32_e32 v36, s20, v36
	s_delay_alu instid0(VALU_DEP_2) | instskip(NEXT) | instid1(VALU_DEP_2)
	v_lshlrev_b32_e32 v34, 2, v34
	v_lshlrev_b32_e32 v36, 2, v36
	s_delay_alu instid0(VALU_DEP_2)
	v_and_b32_e32 v178, 0x4040404, v34
	v_add_nc_u32_e32 v34, 0x2110, v142
	ds_load_2addr_b32 v[180:181], v34 offset1:1
	ds_load_2addr_b32 v[34:35], v35 offset1:1
	;; [unrolled: 1-line block ×3, first 2 shown]
	v_lshrrev_b16 v189, 8, v178
	v_and_b32_e32 v36, 0x4040404, v36
	s_wait_dscnt 0x2
	v_ashrrev_i32_e32 v180, s25, v180
	s_wait_dscnt 0x1
	v_ashrrev_i32_e32 v34, s25, v34
	;; [unrolled: 2-line block ×3, first 2 shown]
	v_ashrrev_i32_e32 v35, s25, v35
	v_and_b32_e32 v215, 0x3030303, v180
	s_delay_alu instid0(VALU_DEP_1) | instskip(SKIP_1) | instid1(VALU_DEP_2)
	v_lshrrev_b16 v188, 8, v215
	v_sub_nc_u16 v218, v215, v178
	v_sub_nc_u16 v188, v188, v189
	v_lshrrev_b16 v189, 8, v196
	s_delay_alu instid0(VALU_DEP_3) | instskip(NEXT) | instid1(VALU_DEP_2)
	v_bfe_i32 v218, v218, 0, 8
	v_sub_nc_u16 v189, v189, v216
	v_sub_nc_u16 v216, v212, v170
	s_delay_alu instid0(VALU_DEP_1) | instskip(NEXT) | instid1(VALU_DEP_1)
	v_bfe_i32 v216, v216, 0, 8
	v_mul_i32_i24_e32 v216, v164, v216
	v_mul_i32_i24_e32 v164, v164, v218
	s_delay_alu instid0(VALU_DEP_2) | instskip(SKIP_2) | instid1(VALU_DEP_2)
	v_mad_i32_i24 v216, v163, v183, v216
	v_lshlrev_b16 v183, 8, v185
	v_add_nc_u32_e32 v185, 0x1080, v142
	v_bfe_i32 v183, v183, 8, 8
	s_delay_alu instid0(VALU_DEP_1) | instskip(SKIP_1) | instid1(VALU_DEP_1)
	v_mad_i32_i24 v217, v163, v183, v217
	v_lshlrev_b16 v183, 8, v188
	v_bfe_i32 v183, v183, 8, 8
	s_delay_alu instid0(VALU_DEP_1) | instskip(SKIP_1) | instid1(VALU_DEP_1)
	v_mad_i32_i24 v218, v163, v183, v164
	v_bfe_i32 v164, v186, 0, 16
	v_mul_i32_i24_e32 v163, v164, v163
	v_bfe_i32 v164, v187, 0, 16
	s_delay_alu instid0(VALU_DEP_1) | instskip(SKIP_1) | instid1(VALU_DEP_1)
	v_mul_i32_i24_e32 v162, v164, v162
	v_bfe_i32 v164, v189, 0, 16
	v_mul_i32_i24_e32 v161, v164, v161
	s_delay_alu instid0(VALU_DEP_1)
	v_add3_u32 v219, v163, v162, v161
	ds_load_2addr_b32 v[161:162], v182 offset1:1
	ds_load_2addr_b32 v[163:164], v142 offset1:1
	s_wait_dscnt 0x1
	v_ashrrev_i32_e32 v161, s20, v161
	s_wait_dscnt 0x0
	v_ashrrev_i32_e32 v163, s25, v163
	s_delay_alu instid0(VALU_DEP_2) | instskip(NEXT) | instid1(VALU_DEP_2)
	v_lshlrev_b32_e32 v161, 2, v161
	v_and_b32_e32 v221, 0x3030303, v163
	s_delay_alu instid0(VALU_DEP_2) | instskip(NEXT) | instid1(VALU_DEP_2)
	v_and_b32_e32 v220, 0x4040404, v161
	v_lshrrev_b16 v161, 8, v221
	s_delay_alu instid0(VALU_DEP_2) | instskip(SKIP_1) | instid1(VALU_DEP_2)
	v_lshrrev_b16 v182, 8, v220
	v_sub_nc_u16 v203, v221, v220
	v_sub_nc_u16 v222, v161, v182
	v_add3_u32 v161, s24, v127, v128
	s_delay_alu instid0(VALU_DEP_3) | instskip(NEXT) | instid1(VALU_DEP_3)
	v_bfe_i32 v203, v203, 0, 8
	v_lshlrev_b16 v222, 8, v222
	ds_load_b32 v161, v161
	ds_load_2addr_b32 v[182:183], v184 offset1:1
	ds_load_2addr_b32 v[184:185], v185 offset1:1
	v_mul_i32_i24_e32 v203, v158, v203
	v_bfe_i32 v222, v222, 8, 8
	s_delay_alu instid0(VALU_DEP_1) | instskip(SKIP_4) | instid1(VALU_DEP_2)
	v_mad_i32_i24 v203, v157, v222, v203
	s_wait_dscnt 0x1
	v_ashrrev_i32_e32 v182, s20, v182
	s_wait_dscnt 0x0
	v_ashrrev_i32_e32 v184, s25, v184
	v_lshlrev_b32_e32 v182, 2, v182
	s_delay_alu instid0(VALU_DEP_2) | instskip(NEXT) | instid1(VALU_DEP_2)
	v_and_b32_e32 v223, 0x3030303, v184
	v_and_b32_e32 v182, 0x4040404, v182
	s_delay_alu instid0(VALU_DEP_2) | instskip(NEXT) | instid1(VALU_DEP_2)
	v_lshrrev_b16 v186, 8, v223
	v_lshrrev_b16 v187, 8, v182
	s_delay_alu instid0(VALU_DEP_1) | instskip(SKIP_4) | instid1(VALU_DEP_1)
	v_sub_nc_u16 v224, v186, v187
	v_add_nc_u32_e32 v186, 0x2100, v142
	ds_load_2addr_b32 v[186:187], v186 offset1:1
	ds_load_2addr_b32 v[188:189], v214 offset1:1
	v_lshlrev_b16 v222, 8, v224
	v_bfe_i32 v222, v222, 8, 8
	s_wait_dscnt 0x1
	v_ashrrev_i32_e32 v186, s25, v186
	s_wait_dscnt 0x0
	v_ashrrev_i32_e32 v188, s20, v188
	s_delay_alu instid0(VALU_DEP_2) | instskip(NEXT) | instid1(VALU_DEP_2)
	v_and_b32_e32 v225, 0x3030303, v186
	v_lshlrev_b32_e32 v188, 2, v188
	s_delay_alu instid0(VALU_DEP_2) | instskip(NEXT) | instid1(VALU_DEP_2)
	v_lshrrev_b16 v226, 8, v225
	v_and_b32_e32 v188, 0x4040404, v188
	s_delay_alu instid0(VALU_DEP_1) | instskip(SKIP_1) | instid1(VALU_DEP_2)
	v_lshrrev_b16 v227, 8, v188
	v_sub_nc_u16 v228, v225, v188
	v_sub_nc_u16 v226, v226, v227
	v_sub_nc_u16 v227, v223, v182
	s_delay_alu instid0(VALU_DEP_3) | instskip(NEXT) | instid1(VALU_DEP_3)
	v_bfe_i32 v228, v228, 0, 8
	v_lshlrev_b16 v224, 8, v226
	s_delay_alu instid0(VALU_DEP_3) | instskip(NEXT) | instid1(VALU_DEP_2)
	v_bfe_i32 v227, v227, 0, 8
	v_bfe_i32 v224, v224, 8, 8
	s_delay_alu instid0(VALU_DEP_2) | instskip(SKIP_1) | instid1(VALU_DEP_2)
	v_mul_i32_i24_e32 v227, v158, v227
	v_mul_i32_i24_e32 v158, v158, v228
	v_mad_i32_i24 v222, v157, v222, v227
	s_delay_alu instid0(VALU_DEP_2) | instskip(SKIP_1) | instid1(VALU_DEP_1)
	v_mad_i32_i24 v158, v157, v224, v158
	v_mul_i32_i24_e32 v157, v200, v157
	v_add3_u32 v153, v157, v154, v153
	v_lshrrev_b32_e32 v154, 16, v196
	v_lshrrev_b32_e32 v157, 16, v194
	;; [unrolled: 1-line block ×3, first 2 shown]
	s_delay_alu instid0(VALU_DEP_2) | instskip(SKIP_1) | instid1(VALU_DEP_2)
	v_sub_nc_u16 v154, v154, v157
	v_lshrrev_b32_e32 v157, 16, v197
	v_bfe_i32 v154, v154, 0, 8
	s_delay_alu instid0(VALU_DEP_2) | instskip(NEXT) | instid1(VALU_DEP_2)
	v_sub_nc_u16 v157, v157, v196
	v_mul_i32_i24_e32 v154, v154, v159
	s_delay_alu instid0(VALU_DEP_2) | instskip(SKIP_1) | instid1(VALU_DEP_2)
	v_bfe_i32 v157, v157, 0, 8
	v_lshrrev_b32_e32 v159, 24, v194
	v_mul_i32_i24_e32 v157, v157, v160
	v_lshrrev_b32_e32 v160, 24, v195
	s_delay_alu instid0(VALU_DEP_2) | instskip(SKIP_1) | instid1(VALU_DEP_1)
	v_add3_u32 v154, v191, v154, v157
	v_bfe_u32 v157, v192, 24, 2
	v_sub_nc_u16 v157, v157, v159
	v_bfe_u32 v159, v193, 24, 2
	s_delay_alu instid0(VALU_DEP_2) | instskip(NEXT) | instid1(VALU_DEP_2)
	v_bfe_i32 v157, v157, 0, 16
	v_sub_nc_u16 v159, v159, v160
	v_lshrrev_b32_e32 v160, 24, v182
	s_delay_alu instid0(VALU_DEP_3) | instskip(NEXT) | instid1(VALU_DEP_3)
	v_mul_i32_i24_e32 v155, v157, v155
	v_bfe_i32 v157, v159, 0, 16
	v_lshrrev_b32_e32 v159, 16, v220
	s_delay_alu instid0(VALU_DEP_2) | instskip(SKIP_1) | instid1(VALU_DEP_2)
	v_mul_i32_i24_e32 v156, v157, v156
	v_lshrrev_b32_e32 v157, 24, v220
	v_add3_u32 v155, v190, v155, v156
	v_bfe_u32 v156, v163, 24, 2
	v_lshrrev_b32_e32 v163, 16, v182
	v_lshrrev_b32_e32 v182, 24, v188
	s_delay_alu instid0(VALU_DEP_3) | instskip(SKIP_1) | instid1(VALU_DEP_2)
	v_sub_nc_u16 v156, v156, v157
	v_lshrrev_b32_e32 v157, 16, v221
	v_lshlrev_b16 v156, 8, v156
	s_delay_alu instid0(VALU_DEP_2) | instskip(SKIP_2) | instid1(VALU_DEP_2)
	v_sub_nc_u16 v157, v157, v159
	v_bfe_u32 v159, v184, 24, 2
	v_lshrrev_b32_e32 v184, 16, v188
	v_sub_nc_u16 v159, v159, v160
	v_lshrrev_b32_e32 v160, 16, v223
	s_delay_alu instid0(VALU_DEP_2) | instskip(NEXT) | instid1(VALU_DEP_2)
	v_lshlrev_b16 v159, 8, v159
	v_sub_nc_u16 v160, v160, v163
	v_bfe_u32 v163, v186, 24, 2
	s_delay_alu instid0(VALU_DEP_1) | instskip(SKIP_1) | instid1(VALU_DEP_2)
	v_sub_nc_u16 v163, v163, v182
	v_lshrrev_b32_e32 v182, 16, v225
	v_lshlrev_b16 v163, 8, v163
	s_delay_alu instid0(VALU_DEP_2) | instskip(SKIP_1) | instid1(VALU_DEP_1)
	v_sub_nc_u16 v182, v182, v184
	v_and_b32_e32 v184, 0xff, v157
	v_or_b32_e32 v156, v184, v156
	v_and_b32_e32 v184, 0xff, v160
	s_delay_alu instid0(VALU_DEP_2) | instskip(NEXT) | instid1(VALU_DEP_2)
	v_perm_b32 v156, v156, v157, 0xc0c0500
	v_or_b32_e32 v159, v184, v159
	v_and_b32_e32 v184, 0xff, v182
	s_delay_alu instid0(VALU_DEP_3) | instskip(NEXT) | instid1(VALU_DEP_3)
	v_dot4_i32_iu8 v156, v151, v156, v203 neg_lo:[1,1,0]
	v_perm_b32 v157, v159, v160, 0xc0c0500
	s_delay_alu instid0(VALU_DEP_3) | instskip(SKIP_1) | instid1(VALU_DEP_3)
	v_or_b32_e32 v163, v184, v163
	v_lshrrev_b32_e32 v160, 16, v208
	v_dot4_i32_iu8 v157, v151, v157, v222 neg_lo:[1,1,0]
	s_delay_alu instid0(VALU_DEP_3) | instskip(SKIP_1) | instid1(VALU_DEP_2)
	v_perm_b32 v159, v163, v182, 0xc0c0500
	v_lshrrev_b32_e32 v163, 24, v178
	v_dot4_i32_iu8 v151, v151, v159, v158 neg_lo:[1,1,0]
	v_lshrrev_b32_e32 v158, 16, v209
	v_lshrrev_b32_e32 v159, 16, v207
	s_delay_alu instid0(VALU_DEP_1) | instskip(SKIP_1) | instid1(VALU_DEP_2)
	v_sub_nc_u16 v158, v158, v159
	v_lshrrev_b32_e32 v159, 16, v210
	v_bfe_i32 v158, v158, 0, 8
	s_delay_alu instid0(VALU_DEP_2) | instskip(SKIP_1) | instid1(VALU_DEP_3)
	v_sub_nc_u16 v159, v159, v160
	v_lshrrev_b32_e32 v160, 16, v174
	v_mul_i32_i24_e32 v150, v158, v150
	s_delay_alu instid0(VALU_DEP_3) | instskip(SKIP_1) | instid1(VALU_DEP_2)
	v_bfe_i32 v158, v159, 0, 8
	v_lshrrev_b32_e32 v159, 24, v208
	v_mul_i32_i24_e32 v152, v158, v152
	v_lshrrev_b32_e32 v158, 24, v207
	s_delay_alu instid0(VALU_DEP_2) | instskip(SKIP_1) | instid1(VALU_DEP_1)
	v_add3_u32 v150, v204, v150, v152
	v_bfe_u32 v152, v205, 24, 2
	v_sub_nc_u16 v152, v152, v158
	v_bfe_u32 v158, v206, 24, 2
	s_delay_alu instid0(VALU_DEP_2) | instskip(NEXT) | instid1(VALU_DEP_2)
	v_bfe_i32 v152, v152, 0, 16
	v_sub_nc_u16 v158, v158, v159
	v_lshrrev_b32_e32 v159, 24, v174
	s_delay_alu instid0(VALU_DEP_3) | instskip(NEXT) | instid1(VALU_DEP_3)
	v_mul_i32_i24_e32 v148, v152, v148
	v_bfe_i32 v152, v158, 0, 16
	v_lshrrev_b32_e32 v158, 16, v170
	s_delay_alu instid0(VALU_DEP_2) | instskip(SKIP_2) | instid1(VALU_DEP_3)
	v_mul_i32_i24_e32 v149, v152, v149
	v_lshrrev_b32_e32 v152, 24, v170
	v_lshrrev_b32_e32 v170, 16, v178
	v_add3_u32 v148, v201, v148, v149
	v_bfe_u32 v149, v172, 24, 2
	s_delay_alu instid0(VALU_DEP_1) | instskip(SKIP_1) | instid1(VALU_DEP_2)
	v_sub_nc_u16 v149, v149, v152
	v_lshrrev_b32_e32 v152, 16, v212
	v_lshlrev_b16 v149, 8, v149
	s_delay_alu instid0(VALU_DEP_2) | instskip(SKIP_1) | instid1(VALU_DEP_1)
	v_sub_nc_u16 v152, v152, v158
	v_bfe_u32 v158, v176, 24, 2
	v_sub_nc_u16 v158, v158, v159
	v_lshrrev_b32_e32 v159, 16, v213
	s_delay_alu instid0(VALU_DEP_2) | instskip(NEXT) | instid1(VALU_DEP_2)
	v_lshlrev_b16 v158, 8, v158
	v_sub_nc_u16 v159, v159, v160
	v_bfe_u32 v160, v180, 24, 2
	s_delay_alu instid0(VALU_DEP_1) | instskip(SKIP_1) | instid1(VALU_DEP_2)
	v_sub_nc_u16 v160, v160, v163
	v_lshrrev_b32_e32 v163, 16, v215
	v_lshlrev_b16 v160, 8, v160
	s_delay_alu instid0(VALU_DEP_2) | instskip(SKIP_1) | instid1(VALU_DEP_1)
	v_sub_nc_u16 v163, v163, v170
	v_and_b32_e32 v170, 0xff, v152
	v_or_b32_e32 v149, v170, v149
	v_and_b32_e32 v170, 0xff, v159
	s_delay_alu instid0(VALU_DEP_2) | instskip(NEXT) | instid1(VALU_DEP_2)
	v_perm_b32 v149, v149, v152, 0xc0c0500
	v_or_b32_e32 v158, v170, v158
	v_and_b32_e32 v170, 0xff, v163
	s_delay_alu instid0(VALU_DEP_3) | instskip(NEXT) | instid1(VALU_DEP_3)
	v_dot4_i32_iu8 v149, v147, v149, v216 neg_lo:[1,1,0]
	v_perm_b32 v152, v158, v159, 0xc0c0500
	s_delay_alu instid0(VALU_DEP_3) | instskip(SKIP_1) | instid1(VALU_DEP_3)
	v_or_b32_e32 v160, v170, v160
	v_lshrrev_b16 v159, 8, v195
	v_dot4_i32_iu8 v152, v147, v152, v217 neg_lo:[1,1,0]
	s_delay_alu instid0(VALU_DEP_3) | instskip(SKIP_2) | instid1(VALU_DEP_3)
	v_perm_b32 v158, v160, v163, 0xc0c0500
	v_ashrrev_i32_e32 v160, s20, v189
	v_ashrrev_i32_e32 v163, s25, v187
	v_dot4_i32_iu8 v147, v147, v158, v218 neg_lo:[1,1,0]
	v_lshrrev_b16 v158, 8, v197
	s_delay_alu instid0(VALU_DEP_4) | instskip(NEXT) | instid1(VALU_DEP_2)
	v_lshlrev_b32_e32 v160, 2, v160
	v_sub_nc_u16 v158, v158, v159
	v_ashrrev_i32_e32 v159, s20, v183
	s_delay_alu instid0(VALU_DEP_3) | instskip(NEXT) | instid1(VALU_DEP_3)
	v_and_b32_e32 v160, 0x4040404, v160
	v_bfe_i32 v158, v158, 0, 16
	s_delay_alu instid0(VALU_DEP_3) | instskip(NEXT) | instid1(VALU_DEP_2)
	v_lshlrev_b32_e32 v159, 2, v159
	v_mul_i32_i24_e32 v146, v158, v146
	v_ashrrev_i32_e32 v158, s20, v162
	v_ashrrev_i32_e32 v162, s25, v185
	s_delay_alu instid0(VALU_DEP_4) | instskip(NEXT) | instid1(VALU_DEP_4)
	v_and_b32_e32 v159, 0x4040404, v159
	v_add3_u32 v146, v219, v146, v155
	v_ashrrev_i32_e32 v155, s25, v164
	v_lshlrev_b32_e32 v158, 2, v158
	s_delay_alu instid0(VALU_DEP_3) | instskip(NEXT) | instid1(VALU_DEP_3)
	v_add3_u32 v146, v198, v154, v146
	v_and_b32_e32 v164, 0x3030303, v155
	s_delay_alu instid0(VALU_DEP_3) | instskip(NEXT) | instid1(VALU_DEP_1)
	v_and_b32_e32 v158, 0x4040404, v158
	v_sub_nc_u16 v170, v164, v158
	v_lshrrev_b32_e32 v154, 24, v158
	s_delay_alu instid0(VALU_DEP_2) | instskip(NEXT) | instid1(VALU_DEP_1)
	v_bfe_i32 v170, v170, 0, 8
	v_mad_i32_i24 v156, v145, v170, v156
	v_and_b32_e32 v170, 0x3030303, v162
	s_delay_alu instid0(VALU_DEP_1) | instskip(NEXT) | instid1(VALU_DEP_1)
	v_sub_nc_u16 v172, v170, v159
	v_bfe_i32 v172, v172, 0, 8
	s_delay_alu instid0(VALU_DEP_1) | instskip(SKIP_2) | instid1(VALU_DEP_2)
	v_mad_i32_i24 v157, v145, v172, v157
	v_and_b32_e32 v172, 0x3030303, v163
	v_bfe_u32 v163, v163, 24, 2
	v_sub_nc_u16 v174, v172, v160
	s_delay_alu instid0(VALU_DEP_1) | instskip(NEXT) | instid1(VALU_DEP_1)
	v_bfe_i32 v174, v174, 0, 8
	v_mad_i32_i24 v145, v145, v174, v151
	v_lshrrev_b16 v151, 8, v210
	v_lshrrev_b16 v174, 8, v208
	s_delay_alu instid0(VALU_DEP_1) | instskip(SKIP_1) | instid1(VALU_DEP_2)
	v_sub_nc_u16 v151, v151, v174
	v_ashrrev_i32_e32 v174, s25, v181
	v_bfe_i32 v151, v151, 0, 16
	s_delay_alu instid0(VALU_DEP_1) | instskip(SKIP_2) | instid1(VALU_DEP_3)
	v_mul_i32_i24_e32 v143, v151, v143
	v_ashrrev_i32_e32 v151, s20, v171
	v_ashrrev_i32_e32 v171, s20, v179
	v_add3_u32 v143, v153, v143, v148
	v_ashrrev_i32_e32 v148, s25, v173
	s_delay_alu instid0(VALU_DEP_4)
	v_lshlrev_b32_e32 v151, 2, v151
	v_ashrrev_i32_e32 v153, s20, v175
	v_ashrrev_i32_e32 v173, s25, v177
	v_lshlrev_b32_e32 v171, 2, v171
	v_and_b32_e32 v175, 0x3030303, v148
	v_and_b32_e32 v151, 0x4040404, v151
	v_lshlrev_b32_e32 v153, 2, v153
	v_add3_u32 v150, v211, v150, v143
	v_and_b32_e32 v171, 0x4040404, v171
	s_delay_alu instid0(VALU_DEP_4) | instskip(NEXT) | instid1(VALU_DEP_4)
	v_sub_nc_u16 v176, v175, v151
	v_and_b32_e32 v153, 0x4040404, v153
	v_lshrrev_b32_e32 v143, 24, v151
	s_delay_alu instid0(VALU_DEP_3) | instskip(NEXT) | instid1(VALU_DEP_1)
	v_bfe_i32 v176, v176, 0, 8
	v_mad_i32_i24 v149, v144, v176, v149
	v_and_b32_e32 v176, 0x3030303, v173
	s_delay_alu instid0(VALU_DEP_1) | instskip(NEXT) | instid1(VALU_DEP_1)
	v_sub_nc_u16 v177, v176, v153
	v_bfe_i32 v177, v177, 0, 8
	s_delay_alu instid0(VALU_DEP_1) | instskip(SKIP_1) | instid1(VALU_DEP_1)
	v_mad_i32_i24 v152, v144, v177, v152
	v_and_b32_e32 v177, 0x3030303, v174
	v_sub_nc_u16 v178, v177, v171
	s_delay_alu instid0(VALU_DEP_1) | instskip(NEXT) | instid1(VALU_DEP_1)
	v_bfe_i32 v178, v178, 0, 8
	v_mad_i32_i24 v144, v144, v178, v147
	v_bfe_u32 v147, v155, 24, 2
	v_lshrrev_b32_e32 v155, 16, v158
	v_lshrrev_b16 v158, 8, v158
	s_delay_alu instid0(VALU_DEP_3) | instskip(SKIP_1) | instid1(VALU_DEP_2)
	v_sub_nc_u16 v147, v147, v154
	v_lshrrev_b32_e32 v154, 16, v164
	v_lshlrev_b16 v147, 8, v147
	s_delay_alu instid0(VALU_DEP_2) | instskip(SKIP_2) | instid1(VALU_DEP_2)
	v_sub_nc_u16 v154, v154, v155
	v_lshrrev_b16 v155, 8, v164
	v_lshrrev_b32_e32 v164, 16, v159
	v_sub_nc_u16 v155, v155, v158
	v_bfe_u32 v158, v162, 24, 2
	v_lshrrev_b32_e32 v162, 24, v159
	v_lshrrev_b16 v159, 8, v159
	s_delay_alu instid0(VALU_DEP_4) | instskip(NEXT) | instid1(VALU_DEP_3)
	v_lshlrev_b16 v155, 8, v155
	v_sub_nc_u16 v158, v158, v162
	v_lshrrev_b32_e32 v162, 16, v170
	s_delay_alu instid0(VALU_DEP_3) | instskip(NEXT) | instid1(VALU_DEP_3)
	v_perm_b32 v155, v155, v155, 0xc0c0c01
	v_lshlrev_b16 v158, 8, v158
	s_delay_alu instid0(VALU_DEP_3) | instskip(SKIP_2) | instid1(VALU_DEP_2)
	v_sub_nc_u16 v162, v162, v164
	v_lshrrev_b16 v164, 8, v170
	v_lshrrev_b32_e32 v170, 16, v160
	v_sub_nc_u16 v159, v164, v159
	v_lshrrev_b32_e32 v164, 24, v160
	v_lshrrev_b16 v160, 8, v160
	s_delay_alu instid0(VALU_DEP_2) | instskip(SKIP_1) | instid1(VALU_DEP_2)
	v_sub_nc_u16 v163, v163, v164
	v_lshrrev_b32_e32 v164, 16, v172
	v_lshlrev_b16 v163, 8, v163
	s_delay_alu instid0(VALU_DEP_2) | instskip(SKIP_1) | instid1(VALU_DEP_1)
	v_sub_nc_u16 v164, v164, v170
	v_lshrrev_b16 v170, 8, v172
	v_sub_nc_u16 v160, v170, v160
	v_and_b32_e32 v170, 0xff, v154
	s_delay_alu instid0(VALU_DEP_1) | instskip(SKIP_1) | instid1(VALU_DEP_2)
	v_or_b32_e32 v147, v170, v147
	v_and_b32_e32 v170, 0xff, v162
	v_perm_b32 v147, v147, v154, 0xc05000c
	s_delay_alu instid0(VALU_DEP_2) | instskip(SKIP_1) | instid1(VALU_DEP_3)
	v_or_b32_e32 v158, v170, v158
	v_and_b32_e32 v170, 0xff, v164
	v_or_b32_e32 v147, v147, v155
	v_lshlrev_b16 v155, 8, v159
	s_delay_alu instid0(VALU_DEP_4) | instskip(NEXT) | instid1(VALU_DEP_4)
	v_perm_b32 v154, v158, v162, 0xc05000c
	v_or_b32_e32 v163, v170, v163
	v_lshrrev_b16 v159, 8, v171
	v_dot4_i32_iu8 v147, v141, v147, v156 neg_lo:[1,1,0]
	v_perm_b32 v155, v155, v155, 0xc0c0c01
	v_lshrrev_b32_e32 v156, 16, v153
	v_perm_b32 v158, v163, v164, 0xc05000c
	s_delay_alu instid0(VALU_DEP_3) | instskip(SKIP_1) | instid1(VALU_DEP_2)
	v_or_b32_e32 v154, v154, v155
	v_lshlrev_b16 v155, 8, v160
	v_dot4_i32_iu8 v154, v141, v154, v157 neg_lo:[1,1,0]
	s_delay_alu instid0(VALU_DEP_2) | instskip(SKIP_1) | instid1(VALU_DEP_2)
	v_perm_b32 v155, v155, v155, 0xc0c0c01
	v_lshrrev_b32_e32 v157, 24, v171
	v_or_b32_e32 v155, v158, v155
	v_lshrrev_b32_e32 v158, 16, v171
	s_delay_alu instid0(VALU_DEP_2)
	v_dot4_i32_iu8 v145, v141, v155, v145 neg_lo:[1,1,0]
	v_bfe_u32 v141, v148, 24, 2
	v_lshrrev_b32_e32 v148, 16, v151
	v_lshrrev_b16 v151, 8, v151
	v_lshrrev_b32_e32 v155, 24, v153
	v_lshrrev_b16 v153, 8, v153
	v_sub_nc_u16 v141, v141, v143
	v_lshrrev_b32_e32 v143, 16, v175
	s_delay_alu instid0(VALU_DEP_2) | instskip(NEXT) | instid1(VALU_DEP_2)
	v_lshlrev_b16 v141, 8, v141
	v_sub_nc_u16 v143, v143, v148
	v_lshrrev_b16 v148, 8, v175
	s_delay_alu instid0(VALU_DEP_1) | instskip(SKIP_1) | instid1(VALU_DEP_2)
	v_sub_nc_u16 v148, v148, v151
	v_bfe_u32 v151, v173, 24, 2
	v_lshlrev_b16 v148, 8, v148
	s_delay_alu instid0(VALU_DEP_2) | instskip(SKIP_1) | instid1(VALU_DEP_3)
	v_sub_nc_u16 v151, v151, v155
	v_lshrrev_b32_e32 v155, 16, v176
	v_perm_b32 v148, v148, v148, 0xc0c0c01
	s_delay_alu instid0(VALU_DEP_3) | instskip(NEXT) | instid1(VALU_DEP_3)
	v_lshlrev_b16 v151, 8, v151
	v_sub_nc_u16 v155, v155, v156
	v_lshrrev_b16 v156, 8, v176
	s_delay_alu instid0(VALU_DEP_1) | instskip(SKIP_1) | instid1(VALU_DEP_1)
	v_sub_nc_u16 v153, v156, v153
	v_bfe_u32 v156, v174, 24, 2
	v_sub_nc_u16 v156, v156, v157
	v_lshrrev_b32_e32 v157, 16, v177
	s_delay_alu instid0(VALU_DEP_2) | instskip(NEXT) | instid1(VALU_DEP_2)
	v_lshlrev_b16 v156, 8, v156
	v_sub_nc_u16 v157, v157, v158
	v_lshrrev_b16 v158, 8, v177
	s_delay_alu instid0(VALU_DEP_1) | instskip(SKIP_1) | instid1(VALU_DEP_1)
	v_sub_nc_u16 v158, v158, v159
	v_and_b32_e32 v159, 0xff, v143
	v_or_b32_e32 v141, v159, v141
	v_and_b32_e32 v159, 0xff, v155
	s_delay_alu instid0(VALU_DEP_2) | instskip(NEXT) | instid1(VALU_DEP_2)
	v_perm_b32 v141, v141, v143, 0xc05000c
	v_or_b32_e32 v151, v159, v151
	v_and_b32_e32 v159, 0xff, v157
	s_delay_alu instid0(VALU_DEP_3) | instskip(SKIP_1) | instid1(VALU_DEP_4)
	v_or_b32_e32 v141, v141, v148
	v_lshlrev_b16 v148, 8, v153
	v_perm_b32 v143, v151, v155, 0xc05000c
	s_delay_alu instid0(VALU_DEP_4) | instskip(NEXT) | instid1(VALU_DEP_4)
	v_or_b32_e32 v156, v159, v156
	v_dot4_i32_iu8 v149, v140, v141, v149 neg_lo:[1,1,0]
	s_delay_alu instid0(VALU_DEP_4) | instskip(NEXT) | instid1(VALU_DEP_3)
	v_perm_b32 v148, v148, v148, 0xc0c0c01
	v_perm_b32 v151, v156, v157, 0xc05000c
	s_delay_alu instid0(VALU_DEP_2) | instskip(SKIP_1) | instid1(VALU_DEP_1)
	v_or_b32_e32 v143, v143, v148
	v_lshlrev_b16 v148, 8, v158
	v_perm_b32 v148, v148, v148, 0xc0c0c01
	s_delay_alu instid0(VALU_DEP_1) | instskip(NEXT) | instid1(VALU_DEP_4)
	v_or_b32_e32 v148, v151, v148
	v_dot4_i32_iu8 v151, v140, v143, v152 neg_lo:[1,1,0]
	s_delay_alu instid0(VALU_DEP_2) | instskip(SKIP_2) | instid1(VALU_DEP_2)
	v_dot4_i32_iu8 v144, v140, v148, v144 neg_lo:[1,1,0]
	v_and_b32_e32 v148, 0x3030303, v30
	v_bfe_u32 v30, v30, 24, 2
	v_sub_nc_u16 v140, v148, v28
	s_delay_alu instid0(VALU_DEP_1) | instskip(NEXT) | instid1(VALU_DEP_1)
	v_bfe_i32 v140, v140, 0, 8
	v_mad_i32_i24 v147, v139, v140, v147
	v_add_nc_u32_e32 v140, 0x1088, v142
	ds_load_2addr_b32 v[140:141], v140 offset1:1
	s_wait_dscnt 0x0
	v_ashrrev_i32_e32 v140, s25, v140
	s_delay_alu instid0(VALU_DEP_1) | instskip(SKIP_1) | instid1(VALU_DEP_2)
	v_and_b32_e32 v152, 0x3030303, v140
	v_bfe_u32 v140, v140, 24, 2
	v_sub_nc_u16 v142, v152, v32
	s_delay_alu instid0(VALU_DEP_1) | instskip(NEXT) | instid1(VALU_DEP_1)
	v_bfe_i32 v142, v142, 0, 8
	v_mad_i32_i24 v153, v139, v142, v154
	v_and_b32_e32 v154, 0x3030303, v38
	ds_load_2addr_b32 v[142:143], v214 offset0:6 offset1:7
	v_bfe_u32 v38, v38, 24, 2
	v_sub_nc_u16 v155, v154, v36
	s_delay_alu instid0(VALU_DEP_1) | instskip(NEXT) | instid1(VALU_DEP_1)
	v_bfe_i32 v155, v155, 0, 8
	v_mad_i32_i24 v139, v139, v155, v145
	v_and_b32_e32 v145, 0x3030303, v22
	v_bfe_u32 v22, v22, 24, 2
	s_delay_alu instid0(VALU_DEP_2) | instskip(SKIP_2) | instid1(VALU_DEP_2)
	v_sub_nc_u16 v155, v145, v20
	s_wait_dscnt 0x0
	v_ashrrev_i32_e32 v142, s20, v142
	v_bfe_i32 v155, v155, 0, 8
	s_delay_alu instid0(VALU_DEP_2) | instskip(NEXT) | instid1(VALU_DEP_2)
	v_lshlrev_b32_e32 v142, 2, v142
	v_mad_i32_i24 v149, v138, v155, v149
	v_and_b32_e32 v155, 0x3030303, v26
	s_delay_alu instid0(VALU_DEP_3) | instskip(SKIP_1) | instid1(VALU_DEP_3)
	v_and_b32_e32 v142, 0x4040404, v142
	v_bfe_u32 v26, v26, 24, 2
	v_sub_nc_u16 v156, v155, v24
	s_delay_alu instid0(VALU_DEP_1) | instskip(NEXT) | instid1(VALU_DEP_1)
	v_bfe_i32 v156, v156, 0, 8
	v_mad_i32_i24 v151, v138, v156, v151
	v_and_b32_e32 v156, 0x3030303, v34
	v_bfe_u32 v34, v34, 24, 2
	s_delay_alu instid0(VALU_DEP_2) | instskip(NEXT) | instid1(VALU_DEP_1)
	v_sub_nc_u16 v157, v156, v142
	v_bfe_i32 v157, v157, 0, 8
	s_delay_alu instid0(VALU_DEP_1) | instskip(SKIP_3) | instid1(VALU_DEP_3)
	v_mad_i32_i24 v138, v138, v157, v144
	v_lshrrev_b32_e32 v144, 24, v28
	v_lshrrev_b32_e32 v157, 16, v28
	v_lshrrev_b16 v28, 8, v28
	v_sub_nc_u16 v30, v30, v144
	v_lshrrev_b32_e32 v144, 16, v148
	v_lshrrev_b16 v148, 8, v148
	s_delay_alu instid0(VALU_DEP_3) | instskip(NEXT) | instid1(VALU_DEP_3)
	v_lshlrev_b16 v30, 8, v30
	v_sub_nc_u16 v144, v144, v157
	s_delay_alu instid0(VALU_DEP_3) | instskip(SKIP_3) | instid1(VALU_DEP_4)
	v_sub_nc_u16 v28, v148, v28
	v_lshrrev_b32_e32 v148, 24, v36
	v_lshrrev_b32_e32 v157, 16, v36
	v_lshrrev_b16 v36, 8, v36
	v_lshlrev_b16 v28, 8, v28
	s_delay_alu instid0(VALU_DEP_4) | instskip(SKIP_2) | instid1(VALU_DEP_4)
	v_sub_nc_u16 v38, v38, v148
	v_lshrrev_b32_e32 v148, 16, v154
	v_lshrrev_b16 v154, 8, v154
	v_perm_b32 v28, v28, v28, 0xc0c0c01
	s_delay_alu instid0(VALU_DEP_4) | instskip(NEXT) | instid1(VALU_DEP_4)
	v_lshlrev_b16 v38, 8, v38
	v_sub_nc_u16 v148, v148, v157
	s_delay_alu instid0(VALU_DEP_4) | instskip(SKIP_3) | instid1(VALU_DEP_3)
	v_sub_nc_u16 v36, v154, v36
	v_lshrrev_b32_e32 v154, 24, v32
	v_lshrrev_b32_e32 v157, 16, v32
	v_lshrrev_b16 v32, 8, v32
	v_sub_nc_u16 v140, v140, v154
	v_lshrrev_b32_e32 v154, 16, v152
	v_lshrrev_b16 v152, 8, v152
	s_delay_alu instid0(VALU_DEP_3) | instskip(NEXT) | instid1(VALU_DEP_3)
	v_lshlrev_b16 v140, 8, v140
	v_sub_nc_u16 v154, v154, v157
	s_delay_alu instid0(VALU_DEP_3) | instskip(SKIP_1) | instid1(VALU_DEP_2)
	v_sub_nc_u16 v32, v152, v32
	v_and_b32_e32 v152, 0xff, v144
	v_lshlrev_b16 v32, 8, v32
	s_delay_alu instid0(VALU_DEP_2) | instskip(SKIP_1) | instid1(VALU_DEP_3)
	v_or_b32_e32 v30, v152, v30
	v_and_b32_e32 v152, 0xff, v148
	v_perm_b32 v32, v32, v32, 0xc0c0c01
	s_delay_alu instid0(VALU_DEP_3) | instskip(NEXT) | instid1(VALU_DEP_3)
	v_perm_b32 v30, v30, v144, 0xc05000c
	v_or_b32_e32 v38, v152, v38
	v_and_b32_e32 v152, 0xff, v154
	s_delay_alu instid0(VALU_DEP_3) | instskip(SKIP_1) | instid1(VALU_DEP_4)
	v_or_b32_e32 v28, v30, v28
	v_lshlrev_b16 v30, 8, v36
	v_perm_b32 v38, v38, v148, 0xc05000c
	v_lshrrev_b32_e32 v36, 24, v20
	v_or_b32_e32 v140, v152, v140
	v_dot4_i32_iu8 v28, v137, v28, v147 neg_lo:[1,1,0]
	v_perm_b32 v30, v30, v30, 0xc0c0c01
	s_delay_alu instid0(VALU_DEP_4) | instskip(SKIP_2) | instid1(VALU_DEP_4)
	v_sub_nc_u16 v22, v22, v36
	v_lshrrev_b32_e32 v36, 16, v145
	v_perm_b32 v140, v140, v154, 0xc05000c
	v_or_b32_e32 v30, v38, v30
	v_lshrrev_b32_e32 v38, 16, v20
	v_lshrrev_b16 v20, 8, v20
	v_lshlrev_b16 v22, 8, v22
	v_or_b32_e32 v32, v140, v32
	v_dot4_i32_iu8 v30, v137, v30, v139 neg_lo:[1,1,0]
	v_sub_nc_u16 v36, v36, v38
	v_lshrrev_b16 v38, 8, v145
	v_lshrrev_b32_e32 v139, 16, v142
	v_dot4_i32_iu8 v32, v137, v32, v153 neg_lo:[1,1,0]
	v_lshrrev_b32_e32 v137, 16, v24
	v_lshrrev_b16 v140, 8, v142
	v_sub_nc_u16 v20, v38, v20
	v_lshrrev_b32_e32 v38, 24, v24
	v_lshrrev_b16 v24, 8, v24
	s_delay_alu instid0(VALU_DEP_3) | instskip(NEXT) | instid1(VALU_DEP_3)
	v_lshlrev_b16 v20, 8, v20
	v_sub_nc_u16 v26, v26, v38
	v_lshrrev_b32_e32 v38, 16, v155
	s_delay_alu instid0(VALU_DEP_3) | instskip(NEXT) | instid1(VALU_DEP_3)
	v_perm_b32 v20, v20, v20, 0xc0c0c01
	v_lshlrev_b16 v26, 8, v26
	s_delay_alu instid0(VALU_DEP_3) | instskip(SKIP_1) | instid1(VALU_DEP_1)
	v_sub_nc_u16 v38, v38, v137
	v_lshrrev_b16 v137, 8, v155
	v_sub_nc_u16 v24, v137, v24
	v_lshrrev_b32_e32 v137, 24, v142
	s_delay_alu instid0(VALU_DEP_1) | instskip(SKIP_1) | instid1(VALU_DEP_2)
	v_sub_nc_u16 v34, v34, v137
	v_lshrrev_b32_e32 v137, 16, v156
	v_lshlrev_b16 v34, 8, v34
	s_delay_alu instid0(VALU_DEP_2) | instskip(SKIP_1) | instid1(VALU_DEP_1)
	v_sub_nc_u16 v137, v137, v139
	v_lshrrev_b16 v139, 8, v156
	v_sub_nc_u16 v139, v139, v140
	v_and_b32_e32 v140, 0xff, v36
	s_delay_alu instid0(VALU_DEP_1) | instskip(SKIP_1) | instid1(VALU_DEP_2)
	v_or_b32_e32 v22, v140, v22
	v_and_b32_e32 v140, 0xff, v38
	v_perm_b32 v22, v22, v36, 0xc05000c
	s_delay_alu instid0(VALU_DEP_2) | instskip(SKIP_1) | instid1(VALU_DEP_3)
	v_or_b32_e32 v26, v140, v26
	v_and_b32_e32 v140, 0xff, v137
	v_or_b32_e32 v20, v22, v20
	v_lshlrev_b16 v22, 8, v24
	s_delay_alu instid0(VALU_DEP_3) | instskip(SKIP_2) | instid1(VALU_DEP_4)
	v_or_b32_e32 v34, v140, v34
	v_lshlrev_b16 v24, 8, v139
	v_perm_b32 v26, v26, v38, 0xc05000c
	v_perm_b32 v22, v22, v22, 0xc0c0c01
	s_delay_alu instid0(VALU_DEP_4) | instskip(NEXT) | instid1(VALU_DEP_4)
	v_perm_b32 v34, v34, v137, 0xc05000c
	v_perm_b32 v24, v24, v24, 0xc0c0c01
	s_delay_alu instid0(VALU_DEP_3) | instskip(SKIP_1) | instid1(VALU_DEP_3)
	v_or_b32_e32 v22, v26, v22
	v_dot4_i32_iu8 v26, v136, v20, v149 neg_lo:[1,1,0]
	v_or_b32_e32 v24, v34, v24
	v_lshrrev_b16 v20, 8, v169
	v_bfe_i32 v34, v169, 0, 8
	v_dot4_i32_iu8 v22, v136, v22, v151 neg_lo:[1,1,0]
	s_delay_alu instid0(VALU_DEP_4) | instskip(NEXT) | instid1(VALU_DEP_4)
	v_dot4_i32_iu8 v24, v136, v24, v138 neg_lo:[1,1,0]
	v_bfe_i32 v36, v20, 0, 8
	s_delay_alu instid0(VALU_DEP_4) | instskip(SKIP_1) | instid1(VALU_DEP_2)
	v_mul_lo_u32 v20, v150, v34
	v_ashrrev_i32_e32 v34, s25, v141
	v_mad_co_u64_u32 v[136:137], null, v146, v36, v[20:21]
	v_ashrrev_i32_e32 v20, s25, v31
	v_ashrrev_i32_e32 v31, s20, v37
	;; [unrolled: 1-line block ×4, first 2 shown]
	s_delay_alu instid0(VALU_DEP_4) | instskip(NEXT) | instid1(VALU_DEP_4)
	v_and_b32_e32 v37, 0x3030303, v20
	v_lshlrev_b32_e32 v31, 2, v31
	v_bfe_u32 v20, v20, 24, 2
	s_delay_alu instid0(VALU_DEP_4) | instskip(NEXT) | instid1(VALU_DEP_4)
	v_lshlrev_b32_e32 v21, 2, v21
	v_sub_nc_u16 v38, v37, v29
	s_delay_alu instid0(VALU_DEP_4) | instskip(NEXT) | instid1(VALU_DEP_3)
	v_and_b32_e32 v31, 0x4040404, v31
	v_and_b32_e32 v21, 0x4040404, v21
	s_delay_alu instid0(VALU_DEP_3) | instskip(NEXT) | instid1(VALU_DEP_1)
	v_bfe_i32 v38, v38, 0, 8
	v_mad_i32_i24 v28, v135, v38, v28
	v_and_b32_e32 v38, 0x3030303, v34
	v_bfe_u32 v34, v34, 24, 2
	s_delay_alu instid0(VALU_DEP_2) | instskip(NEXT) | instid1(VALU_DEP_1)
	v_sub_nc_u16 v39, v38, v33
	v_bfe_i32 v39, v39, 0, 8
	s_delay_alu instid0(VALU_DEP_1) | instskip(SKIP_2) | instid1(VALU_DEP_2)
	v_mad_i32_i24 v32, v135, v39, v32
	v_and_b32_e32 v39, 0x3030303, v36
	v_bfe_u32 v36, v36, 24, 2
	v_sub_nc_u16 v137, v39, v31
	s_delay_alu instid0(VALU_DEP_1) | instskip(NEXT) | instid1(VALU_DEP_1)
	v_bfe_i32 v137, v137, 0, 8
	v_mad_i32_i24 v30, v135, v137, v30
	v_and_b32_e32 v137, 0x3030303, v23
	v_ashrrev_i32_e32 v135, s20, v143
	v_bfe_u32 v23, v23, 24, 2
	s_add_co_i32 s20, s20, 1
	s_cmp_lt_u32 s22, 22
	v_sub_nc_u16 v138, v137, v21
	v_lshlrev_b32_e32 v135, 2, v135
	s_delay_alu instid0(VALU_DEP_2) | instskip(NEXT) | instid1(VALU_DEP_2)
	v_bfe_i32 v138, v138, 0, 8
	v_and_b32_e32 v135, 0x4040404, v135
	s_delay_alu instid0(VALU_DEP_2) | instskip(SKIP_2) | instid1(VALU_DEP_2)
	v_mad_i32_i24 v26, v134, v138, v26
	v_and_b32_e32 v138, 0x3030303, v27
	v_bfe_u32 v27, v27, 24, 2
	v_sub_nc_u16 v139, v138, v25
	s_delay_alu instid0(VALU_DEP_1) | instskip(NEXT) | instid1(VALU_DEP_1)
	v_bfe_i32 v139, v139, 0, 8
	v_mad_i32_i24 v22, v134, v139, v22
	v_and_b32_e32 v139, 0x3030303, v35
	s_delay_alu instid0(VALU_DEP_1) | instskip(NEXT) | instid1(VALU_DEP_1)
	v_sub_nc_u16 v140, v139, v135
	v_bfe_i32 v140, v140, 0, 8
	s_delay_alu instid0(VALU_DEP_1) | instskip(SKIP_3) | instid1(VALU_DEP_3)
	v_mad_i32_i24 v24, v134, v140, v24
	v_lshrrev_b32_e32 v134, 24, v29
	v_lshrrev_b32_e32 v140, 16, v29
	v_lshrrev_b16 v29, 8, v29
	v_sub_nc_u16 v20, v20, v134
	v_lshrrev_b32_e32 v134, 16, v37
	v_lshrrev_b16 v37, 8, v37
	s_delay_alu instid0(VALU_DEP_3) | instskip(NEXT) | instid1(VALU_DEP_3)
	v_lshlrev_b16 v20, 8, v20
	v_sub_nc_u16 v134, v134, v140
	s_delay_alu instid0(VALU_DEP_3) | instskip(SKIP_3) | instid1(VALU_DEP_4)
	v_sub_nc_u16 v29, v37, v29
	v_lshrrev_b32_e32 v37, 24, v31
	v_lshrrev_b32_e32 v140, 16, v31
	v_lshrrev_b16 v31, 8, v31
	v_lshlrev_b16 v29, 8, v29
	s_delay_alu instid0(VALU_DEP_4) | instskip(SKIP_2) | instid1(VALU_DEP_4)
	v_sub_nc_u16 v36, v36, v37
	v_lshrrev_b32_e32 v37, 16, v39
	v_lshrrev_b16 v39, 8, v39
	v_perm_b32 v29, v29, v29, 0xc0c0c01
	s_delay_alu instid0(VALU_DEP_4) | instskip(NEXT) | instid1(VALU_DEP_4)
	v_lshlrev_b16 v36, 8, v36
	v_sub_nc_u16 v37, v37, v140
	s_delay_alu instid0(VALU_DEP_4) | instskip(SKIP_3) | instid1(VALU_DEP_3)
	v_sub_nc_u16 v31, v39, v31
	v_lshrrev_b32_e32 v39, 24, v33
	v_lshrrev_b32_e32 v140, 16, v33
	v_lshrrev_b16 v33, 8, v33
	v_sub_nc_u16 v34, v34, v39
	v_lshrrev_b32_e32 v39, 16, v38
	v_lshrrev_b16 v38, 8, v38
	s_delay_alu instid0(VALU_DEP_3) | instskip(NEXT) | instid1(VALU_DEP_3)
	v_lshlrev_b16 v34, 8, v34
	v_sub_nc_u16 v39, v39, v140
	s_delay_alu instid0(VALU_DEP_3) | instskip(SKIP_1) | instid1(VALU_DEP_1)
	v_sub_nc_u16 v33, v38, v33
	v_and_b32_e32 v38, 0xff, v134
	v_or_b32_e32 v20, v38, v20
	v_and_b32_e32 v38, 0xff, v37
	s_delay_alu instid0(VALU_DEP_2) | instskip(NEXT) | instid1(VALU_DEP_2)
	v_perm_b32 v20, v20, v134, 0xc05000c
	v_or_b32_e32 v36, v38, v36
	v_and_b32_e32 v38, 0xff, v39
	s_delay_alu instid0(VALU_DEP_3) | instskip(SKIP_1) | instid1(VALU_DEP_3)
	v_or_b32_e32 v20, v20, v29
	v_lshlrev_b16 v29, 8, v31
	v_or_b32_e32 v34, v38, v34
	v_perm_b32 v36, v36, v37, 0xc05000c
	v_lshlrev_b16 v31, 8, v33
	v_dot4_i32_iu8 v20, v133, v20, v28 neg_lo:[1,1,0]
	v_perm_b32 v29, v29, v29, 0xc0c0c01
	v_perm_b32 v34, v34, v39, 0xc05000c
	v_lshrrev_b32_e32 v33, 24, v135
	v_perm_b32 v31, v31, v31, 0xc0c0c01
	s_delay_alu instid0(VALU_DEP_4) | instskip(NEXT) | instid1(VALU_DEP_2)
	v_or_b32_e32 v29, v36, v29
	v_or_b32_e32 v31, v34, v31
	v_lshrrev_b32_e32 v34, 16, v135
	s_delay_alu instid0(VALU_DEP_3) | instskip(SKIP_1) | instid1(VALU_DEP_4)
	v_dot4_i32_iu8 v29, v133, v29, v30 neg_lo:[1,1,0]
	v_lshrrev_b32_e32 v30, 24, v21
	v_dot4_i32_iu8 v28, v133, v31, v32 neg_lo:[1,1,0]
	v_lshrrev_b32_e32 v31, 16, v21
	v_lshrrev_b16 v21, 8, v21
	s_delay_alu instid0(VALU_DEP_4) | instskip(SKIP_2) | instid1(VALU_DEP_3)
	v_sub_nc_u16 v23, v23, v30
	v_lshrrev_b32_e32 v30, 16, v137
	v_lshrrev_b32_e32 v32, 16, v25
	v_lshlrev_b16 v23, 8, v23
	s_delay_alu instid0(VALU_DEP_3) | instskip(SKIP_1) | instid1(VALU_DEP_1)
	v_sub_nc_u16 v30, v30, v31
	v_lshrrev_b16 v31, 8, v137
	v_sub_nc_u16 v21, v31, v21
	v_lshrrev_b32_e32 v31, 24, v25
	v_lshrrev_b16 v25, 8, v25
	s_delay_alu instid0(VALU_DEP_3) | instskip(NEXT) | instid1(VALU_DEP_3)
	v_lshlrev_b16 v21, 8, v21
	v_sub_nc_u16 v27, v27, v31
	v_lshrrev_b32_e32 v31, 16, v138
	s_delay_alu instid0(VALU_DEP_3) | instskip(NEXT) | instid1(VALU_DEP_3)
	v_perm_b32 v21, v21, v21, 0xc0c0c01
	v_lshlrev_b16 v27, 8, v27
	s_delay_alu instid0(VALU_DEP_3) | instskip(SKIP_1) | instid1(VALU_DEP_1)
	v_sub_nc_u16 v31, v31, v32
	v_lshrrev_b16 v32, 8, v138
	v_sub_nc_u16 v25, v32, v25
	v_bfe_u32 v32, v35, 24, 2
	v_lshrrev_b16 v35, 8, v135
	s_delay_alu instid0(VALU_DEP_2) | instskip(SKIP_1) | instid1(VALU_DEP_2)
	v_sub_nc_u16 v32, v32, v33
	v_lshrrev_b32_e32 v33, 16, v139
	v_lshlrev_b16 v32, 8, v32
	s_delay_alu instid0(VALU_DEP_2) | instskip(SKIP_1) | instid1(VALU_DEP_1)
	v_sub_nc_u16 v33, v33, v34
	v_lshrrev_b16 v34, 8, v139
	v_sub_nc_u16 v34, v34, v35
	v_and_b32_e32 v35, 0xff, v30
	s_delay_alu instid0(VALU_DEP_1) | instskip(SKIP_1) | instid1(VALU_DEP_2)
	v_or_b32_e32 v23, v35, v23
	v_and_b32_e32 v35, 0xff, v31
	v_perm_b32 v23, v23, v30, 0xc05000c
	s_delay_alu instid0(VALU_DEP_2) | instskip(SKIP_1) | instid1(VALU_DEP_3)
	v_or_b32_e32 v27, v35, v27
	v_and_b32_e32 v35, 0xff, v33
	v_or_b32_e32 v21, v23, v21
	v_lshlrev_b16 v23, 8, v25
	s_delay_alu instid0(VALU_DEP_4) | instskip(NEXT) | instid1(VALU_DEP_4)
	v_perm_b32 v27, v27, v31, 0xc05000c
	v_or_b32_e32 v32, v35, v32
	v_lshlrev_b16 v25, 8, v34
	v_dot4_i32_iu8 v21, v132, v21, v26 neg_lo:[1,1,0]
	v_perm_b32 v23, v23, v23, 0xc0c0c01
	s_delay_alu instid0(VALU_DEP_4) | instskip(NEXT) | instid1(VALU_DEP_4)
	v_perm_b32 v30, v32, v33, 0xc05000c
	v_perm_b32 v25, v25, v25, 0xc0c0c01
	s_delay_alu instid0(VALU_DEP_3) | instskip(NEXT) | instid1(VALU_DEP_2)
	v_or_b32_e32 v23, v27, v23
	v_or_b32_e32 v25, v30, v25
	s_delay_alu instid0(VALU_DEP_2) | instskip(SKIP_1) | instid1(VALU_DEP_3)
	v_dot4_i32_iu8 v22, v132, v23, v22 neg_lo:[1,1,0]
	v_add_nc_u32_e32 v23, s21, v99
	v_dot4_i32_iu8 v24, v132, v25, v24 neg_lo:[1,1,0]
	v_add_nc_u32_e32 v25, s21, v97
	s_mov_b32 s21, s22
	ds_load_u16 v23, v23 offset:25330
	ds_load_u16 v25, v25 offset:27378
	s_wait_dscnt 0x1
	v_lshrrev_b16 v26, 8, v23
	v_bfe_i32 v23, v23, 0, 8
	s_delay_alu instid0(VALU_DEP_2) | instskip(NEXT) | instid1(VALU_DEP_2)
	v_bfe_i32 v26, v26, 0, 8
	v_mul_lo_u32 v20, v20, v23
	s_wait_dscnt 0x0
	v_bfe_i32 v23, v25, 0, 8
	v_lshrrev_b16 v25, 8, v25
	s_delay_alu instid0(VALU_DEP_3) | instskip(SKIP_2) | instid1(VALU_DEP_2)
	v_mad_co_u64_u32 v[20:21], null, v21, v26, v[20:21]
	v_lshrrev_b16 v21, 8, v168
	v_bfe_i32 v26, v168, 0, 8
	v_bfe_i32 v27, v21, 0, 8
	s_delay_alu instid0(VALU_DEP_2)
	v_mul_lo_u32 v21, v28, v26
	ds_load_b32 v26, v131
	v_cvt_f32_i32_e32 v20, v20
	v_add_nc_u32_e32 v131, 4, v131
	v_mad_co_u64_u32 v[21:22], null, v22, v27, v[21:22]
	v_mul_lo_u32 v22, v29, v23
	v_bfe_i32 v23, v25, 0, 8
	v_cvt_f32_i32_e32 v27, v136
	s_delay_alu instid0(VALU_DEP_4) | instskip(NEXT) | instid1(VALU_DEP_3)
	v_cvt_f32_i32_e32 v21, v21
	v_mad_co_u64_u32 v[22:23], null, v24, v23, v[22:23]
	s_wait_dscnt 0x0
	v_mul_f32_e32 v23, v26, v161
	v_mul_f32_e32 v24, v26, v167
	;; [unrolled: 1-line block ×4, first 2 shown]
	v_cvt_f32_i32_e32 v22, v22
	s_delay_alu instid0(VALU_DEP_4) | instskip(NEXT) | instid1(VALU_DEP_2)
	v_dual_fmac_f32 v42, v23, v20 :: v_dual_fmac_f32 v89, v24, v21
	v_dual_fmac_f32 v17, v26, v27 :: v_dual_fmac_f32 v88, v25, v22
	s_cbranch_scc1 .LBB190_27
; %bb.28:                               ;   in Loop: Header=BB190_5 Depth=1
	s_or_b32 s1, s18, 0x180
	s_wait_loadcnt 0x0
	s_wait_alu 0xfffe
	s_cmp_ge_i32 s1, s5
	s_barrier_signal -1
	s_barrier_wait -1
	global_inv scope:SCOPE_SE
	s_cbranch_scc1 .LBB190_4
; %bb.29:                               ;   in Loop: Header=BB190_5 Depth=1
	v_add_nc_u32_e32 v20, s19, v92
	s_delay_alu instid0(VALU_DEP_1)
	v_cmp_gt_i32_e64 s1, s6, v20
	s_and_b32 s18, s0, s1
	s_wait_alu 0xfffe
	s_and_saveexec_b32 s1, s18
	s_cbranch_execz .LBB190_31
; %bb.30:                               ;   in Loop: Header=BB190_5 Depth=1
	v_add_nc_u32_e32 v20, v93, v20
	s_delay_alu instid0(VALU_DEP_1)
	v_mad_co_i64_i32 v[20:21], null, v20, 36, v[18:19]
	global_load_b32 v20, v[20:21], off offset:4
	s_wait_loadcnt 0x0
	ds_store_b32 v86, v20
.LBB190_31:                             ;   in Loop: Header=BB190_5 Depth=1
	s_wait_alu 0xfffe
	s_or_b32 exec_lo, exec_lo, s1
	s_and_saveexec_b32 s18, vcc_lo
	s_cbranch_execz .LBB190_34
; %bb.32:                               ;   in Loop: Header=BB190_5 Depth=1
	v_or_b32_e32 v20, 12, v129
	s_delay_alu instid0(VALU_DEP_1)
	v_cmp_gt_i32_e64 s1, s6, v20
	s_and_b32 s1, s0, s1
	s_wait_alu 0xfffe
	s_and_b32 exec_lo, exec_lo, s1
	s_cbranch_execz .LBB190_34
; %bb.33:                               ;   in Loop: Header=BB190_5 Depth=1
	v_ashrrev_i32_e32 v20, 31, v129
	v_add_co_u32 v21, s1, v93, v129
	s_wait_alu 0xf1ff
	s_delay_alu instid0(VALU_DEP_2) | instskip(NEXT) | instid1(VALU_DEP_2)
	v_add_co_ci_u32_e64 v22, null, v0, v20, s1
	v_mad_co_u64_u32 v[20:21], null, v21, 36, s[2:3]
	s_delay_alu instid0(VALU_DEP_1)
	v_mad_i32_i24 v21, v22, 36, v21
	global_load_b32 v20, v[20:21], off offset:432
	s_wait_loadcnt 0x0
	v_cvt_f32_f16_e32 v20, v20
	ds_store_b32 v87, v20
.LBB190_34:                             ;   in Loop: Header=BB190_5 Depth=1
	s_wait_alu 0xfffe
	s_or_b32 exec_lo, exec_lo, s18
	v_dual_mov_b32 v129, v84 :: v_dual_mov_b32 v130, v85
	s_mov_b32 s1, 24
	s_mov_b32 s19, 22
	;; [unrolled: 1-line block ×3, first 2 shown]
	s_wait_loadcnt_dscnt 0x0
	s_barrier_signal -1
	s_barrier_wait -1
	global_inv scope:SCOPE_SE
.LBB190_35:                             ;   Parent Loop BB190_5 Depth=1
                                        ; =>  This Inner Loop Header: Depth=2
	ds_load_b128 v[20:23], v129
	ds_load_b128 v[33:36], v129 offset:16
	s_wait_alu 0xfffe
	s_add_co_i32 s20, s19, 2
	s_and_b32 s24, s1, -16
	s_wait_alu 0xfffe
	s_and_b32 s23, s20, 0x3ffffff8
	s_lshr_b32 s22, s20, 4
	s_wait_alu 0xfffe
	v_lshl_add_u32 v141, s23, 2, v94
	s_lshl_b32 s21, s22, 5
	s_sub_co_i32 s23, s19, 22
	s_add_co_i32 s19, s19, s24
	s_wait_alu 0xfffe
	s_addk_co_i32 s21, 0x4200
	v_add_nc_u32_e32 v37, s19, v95
	s_lshl_b32 s22, s22, 2
	v_add_nc_u32_e32 v39, 0x3198, v141
	s_wait_alu 0xfffe
	s_addk_co_i32 s22, 0x7380
	v_add3_u32 v181, s21, v126, v113
	v_add3_u32 v183, s21, v114, v115
	;; [unrolled: 1-line block ×3, first 2 shown]
	v_add_nc_u32_e32 v129, 32, v129
	s_add_co_i32 s1, s1, 2
	s_wait_dscnt 0x1
	v_lshrrev_b16 v156, 8, v20
	v_ashrrev_i32_e32 v28, 24, v20
	v_bfe_i32 v26, v20, 16, 8
	v_bfe_i32 v157, v20, 0, 8
	v_perm_b32 v150, v20, v20, 0xc0c0302
	v_add_nc_u32_e32 v20, 0x3188, v141
	s_wait_dscnt 0x0
	v_lshrrev_b16 v162, 8, v33
	v_lshrrev_b16 v161, 8, v34
	v_ashrrev_i32_e32 v32, 24, v33
	v_bfe_i32 v30, v33, 16, 8
	v_bfe_i32 v163, v33, 0, 8
	v_perm_b32 v146, v33, v33, 0xc0c0302
	v_ashrrev_i32_e32 v33, 24, v34
	v_bfe_i32 v31, v34, 16, 8
	v_bfe_i32 v143, v34, 0, 8
	v_perm_b32 v139, v34, v34, 0xc030201
	v_add3_u32 v34, s21, v122, v123
	v_lshrrev_b16 v153, 8, v21
	v_lshrrev_b16 v152, 8, v22
	;; [unrolled: 1-line block ×3, first 2 shown]
	v_ashrrev_i32_e32 v29, 24, v21
	v_bfe_i32 v27, v21, 16, 8
	v_bfe_i32 v144, v21, 0, 8
	v_perm_b32 v140, v21, v21, 0xc030201
	v_ashrrev_i32_e32 v147, 24, v22
	v_bfe_i32 v149, v22, 16, 8
	v_bfe_i32 v138, v22, 0, 8
	v_perm_b32 v136, v22, v22, 0xc030201
	;; [unrolled: 4-line block ×3, first 2 shown]
	v_lshrrev_b16 v160, 8, v35
	v_lshrrev_b16 v145, 8, v36
	v_ashrrev_i32_e32 v154, 24, v35
	v_bfe_i32 v158, v35, 16, 8
	v_bfe_i32 v137, v35, 0, 8
	v_perm_b32 v135, v35, v35, 0xc030201
	v_ashrrev_i32_e32 v155, 24, v36
	v_bfe_i32 v159, v36, 16, 8
	v_bfe_i32 v133, v36, 0, 8
	v_perm_b32 v131, v36, v36, 0xc030201
	ds_load_2addr_b32 v[20:21], v20 offset1:1
	ds_load_2addr_b32 v[35:36], v34 offset0:4 offset1:5
	ds_load_2addr_b32 v[24:25], v34 offset0:6 offset1:7
	;; [unrolled: 1-line block ×3, first 2 shown]
	ds_load_u16 v168, v37 offset:28402
	s_wait_alu 0xfffe
	v_add3_u32 v37, s22, v124, v125
	v_bfe_i32 v162, v162, 0, 8
	v_bfe_i32 v161, v161, 0, 8
	;; [unrolled: 1-line block ×4, first 2 shown]
	ds_load_b32 v164, v37
	v_add_nc_u32_e32 v37, 0x3190, v141
	ds_load_2addr_b32 v[37:38], v37 offset1:1
	ds_load_2addr_b32 v[165:166], v39 offset1:1
	v_bfe_i32 v153, v153, 0, 8
	v_bfe_i32 v152, v152, 0, 8
	;; [unrolled: 1-line block ×3, first 2 shown]
	s_wait_dscnt 0x7
	v_ashrrev_i32_e32 v204, s23, v20
	s_wait_dscnt 0x6
	v_ashrrev_i32_e32 v36, s18, v36
	v_ashrrev_i32_e32 v35, s18, v35
	s_wait_dscnt 0x5
	v_ashrrev_i32_e32 v24, s18, v24
	v_ashrrev_i32_e32 v25, s18, v25
	;; [unrolled: 1-line block ×3, first 2 shown]
	v_lshlrev_b32_e32 v36, 2, v36
	v_lshlrev_b32_e32 v35, 2, v35
	;; [unrolled: 1-line block ×4, first 2 shown]
	s_wait_dscnt 0x4
	v_ashrrev_i32_e32 v22, s18, v22
	v_and_b32_e32 v36, 0x4040404, v36
	v_and_b32_e32 v35, 0x4040404, v35
	;; [unrolled: 1-line block ×4, first 2 shown]
	s_wait_dscnt 0x1
	v_ashrrev_i32_e32 v38, s23, v38
	v_ashrrev_i32_e32 v37, s23, v37
	v_lshrrev_b32_e32 v167, 24, v36
	v_lshrrev_b32_e32 v169, 24, v35
	s_wait_dscnt 0x0
	v_ashrrev_i32_e32 v191, s23, v165
	v_bfe_u32 v39, v38, 24, 2
	v_and_b32_e32 v38, 0x3030303, v38
	v_ashrrev_i32_e32 v192, s23, v166
	v_ashrrev_i32_e32 v23, s18, v23
	v_and_b32_e32 v195, 0x3030303, v191
	v_sub_nc_u16 v39, v39, v167
	v_bfe_u32 v167, v37, 24, 2
	v_and_b32_e32 v37, 0x3030303, v37
	v_and_b32_e32 v196, 0x3030303, v192
	v_sub_nc_u16 v24, v195, v193
	v_bfe_i32 v39, v39, 0, 16
	v_sub_nc_u16 v167, v167, v169
	v_and_b32_e32 v208, 0x3030303, v204
	v_sub_nc_u16 v25, v196, v194
	v_bfe_i32 v24, v24, 0, 8
	v_mul_i32_i24_e32 v33, v39, v33
	v_bfe_i32 v39, v167, 0, 16
	v_and_b32_e32 v209, 0x3030303, v205
	v_bfe_i32 v25, v25, 0, 8
	v_mul_i32_i24_e32 v24, v24, v137
	v_lshrrev_b16 v215, 8, v193
	v_mad_i32_i24 v189, v39, v32, v33
	v_lshrrev_b32_e32 v32, 16, v38
	v_lshrrev_b32_e32 v33, 16, v36
	v_lshrrev_b32_e32 v39, 16, v35
	v_mul_i32_i24_e32 v25, v25, v133
	v_bfe_i32 v142, v142, 0, 8
	s_delay_alu instid0(VALU_DEP_4) | instskip(SKIP_1) | instid1(VALU_DEP_2)
	v_sub_nc_u16 v32, v32, v33
	v_lshrrev_b32_e32 v33, 16, v37
	v_bfe_i32 v32, v32, 0, 8
	s_delay_alu instid0(VALU_DEP_2) | instskip(NEXT) | instid1(VALU_DEP_2)
	v_sub_nc_u16 v33, v33, v39
	v_mul_i32_i24_e32 v31, v32, v31
	s_delay_alu instid0(VALU_DEP_2) | instskip(NEXT) | instid1(VALU_DEP_1)
	v_bfe_i32 v32, v33, 0, 8
	v_mad_i32_i24 v190, v32, v30, v31
	v_sub_nc_u16 v30, v38, v36
	v_sub_nc_u16 v31, v37, v35
	v_add3_u32 v32, s22, v120, v121
	v_lshrrev_b16 v35, 8, v35
	s_delay_alu instid0(VALU_DEP_4) | instskip(NEXT) | instid1(VALU_DEP_4)
	v_bfe_i32 v30, v30, 0, 8
	v_bfe_i32 v31, v31, 0, 8
	s_delay_alu instid0(VALU_DEP_2) | instskip(NEXT) | instid1(VALU_DEP_1)
	v_mul_i32_i24_e32 v30, v30, v143
	v_mad_i32_i24 v30, v31, v163, v30
	s_delay_alu instid0(VALU_DEP_1)
	v_add3_u32 v197, v30, v24, v25
	v_add_nc_u32_e32 v30, 0x3180, v141
	ds_load_2addr_b32 v[24:25], v34 offset1:1
	ds_load_2addr_b32 v[30:31], v30 offset1:1
	ds_load_b32 v165, v32
	s_wait_dscnt 0x2
	v_ashrrev_i32_e32 v25, s18, v25
	v_ashrrev_i32_e32 v24, s18, v24
	s_wait_dscnt 0x1
	v_ashrrev_i32_e32 v31, s23, v31
	v_ashrrev_i32_e32 v30, s23, v30
	v_lshlrev_b32_e32 v25, 2, v25
	v_lshlrev_b32_e32 v24, 2, v24
	s_delay_alu instid0(VALU_DEP_4) | instskip(NEXT) | instid1(VALU_DEP_4)
	v_and_b32_e32 v201, 0x3030303, v31
	v_and_b32_e32 v202, 0x3030303, v30
	s_delay_alu instid0(VALU_DEP_4) | instskip(NEXT) | instid1(VALU_DEP_4)
	v_and_b32_e32 v198, 0x4040404, v25
	v_and_b32_e32 v199, 0x4040404, v24
	v_bfe_u32 v25, v31, 24, 2
	v_bfe_u32 v24, v30, 24, 2
	s_delay_alu instid0(VALU_DEP_4) | instskip(NEXT) | instid1(VALU_DEP_4)
	v_sub_nc_u16 v20, v201, v198
	v_sub_nc_u16 v21, v202, v199
	v_lshrrev_b32_e32 v32, 24, v198
	s_delay_alu instid0(VALU_DEP_3) | instskip(NEXT) | instid1(VALU_DEP_3)
	v_bfe_i32 v20, v20, 0, 8
	v_bfe_i32 v21, v21, 0, 8
	s_delay_alu instid0(VALU_DEP_3) | instskip(SKIP_1) | instid1(VALU_DEP_4)
	v_sub_nc_u16 v25, v25, v32
	v_lshrrev_b32_e32 v32, 24, v199
	v_mul_i32_i24_e32 v20, v20, v144
	s_delay_alu instid0(VALU_DEP_3) | instskip(NEXT) | instid1(VALU_DEP_3)
	v_bfe_i32 v25, v25, 0, 16
	v_sub_nc_u16 v24, v24, v32
	s_delay_alu instid0(VALU_DEP_3) | instskip(SKIP_4) | instid1(VALU_DEP_4)
	v_mad_i32_i24 v20, v21, v157, v20
	v_lshlrev_b32_e32 v21, 2, v22
	v_lshlrev_b32_e32 v22, 2, v23
	v_mul_i32_i24_e32 v25, v25, v29
	v_bfe_i32 v24, v24, 0, 16
	v_and_b32_e32 v206, 0x4040404, v21
	s_delay_alu instid0(VALU_DEP_4) | instskip(NEXT) | instid1(VALU_DEP_3)
	v_and_b32_e32 v207, 0x4040404, v22
	v_mad_i32_i24 v200, v24, v28, v25
	v_lshrrev_b32_e32 v24, 16, v201
	s_delay_alu instid0(VALU_DEP_4) | instskip(NEXT) | instid1(VALU_DEP_4)
	v_sub_nc_u16 v21, v208, v206
	v_sub_nc_u16 v22, v209, v207
	v_lshrrev_b32_e32 v25, 16, v198
	v_lshrrev_b32_e32 v28, 16, v199
	v_lshrrev_b16 v199, 8, v199
	v_bfe_i32 v21, v21, 0, 8
	v_bfe_i32 v22, v22, 0, 8
	v_sub_nc_u16 v24, v24, v25
	v_lshrrev_b32_e32 v25, 16, v202
	v_lshrrev_b16 v202, 8, v202
	v_mul_i32_i24_e32 v21, v21, v138
	v_mul_i32_i24_e32 v22, v22, v134
	v_bfe_i32 v24, v24, 0, 8
	v_sub_nc_u16 v25, v25, v28
	v_lshrrev_b16 v201, 8, v201
	v_lshrrev_b16 v198, 8, v198
	v_add3_u32 v210, v20, v21, v22
	ds_load_2addr_b32 v[169:170], v181 offset0:4 offset1:5
	ds_load_2addr_b32 v[20:21], v181 offset0:6 offset1:7
	ds_load_2addr_b32 v[28:29], v181 offset0:2 offset1:3
	v_mul_i32_i24_e32 v24, v24, v27
	v_bfe_i32 v25, v25, 0, 8
	v_add_nc_u32_e32 v27, 0x1098, v141
	v_sub_nc_u16 v199, v202, v199
	v_sub_nc_u16 v198, v201, v198
	v_lshrrev_b16 v201, 8, v208
	v_mad_i32_i24 v203, v25, v26, v24
	v_lshrrev_b16 v202, 8, v206
	v_bfe_i32 v199, v199, 0, 16
	v_bfe_i32 v198, v198, 0, 16
	s_delay_alu instid0(VALU_DEP_3) | instskip(NEXT) | instid1(VALU_DEP_2)
	v_sub_nc_u16 v201, v201, v202
	v_mul_i32_i24_e32 v153, v198, v153
	s_wait_dscnt 0x2
	v_ashrrev_i32_e32 v22, s18, v169
	s_delay_alu instid0(VALU_DEP_3)
	v_bfe_i32 v198, v201, 0, 16
	s_wait_dscnt 0x0
	v_ashrrev_i32_e32 v28, s18, v28
	v_ashrrev_i32_e32 v20, s18, v20
	;; [unrolled: 1-line block ×3, first 2 shown]
	v_lshlrev_b32_e32 v22, 2, v22
	v_mul_i32_i24_e32 v152, v198, v152
	v_lshlrev_b32_e32 v28, 2, v28
	v_lshlrev_b32_e32 v20, 2, v20
	;; [unrolled: 1-line block ×3, first 2 shown]
	v_and_b32_e32 v169, 0x4040404, v22
	ds_load_2addr_b32 v[171:172], v141 offset0:4 offset1:5
	ds_load_2addr_b32 v[22:23], v141 offset0:6 offset1:7
	;; [unrolled: 1-line block ×3, first 2 shown]
	v_and_b32_e32 v28, 0x4040404, v28
	v_and_b32_e32 v20, 0x4040404, v20
	;; [unrolled: 1-line block ×3, first 2 shown]
	v_lshrrev_b16 v25, 8, v169
	s_wait_dscnt 0x2
	v_ashrrev_i32_e32 v171, s23, v171
	s_wait_dscnt 0x1
	v_ashrrev_i32_e32 v22, s23, v22
	;; [unrolled: 2-line block ×3, first 2 shown]
	v_ashrrev_i32_e32 v23, s23, v23
	v_and_b32_e32 v211, 0x3030303, v171
	s_delay_alu instid0(VALU_DEP_1) | instskip(NEXT) | instid1(VALU_DEP_1)
	v_lshrrev_b16 v24, 8, v211
	v_sub_nc_u16 v182, v24, v25
	v_add_nc_u32_e32 v24, s19, v98
	s_delay_alu instid0(VALU_DEP_2)
	v_lshlrev_b16 v182, 8, v182
	ds_load_u16 v167, v24 offset:26354
	v_add3_u32 v24, s22, v116, v117
	v_bfe_i32 v182, v182, 8, 8
	ds_load_b32 v166, v24
	ds_load_2addr_b32 v[173:174], v183 offset0:4 offset1:5
	ds_load_2addr_b32 v[24:25], v183 offset0:6 offset1:7
	ds_load_2addr_b32 v[32:33], v183 offset0:2 offset1:3
	s_wait_dscnt 0x2
	v_ashrrev_i32_e32 v26, s18, v173
	s_wait_dscnt 0x1
	v_ashrrev_i32_e32 v24, s18, v24
	;; [unrolled: 2-line block ×3, first 2 shown]
	v_ashrrev_i32_e32 v33, s18, v33
	v_ashrrev_i32_e32 v25, s18, v25
	v_lshlrev_b32_e32 v26, 2, v26
	v_lshlrev_b32_e32 v24, 2, v24
	;; [unrolled: 1-line block ×5, first 2 shown]
	v_and_b32_e32 v173, 0x4040404, v26
	v_add_nc_u32_e32 v26, 0x1090, v141
	ds_load_2addr_b32 v[175:176], v26 offset1:1
	ds_load_2addr_b32 v[26:27], v27 offset1:1
	v_lshrrev_b16 v39, 8, v173
	v_and_b32_e32 v32, 0x4040404, v32
	v_and_b32_e32 v24, 0x4040404, v24
	;; [unrolled: 1-line block ×4, first 2 shown]
	s_wait_dscnt 0x1
	v_ashrrev_i32_e32 v175, s23, v175
	s_wait_dscnt 0x0
	v_ashrrev_i32_e32 v26, s23, v26
	v_ashrrev_i32_e32 v27, s23, v27
	s_delay_alu instid0(VALU_DEP_3) | instskip(NEXT) | instid1(VALU_DEP_1)
	v_and_b32_e32 v212, 0x3030303, v175
	v_lshrrev_b16 v34, 8, v212
	v_sub_nc_u16 v216, v212, v173
	s_delay_alu instid0(VALU_DEP_2) | instskip(SKIP_1) | instid1(VALU_DEP_3)
	v_sub_nc_u16 v184, v34, v39
	v_lshrrev_b16 v34, 8, v37
	v_bfe_i32 v216, v216, 0, 8
	s_delay_alu instid0(VALU_DEP_2)
	v_sub_nc_u16 v185, v34, v35
	v_lshrrev_b16 v35, 8, v36
	ds_load_2addr_b32 v[177:178], v213 offset0:4 offset1:5
	ds_load_2addr_b32 v[36:37], v213 offset0:2 offset1:3
	v_lshrrev_b16 v34, 8, v38
	v_add_nc_u32_e32 v38, 0x2108, v141
	v_mul_i32_i24_e32 v216, v163, v216
	s_delay_alu instid0(VALU_DEP_3)
	v_sub_nc_u16 v186, v34, v35
	v_add_nc_u32_e32 v35, 0x2118, v141
	s_wait_dscnt 0x1
	v_ashrrev_i32_e32 v34, s18, v177
	s_wait_dscnt 0x0
	v_ashrrev_i32_e32 v36, s18, v36
	s_delay_alu instid0(VALU_DEP_2) | instskip(NEXT) | instid1(VALU_DEP_2)
	v_lshlrev_b32_e32 v34, 2, v34
	v_lshlrev_b32_e32 v36, 2, v36
	s_delay_alu instid0(VALU_DEP_2)
	v_and_b32_e32 v177, 0x4040404, v34
	v_add_nc_u32_e32 v34, 0x2110, v141
	ds_load_2addr_b32 v[179:180], v34 offset1:1
	ds_load_2addr_b32 v[34:35], v35 offset1:1
	;; [unrolled: 1-line block ×3, first 2 shown]
	v_lshrrev_b16 v188, 8, v177
	v_and_b32_e32 v36, 0x4040404, v36
	s_wait_dscnt 0x2
	v_ashrrev_i32_e32 v179, s23, v179
	s_wait_dscnt 0x1
	v_ashrrev_i32_e32 v34, s23, v34
	;; [unrolled: 2-line block ×3, first 2 shown]
	v_ashrrev_i32_e32 v35, s23, v35
	v_and_b32_e32 v214, 0x3030303, v179
	s_delay_alu instid0(VALU_DEP_1) | instskip(SKIP_1) | instid1(VALU_DEP_2)
	v_lshrrev_b16 v187, 8, v214
	v_sub_nc_u16 v217, v214, v177
	v_sub_nc_u16 v187, v187, v188
	v_lshrrev_b16 v188, 8, v195
	s_delay_alu instid0(VALU_DEP_3) | instskip(NEXT) | instid1(VALU_DEP_2)
	v_bfe_i32 v217, v217, 0, 8
	v_sub_nc_u16 v188, v188, v215
	v_sub_nc_u16 v215, v211, v169
	s_delay_alu instid0(VALU_DEP_1) | instskip(NEXT) | instid1(VALU_DEP_1)
	v_bfe_i32 v215, v215, 0, 8
	v_mul_i32_i24_e32 v215, v163, v215
	v_mul_i32_i24_e32 v163, v163, v217
	s_delay_alu instid0(VALU_DEP_2) | instskip(SKIP_2) | instid1(VALU_DEP_2)
	v_mad_i32_i24 v215, v162, v182, v215
	v_lshlrev_b16 v182, 8, v184
	v_add_nc_u32_e32 v184, 0x1080, v141
	v_bfe_i32 v182, v182, 8, 8
	s_delay_alu instid0(VALU_DEP_1) | instskip(SKIP_1) | instid1(VALU_DEP_1)
	v_mad_i32_i24 v216, v162, v182, v216
	v_lshlrev_b16 v182, 8, v187
	v_bfe_i32 v182, v182, 8, 8
	s_delay_alu instid0(VALU_DEP_1) | instskip(SKIP_1) | instid1(VALU_DEP_1)
	v_mad_i32_i24 v217, v162, v182, v163
	v_bfe_i32 v163, v185, 0, 16
	v_mul_i32_i24_e32 v162, v163, v162
	v_bfe_i32 v163, v186, 0, 16
	s_delay_alu instid0(VALU_DEP_1) | instskip(SKIP_1) | instid1(VALU_DEP_1)
	v_mul_i32_i24_e32 v161, v163, v161
	v_bfe_i32 v163, v188, 0, 16
	v_mul_i32_i24_e32 v160, v163, v160
	s_delay_alu instid0(VALU_DEP_1)
	v_add3_u32 v218, v162, v161, v160
	ds_load_2addr_b32 v[160:161], v181 offset1:1
	ds_load_2addr_b32 v[162:163], v141 offset1:1
	s_wait_dscnt 0x1
	v_ashrrev_i32_e32 v160, s18, v160
	s_wait_dscnt 0x0
	v_ashrrev_i32_e32 v162, s23, v162
	s_delay_alu instid0(VALU_DEP_2) | instskip(NEXT) | instid1(VALU_DEP_2)
	v_lshlrev_b32_e32 v160, 2, v160
	v_and_b32_e32 v220, 0x3030303, v162
	s_delay_alu instid0(VALU_DEP_2) | instskip(NEXT) | instid1(VALU_DEP_2)
	v_and_b32_e32 v219, 0x4040404, v160
	v_lshrrev_b16 v160, 8, v220
	s_delay_alu instid0(VALU_DEP_2) | instskip(SKIP_1) | instid1(VALU_DEP_2)
	v_lshrrev_b16 v181, 8, v219
	v_sub_nc_u16 v202, v220, v219
	v_sub_nc_u16 v221, v160, v181
	v_add3_u32 v160, s22, v127, v128
	s_delay_alu instid0(VALU_DEP_3) | instskip(NEXT) | instid1(VALU_DEP_3)
	v_bfe_i32 v202, v202, 0, 8
	v_lshlrev_b16 v221, 8, v221
	ds_load_b32 v160, v160
	ds_load_2addr_b32 v[181:182], v183 offset1:1
	ds_load_2addr_b32 v[183:184], v184 offset1:1
	v_mul_i32_i24_e32 v202, v157, v202
	v_bfe_i32 v221, v221, 8, 8
	s_delay_alu instid0(VALU_DEP_1) | instskip(SKIP_4) | instid1(VALU_DEP_2)
	v_mad_i32_i24 v202, v156, v221, v202
	s_wait_dscnt 0x1
	v_ashrrev_i32_e32 v181, s18, v181
	s_wait_dscnt 0x0
	v_ashrrev_i32_e32 v183, s23, v183
	v_lshlrev_b32_e32 v181, 2, v181
	s_delay_alu instid0(VALU_DEP_2) | instskip(NEXT) | instid1(VALU_DEP_2)
	v_and_b32_e32 v222, 0x3030303, v183
	v_and_b32_e32 v181, 0x4040404, v181
	s_delay_alu instid0(VALU_DEP_2) | instskip(NEXT) | instid1(VALU_DEP_2)
	v_lshrrev_b16 v185, 8, v222
	v_lshrrev_b16 v186, 8, v181
	s_delay_alu instid0(VALU_DEP_1) | instskip(SKIP_4) | instid1(VALU_DEP_1)
	v_sub_nc_u16 v223, v185, v186
	v_add_nc_u32_e32 v185, 0x2100, v141
	ds_load_2addr_b32 v[185:186], v185 offset1:1
	ds_load_2addr_b32 v[187:188], v213 offset1:1
	v_lshlrev_b16 v221, 8, v223
	v_bfe_i32 v221, v221, 8, 8
	s_wait_dscnt 0x1
	v_ashrrev_i32_e32 v185, s23, v185
	s_wait_dscnt 0x0
	v_ashrrev_i32_e32 v187, s18, v187
	s_delay_alu instid0(VALU_DEP_2) | instskip(NEXT) | instid1(VALU_DEP_2)
	v_and_b32_e32 v224, 0x3030303, v185
	v_lshlrev_b32_e32 v187, 2, v187
	s_delay_alu instid0(VALU_DEP_2) | instskip(NEXT) | instid1(VALU_DEP_2)
	v_lshrrev_b16 v225, 8, v224
	v_and_b32_e32 v187, 0x4040404, v187
	s_delay_alu instid0(VALU_DEP_1) | instskip(SKIP_1) | instid1(VALU_DEP_2)
	v_lshrrev_b16 v226, 8, v187
	v_sub_nc_u16 v227, v224, v187
	v_sub_nc_u16 v225, v225, v226
	v_sub_nc_u16 v226, v222, v181
	s_delay_alu instid0(VALU_DEP_3) | instskip(NEXT) | instid1(VALU_DEP_3)
	v_bfe_i32 v227, v227, 0, 8
	v_lshlrev_b16 v223, 8, v225
	s_delay_alu instid0(VALU_DEP_3) | instskip(NEXT) | instid1(VALU_DEP_2)
	v_bfe_i32 v226, v226, 0, 8
	v_bfe_i32 v223, v223, 8, 8
	s_delay_alu instid0(VALU_DEP_2) | instskip(SKIP_1) | instid1(VALU_DEP_2)
	v_mul_i32_i24_e32 v226, v157, v226
	v_mul_i32_i24_e32 v157, v157, v227
	v_mad_i32_i24 v221, v156, v221, v226
	s_delay_alu instid0(VALU_DEP_2) | instskip(SKIP_1) | instid1(VALU_DEP_1)
	v_mad_i32_i24 v157, v156, v223, v157
	v_mul_i32_i24_e32 v156, v199, v156
	v_add3_u32 v152, v156, v153, v152
	v_lshrrev_b32_e32 v153, 16, v195
	v_lshrrev_b32_e32 v156, 16, v193
	;; [unrolled: 1-line block ×3, first 2 shown]
	s_delay_alu instid0(VALU_DEP_2) | instskip(SKIP_1) | instid1(VALU_DEP_2)
	v_sub_nc_u16 v153, v153, v156
	v_lshrrev_b32_e32 v156, 16, v196
	v_bfe_i32 v153, v153, 0, 8
	s_delay_alu instid0(VALU_DEP_2) | instskip(NEXT) | instid1(VALU_DEP_2)
	v_sub_nc_u16 v156, v156, v195
	v_mul_i32_i24_e32 v153, v153, v158
	s_delay_alu instid0(VALU_DEP_2) | instskip(SKIP_1) | instid1(VALU_DEP_2)
	v_bfe_i32 v156, v156, 0, 8
	v_lshrrev_b32_e32 v158, 24, v193
	v_mul_i32_i24_e32 v156, v156, v159
	v_lshrrev_b32_e32 v159, 24, v194
	s_delay_alu instid0(VALU_DEP_2) | instskip(SKIP_1) | instid1(VALU_DEP_1)
	v_add3_u32 v153, v190, v153, v156
	v_bfe_u32 v156, v191, 24, 2
	v_sub_nc_u16 v156, v156, v158
	v_bfe_u32 v158, v192, 24, 2
	s_delay_alu instid0(VALU_DEP_2) | instskip(NEXT) | instid1(VALU_DEP_2)
	v_bfe_i32 v156, v156, 0, 16
	v_sub_nc_u16 v158, v158, v159
	v_lshrrev_b32_e32 v159, 24, v181
	s_delay_alu instid0(VALU_DEP_3) | instskip(NEXT) | instid1(VALU_DEP_3)
	v_mul_i32_i24_e32 v154, v156, v154
	v_bfe_i32 v156, v158, 0, 16
	v_lshrrev_b32_e32 v158, 16, v219
	s_delay_alu instid0(VALU_DEP_2) | instskip(SKIP_1) | instid1(VALU_DEP_2)
	v_mul_i32_i24_e32 v155, v156, v155
	v_lshrrev_b32_e32 v156, 24, v219
	v_add3_u32 v154, v189, v154, v155
	v_bfe_u32 v155, v162, 24, 2
	v_lshrrev_b32_e32 v162, 16, v181
	v_lshrrev_b32_e32 v181, 24, v187
	s_delay_alu instid0(VALU_DEP_3) | instskip(SKIP_1) | instid1(VALU_DEP_2)
	v_sub_nc_u16 v155, v155, v156
	v_lshrrev_b32_e32 v156, 16, v220
	v_lshlrev_b16 v155, 8, v155
	s_delay_alu instid0(VALU_DEP_2) | instskip(SKIP_2) | instid1(VALU_DEP_2)
	v_sub_nc_u16 v156, v156, v158
	v_bfe_u32 v158, v183, 24, 2
	v_lshrrev_b32_e32 v183, 16, v187
	v_sub_nc_u16 v158, v158, v159
	v_lshrrev_b32_e32 v159, 16, v222
	s_delay_alu instid0(VALU_DEP_2) | instskip(NEXT) | instid1(VALU_DEP_2)
	v_lshlrev_b16 v158, 8, v158
	v_sub_nc_u16 v159, v159, v162
	v_bfe_u32 v162, v185, 24, 2
	s_delay_alu instid0(VALU_DEP_1) | instskip(SKIP_1) | instid1(VALU_DEP_2)
	v_sub_nc_u16 v162, v162, v181
	v_lshrrev_b32_e32 v181, 16, v224
	v_lshlrev_b16 v162, 8, v162
	s_delay_alu instid0(VALU_DEP_2) | instskip(SKIP_1) | instid1(VALU_DEP_1)
	v_sub_nc_u16 v181, v181, v183
	v_and_b32_e32 v183, 0xff, v156
	v_or_b32_e32 v155, v183, v155
	v_and_b32_e32 v183, 0xff, v159
	s_delay_alu instid0(VALU_DEP_2) | instskip(NEXT) | instid1(VALU_DEP_2)
	v_perm_b32 v155, v155, v156, 0xc0c0500
	v_or_b32_e32 v158, v183, v158
	v_and_b32_e32 v183, 0xff, v181
	s_delay_alu instid0(VALU_DEP_3) | instskip(NEXT) | instid1(VALU_DEP_3)
	v_dot4_i32_iu8 v155, v150, v155, v202 neg_lo:[1,1,0]
	v_perm_b32 v156, v158, v159, 0xc0c0500
	s_delay_alu instid0(VALU_DEP_3) | instskip(SKIP_1) | instid1(VALU_DEP_3)
	v_or_b32_e32 v162, v183, v162
	v_lshrrev_b32_e32 v159, 16, v207
	v_dot4_i32_iu8 v156, v150, v156, v221 neg_lo:[1,1,0]
	s_delay_alu instid0(VALU_DEP_3) | instskip(SKIP_1) | instid1(VALU_DEP_2)
	v_perm_b32 v158, v162, v181, 0xc0c0500
	v_lshrrev_b32_e32 v162, 24, v177
	v_dot4_i32_iu8 v150, v150, v158, v157 neg_lo:[1,1,0]
	v_lshrrev_b32_e32 v157, 16, v208
	v_lshrrev_b32_e32 v158, 16, v206
	s_delay_alu instid0(VALU_DEP_1) | instskip(SKIP_1) | instid1(VALU_DEP_2)
	v_sub_nc_u16 v157, v157, v158
	v_lshrrev_b32_e32 v158, 16, v209
	v_bfe_i32 v157, v157, 0, 8
	s_delay_alu instid0(VALU_DEP_2) | instskip(SKIP_1) | instid1(VALU_DEP_3)
	v_sub_nc_u16 v158, v158, v159
	v_lshrrev_b32_e32 v159, 16, v173
	v_mul_i32_i24_e32 v149, v157, v149
	s_delay_alu instid0(VALU_DEP_3) | instskip(SKIP_1) | instid1(VALU_DEP_2)
	v_bfe_i32 v157, v158, 0, 8
	v_lshrrev_b32_e32 v158, 24, v207
	v_mul_i32_i24_e32 v151, v157, v151
	v_lshrrev_b32_e32 v157, 24, v206
	s_delay_alu instid0(VALU_DEP_2) | instskip(SKIP_1) | instid1(VALU_DEP_1)
	v_add3_u32 v149, v203, v149, v151
	v_bfe_u32 v151, v204, 24, 2
	v_sub_nc_u16 v151, v151, v157
	v_bfe_u32 v157, v205, 24, 2
	s_delay_alu instid0(VALU_DEP_2) | instskip(NEXT) | instid1(VALU_DEP_2)
	v_bfe_i32 v151, v151, 0, 16
	v_sub_nc_u16 v157, v157, v158
	v_lshrrev_b32_e32 v158, 24, v173
	s_delay_alu instid0(VALU_DEP_3) | instskip(NEXT) | instid1(VALU_DEP_3)
	v_mul_i32_i24_e32 v147, v151, v147
	v_bfe_i32 v151, v157, 0, 16
	v_lshrrev_b32_e32 v157, 16, v169
	s_delay_alu instid0(VALU_DEP_2) | instskip(SKIP_2) | instid1(VALU_DEP_3)
	v_mul_i32_i24_e32 v148, v151, v148
	v_lshrrev_b32_e32 v151, 24, v169
	v_lshrrev_b32_e32 v169, 16, v177
	v_add3_u32 v147, v200, v147, v148
	v_bfe_u32 v148, v171, 24, 2
	s_delay_alu instid0(VALU_DEP_1) | instskip(SKIP_1) | instid1(VALU_DEP_2)
	v_sub_nc_u16 v148, v148, v151
	v_lshrrev_b32_e32 v151, 16, v211
	v_lshlrev_b16 v148, 8, v148
	s_delay_alu instid0(VALU_DEP_2) | instskip(SKIP_1) | instid1(VALU_DEP_1)
	v_sub_nc_u16 v151, v151, v157
	v_bfe_u32 v157, v175, 24, 2
	v_sub_nc_u16 v157, v157, v158
	v_lshrrev_b32_e32 v158, 16, v212
	s_delay_alu instid0(VALU_DEP_2) | instskip(NEXT) | instid1(VALU_DEP_2)
	v_lshlrev_b16 v157, 8, v157
	v_sub_nc_u16 v158, v158, v159
	v_bfe_u32 v159, v179, 24, 2
	s_delay_alu instid0(VALU_DEP_1) | instskip(SKIP_1) | instid1(VALU_DEP_2)
	v_sub_nc_u16 v159, v159, v162
	v_lshrrev_b32_e32 v162, 16, v214
	v_lshlrev_b16 v159, 8, v159
	s_delay_alu instid0(VALU_DEP_2) | instskip(SKIP_1) | instid1(VALU_DEP_1)
	v_sub_nc_u16 v162, v162, v169
	v_and_b32_e32 v169, 0xff, v151
	v_or_b32_e32 v148, v169, v148
	v_and_b32_e32 v169, 0xff, v158
	s_delay_alu instid0(VALU_DEP_2) | instskip(NEXT) | instid1(VALU_DEP_2)
	v_perm_b32 v148, v148, v151, 0xc0c0500
	v_or_b32_e32 v157, v169, v157
	v_and_b32_e32 v169, 0xff, v162
	s_delay_alu instid0(VALU_DEP_3) | instskip(NEXT) | instid1(VALU_DEP_3)
	v_dot4_i32_iu8 v148, v146, v148, v215 neg_lo:[1,1,0]
	v_perm_b32 v151, v157, v158, 0xc0c0500
	s_delay_alu instid0(VALU_DEP_3) | instskip(SKIP_1) | instid1(VALU_DEP_3)
	v_or_b32_e32 v159, v169, v159
	v_lshrrev_b16 v158, 8, v194
	v_dot4_i32_iu8 v151, v146, v151, v216 neg_lo:[1,1,0]
	s_delay_alu instid0(VALU_DEP_3) | instskip(SKIP_2) | instid1(VALU_DEP_3)
	v_perm_b32 v157, v159, v162, 0xc0c0500
	v_ashrrev_i32_e32 v159, s18, v188
	v_ashrrev_i32_e32 v162, s23, v186
	v_dot4_i32_iu8 v146, v146, v157, v217 neg_lo:[1,1,0]
	v_lshrrev_b16 v157, 8, v196
	s_delay_alu instid0(VALU_DEP_4) | instskip(NEXT) | instid1(VALU_DEP_2)
	v_lshlrev_b32_e32 v159, 2, v159
	v_sub_nc_u16 v157, v157, v158
	v_ashrrev_i32_e32 v158, s18, v182
	s_delay_alu instid0(VALU_DEP_3) | instskip(NEXT) | instid1(VALU_DEP_3)
	v_and_b32_e32 v159, 0x4040404, v159
	v_bfe_i32 v157, v157, 0, 16
	s_delay_alu instid0(VALU_DEP_3) | instskip(NEXT) | instid1(VALU_DEP_2)
	v_lshlrev_b32_e32 v158, 2, v158
	v_mul_i32_i24_e32 v145, v157, v145
	v_ashrrev_i32_e32 v157, s18, v161
	v_ashrrev_i32_e32 v161, s23, v184
	s_delay_alu instid0(VALU_DEP_4) | instskip(NEXT) | instid1(VALU_DEP_4)
	v_and_b32_e32 v158, 0x4040404, v158
	v_add3_u32 v145, v218, v145, v154
	v_ashrrev_i32_e32 v154, s23, v163
	v_lshlrev_b32_e32 v157, 2, v157
	s_delay_alu instid0(VALU_DEP_3) | instskip(NEXT) | instid1(VALU_DEP_3)
	v_add3_u32 v145, v197, v153, v145
	v_and_b32_e32 v163, 0x3030303, v154
	s_delay_alu instid0(VALU_DEP_3) | instskip(NEXT) | instid1(VALU_DEP_1)
	v_and_b32_e32 v157, 0x4040404, v157
	v_sub_nc_u16 v169, v163, v157
	v_lshrrev_b32_e32 v153, 24, v157
	s_delay_alu instid0(VALU_DEP_2) | instskip(NEXT) | instid1(VALU_DEP_1)
	v_bfe_i32 v169, v169, 0, 8
	v_mad_i32_i24 v155, v144, v169, v155
	v_and_b32_e32 v169, 0x3030303, v161
	s_delay_alu instid0(VALU_DEP_1) | instskip(NEXT) | instid1(VALU_DEP_1)
	v_sub_nc_u16 v171, v169, v158
	v_bfe_i32 v171, v171, 0, 8
	s_delay_alu instid0(VALU_DEP_1) | instskip(SKIP_2) | instid1(VALU_DEP_2)
	v_mad_i32_i24 v156, v144, v171, v156
	v_and_b32_e32 v171, 0x3030303, v162
	v_bfe_u32 v162, v162, 24, 2
	v_sub_nc_u16 v173, v171, v159
	s_delay_alu instid0(VALU_DEP_1) | instskip(NEXT) | instid1(VALU_DEP_1)
	v_bfe_i32 v173, v173, 0, 8
	v_mad_i32_i24 v144, v144, v173, v150
	v_lshrrev_b16 v150, 8, v209
	v_lshrrev_b16 v173, 8, v207
	s_delay_alu instid0(VALU_DEP_1) | instskip(SKIP_1) | instid1(VALU_DEP_2)
	v_sub_nc_u16 v150, v150, v173
	v_ashrrev_i32_e32 v173, s23, v180
	v_bfe_i32 v150, v150, 0, 16
	s_delay_alu instid0(VALU_DEP_1) | instskip(SKIP_2) | instid1(VALU_DEP_3)
	v_mul_i32_i24_e32 v142, v150, v142
	v_ashrrev_i32_e32 v150, s18, v170
	v_ashrrev_i32_e32 v170, s18, v178
	v_add3_u32 v142, v152, v142, v147
	v_ashrrev_i32_e32 v147, s23, v172
	s_delay_alu instid0(VALU_DEP_4)
	v_lshlrev_b32_e32 v150, 2, v150
	v_ashrrev_i32_e32 v152, s18, v174
	v_ashrrev_i32_e32 v172, s23, v176
	v_lshlrev_b32_e32 v170, 2, v170
	v_and_b32_e32 v174, 0x3030303, v147
	v_and_b32_e32 v150, 0x4040404, v150
	v_lshlrev_b32_e32 v152, 2, v152
	v_add3_u32 v149, v210, v149, v142
	v_and_b32_e32 v170, 0x4040404, v170
	s_delay_alu instid0(VALU_DEP_4) | instskip(NEXT) | instid1(VALU_DEP_4)
	v_sub_nc_u16 v175, v174, v150
	v_and_b32_e32 v152, 0x4040404, v152
	v_lshrrev_b32_e32 v142, 24, v150
	s_delay_alu instid0(VALU_DEP_3) | instskip(NEXT) | instid1(VALU_DEP_1)
	v_bfe_i32 v175, v175, 0, 8
	v_mad_i32_i24 v148, v143, v175, v148
	v_and_b32_e32 v175, 0x3030303, v172
	s_delay_alu instid0(VALU_DEP_1) | instskip(NEXT) | instid1(VALU_DEP_1)
	v_sub_nc_u16 v176, v175, v152
	v_bfe_i32 v176, v176, 0, 8
	s_delay_alu instid0(VALU_DEP_1) | instskip(SKIP_1) | instid1(VALU_DEP_1)
	v_mad_i32_i24 v151, v143, v176, v151
	v_and_b32_e32 v176, 0x3030303, v173
	v_sub_nc_u16 v177, v176, v170
	s_delay_alu instid0(VALU_DEP_1) | instskip(NEXT) | instid1(VALU_DEP_1)
	v_bfe_i32 v177, v177, 0, 8
	v_mad_i32_i24 v143, v143, v177, v146
	v_bfe_u32 v146, v154, 24, 2
	v_lshrrev_b32_e32 v154, 16, v157
	v_lshrrev_b16 v157, 8, v157
	s_delay_alu instid0(VALU_DEP_3) | instskip(SKIP_1) | instid1(VALU_DEP_2)
	v_sub_nc_u16 v146, v146, v153
	v_lshrrev_b32_e32 v153, 16, v163
	v_lshlrev_b16 v146, 8, v146
	s_delay_alu instid0(VALU_DEP_2) | instskip(SKIP_2) | instid1(VALU_DEP_2)
	v_sub_nc_u16 v153, v153, v154
	v_lshrrev_b16 v154, 8, v163
	v_lshrrev_b32_e32 v163, 16, v158
	v_sub_nc_u16 v154, v154, v157
	v_bfe_u32 v157, v161, 24, 2
	v_lshrrev_b32_e32 v161, 24, v158
	v_lshrrev_b16 v158, 8, v158
	s_delay_alu instid0(VALU_DEP_4) | instskip(NEXT) | instid1(VALU_DEP_3)
	v_lshlrev_b16 v154, 8, v154
	v_sub_nc_u16 v157, v157, v161
	v_lshrrev_b32_e32 v161, 16, v169
	s_delay_alu instid0(VALU_DEP_3) | instskip(NEXT) | instid1(VALU_DEP_3)
	v_perm_b32 v154, v154, v154, 0xc0c0c01
	v_lshlrev_b16 v157, 8, v157
	s_delay_alu instid0(VALU_DEP_3) | instskip(SKIP_2) | instid1(VALU_DEP_2)
	v_sub_nc_u16 v161, v161, v163
	v_lshrrev_b16 v163, 8, v169
	v_lshrrev_b32_e32 v169, 16, v159
	v_sub_nc_u16 v158, v163, v158
	v_lshrrev_b32_e32 v163, 24, v159
	v_lshrrev_b16 v159, 8, v159
	s_delay_alu instid0(VALU_DEP_2) | instskip(SKIP_1) | instid1(VALU_DEP_2)
	v_sub_nc_u16 v162, v162, v163
	v_lshrrev_b32_e32 v163, 16, v171
	v_lshlrev_b16 v162, 8, v162
	s_delay_alu instid0(VALU_DEP_2) | instskip(SKIP_1) | instid1(VALU_DEP_1)
	v_sub_nc_u16 v163, v163, v169
	v_lshrrev_b16 v169, 8, v171
	v_sub_nc_u16 v159, v169, v159
	v_and_b32_e32 v169, 0xff, v153
	s_delay_alu instid0(VALU_DEP_1) | instskip(SKIP_1) | instid1(VALU_DEP_2)
	v_or_b32_e32 v146, v169, v146
	v_and_b32_e32 v169, 0xff, v161
	v_perm_b32 v146, v146, v153, 0xc05000c
	s_delay_alu instid0(VALU_DEP_2) | instskip(SKIP_1) | instid1(VALU_DEP_3)
	v_or_b32_e32 v157, v169, v157
	v_and_b32_e32 v169, 0xff, v163
	v_or_b32_e32 v146, v146, v154
	v_lshlrev_b16 v154, 8, v158
	s_delay_alu instid0(VALU_DEP_4) | instskip(NEXT) | instid1(VALU_DEP_4)
	v_perm_b32 v153, v157, v161, 0xc05000c
	v_or_b32_e32 v162, v169, v162
	v_lshrrev_b16 v158, 8, v170
	v_dot4_i32_iu8 v146, v140, v146, v155 neg_lo:[1,1,0]
	v_perm_b32 v154, v154, v154, 0xc0c0c01
	v_lshrrev_b32_e32 v155, 16, v152
	v_perm_b32 v157, v162, v163, 0xc05000c
	s_delay_alu instid0(VALU_DEP_3) | instskip(SKIP_1) | instid1(VALU_DEP_2)
	v_or_b32_e32 v153, v153, v154
	v_lshlrev_b16 v154, 8, v159
	v_dot4_i32_iu8 v153, v140, v153, v156 neg_lo:[1,1,0]
	s_delay_alu instid0(VALU_DEP_2) | instskip(SKIP_1) | instid1(VALU_DEP_2)
	v_perm_b32 v154, v154, v154, 0xc0c0c01
	v_lshrrev_b32_e32 v156, 24, v170
	v_or_b32_e32 v154, v157, v154
	v_lshrrev_b32_e32 v157, 16, v170
	s_delay_alu instid0(VALU_DEP_2)
	v_dot4_i32_iu8 v144, v140, v154, v144 neg_lo:[1,1,0]
	v_bfe_u32 v140, v147, 24, 2
	v_lshrrev_b32_e32 v147, 16, v150
	v_lshrrev_b16 v150, 8, v150
	v_lshrrev_b32_e32 v154, 24, v152
	v_lshrrev_b16 v152, 8, v152
	v_sub_nc_u16 v140, v140, v142
	v_lshrrev_b32_e32 v142, 16, v174
	s_delay_alu instid0(VALU_DEP_2) | instskip(NEXT) | instid1(VALU_DEP_2)
	v_lshlrev_b16 v140, 8, v140
	v_sub_nc_u16 v142, v142, v147
	v_lshrrev_b16 v147, 8, v174
	s_delay_alu instid0(VALU_DEP_1) | instskip(SKIP_1) | instid1(VALU_DEP_2)
	v_sub_nc_u16 v147, v147, v150
	v_bfe_u32 v150, v172, 24, 2
	v_lshlrev_b16 v147, 8, v147
	s_delay_alu instid0(VALU_DEP_2) | instskip(SKIP_1) | instid1(VALU_DEP_3)
	v_sub_nc_u16 v150, v150, v154
	v_lshrrev_b32_e32 v154, 16, v175
	v_perm_b32 v147, v147, v147, 0xc0c0c01
	s_delay_alu instid0(VALU_DEP_3) | instskip(NEXT) | instid1(VALU_DEP_3)
	v_lshlrev_b16 v150, 8, v150
	v_sub_nc_u16 v154, v154, v155
	v_lshrrev_b16 v155, 8, v175
	s_delay_alu instid0(VALU_DEP_1) | instskip(SKIP_1) | instid1(VALU_DEP_1)
	v_sub_nc_u16 v152, v155, v152
	v_bfe_u32 v155, v173, 24, 2
	v_sub_nc_u16 v155, v155, v156
	v_lshrrev_b32_e32 v156, 16, v176
	s_delay_alu instid0(VALU_DEP_2) | instskip(NEXT) | instid1(VALU_DEP_2)
	v_lshlrev_b16 v155, 8, v155
	v_sub_nc_u16 v156, v156, v157
	v_lshrrev_b16 v157, 8, v176
	s_delay_alu instid0(VALU_DEP_1) | instskip(SKIP_1) | instid1(VALU_DEP_1)
	v_sub_nc_u16 v157, v157, v158
	v_and_b32_e32 v158, 0xff, v142
	v_or_b32_e32 v140, v158, v140
	v_and_b32_e32 v158, 0xff, v154
	s_delay_alu instid0(VALU_DEP_2) | instskip(NEXT) | instid1(VALU_DEP_2)
	v_perm_b32 v140, v140, v142, 0xc05000c
	v_or_b32_e32 v150, v158, v150
	v_and_b32_e32 v158, 0xff, v156
	s_delay_alu instid0(VALU_DEP_3) | instskip(SKIP_1) | instid1(VALU_DEP_4)
	v_or_b32_e32 v140, v140, v147
	v_lshlrev_b16 v147, 8, v152
	v_perm_b32 v142, v150, v154, 0xc05000c
	s_delay_alu instid0(VALU_DEP_4) | instskip(NEXT) | instid1(VALU_DEP_4)
	v_or_b32_e32 v155, v158, v155
	v_dot4_i32_iu8 v148, v139, v140, v148 neg_lo:[1,1,0]
	s_delay_alu instid0(VALU_DEP_4) | instskip(NEXT) | instid1(VALU_DEP_3)
	v_perm_b32 v147, v147, v147, 0xc0c0c01
	v_perm_b32 v150, v155, v156, 0xc05000c
	s_delay_alu instid0(VALU_DEP_2) | instskip(SKIP_1) | instid1(VALU_DEP_1)
	v_or_b32_e32 v142, v142, v147
	v_lshlrev_b16 v147, 8, v157
	v_perm_b32 v147, v147, v147, 0xc0c0c01
	s_delay_alu instid0(VALU_DEP_1) | instskip(NEXT) | instid1(VALU_DEP_4)
	v_or_b32_e32 v147, v150, v147
	v_dot4_i32_iu8 v150, v139, v142, v151 neg_lo:[1,1,0]
	s_delay_alu instid0(VALU_DEP_2) | instskip(SKIP_2) | instid1(VALU_DEP_2)
	v_dot4_i32_iu8 v143, v139, v147, v143 neg_lo:[1,1,0]
	v_and_b32_e32 v147, 0x3030303, v30
	v_bfe_u32 v30, v30, 24, 2
	v_sub_nc_u16 v139, v147, v28
	s_delay_alu instid0(VALU_DEP_1) | instskip(NEXT) | instid1(VALU_DEP_1)
	v_bfe_i32 v139, v139, 0, 8
	v_mad_i32_i24 v146, v138, v139, v146
	v_add_nc_u32_e32 v139, 0x1088, v141
	ds_load_2addr_b32 v[139:140], v139 offset1:1
	s_wait_dscnt 0x0
	v_ashrrev_i32_e32 v139, s23, v139
	s_delay_alu instid0(VALU_DEP_1) | instskip(SKIP_1) | instid1(VALU_DEP_2)
	v_and_b32_e32 v151, 0x3030303, v139
	v_bfe_u32 v139, v139, 24, 2
	v_sub_nc_u16 v141, v151, v32
	s_delay_alu instid0(VALU_DEP_1) | instskip(NEXT) | instid1(VALU_DEP_1)
	v_bfe_i32 v141, v141, 0, 8
	v_mad_i32_i24 v152, v138, v141, v153
	v_and_b32_e32 v153, 0x3030303, v38
	ds_load_2addr_b32 v[141:142], v213 offset0:6 offset1:7
	v_bfe_u32 v38, v38, 24, 2
	v_sub_nc_u16 v154, v153, v36
	s_delay_alu instid0(VALU_DEP_1) | instskip(NEXT) | instid1(VALU_DEP_1)
	v_bfe_i32 v154, v154, 0, 8
	v_mad_i32_i24 v138, v138, v154, v144
	v_and_b32_e32 v144, 0x3030303, v22
	v_bfe_u32 v22, v22, 24, 2
	s_delay_alu instid0(VALU_DEP_2) | instskip(SKIP_2) | instid1(VALU_DEP_2)
	v_sub_nc_u16 v154, v144, v20
	s_wait_dscnt 0x0
	v_ashrrev_i32_e32 v141, s18, v141
	v_bfe_i32 v154, v154, 0, 8
	s_delay_alu instid0(VALU_DEP_2) | instskip(NEXT) | instid1(VALU_DEP_2)
	v_lshlrev_b32_e32 v141, 2, v141
	v_mad_i32_i24 v148, v137, v154, v148
	v_and_b32_e32 v154, 0x3030303, v26
	s_delay_alu instid0(VALU_DEP_3) | instskip(SKIP_1) | instid1(VALU_DEP_3)
	v_and_b32_e32 v141, 0x4040404, v141
	v_bfe_u32 v26, v26, 24, 2
	v_sub_nc_u16 v155, v154, v24
	s_delay_alu instid0(VALU_DEP_1) | instskip(NEXT) | instid1(VALU_DEP_1)
	v_bfe_i32 v155, v155, 0, 8
	v_mad_i32_i24 v150, v137, v155, v150
	v_and_b32_e32 v155, 0x3030303, v34
	v_bfe_u32 v34, v34, 24, 2
	s_delay_alu instid0(VALU_DEP_2) | instskip(NEXT) | instid1(VALU_DEP_1)
	v_sub_nc_u16 v156, v155, v141
	v_bfe_i32 v156, v156, 0, 8
	s_delay_alu instid0(VALU_DEP_1) | instskip(SKIP_3) | instid1(VALU_DEP_3)
	v_mad_i32_i24 v137, v137, v156, v143
	v_lshrrev_b32_e32 v143, 24, v28
	v_lshrrev_b32_e32 v156, 16, v28
	v_lshrrev_b16 v28, 8, v28
	v_sub_nc_u16 v30, v30, v143
	v_lshrrev_b32_e32 v143, 16, v147
	v_lshrrev_b16 v147, 8, v147
	s_delay_alu instid0(VALU_DEP_3) | instskip(NEXT) | instid1(VALU_DEP_3)
	v_lshlrev_b16 v30, 8, v30
	v_sub_nc_u16 v143, v143, v156
	s_delay_alu instid0(VALU_DEP_3) | instskip(SKIP_3) | instid1(VALU_DEP_4)
	v_sub_nc_u16 v28, v147, v28
	v_lshrrev_b32_e32 v147, 24, v36
	v_lshrrev_b32_e32 v156, 16, v36
	v_lshrrev_b16 v36, 8, v36
	v_lshlrev_b16 v28, 8, v28
	s_delay_alu instid0(VALU_DEP_4) | instskip(SKIP_2) | instid1(VALU_DEP_4)
	v_sub_nc_u16 v38, v38, v147
	v_lshrrev_b32_e32 v147, 16, v153
	v_lshrrev_b16 v153, 8, v153
	v_perm_b32 v28, v28, v28, 0xc0c0c01
	s_delay_alu instid0(VALU_DEP_4) | instskip(NEXT) | instid1(VALU_DEP_4)
	v_lshlrev_b16 v38, 8, v38
	v_sub_nc_u16 v147, v147, v156
	s_delay_alu instid0(VALU_DEP_4) | instskip(SKIP_3) | instid1(VALU_DEP_3)
	v_sub_nc_u16 v36, v153, v36
	v_lshrrev_b32_e32 v153, 24, v32
	v_lshrrev_b32_e32 v156, 16, v32
	v_lshrrev_b16 v32, 8, v32
	v_sub_nc_u16 v139, v139, v153
	v_lshrrev_b32_e32 v153, 16, v151
	v_lshrrev_b16 v151, 8, v151
	s_delay_alu instid0(VALU_DEP_3) | instskip(NEXT) | instid1(VALU_DEP_3)
	v_lshlrev_b16 v139, 8, v139
	v_sub_nc_u16 v153, v153, v156
	s_delay_alu instid0(VALU_DEP_3) | instskip(SKIP_1) | instid1(VALU_DEP_2)
	v_sub_nc_u16 v32, v151, v32
	v_and_b32_e32 v151, 0xff, v143
	v_lshlrev_b16 v32, 8, v32
	s_delay_alu instid0(VALU_DEP_2) | instskip(SKIP_1) | instid1(VALU_DEP_3)
	v_or_b32_e32 v30, v151, v30
	v_and_b32_e32 v151, 0xff, v147
	v_perm_b32 v32, v32, v32, 0xc0c0c01
	s_delay_alu instid0(VALU_DEP_3) | instskip(NEXT) | instid1(VALU_DEP_3)
	v_perm_b32 v30, v30, v143, 0xc05000c
	v_or_b32_e32 v38, v151, v38
	v_and_b32_e32 v151, 0xff, v153
	s_delay_alu instid0(VALU_DEP_3) | instskip(SKIP_1) | instid1(VALU_DEP_4)
	v_or_b32_e32 v28, v30, v28
	v_lshlrev_b16 v30, 8, v36
	v_perm_b32 v38, v38, v147, 0xc05000c
	v_lshrrev_b32_e32 v36, 24, v20
	v_or_b32_e32 v139, v151, v139
	v_dot4_i32_iu8 v28, v136, v28, v146 neg_lo:[1,1,0]
	v_perm_b32 v30, v30, v30, 0xc0c0c01
	s_delay_alu instid0(VALU_DEP_4) | instskip(SKIP_2) | instid1(VALU_DEP_4)
	v_sub_nc_u16 v22, v22, v36
	v_lshrrev_b32_e32 v36, 16, v144
	v_perm_b32 v139, v139, v153, 0xc05000c
	v_or_b32_e32 v30, v38, v30
	v_lshrrev_b32_e32 v38, 16, v20
	v_lshrrev_b16 v20, 8, v20
	v_lshlrev_b16 v22, 8, v22
	v_or_b32_e32 v32, v139, v32
	v_dot4_i32_iu8 v30, v136, v30, v138 neg_lo:[1,1,0]
	v_sub_nc_u16 v36, v36, v38
	v_lshrrev_b16 v38, 8, v144
	v_lshrrev_b32_e32 v138, 16, v141
	v_dot4_i32_iu8 v32, v136, v32, v152 neg_lo:[1,1,0]
	v_lshrrev_b32_e32 v136, 16, v24
	v_lshrrev_b16 v139, 8, v141
	v_sub_nc_u16 v20, v38, v20
	v_lshrrev_b32_e32 v38, 24, v24
	v_lshrrev_b16 v24, 8, v24
	s_delay_alu instid0(VALU_DEP_3) | instskip(NEXT) | instid1(VALU_DEP_3)
	v_lshlrev_b16 v20, 8, v20
	v_sub_nc_u16 v26, v26, v38
	v_lshrrev_b32_e32 v38, 16, v154
	s_delay_alu instid0(VALU_DEP_3) | instskip(NEXT) | instid1(VALU_DEP_3)
	v_perm_b32 v20, v20, v20, 0xc0c0c01
	v_lshlrev_b16 v26, 8, v26
	s_delay_alu instid0(VALU_DEP_3) | instskip(SKIP_1) | instid1(VALU_DEP_1)
	v_sub_nc_u16 v38, v38, v136
	v_lshrrev_b16 v136, 8, v154
	v_sub_nc_u16 v24, v136, v24
	v_lshrrev_b32_e32 v136, 24, v141
	s_delay_alu instid0(VALU_DEP_1) | instskip(SKIP_1) | instid1(VALU_DEP_2)
	v_sub_nc_u16 v34, v34, v136
	v_lshrrev_b32_e32 v136, 16, v155
	v_lshlrev_b16 v34, 8, v34
	s_delay_alu instid0(VALU_DEP_2) | instskip(SKIP_1) | instid1(VALU_DEP_1)
	v_sub_nc_u16 v136, v136, v138
	v_lshrrev_b16 v138, 8, v155
	v_sub_nc_u16 v138, v138, v139
	v_and_b32_e32 v139, 0xff, v36
	s_delay_alu instid0(VALU_DEP_1) | instskip(SKIP_1) | instid1(VALU_DEP_2)
	v_or_b32_e32 v22, v139, v22
	v_and_b32_e32 v139, 0xff, v38
	v_perm_b32 v22, v22, v36, 0xc05000c
	s_delay_alu instid0(VALU_DEP_2) | instskip(SKIP_1) | instid1(VALU_DEP_3)
	v_or_b32_e32 v26, v139, v26
	v_and_b32_e32 v139, 0xff, v136
	v_or_b32_e32 v20, v22, v20
	v_lshlrev_b16 v22, 8, v24
	s_delay_alu instid0(VALU_DEP_3) | instskip(SKIP_2) | instid1(VALU_DEP_4)
	v_or_b32_e32 v34, v139, v34
	v_lshlrev_b16 v24, 8, v138
	v_perm_b32 v26, v26, v38, 0xc05000c
	v_perm_b32 v22, v22, v22, 0xc0c0c01
	s_delay_alu instid0(VALU_DEP_4) | instskip(NEXT) | instid1(VALU_DEP_4)
	v_perm_b32 v34, v34, v136, 0xc05000c
	v_perm_b32 v24, v24, v24, 0xc0c0c01
	s_delay_alu instid0(VALU_DEP_3) | instskip(SKIP_1) | instid1(VALU_DEP_3)
	v_or_b32_e32 v22, v26, v22
	v_dot4_i32_iu8 v26, v135, v20, v148 neg_lo:[1,1,0]
	v_or_b32_e32 v24, v34, v24
	v_lshrrev_b16 v20, 8, v168
	v_bfe_i32 v34, v168, 0, 8
	v_dot4_i32_iu8 v22, v135, v22, v150 neg_lo:[1,1,0]
	s_delay_alu instid0(VALU_DEP_4) | instskip(NEXT) | instid1(VALU_DEP_4)
	v_dot4_i32_iu8 v24, v135, v24, v137 neg_lo:[1,1,0]
	v_bfe_i32 v36, v20, 0, 8
	s_delay_alu instid0(VALU_DEP_4) | instskip(SKIP_1) | instid1(VALU_DEP_2)
	v_mul_lo_u32 v20, v149, v34
	v_ashrrev_i32_e32 v34, s23, v140
	v_mad_co_u64_u32 v[135:136], null, v145, v36, v[20:21]
	v_ashrrev_i32_e32 v20, s23, v31
	v_ashrrev_i32_e32 v31, s18, v37
	;; [unrolled: 1-line block ×4, first 2 shown]
	s_delay_alu instid0(VALU_DEP_4) | instskip(NEXT) | instid1(VALU_DEP_4)
	v_and_b32_e32 v37, 0x3030303, v20
	v_lshlrev_b32_e32 v31, 2, v31
	v_bfe_u32 v20, v20, 24, 2
	s_delay_alu instid0(VALU_DEP_4) | instskip(NEXT) | instid1(VALU_DEP_4)
	v_lshlrev_b32_e32 v21, 2, v21
	v_sub_nc_u16 v38, v37, v29
	s_delay_alu instid0(VALU_DEP_4) | instskip(NEXT) | instid1(VALU_DEP_3)
	v_and_b32_e32 v31, 0x4040404, v31
	v_and_b32_e32 v21, 0x4040404, v21
	s_delay_alu instid0(VALU_DEP_3) | instskip(NEXT) | instid1(VALU_DEP_1)
	v_bfe_i32 v38, v38, 0, 8
	v_mad_i32_i24 v28, v134, v38, v28
	v_and_b32_e32 v38, 0x3030303, v34
	v_bfe_u32 v34, v34, 24, 2
	s_delay_alu instid0(VALU_DEP_2) | instskip(NEXT) | instid1(VALU_DEP_1)
	v_sub_nc_u16 v39, v38, v33
	v_bfe_i32 v39, v39, 0, 8
	s_delay_alu instid0(VALU_DEP_1) | instskip(SKIP_2) | instid1(VALU_DEP_2)
	v_mad_i32_i24 v32, v134, v39, v32
	v_and_b32_e32 v39, 0x3030303, v36
	v_bfe_u32 v36, v36, 24, 2
	v_sub_nc_u16 v136, v39, v31
	s_delay_alu instid0(VALU_DEP_1) | instskip(NEXT) | instid1(VALU_DEP_1)
	v_bfe_i32 v136, v136, 0, 8
	v_mad_i32_i24 v30, v134, v136, v30
	v_and_b32_e32 v136, 0x3030303, v23
	v_ashrrev_i32_e32 v134, s18, v142
	v_bfe_u32 v23, v23, 24, 2
	s_add_co_i32 s18, s18, 1
	s_cmp_lt_u32 s20, 30
	v_sub_nc_u16 v137, v136, v21
	v_lshlrev_b32_e32 v134, 2, v134
	s_delay_alu instid0(VALU_DEP_2) | instskip(NEXT) | instid1(VALU_DEP_2)
	v_bfe_i32 v137, v137, 0, 8
	v_and_b32_e32 v134, 0x4040404, v134
	s_delay_alu instid0(VALU_DEP_2) | instskip(SKIP_2) | instid1(VALU_DEP_2)
	v_mad_i32_i24 v26, v133, v137, v26
	v_and_b32_e32 v137, 0x3030303, v27
	v_bfe_u32 v27, v27, 24, 2
	v_sub_nc_u16 v138, v137, v25
	s_delay_alu instid0(VALU_DEP_1) | instskip(NEXT) | instid1(VALU_DEP_1)
	v_bfe_i32 v138, v138, 0, 8
	v_mad_i32_i24 v22, v133, v138, v22
	v_and_b32_e32 v138, 0x3030303, v35
	s_delay_alu instid0(VALU_DEP_1) | instskip(NEXT) | instid1(VALU_DEP_1)
	v_sub_nc_u16 v139, v138, v134
	v_bfe_i32 v139, v139, 0, 8
	s_delay_alu instid0(VALU_DEP_1) | instskip(SKIP_3) | instid1(VALU_DEP_3)
	v_mad_i32_i24 v24, v133, v139, v24
	v_lshrrev_b32_e32 v133, 24, v29
	v_lshrrev_b32_e32 v139, 16, v29
	v_lshrrev_b16 v29, 8, v29
	v_sub_nc_u16 v20, v20, v133
	v_lshrrev_b32_e32 v133, 16, v37
	v_lshrrev_b16 v37, 8, v37
	s_delay_alu instid0(VALU_DEP_3) | instskip(NEXT) | instid1(VALU_DEP_3)
	v_lshlrev_b16 v20, 8, v20
	v_sub_nc_u16 v133, v133, v139
	s_delay_alu instid0(VALU_DEP_3) | instskip(SKIP_3) | instid1(VALU_DEP_4)
	v_sub_nc_u16 v29, v37, v29
	v_lshrrev_b32_e32 v37, 24, v31
	v_lshrrev_b32_e32 v139, 16, v31
	v_lshrrev_b16 v31, 8, v31
	v_lshlrev_b16 v29, 8, v29
	s_delay_alu instid0(VALU_DEP_4) | instskip(SKIP_2) | instid1(VALU_DEP_4)
	v_sub_nc_u16 v36, v36, v37
	v_lshrrev_b32_e32 v37, 16, v39
	v_lshrrev_b16 v39, 8, v39
	v_perm_b32 v29, v29, v29, 0xc0c0c01
	s_delay_alu instid0(VALU_DEP_4) | instskip(NEXT) | instid1(VALU_DEP_4)
	v_lshlrev_b16 v36, 8, v36
	v_sub_nc_u16 v37, v37, v139
	s_delay_alu instid0(VALU_DEP_4) | instskip(SKIP_3) | instid1(VALU_DEP_3)
	v_sub_nc_u16 v31, v39, v31
	v_lshrrev_b32_e32 v39, 24, v33
	v_lshrrev_b32_e32 v139, 16, v33
	v_lshrrev_b16 v33, 8, v33
	v_sub_nc_u16 v34, v34, v39
	v_lshrrev_b32_e32 v39, 16, v38
	v_lshrrev_b16 v38, 8, v38
	s_delay_alu instid0(VALU_DEP_3) | instskip(NEXT) | instid1(VALU_DEP_3)
	v_lshlrev_b16 v34, 8, v34
	v_sub_nc_u16 v39, v39, v139
	s_delay_alu instid0(VALU_DEP_3) | instskip(SKIP_1) | instid1(VALU_DEP_1)
	v_sub_nc_u16 v33, v38, v33
	v_and_b32_e32 v38, 0xff, v133
	v_or_b32_e32 v20, v38, v20
	v_and_b32_e32 v38, 0xff, v37
	s_delay_alu instid0(VALU_DEP_2) | instskip(NEXT) | instid1(VALU_DEP_2)
	v_perm_b32 v20, v20, v133, 0xc05000c
	v_or_b32_e32 v36, v38, v36
	v_and_b32_e32 v38, 0xff, v39
	s_delay_alu instid0(VALU_DEP_3) | instskip(SKIP_1) | instid1(VALU_DEP_3)
	v_or_b32_e32 v20, v20, v29
	v_lshlrev_b16 v29, 8, v31
	v_or_b32_e32 v34, v38, v34
	v_perm_b32 v36, v36, v37, 0xc05000c
	v_lshlrev_b16 v31, 8, v33
	v_dot4_i32_iu8 v20, v132, v20, v28 neg_lo:[1,1,0]
	v_perm_b32 v29, v29, v29, 0xc0c0c01
	v_perm_b32 v34, v34, v39, 0xc05000c
	v_lshrrev_b32_e32 v33, 24, v134
	v_perm_b32 v31, v31, v31, 0xc0c0c01
	s_delay_alu instid0(VALU_DEP_4) | instskip(NEXT) | instid1(VALU_DEP_2)
	v_or_b32_e32 v29, v36, v29
	v_or_b32_e32 v31, v34, v31
	v_lshrrev_b32_e32 v34, 16, v134
	s_delay_alu instid0(VALU_DEP_3) | instskip(SKIP_1) | instid1(VALU_DEP_4)
	v_dot4_i32_iu8 v29, v132, v29, v30 neg_lo:[1,1,0]
	v_lshrrev_b32_e32 v30, 24, v21
	v_dot4_i32_iu8 v28, v132, v31, v32 neg_lo:[1,1,0]
	v_lshrrev_b32_e32 v31, 16, v21
	v_lshrrev_b16 v21, 8, v21
	s_delay_alu instid0(VALU_DEP_4) | instskip(SKIP_2) | instid1(VALU_DEP_3)
	v_sub_nc_u16 v23, v23, v30
	v_lshrrev_b32_e32 v30, 16, v136
	v_lshrrev_b32_e32 v32, 16, v25
	v_lshlrev_b16 v23, 8, v23
	s_delay_alu instid0(VALU_DEP_3) | instskip(SKIP_1) | instid1(VALU_DEP_1)
	v_sub_nc_u16 v30, v30, v31
	v_lshrrev_b16 v31, 8, v136
	v_sub_nc_u16 v21, v31, v21
	v_lshrrev_b32_e32 v31, 24, v25
	v_lshrrev_b16 v25, 8, v25
	s_delay_alu instid0(VALU_DEP_3) | instskip(NEXT) | instid1(VALU_DEP_3)
	v_lshlrev_b16 v21, 8, v21
	v_sub_nc_u16 v27, v27, v31
	v_lshrrev_b32_e32 v31, 16, v137
	s_delay_alu instid0(VALU_DEP_3) | instskip(NEXT) | instid1(VALU_DEP_3)
	v_perm_b32 v21, v21, v21, 0xc0c0c01
	v_lshlrev_b16 v27, 8, v27
	s_delay_alu instid0(VALU_DEP_3) | instskip(SKIP_1) | instid1(VALU_DEP_1)
	v_sub_nc_u16 v31, v31, v32
	v_lshrrev_b16 v32, 8, v137
	v_sub_nc_u16 v25, v32, v25
	v_bfe_u32 v32, v35, 24, 2
	v_lshrrev_b16 v35, 8, v134
	s_delay_alu instid0(VALU_DEP_2) | instskip(SKIP_1) | instid1(VALU_DEP_2)
	v_sub_nc_u16 v32, v32, v33
	v_lshrrev_b32_e32 v33, 16, v138
	v_lshlrev_b16 v32, 8, v32
	s_delay_alu instid0(VALU_DEP_2) | instskip(SKIP_1) | instid1(VALU_DEP_1)
	v_sub_nc_u16 v33, v33, v34
	v_lshrrev_b16 v34, 8, v138
	v_sub_nc_u16 v34, v34, v35
	v_and_b32_e32 v35, 0xff, v30
	s_delay_alu instid0(VALU_DEP_1) | instskip(SKIP_1) | instid1(VALU_DEP_2)
	v_or_b32_e32 v23, v35, v23
	v_and_b32_e32 v35, 0xff, v31
	v_perm_b32 v23, v23, v30, 0xc05000c
	s_delay_alu instid0(VALU_DEP_2) | instskip(SKIP_1) | instid1(VALU_DEP_3)
	v_or_b32_e32 v27, v35, v27
	v_and_b32_e32 v35, 0xff, v33
	v_or_b32_e32 v21, v23, v21
	v_lshlrev_b16 v23, 8, v25
	s_delay_alu instid0(VALU_DEP_4) | instskip(NEXT) | instid1(VALU_DEP_4)
	v_perm_b32 v27, v27, v31, 0xc05000c
	v_or_b32_e32 v32, v35, v32
	v_lshlrev_b16 v25, 8, v34
	v_dot4_i32_iu8 v21, v131, v21, v26 neg_lo:[1,1,0]
	v_perm_b32 v23, v23, v23, 0xc0c0c01
	s_delay_alu instid0(VALU_DEP_4) | instskip(NEXT) | instid1(VALU_DEP_4)
	v_perm_b32 v30, v32, v33, 0xc05000c
	v_perm_b32 v25, v25, v25, 0xc0c0c01
	s_delay_alu instid0(VALU_DEP_3) | instskip(NEXT) | instid1(VALU_DEP_2)
	v_or_b32_e32 v23, v27, v23
	v_or_b32_e32 v25, v30, v25
	s_delay_alu instid0(VALU_DEP_2) | instskip(SKIP_1) | instid1(VALU_DEP_3)
	v_dot4_i32_iu8 v22, v131, v23, v22 neg_lo:[1,1,0]
	v_add_nc_u32_e32 v23, s19, v99
	v_dot4_i32_iu8 v24, v131, v25, v24 neg_lo:[1,1,0]
	v_add_nc_u32_e32 v25, s19, v97
	s_mov_b32 s19, s20
	ds_load_u16 v23, v23 offset:25330
	ds_load_u16 v25, v25 offset:27378
	s_wait_dscnt 0x1
	v_lshrrev_b16 v26, 8, v23
	v_bfe_i32 v23, v23, 0, 8
	s_delay_alu instid0(VALU_DEP_2) | instskip(NEXT) | instid1(VALU_DEP_2)
	v_bfe_i32 v26, v26, 0, 8
	v_mul_lo_u32 v20, v20, v23
	s_wait_dscnt 0x0
	v_bfe_i32 v23, v25, 0, 8
	v_lshrrev_b16 v25, 8, v25
	s_delay_alu instid0(VALU_DEP_3) | instskip(SKIP_2) | instid1(VALU_DEP_2)
	v_mad_co_u64_u32 v[20:21], null, v21, v26, v[20:21]
	v_lshrrev_b16 v21, 8, v167
	v_bfe_i32 v26, v167, 0, 8
	v_bfe_i32 v27, v21, 0, 8
	s_delay_alu instid0(VALU_DEP_2)
	v_mul_lo_u32 v21, v28, v26
	ds_load_b32 v26, v130
	v_cvt_f32_i32_e32 v20, v20
	v_add_nc_u32_e32 v130, 4, v130
	v_mad_co_u64_u32 v[21:22], null, v22, v27, v[21:22]
	v_mul_lo_u32 v22, v29, v23
	v_bfe_i32 v23, v25, 0, 8
	v_cvt_f32_i32_e32 v27, v135
	s_delay_alu instid0(VALU_DEP_4) | instskip(NEXT) | instid1(VALU_DEP_3)
	v_cvt_f32_i32_e32 v21, v21
	v_mad_co_u64_u32 v[22:23], null, v24, v23, v[22:23]
	s_wait_dscnt 0x0
	v_mul_f32_e32 v23, v26, v160
	v_mul_f32_e32 v24, v26, v166
	v_mul_f32_e32 v25, v26, v165
	v_mul_f32_e32 v26, v26, v164
	v_cvt_f32_i32_e32 v22, v22
	s_delay_alu instid0(VALU_DEP_4) | instskip(NEXT) | instid1(VALU_DEP_2)
	v_dual_fmac_f32 v42, v23, v20 :: v_dual_fmac_f32 v89, v24, v21
	v_dual_fmac_f32 v17, v26, v27 :: v_dual_fmac_f32 v88, v25, v22
	s_cbranch_scc1 .LBB190_35
; %bb.36:                               ;   in Loop: Header=BB190_5 Depth=1
	s_wait_loadcnt 0x0
	s_barrier_signal -1
	s_barrier_wait -1
	global_inv scope:SCOPE_SE
	s_branch .LBB190_4
.LBB190_37:
	s_mul_i32 s0, s10, s7
	s_wait_loadcnt 0x0
	s_wait_alu 0xfffe
	v_cmp_gt_i32_e32 vcc_lo, s0, v40
	s_and_saveexec_b32 s0, vcc_lo
	s_cbranch_execz .LBB190_46
; %bb.38:
	v_mul_lo_u32 v0, v40, s9
	v_add_nc_u32_e32 v1, s11, v41
	s_mov_b32 s0, exec_lo
	s_delay_alu instid0(VALU_DEP_1)
	v_cmpx_gt_u32_e64 s9, v1
	s_cbranch_execz .LBB190_40
; %bb.39:
	s_delay_alu instid0(VALU_DEP_3) | instskip(NEXT) | instid1(VALU_DEP_1)
	v_dual_mov_b32 v3, 0 :: v_dual_add_nc_u32 v2, v0, v1
	v_lshlrev_b64_e32 v[2:3], 2, v[2:3]
	s_delay_alu instid0(VALU_DEP_1) | instskip(SKIP_1) | instid1(VALU_DEP_2)
	v_add_co_u32 v2, vcc_lo, s12, v2
	s_wait_alu 0xfffd
	v_add_co_ci_u32_e64 v3, null, s13, v3, vcc_lo
	global_store_b32 v[2:3], v42, off
.LBB190_40:
	s_wait_alu 0xfffe
	s_or_b32 exec_lo, exec_lo, s0
	v_add_nc_u32_e32 v2, 32, v1
	s_mov_b32 s0, exec_lo
	s_delay_alu instid0(VALU_DEP_1)
	v_cmpx_gt_u32_e64 s9, v2
	s_cbranch_execz .LBB190_42
; %bb.41:
	v_dual_mov_b32 v3, 0 :: v_dual_add_nc_u32 v2, v0, v2
	s_delay_alu instid0(VALU_DEP_1) | instskip(NEXT) | instid1(VALU_DEP_1)
	v_lshlrev_b64_e32 v[2:3], 2, v[2:3]
	v_add_co_u32 v2, vcc_lo, s12, v2
	s_wait_alu 0xfffd
	s_delay_alu instid0(VALU_DEP_2)
	v_add_co_ci_u32_e64 v3, null, s13, v3, vcc_lo
	global_store_b32 v[2:3], v89, off
.LBB190_42:
	s_wait_alu 0xfffe
	s_or_b32 exec_lo, exec_lo, s0
	v_add_nc_u32_e32 v2, 64, v1
	s_mov_b32 s0, exec_lo
	s_delay_alu instid0(VALU_DEP_1)
	v_cmpx_gt_u32_e64 s9, v2
	s_cbranch_execz .LBB190_44
; %bb.43:
	v_dual_mov_b32 v3, 0 :: v_dual_add_nc_u32 v2, v0, v2
	s_delay_alu instid0(VALU_DEP_1) | instskip(NEXT) | instid1(VALU_DEP_1)
	v_lshlrev_b64_e32 v[2:3], 2, v[2:3]
	v_add_co_u32 v2, vcc_lo, s12, v2
	s_wait_alu 0xfffd
	s_delay_alu instid0(VALU_DEP_2)
	v_add_co_ci_u32_e64 v3, null, s13, v3, vcc_lo
	global_store_b32 v[2:3], v88, off
.LBB190_44:
	s_wait_alu 0xfffe
	s_or_b32 exec_lo, exec_lo, s0
	v_add_nc_u32_e32 v1, 0x60, v1
	s_delay_alu instid0(VALU_DEP_1)
	v_cmp_gt_u32_e32 vcc_lo, s9, v1
	s_and_b32 exec_lo, exec_lo, vcc_lo
	s_cbranch_execz .LBB190_46
; %bb.45:
	v_dual_mov_b32 v1, 0 :: v_dual_add_nc_u32 v0, v0, v1
	s_delay_alu instid0(VALU_DEP_1) | instskip(NEXT) | instid1(VALU_DEP_1)
	v_lshlrev_b64_e32 v[0:1], 2, v[0:1]
	v_add_co_u32 v0, vcc_lo, s12, v0
	s_wait_alu 0xfffd
	s_delay_alu instid0(VALU_DEP_2)
	v_add_co_ci_u32_e64 v1, null, s13, v1, vcc_lo
	global_store_b32 v[0:1], v17, off
.LBB190_46:
	s_nop 0
	s_sendmsg sendmsg(MSG_DEALLOC_VGPRS)
	s_endpgm
	.section	.rodata,"a",@progbits
	.p2align	6, 0x0
	.amdhsa_kernel _ZL8moe_q3_KIfLb1EEvPKvS1_PT_PKiS5_S5_iiiiiii
		.amdhsa_group_segment_fixed_size 31776
		.amdhsa_private_segment_fixed_size 0
		.amdhsa_kernarg_size 76
		.amdhsa_user_sgpr_count 2
		.amdhsa_user_sgpr_dispatch_ptr 0
		.amdhsa_user_sgpr_queue_ptr 0
		.amdhsa_user_sgpr_kernarg_segment_ptr 1
		.amdhsa_user_sgpr_dispatch_id 0
		.amdhsa_user_sgpr_private_segment_size 0
		.amdhsa_wavefront_size32 1
		.amdhsa_uses_dynamic_stack 0
		.amdhsa_enable_private_segment 0
		.amdhsa_system_sgpr_workgroup_id_x 1
		.amdhsa_system_sgpr_workgroup_id_y 1
		.amdhsa_system_sgpr_workgroup_id_z 0
		.amdhsa_system_sgpr_workgroup_info 0
		.amdhsa_system_vgpr_workitem_id 1
		.amdhsa_next_free_vgpr 229
		.amdhsa_next_free_sgpr 27
		.amdhsa_reserve_vcc 1
		.amdhsa_float_round_mode_32 0
		.amdhsa_float_round_mode_16_64 0
		.amdhsa_float_denorm_mode_32 3
		.amdhsa_float_denorm_mode_16_64 3
		.amdhsa_fp16_overflow 0
		.amdhsa_workgroup_processor_mode 1
		.amdhsa_memory_ordered 1
		.amdhsa_forward_progress 1
		.amdhsa_inst_pref_size 255
		.amdhsa_round_robin_scheduling 0
		.amdhsa_exception_fp_ieee_invalid_op 0
		.amdhsa_exception_fp_denorm_src 0
		.amdhsa_exception_fp_ieee_div_zero 0
		.amdhsa_exception_fp_ieee_overflow 0
		.amdhsa_exception_fp_ieee_underflow 0
		.amdhsa_exception_fp_ieee_inexact 0
		.amdhsa_exception_int_div_zero 0
	.end_amdhsa_kernel
	.section	.text._ZL8moe_q3_KIfLb1EEvPKvS1_PT_PKiS5_S5_iiiiiii,"axG",@progbits,_ZL8moe_q3_KIfLb1EEvPKvS1_PT_PKiS5_S5_iiiiiii,comdat
.Lfunc_end190:
	.size	_ZL8moe_q3_KIfLb1EEvPKvS1_PT_PKiS5_S5_iiiiiii, .Lfunc_end190-_ZL8moe_q3_KIfLb1EEvPKvS1_PT_PKiS5_S5_iiiiiii
                                        ; -- End function
	.set _ZL8moe_q3_KIfLb1EEvPKvS1_PT_PKiS5_S5_iiiiiii.num_vgpr, 229
	.set _ZL8moe_q3_KIfLb1EEvPKvS1_PT_PKiS5_S5_iiiiiii.num_agpr, 0
	.set _ZL8moe_q3_KIfLb1EEvPKvS1_PT_PKiS5_S5_iiiiiii.numbered_sgpr, 27
	.set _ZL8moe_q3_KIfLb1EEvPKvS1_PT_PKiS5_S5_iiiiiii.num_named_barrier, 0
	.set _ZL8moe_q3_KIfLb1EEvPKvS1_PT_PKiS5_S5_iiiiiii.private_seg_size, 0
	.set _ZL8moe_q3_KIfLb1EEvPKvS1_PT_PKiS5_S5_iiiiiii.uses_vcc, 1
	.set _ZL8moe_q3_KIfLb1EEvPKvS1_PT_PKiS5_S5_iiiiiii.uses_flat_scratch, 0
	.set _ZL8moe_q3_KIfLb1EEvPKvS1_PT_PKiS5_S5_iiiiiii.has_dyn_sized_stack, 0
	.set _ZL8moe_q3_KIfLb1EEvPKvS1_PT_PKiS5_S5_iiiiiii.has_recursion, 0
	.set _ZL8moe_q3_KIfLb1EEvPKvS1_PT_PKiS5_S5_iiiiiii.has_indirect_call, 0
	.section	.AMDGPU.csdata,"",@progbits
; Kernel info:
; codeLenInByte = 36484
; TotalNumSgprs: 29
; NumVgprs: 229
; ScratchSize: 0
; MemoryBound: 0
; FloatMode: 240
; IeeeMode: 1
; LDSByteSize: 31776 bytes/workgroup (compile time only)
; SGPRBlocks: 0
; VGPRBlocks: 28
; NumSGPRsForWavesPerEU: 29
; NumVGPRsForWavesPerEU: 229
; Occupancy: 6
; WaveLimiterHint : 1
; COMPUTE_PGM_RSRC2:SCRATCH_EN: 0
; COMPUTE_PGM_RSRC2:USER_SGPR: 2
; COMPUTE_PGM_RSRC2:TRAP_HANDLER: 0
; COMPUTE_PGM_RSRC2:TGID_X_EN: 1
; COMPUTE_PGM_RSRC2:TGID_Y_EN: 1
; COMPUTE_PGM_RSRC2:TGID_Z_EN: 0
; COMPUTE_PGM_RSRC2:TIDIG_COMP_CNT: 1
	.section	.text._ZL8moe_q4_KIfLb0EEvPKvS1_PT_PKiS5_S5_iiiiiii,"axG",@progbits,_ZL8moe_q4_KIfLb0EEvPKvS1_PT_PKiS5_S5_iiiiiii,comdat
	.globl	_ZL8moe_q4_KIfLb0EEvPKvS1_PT_PKiS5_S5_iiiiiii ; -- Begin function _ZL8moe_q4_KIfLb0EEvPKvS1_PT_PKiS5_S5_iiiiiii
	.p2align	8
	.type	_ZL8moe_q4_KIfLb0EEvPKvS1_PT_PKiS5_S5_iiiiiii,@function
_ZL8moe_q4_KIfLb0EEvPKvS1_PT_PKiS5_S5_iiiiiii: ; @_ZL8moe_q4_KIfLb0EEvPKvS1_PT_PKiS5_S5_iiiiiii
; %bb.0:
	s_load_b128 s[4:7], s[0:1], 0x18
	s_mov_b32 s2, ttmp7
	s_mov_b32 s3, 0
	s_delay_alu instid0(SALU_CYCLE_1)
	s_lshl_b64 s[2:3], s[2:3], 2
	s_wait_kmcnt 0x0
	s_add_nc_u64 s[2:3], s[6:7], s[2:3]
	s_load_b32 s12, s[2:3], 0x0
	s_wait_kmcnt 0x0
	s_cmp_gt_u32 s12, 0xff
	s_cbranch_scc1 .LBB191_30
; %bb.1:
	s_load_b64 s[2:3], s[0:1], 0x28
	s_wait_kmcnt 0x0
	s_load_b32 s3, s[2:3], 0x0
	s_lshl_b32 s2, ttmp7, 3
	s_wait_kmcnt 0x0
	s_cmp_gt_u32 s2, s3
	s_cbranch_scc1 .LBB191_30
; %bb.2:
	v_bfe_u32 v1, v0, 10, 10
	v_mov_b32_e32 v4, 0
	s_lshl_b32 s18, ttmp9, 7
	s_delay_alu instid0(VALU_DEP_2) | instskip(NEXT) | instid1(VALU_DEP_2)
	v_add_nc_u32_e32 v3, s2, v1
	v_dual_mov_b32 v53, v4 :: v_dual_and_b32 v18, 0x3ff, v0
	v_dual_mov_b32 v46, v4 :: v_dual_mov_b32 v19, v4
	s_delay_alu instid0(VALU_DEP_3) | instskip(NEXT) | instid1(VALU_DEP_1)
	v_lshlrev_b64_e32 v[2:3], 2, v[3:4]
	v_add_co_u32 v2, vcc_lo, s4, v2
	s_delay_alu instid0(VALU_DEP_1)
	v_add_co_ci_u32_e64 v3, null, s5, v3, vcc_lo
	global_load_b32 v17, v[2:3], off
	s_clause 0x2
	s_load_b64 s[10:11], s[0:1], 0x30
	s_load_b64 s[8:9], s[0:1], 0x10
	s_load_b128 s[4:7], s[0:1], 0x3c
	s_wait_kmcnt 0x0
	s_cmp_lt_i32 s11, 0x100
	s_cbranch_scc1 .LBB191_21
; %bb.3:
	s_abs_i32 s17, s7
	v_lshlrev_b32_e32 v3, 3, v1
	v_bfe_u32 v4, v0, 2, 8
	s_wait_loadcnt 0x0
	v_sub_nc_u32_e32 v6, 0, v17
	s_cvt_f32_u32 s21, s17
	s_ashr_i32 s2, s11, 31
	v_dual_mov_b32 v19, 0 :: v_dual_lshlrev_b32 v2, 2, v18
	v_add_nc_u32_e32 v8, v4, v3
	v_add_nc_u16 v3, v4, v3
	v_max_i32_e32 v4, v17, v6
	v_rcp_iflag_f32_e32 v6, s21
	s_wait_alu 0xfffe
	s_lshr_b32 s2, s2, 24
	v_dual_mov_b32 v46, 0 :: v_dual_and_b32 v5, 3, v0
	s_wait_alu 0xfffe
	s_add_co_i32 s13, s11, s2
	s_load_b128 s[0:3], s[0:1], 0x0
	v_and_b32_e32 v10, 4, v2
	v_cmp_lt_u32_e32 vcc_lo, 1, v5
	v_lshlrev_b32_e32 v23, 5, v1
	s_ashr_i32 s19, s13, 8
	v_readfirstlane_b32 s23, v6
	s_ashr_i32 s13, s5, 31
	s_wait_alu 0xfffd
	v_cndmask_b32_e32 v34, 0, v10, vcc_lo
	v_add_nc_u32_e32 v7, v23, v18
	s_lshr_b32 s20, s13, 27
	s_mul_f32 s23, s23, 0x4f7ffffe
	s_mul_i32 s12, s12, s10
	s_wait_alu 0xfffe
	s_add_co_i32 s5, s5, s20
	s_mul_i32 s20, s19, s18
	v_and_b32_e32 v12, 0x7f, v7
	v_lshrrev_b32_e32 v7, 3, v7
	s_cvt_u32_f32 s23, s23
	s_lshl_b32 s16, s19, 3
	s_ashr_i32 s13, s12, 31
	s_sub_co_i32 s22, 0, s17
	s_wait_alu 0xfffe
	s_ashr_i32 s21, s20, 31
	v_mad_i32_i24 v20, s19, v1, s16
	s_wait_alu 0xfffe
	s_mul_u64 s[20:21], s[20:21], 0x90
	s_wait_kmcnt 0x0
	s_add_nc_u64 s[0:1], s[0:1], s[12:13]
	s_mul_i32 s22, s22, s23
	v_mul_i32_i24_e32 v37, s19, v12
	v_and_b32_e32 v7, 12, v7
	v_lshlrev_b32_e32 v12, 2, v12
	s_wait_alu 0xfffe
	s_add_nc_u64 s[12:13], s[0:1], s[20:21]
	s_mul_hi_u32 s0, s23, s22
	v_dual_mov_b32 v53, 0 :: v_dual_add_nc_u32 v22, s16, v20
	v_add_nc_u32_e32 v9, 0xfe, v5
	s_add_co_i32 s23, s23, s0
	v_add3_u32 v40, v12, v7, 0x4e40
	v_mul_hi_u32 v12, v4, s23
	v_add_nc_u32_e32 v24, s16, v22
	v_lshlrev_b32_e32 v11, 2, v5
	v_and_b32_e32 v9, 0xff, v9
	v_and_b32_e32 v8, 0x7f, v8
	v_cndmask_b32_e64 v10, 0, 1, vcc_lo
	v_cmp_gt_u32_e32 vcc_lo, 2, v5
	v_add_nc_u32_e32 v25, s16, v24
	v_bfe_u32 v21, v0, 5, 5
	v_xor_b32_e32 v13, 64, v8
	v_mul_i32_i24_e32 v44, s19, v8
	s_wait_alu 0xfffd
	v_cndmask_b32_e32 v6, v9, v5, vcc_lo
	v_lshl_or_b32 v9, v8, 4, v11
	v_mul_lo_u32 v8, v12, s17
	v_cmp_ne_u32_e32 vcc_lo, 0, v5
	v_lshl_add_u32 v47, v1, 7, 0x4a40
	v_lshlrev_b32_e32 v43, 1, v6
	v_lshrrev_b16 v3, 1, v3
	v_bfe_u32 v51, v0, 3, 7
	s_wait_alu 0xfffd
	v_add_co_ci_u32_e64 v7, null, 0, v6, vcc_lo
	v_and_b32_e32 v6, 31, v0
	v_sub_nc_u32_e32 v4, v4, v8
	v_add_nc_u32_e32 v8, 1, v12
	v_and_b32_e32 v3, 60, v3
	v_add_nc_u32_e32 v26, s16, v25
	v_lshl_add_u32 v50, v6, 2, v47
	v_lshlrev_b32_e32 v6, 2, v21
	v_subrev_nc_u32_e32 v0, s17, v4
	v_cmp_le_u32_e32 vcc_lo, s17, v4
	v_and_b32_e32 v27, 0x7c, v2
	v_add3_u32 v45, v9, v3, 0x4200
	v_add3_u32 v52, v6, v2, 0x4e40
	s_wait_alu 0xfffd
	v_dual_cndmask_b32 v6, v12, v8 :: v_dual_add_nc_u32 v9, 64, v18
	v_dual_cndmask_b32 v0, v4, v0 :: v_dual_add_nc_u32 v29, s16, v26
	v_lshl_or_b32 v3, v13, 4, v11
	v_xor_b32_e32 v11, s7, v17
	s_delay_alu instid0(VALU_DEP_4) | instskip(NEXT) | instid1(VALU_DEP_4)
	v_add_nc_u32_e32 v4, 1, v6
	v_cmp_le_u32_e32 vcc_lo, s17, v0
	v_add_nc_u32_e32 v8, 32, v18
	v_lshrrev_b32_e32 v5, 1, v13
	v_ashrrev_i32_e32 v11, 31, v11
	v_add_nc_u32_e32 v12, 0x60, v18
	s_wait_alu 0xfffd
	v_cndmask_b32_e32 v0, v6, v4, vcc_lo
	v_lshrrev_b32_e32 v4, 3, v9
	v_lshrrev_b32_e32 v54, 3, v8
	v_and_b32_e32 v5, 60, v5
	v_mul_i32_i24_e32 v48, s19, v13
	v_xor_b32_e32 v0, v0, v11
	v_and_b32_e32 v14, 60, v4
	v_lshlrev_b32_e32 v64, 2, v4
	v_mov_b32_e32 v4, 0
	v_add_nc_u32_e32 v30, s16, v29
	v_and_b32_e32 v6, 60, v54
	v_lshrrev_b32_e32 v13, 3, v12
	v_sub_nc_u32_e32 v0, v0, v11
	v_add3_u32 v49, v3, v5, 0x4200
	v_add_nc_u32_e32 v31, s16, v30
	v_and_b32_e32 v5, 28, v2
	v_mad_u32_u24 v28, 0x84, v1, v2
	s_ashr_i32 s5, s5, 5
	v_mul_i32_i24_e32 v32, s19, v1
	v_add_nc_u32_e32 v33, s16, v31
	v_add_nc_u32_e32 v3, 0x5050, v2
	v_lshlrev_b32_e32 v1, 4, v1
	v_lshlrev_b32_e32 v8, 2, v8
	v_add3_u32 v55, v2, v6, 0x4e40
	v_add_nc_u32_e32 v35, s16, v33
	v_and_b32_e32 v6, 60, v13
	v_lshlrev_b32_e32 v9, 2, v9
	v_lshlrev_b32_e32 v11, 2, v12
	s_movk_i32 s10, 0x1080
	v_add_nc_u32_e32 v36, s16, v35
	s_wait_alu 0xfffe
	v_mul_lo_u32 v59, v0, s5
	s_movk_i32 s14, 0x2100
	s_movk_i32 s15, 0x3180
	v_cmp_gt_u32_e64 s0, 4, v18
	v_add_nc_u32_e32 v38, s16, v36
	v_mad_u32_u24 v58, 0x84, v18, s10
	v_cmp_gt_i32_e64 s1, s4, v0
	v_add_co_u32 v5, s10, s2, v5
	s_delay_alu instid0(VALU_DEP_4)
	v_add_nc_u32_e32 v39, s16, v38
	v_add3_u32 v56, v2, v14, 0x4e40
	v_add3_u32 v57, v2, v6, 0x4e40
	v_mad_u32_u24 v60, 0x84, v18, s14
	v_mad_u32_u24 v61, 0x84, v18, s15
	v_add_nc_u32_e32 v41, s16, v39
	s_wait_alu 0xf1ff
	v_add_co_ci_u32_e64 v6, null, s3, 0, s10
	v_add_nc_u32_e32 v62, 0x5050, v1
	v_lshlrev_b32_e32 v63, 2, v13
	v_add_nc_u32_e32 v42, s16, v41
	v_lshlrev_b32_e32 v65, 2, v54
	v_lshlrev_b32_e32 v66, 2, v7
	;; [unrolled: 1-line block ×3, first 2 shown]
	v_add_nc_u32_e32 v68, v3, v1
	v_lshlrev_b32_e32 v69, 2, v2
	v_lshlrev_b32_e32 v70, 2, v8
	;; [unrolled: 1-line block ×4, first 2 shown]
	s_mov_b32 s15, 0
	s_and_b32 s10, s0, s1
	s_wait_alu 0xfffe
	s_mov_b32 s14, s15
	s_branch .LBB191_5
.LBB191_4:                              ;   in Loop: Header=BB191_5 Depth=1
	s_add_co_i32 s14, s14, 1
	s_wait_alu 0xfffe
	s_cmp_eq_u32 s14, s19
	s_cbranch_scc1 .LBB191_21
.LBB191_5:                              ; =>This Loop Header: Depth=1
                                        ;     Child Loop BB191_11 Depth 2
                                        ;     Child Loop BB191_19 Depth 2
	s_wait_alu 0xfffe
	s_mul_u64 s[16:17], s[14:15], 0x90
	v_add_nc_u32_e32 v93, 0x39c0, v28
	s_wait_alu 0xfffe
	s_add_nc_u64 s[16:17], s[12:13], s[16:17]
	v_add_nc_u32_e32 v94, 0x3de0, v28
	s_wait_alu 0xfffe
	v_mad_co_u64_u32 v[0:1], null, 0x90, v21, s[16:17]
	v_add_nc_u32_e32 v91, 0x3180, v28
	v_add_nc_u32_e32 v92, 0x35a0, v28
	s_delay_alu instid0(VALU_DEP_3) | instskip(SKIP_3) | instid1(VALU_DEP_4)
	v_mad_co_u64_u32 v[2:3], null, 0x90, v32, v[0:1]
	v_mad_co_u64_u32 v[7:8], null, 0x90, v20, v[0:1]
	;; [unrolled: 1-line block ×4, first 2 shown]
	v_add_co_u32 v2, vcc_lo, v2, v27
	v_mad_co_u64_u32 v[13:14], null, 0x90, v25, v[0:1]
	s_wait_alu 0xfffd
	v_add_co_ci_u32_e64 v3, null, 0, v3, vcc_lo
	v_add_co_u32 v7, vcc_lo, v7, v27
	v_mad_co_u64_u32 v[15:16], null, 0x90, v26, v[0:1]
	s_wait_alu 0xfffd
	v_add_co_ci_u32_e64 v8, null, 0, v8, vcc_lo
	;; [unrolled: 4-line block ×4, first 2 shown]
	v_add_co_u32 v13, vcc_lo, v13, v27
	s_wait_alu 0xfffd
	v_add_co_ci_u32_e64 v14, null, 0, v14, vcc_lo
	v_add_co_u32 v15, vcc_lo, v15, v27
	s_wait_alu 0xfffd
	v_add_co_ci_u32_e64 v16, null, 0, v16, vcc_lo
	;; [unrolled: 3-line block ×3, first 2 shown]
	v_add_co_u32 v75, vcc_lo, v75, v27
	v_mad_co_u64_u32 v[77:78], null, 0x90, v31, v[0:1]
	s_wait_alu 0xfffd
	v_add_co_ci_u32_e64 v76, null, 0, v76, vcc_lo
	s_clause 0x7
	global_load_b32 v83, v[2:3], off offset:16
	global_load_b32 v84, v[7:8], off offset:16
	;; [unrolled: 1-line block ×8, first 2 shown]
	v_mad_co_u64_u32 v[2:3], null, 0x90, v33, v[0:1]
	v_mad_co_u64_u32 v[9:10], null, 0x90, v35, v[0:1]
	;; [unrolled: 1-line block ×3, first 2 shown]
	v_add_co_u32 v7, vcc_lo, v77, v27
	v_mad_co_u64_u32 v[13:14], null, 0x90, v38, v[0:1]
	s_wait_alu 0xfffd
	v_add_co_ci_u32_e64 v8, null, 0, v78, vcc_lo
	v_add_co_u32 v2, vcc_lo, v2, v27
	v_mad_co_u64_u32 v[73:74], null, 0x90, v44, s[16:17]
	s_wait_alu 0xfffd
	v_add_co_ci_u32_e64 v3, null, 0, v3, vcc_lo
	v_add_co_u32 v9, vcc_lo, v9, v27
	s_wait_alu 0xfffd
	v_add_co_ci_u32_e64 v10, null, 0, v10, vcc_lo
	v_add_co_u32 v11, vcc_lo, v11, v27
	v_mad_co_u64_u32 v[77:78], null, 0x90, v48, s[16:17]
	s_wait_alu 0xfffd
	v_add_co_ci_u32_e64 v12, null, 0, v12, vcc_lo
	v_add_co_u32 v13, vcc_lo, v13, v27
	s_wait_alu 0xfffd
	v_add_co_ci_u32_e64 v14, null, 0, v14, vcc_lo
	v_add_co_u32 v79, vcc_lo, v73, v66
	s_wait_alu 0xfffd
	v_add_co_ci_u32_e64 v80, null, 0, v74, vcc_lo
	v_add_co_u32 v73, vcc_lo, v73, v67
	s_wait_alu 0xfffd
	v_add_co_ci_u32_e64 v74, null, 0, v74, vcc_lo
	v_add_co_u32 v81, vcc_lo, v77, v66
	v_mad_co_u64_u32 v[15:16], null, 0x90, v39, v[0:1]
	s_wait_alu 0xfffd
	v_add_co_ci_u32_e64 v82, null, 0, v78, vcc_lo
	v_add_co_u32 v77, vcc_lo, v77, v67
	v_mad_co_u64_u32 v[75:76], null, 0x90, v41, v[0:1]
	s_wait_alu 0xfffd
	v_add_co_ci_u32_e64 v78, null, 0, v78, vcc_lo
	v_mad_co_u64_u32 v[0:1], null, 0x90, v42, v[0:1]
	s_clause 0x3
	global_load_b32 v79, v[79:80], off offset:4
	global_load_b32 v80, v[81:82], off offset:4
	;; [unrolled: 1-line block ×4, first 2 shown]
	v_add_co_u32 v15, vcc_lo, v15, v27
	s_wait_alu 0xfffd
	v_add_co_ci_u32_e64 v16, null, 0, v16, vcc_lo
	v_add_co_u32 v73, vcc_lo, v75, v27
	s_wait_alu 0xfffd
	v_add_co_ci_u32_e64 v74, null, 0, v76, vcc_lo
	;; [unrolled: 3-line block ×3, first 2 shown]
	v_mad_co_u64_u32 v[75:76], null, 0x90, v37, s[16:17]
	s_clause 0x8
	global_load_b32 v7, v[7:8], off offset:16
	global_load_b32 v2, v[2:3], off offset:16
	;; [unrolled: 1-line block ×8, first 2 shown]
	global_load_b32 v1, v[75:76], off
	v_add_nc_u32_e32 v12, 0x420, v28
	v_add_nc_u32_e32 v13, 0x840, v28
	s_lshl_b32 s16, s14, 8
	v_add_nc_u32_e32 v14, 0xc60, v28
	v_add_nc_u32_e32 v15, 0x1080, v28
	;; [unrolled: 1-line block ×9, first 2 shown]
	s_wait_alu 0xfffe
	s_cmp_lt_i32 s16, s11
	s_wait_loadcnt 0x14
	ds_store_b32 v28, v83
	s_wait_loadcnt 0x13
	ds_store_b32 v12, v84
	;; [unrolled: 2-line block ×14, first 2 shown]
	v_ashrrev_i32_e32 v79, v34, v79
	v_ashrrev_i32_e32 v80, v34, v80
	;; [unrolled: 1-line block ×4, first 2 shown]
	s_delay_alu instid0(VALU_DEP_4) | instskip(NEXT) | instid1(VALU_DEP_4)
	v_and_b32_e32 v79, 0xf0f0f0f, v79
	v_and_b32_e32 v80, 0xf0f0f0f, v80
	s_delay_alu instid0(VALU_DEP_2) | instskip(NEXT) | instid1(VALU_DEP_2)
	v_and_or_b32 v2, 0x30303030, v78, v79
	v_and_or_b32 v3, 0x30303030, v77, v80
	s_wait_loadcnt 0x2
	ds_store_b32 v93, v11
	s_wait_loadcnt 0x1
	ds_store_b32 v94, v0
	;; [unrolled: 2-line block ×3, first 2 shown]
	ds_store_b32 v45, v2
	ds_store_b32 v49, v3
	s_cbranch_scc0 .LBB191_4
; %bb.6:                                ;   in Loop: Header=BB191_5 Depth=1
	s_lshl_b32 s17, s14, 3
	s_wait_alu 0xfffe
	v_add_nc_u32_e32 v0, s17, v51
	s_delay_alu instid0(VALU_DEP_1)
	v_cmp_gt_i32_e32 vcc_lo, s5, v0
	s_and_b32 s21, s1, vcc_lo
	s_wait_alu 0xfffe
	s_and_saveexec_b32 s20, s21
	s_cbranch_execz .LBB191_8
; %bb.7:                                ;   in Loop: Header=BB191_5 Depth=1
	v_add_nc_u32_e32 v0, v59, v0
	s_delay_alu instid0(VALU_DEP_1)
	v_mad_co_i64_i32 v[0:1], null, v0, 36, v[5:6]
	global_load_b32 v0, v[0:1], off offset:4
	s_wait_loadcnt 0x0
	ds_store_b32 v50, v0
.LBB191_8:                              ;   in Loop: Header=BB191_5 Depth=1
	s_wait_alu 0xfffe
	s_or_b32 exec_lo, exec_lo, s20
	v_add_nc_u32_e32 v73, s17, v18
	s_delay_alu instid0(VALU_DEP_1)
	v_cmp_gt_i32_e32 vcc_lo, s5, v73
	s_and_b32 s21, s10, vcc_lo
	s_wait_alu 0xfffe
	s_and_saveexec_b32 s20, s21
	s_cbranch_execz .LBB191_10
; %bb.9:                                ;   in Loop: Header=BB191_5 Depth=1
	v_add_nc_u32_e32 v0, v59, v73
	s_delay_alu instid0(VALU_DEP_1)
	v_mad_co_i64_i32 v[0:1], null, v0, 36, s[2:3]
	global_load_b32 v0, v[0:1], off
	s_wait_loadcnt 0x0
	ds_store_b32 v68, v0
.LBB191_10:                             ;   in Loop: Header=BB191_5 Depth=1
	s_wait_alu 0xfffe
	s_or_b32 exec_lo, exec_lo, s20
	s_wait_dscnt 0x0
	s_barrier_signal -1
	s_barrier_wait -1
	global_inv scope:SCOPE_SE
	ds_load_b32 v0, v52
	ds_load_b32 v1, v55 offset:128
	ds_load_b32 v2, v56 offset:256
	;; [unrolled: 1-line block ×3, first 2 shown]
	s_mov_b32 s21, 0
	s_mov_b32 s20, -1
	s_wait_dscnt 0x3
	v_cvt_f32_f16_e32 v74, v0
	v_lshrrev_b32_e32 v0, 16, v0
	s_wait_dscnt 0x2
	v_cvt_f32_f16_e32 v75, v1
	v_lshrrev_b32_e32 v1, 16, v1
	s_wait_dscnt 0x1
	v_lshrrev_b32_e32 v7, 16, v2
	s_wait_dscnt 0x0
	v_lshrrev_b32_e32 v8, 16, v3
	v_cvt_f32_f16_e32 v76, v2
	v_cvt_f32_f16_e32 v77, v0
	;; [unrolled: 1-line block ×6, first 2 shown]
.LBB191_11:                             ;   Parent Loop BB191_5 Depth=1
                                        ; =>  This Inner Loop Header: Depth=2
	s_wait_alu 0xfffe
	v_lshl_or_b32 v82, s21, 1, v23
	s_lshr_b32 s22, s21, 2
	s_lshl_b32 s23, s21, 2
	s_wait_alu 0xfffe
	s_add_co_i32 s21, s22, 0x4200
	v_add_nc_u32_e32 v104, s23, v58
	v_lshlrev_b32_e32 v0, 2, v82
	s_wait_alu 0xfffe
	v_add3_u32 v138, s21, v65, v70
	v_add_nc_u32_e32 v146, s23, v61
	v_add3_u32 v139, s21, v63, v72
	s_and_b32 vcc_lo, exec_lo, s20
	ds_load_b128 v[7:10], v0 offset:19008
	ds_load_b128 v[11:14], v0 offset:19024
	s_mov_b32 s20, 0
	s_wait_dscnt 0x1
	v_lshrrev_b16 v15, 8, v7
	v_lshrrev_b16 v149, 8, v8
	;; [unrolled: 1-line block ×4, first 2 shown]
	v_ashrrev_i32_e32 v155, 24, v7
	v_bfe_i32 v157, v7, 16, 8
	v_bfe_i32 v160, v7, 0, 8
	v_ashrrev_i32_e32 v134, 24, v8
	v_bfe_i32 v135, v8, 16, 8
	v_bfe_i32 v148, v8, 0, 8
	v_ashrrev_i32_e32 v118, 24, v9
	v_bfe_i32 v119, v9, 16, 8
	v_bfe_i32 v124, v9, 0, 8
	v_ashrrev_i32_e32 v112, 24, v10
	v_bfe_i32 v113, v10, 16, 8
	v_bfe_i32 v116, v10, 0, 8
	ds_load_b128 v[7:10], v0 offset:19040
	ds_load_b128 v[0:3], v0 offset:19056
	s_wait_dscnt 0x2
	v_lshrrev_b16 v142, 8, v11
	v_lshrrev_b16 v128, 8, v12
	v_ashrrev_i32_e32 v106, 24, v11
	v_bfe_i32 v107, v11, 16, 8
	v_bfe_i32 v110, v11, 0, 8
	v_ashrrev_i32_e32 v99, 24, v12
	v_bfe_i32 v100, v12, 16, 8
	v_bfe_i32 v103, v12, 0, 8
	v_bfe_i32 v156, v15, 0, 8
	v_lshrrev_b16 v129, 8, v13
	v_lshrrev_b16 v123, 8, v14
	v_ashrrev_i32_e32 v92, 24, v13
	v_bfe_i32 v93, v13, 16, 8
	v_bfe_i32 v97, v13, 0, 8
	v_ashrrev_i32_e32 v83, 24, v14
	v_bfe_i32 v84, v14, 16, 8
	v_bfe_i32 v89, v14, 0, 8
	;; [unrolled: 1-line block ×3, first 2 shown]
	s_wait_dscnt 0x1
	v_lshrrev_b16 v158, 8, v7
	s_wait_dscnt 0x0
	v_lshrrev_b16 v132, 8, v0
	v_ashrrev_i32_e32 v108, 24, v0
	v_bfe_i32 v109, v0, 16, 8
	v_bfe_i32 v111, v0, 0, 8
	v_lshlrev_b32_e32 v0, 2, v51
	v_lshrrev_b16 v125, 8, v1
	v_ashrrev_i32_e32 v101, 24, v1
	v_bfe_i32 v102, v1, 16, 8
	v_bfe_i32 v105, v1, 0, 8
	v_add3_u32 v85, s21, v0, v69
	v_mul_u32_u24_e32 v0, 0x84, v18
	v_lshrrev_b16 v126, 8, v2
	v_ashrrev_i32_e32 v95, 24, v2
	v_bfe_i32 v96, v2, 16, 8
	v_bfe_i32 v98, v2, 0, 8
	v_add_nc_u32_e32 v133, s23, v0
	ds_load_u16 v87, v85 offset:8
	ds_load_2addr_b32 v[11:12], v133 offset1:1
	v_lshrrev_b16 v122, 8, v3
	v_ashrrev_i32_e32 v86, 24, v3
	v_bfe_i32 v88, v3, 16, 8
	v_bfe_i32 v91, v3, 0, 8
	v_ashrrev_i32_e32 v151, 24, v7
	v_bfe_i32 v152, v7, 16, 8
	v_bfe_i32 v153, v7, 0, 8
	v_lshrrev_b16 v145, 8, v8
	v_ashrrev_i32_e32 v136, 24, v8
	v_bfe_i32 v137, v8, 16, 8
	v_bfe_i32 v144, v8, 0, 8
	v_lshrrev_b16 v143, 8, v9
	;; [unrolled: 4-line block ×3, first 2 shown]
	v_ashrrev_i32_e32 v114, 24, v10
	v_bfe_i32 v115, v10, 16, 8
	v_bfe_i32 v117, v10, 0, 8
	s_wait_dscnt 0x0
	v_and_b32_e32 v0, 15, v11
	v_bfe_u32 v1, v11, 8, 4
	v_bfe_u32 v2, v11, 24, 4
	v_bfe_i32 v158, v158, 0, 8
	v_bfe_i32 v150, v150, 0, 8
	v_mul_i32_i24_e32 v0, v160, v0
	v_bfe_i32 v145, v145, 0, 8
	v_mul_i32_i24_e32 v2, v155, v2
	v_bfe_i32 v143, v143, 0, 8
	v_bfe_i32 v140, v140, 0, 8
	v_mad_i32_i24 v0, v156, v1, v0
	v_bfe_u32 v1, v11, 16, 4
	v_bfe_i32 v142, v142, 0, 8
	v_bfe_i32 v130, v130, 0, 8
	;; [unrolled: 1-line block ×4, first 2 shown]
	v_mul_i32_i24_e32 v1, v157, v1
	v_bfe_i32 v123, v123, 0, 8
	s_delay_alu instid0(VALU_DEP_2)
	v_add3_u32 v154, v0, v1, v2
	ds_load_2addr_b32 v[2:3], v104 offset0:2 offset1:3
	ds_load_2addr_b32 v[0:1], v104 offset0:4 offset1:5
	ds_load_u16 v90, v138 offset:8
	ds_load_2addr_b32 v[13:14], v104 offset1:1
	s_wait_dscnt 0x0
	v_and_b32_e32 v7, 15, v13
	v_bfe_u32 v8, v13, 8, 4
	v_bfe_u32 v9, v13, 24, 4
	s_delay_alu instid0(VALU_DEP_3) | instskip(NEXT) | instid1(VALU_DEP_2)
	v_mul_i32_i24_e32 v7, v160, v7
	v_mul_i32_i24_e32 v9, v155, v9
	s_delay_alu instid0(VALU_DEP_2) | instskip(SKIP_1) | instid1(VALU_DEP_1)
	v_mad_i32_i24 v7, v156, v8, v7
	v_bfe_u32 v8, v13, 16, 4
	v_mul_i32_i24_e32 v8, v157, v8
	s_delay_alu instid0(VALU_DEP_1)
	v_add3_u32 v159, v7, v8, v9
	ds_load_2addr_b32 v[9:10], v146 offset0:2 offset1:3
	ds_load_2addr_b32 v[7:8], v146 offset0:4 offset1:5
	ds_load_u16 v94, v139 offset:8
	ds_load_2addr_b32 v[15:16], v146 offset1:1
	s_wait_dscnt 0x0
	v_and_b32_e32 v131, 15, v16
	v_and_b32_e32 v141, 15, v15
	v_bfe_u32 v165, v15, 16, 4
	v_bfe_u32 v166, v15, 24, 4
	v_lshrrev_b32_e32 v167, 28, v15
	v_mul_i32_i24_e32 v131, v131, v148
	s_delay_alu instid0(VALU_DEP_1)
	v_mad_i32_i24 v163, v141, v160, v131
	v_add3_u32 v131, s21, v64, v71
	v_add_nc_u32_e32 v141, s23, v60
	ds_load_u16 v147, v131 offset:8
	ds_load_2addr_b32 v[161:162], v141 offset1:1
	s_mov_b32 s21, 8
	s_wait_dscnt 0x0
	v_and_b32_e32 v164, 15, v161
	s_delay_alu instid0(VALU_DEP_1) | instskip(SKIP_1) | instid1(VALU_DEP_1)
	v_mul_i32_i24_e32 v160, v160, v164
	v_bfe_u32 v164, v16, 16, 4
	v_mul_i32_i24_e32 v164, v164, v135
	s_delay_alu instid0(VALU_DEP_1) | instskip(SKIP_1) | instid1(VALU_DEP_1)
	v_mad_i32_i24 v164, v165, v157, v164
	v_bfe_u32 v165, v161, 16, 4
	v_mul_i32_i24_e32 v157, v157, v165
	v_bfe_u32 v165, v16, 24, 4
	s_delay_alu instid0(VALU_DEP_1) | instskip(NEXT) | instid1(VALU_DEP_1)
	v_mul_i32_i24_e32 v165, v165, v134
	v_mad_i32_i24 v165, v166, v155, v165
	v_bfe_u32 v166, v161, 24, 4
	s_delay_alu instid0(VALU_DEP_1) | instskip(SKIP_1) | instid1(VALU_DEP_1)
	v_mul_i32_i24_e32 v155, v155, v166
	v_bfe_u32 v166, v161, 8, 4
	v_mad_i32_i24 v160, v156, v166, v160
	v_bfe_u32 v166, v15, 20, 4
	s_delay_alu instid0(VALU_DEP_2) | instskip(SKIP_2) | instid1(VALU_DEP_2)
	v_add3_u32 v155, v160, v157, v155
	v_bfe_u32 v157, v9, 16, 4
	v_bfe_u32 v160, v10, 16, 4
	v_mul_i32_i24_e32 v157, v157, v119
	s_delay_alu instid0(VALU_DEP_2) | instskip(NEXT) | instid1(VALU_DEP_1)
	v_mul_i32_i24_e32 v160, v160, v113
	v_add3_u32 v157, v164, v157, v160
	v_and_b32_e32 v160, 15, v9
	v_and_b32_e32 v164, 15, v10
	s_delay_alu instid0(VALU_DEP_2) | instskip(NEXT) | instid1(VALU_DEP_2)
	v_mul_i32_i24_e32 v160, v160, v124
	v_mul_i32_i24_e32 v164, v164, v116
	s_delay_alu instid0(VALU_DEP_1) | instskip(SKIP_2) | instid1(VALU_DEP_2)
	v_add3_u32 v160, v163, v160, v164
	v_bfe_u32 v163, v9, 24, 4
	v_bfe_u32 v164, v10, 24, 4
	v_mul_i32_i24_e32 v163, v163, v118
	s_delay_alu instid0(VALU_DEP_2) | instskip(NEXT) | instid1(VALU_DEP_1)
	v_mul_i32_i24_e32 v164, v164, v112
	v_add3_u32 v163, v165, v163, v164
	v_bfe_u32 v164, v11, 4, 4
	v_bfe_u32 v165, v11, 12, 4
	s_delay_alu instid0(VALU_DEP_2) | instskip(NEXT) | instid1(VALU_DEP_1)
	v_mul_i32_i24_e32 v164, v153, v164
	v_mad_i32_i24 v164, v158, v165, v164
	v_bfe_u32 v165, v11, 20, 4
	v_lshrrev_b32_e32 v11, 28, v11
	s_delay_alu instid0(VALU_DEP_2) | instskip(NEXT) | instid1(VALU_DEP_2)
	v_mul_i32_i24_e32 v165, v152, v165
	v_mul_i32_i24_e32 v11, v151, v11
	s_delay_alu instid0(VALU_DEP_1) | instskip(SKIP_2) | instid1(VALU_DEP_2)
	v_add3_u32 v11, v164, v165, v11
	v_bfe_u32 v164, v13, 4, 4
	v_bfe_u32 v165, v13, 12, 4
	v_mul_i32_i24_e32 v164, v153, v164
	s_delay_alu instid0(VALU_DEP_1) | instskip(SKIP_2) | instid1(VALU_DEP_2)
	v_mad_i32_i24 v164, v158, v165, v164
	v_bfe_u32 v165, v13, 20, 4
	v_lshrrev_b32_e32 v13, 28, v13
	v_mul_i32_i24_e32 v165, v152, v165
	s_delay_alu instid0(VALU_DEP_2) | instskip(NEXT) | instid1(VALU_DEP_1)
	v_mul_i32_i24_e32 v13, v151, v13
	v_add3_u32 v13, v164, v165, v13
	v_bfe_u32 v164, v16, 4, 4
	v_bfe_u32 v165, v15, 4, 4
	s_delay_alu instid0(VALU_DEP_2) | instskip(NEXT) | instid1(VALU_DEP_1)
	v_mul_i32_i24_e32 v164, v164, v144
	v_mad_i32_i24 v164, v165, v153, v164
	v_bfe_u32 v165, v161, 4, 4
	s_delay_alu instid0(VALU_DEP_1) | instskip(SKIP_1) | instid1(VALU_DEP_1)
	v_mul_i32_i24_e32 v153, v153, v165
	v_bfe_u32 v165, v16, 20, 4
	v_mul_i32_i24_e32 v165, v165, v137
	s_delay_alu instid0(VALU_DEP_1) | instskip(SKIP_1) | instid1(VALU_DEP_1)
	v_mad_i32_i24 v165, v166, v152, v165
	v_bfe_u32 v166, v161, 20, 4
	v_mul_i32_i24_e32 v152, v152, v166
	v_lshrrev_b32_e32 v166, 28, v16
	s_delay_alu instid0(VALU_DEP_1) | instskip(NEXT) | instid1(VALU_DEP_1)
	v_mul_i32_i24_e32 v166, v166, v136
	v_mad_i32_i24 v166, v167, v151, v166
	v_lshrrev_b32_e32 v167, 28, v161
	v_bfe_u32 v161, v161, 12, 4
	s_delay_alu instid0(VALU_DEP_2) | instskip(NEXT) | instid1(VALU_DEP_2)
	v_mul_i32_i24_e32 v151, v151, v167
	v_mad_i32_i24 v153, v158, v161, v153
	v_bfe_u32 v161, v10, 4, 4
	s_delay_alu instid0(VALU_DEP_2) | instskip(SKIP_2) | instid1(VALU_DEP_4)
	v_add3_u32 v151, v153, v152, v151
	v_bfe_u32 v152, v9, 20, 4
	v_bfe_u32 v153, v10, 20, 4
	v_mul_i32_i24_e32 v161, v161, v117
	s_delay_alu instid0(VALU_DEP_3) | instskip(NEXT) | instid1(VALU_DEP_3)
	v_mul_i32_i24_e32 v152, v152, v121
	v_mul_i32_i24_e32 v153, v153, v115
	s_delay_alu instid0(VALU_DEP_1) | instskip(SKIP_2) | instid1(VALU_DEP_2)
	v_add3_u32 v152, v165, v152, v153
	v_bfe_u32 v153, v9, 4, 4
	v_and_b32_e32 v165, 0xf0f0f0f, v9
	v_mul_i32_i24_e32 v153, v153, v127
	s_delay_alu instid0(VALU_DEP_2) | instskip(NEXT) | instid1(VALU_DEP_2)
	v_lshrrev_b16 v165, 8, v165
	v_add3_u32 v153, v164, v153, v161
	v_lshrrev_b32_e32 v161, 28, v9
	v_lshrrev_b32_e32 v164, 28, v10
	s_delay_alu instid0(VALU_DEP_4) | instskip(SKIP_1) | instid1(VALU_DEP_4)
	v_and_b32_e32 v165, 0xffff, v165
	v_lshrrev_b32_e32 v9, 4, v9
	v_mul_i32_i24_e32 v161, v161, v120
	s_delay_alu instid0(VALU_DEP_4) | instskip(NEXT) | instid1(VALU_DEP_4)
	v_mul_i32_i24_e32 v164, v164, v114
	v_mul_i32_i24_e32 v165, v165, v150
	s_delay_alu instid0(VALU_DEP_4) | instskip(NEXT) | instid1(VALU_DEP_3)
	v_lshrrev_b16 v9, 8, v9
	v_add3_u32 v161, v166, v161, v164
	v_and_b32_e32 v164, 0xf0f0f0f, v15
	v_lshrrev_b32_e32 v15, 4, v15
	s_delay_alu instid0(VALU_DEP_4) | instskip(NEXT) | instid1(VALU_DEP_3)
	v_and_b32_e32 v9, 15, v9
	v_lshrrev_b16 v164, 8, v164
	s_delay_alu instid0(VALU_DEP_3) | instskip(NEXT) | instid1(VALU_DEP_3)
	v_lshrrev_b16 v15, 8, v15
	v_and_b32_e32 v9, 0xffff, v9
	s_delay_alu instid0(VALU_DEP_3) | instskip(NEXT) | instid1(VALU_DEP_3)
	v_and_b32_e32 v164, 0xffff, v164
	v_and_b32_e32 v15, 15, v15
	s_delay_alu instid0(VALU_DEP_3) | instskip(NEXT) | instid1(VALU_DEP_3)
	v_mul_i32_i24_e32 v9, v9, v143
	v_mul_i32_i24_e32 v156, v164, v156
	v_and_b32_e32 v164, 0xf0f0f0f, v16
	v_lshrrev_b32_e32 v16, 4, v16
	v_and_b32_e32 v15, 0xffff, v15
	s_delay_alu instid0(VALU_DEP_3) | instskip(NEXT) | instid1(VALU_DEP_3)
	v_lshrrev_b16 v164, 8, v164
	v_lshrrev_b16 v16, 8, v16
	s_delay_alu instid0(VALU_DEP_3) | instskip(NEXT) | instid1(VALU_DEP_3)
	v_mul_i32_i24_e32 v15, v15, v158
	v_and_b32_e32 v164, 0xffff, v164
	s_delay_alu instid0(VALU_DEP_3) | instskip(NEXT) | instid1(VALU_DEP_2)
	v_and_b32_e32 v16, 15, v16
	v_mul_i32_i24_e32 v164, v164, v149
	s_delay_alu instid0(VALU_DEP_2) | instskip(NEXT) | instid1(VALU_DEP_2)
	v_and_b32_e32 v16, 0xffff, v16
	v_add3_u32 v156, v156, v164, v165
	v_and_b32_e32 v164, 15, v12
	v_bfe_u32 v165, v12, 8, 4
	s_delay_alu instid0(VALU_DEP_4) | instskip(NEXT) | instid1(VALU_DEP_3)
	v_mul_i32_i24_e32 v16, v16, v145
	v_mul_i32_i24_e32 v164, v148, v164
	s_delay_alu instid0(VALU_DEP_3) | instskip(NEXT) | instid1(VALU_DEP_3)
	v_mul_i32_i24_e32 v165, v149, v165
	v_add3_u32 v9, v15, v16, v9
	v_bfe_u32 v15, v12, 16, 4
	v_bfe_u32 v16, v12, 24, 4
	s_delay_alu instid0(VALU_DEP_4) | instskip(SKIP_4) | instid1(VALU_DEP_4)
	v_add3_u32 v154, v154, v165, v164
	v_and_b32_e32 v164, 15, v14
	v_bfe_u32 v165, v14, 8, 4
	v_mul_i32_i24_e32 v15, v135, v15
	v_mul_i32_i24_e32 v16, v134, v16
	;; [unrolled: 1-line block ×3, first 2 shown]
	s_delay_alu instid0(VALU_DEP_4) | instskip(NEXT) | instid1(VALU_DEP_1)
	v_mul_i32_i24_e32 v165, v149, v165
	v_add3_u32 v159, v159, v165, v164
	v_and_b32_e32 v164, 15, v162
	s_delay_alu instid0(VALU_DEP_1) | instskip(SKIP_1) | instid1(VALU_DEP_1)
	v_mul_i32_i24_e32 v148, v148, v164
	v_bfe_u32 v164, v162, 8, 4
	v_mul_i32_i24_e32 v149, v149, v164
	s_delay_alu instid0(VALU_DEP_1) | instskip(SKIP_2) | instid1(VALU_DEP_2)
	v_add3_u32 v148, v155, v149, v148
	v_bfe_u32 v149, v7, 24, 4
	v_bfe_u32 v155, v8, 24, 4
	v_mul_i32_i24_e32 v149, v149, v106
	s_delay_alu instid0(VALU_DEP_2) | instskip(NEXT) | instid1(VALU_DEP_1)
	v_mul_i32_i24_e32 v155, v155, v99
	v_add3_u32 v149, v163, v149, v155
	v_and_b32_e32 v155, 15, v7
	v_and_b32_e32 v163, 15, v8
	s_delay_alu instid0(VALU_DEP_2) | instskip(NEXT) | instid1(VALU_DEP_2)
	v_mul_i32_i24_e32 v155, v155, v110
	v_mul_i32_i24_e32 v163, v163, v103
	s_delay_alu instid0(VALU_DEP_1) | instskip(SKIP_2) | instid1(VALU_DEP_2)
	v_add3_u32 v155, v160, v155, v163
	v_bfe_u32 v160, v7, 16, 4
	v_bfe_u32 v163, v8, 16, 4
	v_mul_i32_i24_e32 v160, v160, v107
	s_delay_alu instid0(VALU_DEP_2) | instskip(NEXT) | instid1(VALU_DEP_1)
	v_mul_i32_i24_e32 v163, v163, v100
	v_add3_u32 v157, v157, v160, v163
	v_bfe_u32 v160, v12, 4, 4
	v_bfe_u32 v163, v12, 12, 4
	s_delay_alu instid0(VALU_DEP_2) | instskip(NEXT) | instid1(VALU_DEP_2)
	v_mul_i32_i24_e32 v160, v144, v160
	v_mul_i32_i24_e32 v163, v145, v163
	s_delay_alu instid0(VALU_DEP_1) | instskip(SKIP_2) | instid1(VALU_DEP_2)
	v_add3_u32 v11, v11, v160, v163
	v_bfe_u32 v160, v14, 4, 4
	v_bfe_u32 v163, v14, 12, 4
	v_mul_i32_i24_e32 v160, v144, v160
	s_delay_alu instid0(VALU_DEP_2) | instskip(NEXT) | instid1(VALU_DEP_1)
	v_mul_i32_i24_e32 v163, v145, v163
	v_add3_u32 v13, v13, v160, v163
	v_bfe_u32 v160, v162, 4, 4
	s_delay_alu instid0(VALU_DEP_1) | instskip(SKIP_1) | instid1(VALU_DEP_1)
	v_mul_i32_i24_e32 v144, v144, v160
	v_bfe_u32 v160, v162, 12, 4
	v_mul_i32_i24_e32 v160, v145, v160
	v_add3_u32 v145, v154, v15, v16
	v_bfe_u32 v15, v14, 16, 4
	v_bfe_u32 v16, v14, 24, 4
	s_delay_alu instid0(VALU_DEP_4) | instskip(SKIP_1) | instid1(VALU_DEP_4)
	v_add3_u32 v144, v151, v144, v160
	v_lshrrev_b32_e32 v151, 28, v7
	v_mul_i32_i24_e32 v15, v135, v15
	s_delay_alu instid0(VALU_DEP_4) | instskip(SKIP_1) | instid1(VALU_DEP_4)
	v_mul_i32_i24_e32 v16, v134, v16
	v_lshrrev_b32_e32 v160, 28, v8
	v_mul_i32_i24_e32 v151, v151, v108
	s_delay_alu instid0(VALU_DEP_3) | instskip(SKIP_4) | instid1(VALU_DEP_4)
	v_add3_u32 v154, v159, v15, v16
	v_bfe_u32 v15, v162, 16, 4
	v_bfe_u32 v16, v162, 24, 4
	v_mul_i32_i24_e32 v160, v160, v101
	v_bfe_i32 v159, v132, 0, 8
	v_mul_i32_i24_e32 v15, v135, v15
	s_delay_alu instid0(VALU_DEP_4) | instskip(NEXT) | instid1(VALU_DEP_4)
	v_mul_i32_i24_e32 v16, v134, v16
	v_add3_u32 v151, v161, v151, v160
	v_bfe_u32 v160, v7, 4, 4
	v_bfe_u32 v161, v8, 4, 4
	s_delay_alu instid0(VALU_DEP_4) | instskip(SKIP_3) | instid1(VALU_DEP_1)
	v_add3_u32 v148, v148, v15, v16
	ds_load_2addr_b32 v[15:16], v146 offset0:6 offset1:7
	v_mul_i32_i24_e32 v160, v160, v111
	v_mul_i32_i24_e32 v161, v161, v105
	v_add3_u32 v153, v153, v160, v161
	v_bfe_u32 v160, v7, 20, 4
	v_bfe_u32 v161, v8, 20, 4
	s_delay_alu instid0(VALU_DEP_2) | instskip(NEXT) | instid1(VALU_DEP_2)
	v_mul_i32_i24_e32 v160, v160, v109
	v_mul_i32_i24_e32 v161, v161, v102
	s_delay_alu instid0(VALU_DEP_1)
	v_add3_u32 v152, v152, v160, v161
	s_wait_dscnt 0x0
	v_bfe_u32 v134, v15, 16, 4
	v_bfe_u32 v135, v16, 16, 4
	v_and_b32_e32 v160, 0xf0f0f0f, v10
	v_and_b32_e32 v161, 0xf0f0f0f, v7
	v_lshrrev_b32_e32 v10, 4, v10
	v_mul_i32_i24_e32 v134, v134, v93
	v_mul_i32_i24_e32 v135, v135, v84
	v_lshrrev_b32_e32 v7, 4, v7
	v_lshrrev_b16 v160, 8, v160
	v_lshrrev_b16 v161, 8, v161
	;; [unrolled: 1-line block ×3, first 2 shown]
	v_add3_u32 v146, v157, v134, v135
	v_and_b32_e32 v134, 15, v15
	v_and_b32_e32 v135, 15, v16
	v_lshrrev_b16 v7, 8, v7
	v_and_b32_e32 v160, 0xffff, v160
	v_and_b32_e32 v161, 0xffff, v161
	v_mul_i32_i24_e32 v134, v134, v97
	v_mul_i32_i24_e32 v135, v135, v89
	v_and_b32_e32 v10, 15, v10
	v_and_b32_e32 v7, 15, v7
	v_mul_i32_i24_e32 v160, v160, v140
	v_mul_i32_i24_e32 v161, v161, v142
	v_add3_u32 v155, v155, v134, v135
	v_bfe_u32 v134, v15, 24, 4
	v_bfe_u32 v135, v16, 24, 4
	v_and_b32_e32 v10, 0xffff, v10
	v_and_b32_e32 v7, 0xffff, v7
	v_add3_u32 v156, v156, v160, v161
	v_mul_i32_i24_e32 v134, v134, v92
	v_mul_i32_i24_e32 v135, v135, v83
	;; [unrolled: 1-line block ×4, first 2 shown]
	s_delay_alu instid0(VALU_DEP_3) | instskip(SKIP_2) | instid1(VALU_DEP_4)
	v_add3_u32 v149, v149, v134, v135
	v_bfe_u32 v134, v12, 20, 4
	v_lshrrev_b32_e32 v12, 28, v12
	v_add3_u32 v7, v9, v10, v7
	s_delay_alu instid0(VALU_DEP_3) | instskip(NEXT) | instid1(VALU_DEP_3)
	v_mul_i32_i24_e32 v134, v137, v134
	v_mul_i32_i24_e32 v12, v136, v12
	s_delay_alu instid0(VALU_DEP_1) | instskip(SKIP_2) | instid1(VALU_DEP_2)
	v_add3_u32 v157, v11, v134, v12
	v_bfe_u32 v11, v14, 20, 4
	v_lshrrev_b32_e32 v12, 28, v14
	v_mul_i32_i24_e32 v11, v137, v11
	s_delay_alu instid0(VALU_DEP_2) | instskip(NEXT) | instid1(VALU_DEP_1)
	v_mul_i32_i24_e32 v12, v136, v12
	v_add3_u32 v158, v13, v11, v12
	v_bfe_u32 v11, v162, 20, 4
	v_lshrrev_b32_e32 v12, 28, v162
	s_delay_alu instid0(VALU_DEP_2) | instskip(NEXT) | instid1(VALU_DEP_2)
	v_mul_i32_i24_e32 v11, v137, v11
	v_mul_i32_i24_e32 v12, v136, v12
	s_delay_alu instid0(VALU_DEP_1) | instskip(SKIP_2) | instid1(VALU_DEP_2)
	v_add3_u32 v136, v144, v11, v12
	v_bfe_u32 v11, v15, 20, 4
	v_bfe_u32 v12, v16, 20, 4
	v_mul_i32_i24_e32 v11, v11, v96
	s_delay_alu instid0(VALU_DEP_2) | instskip(NEXT) | instid1(VALU_DEP_1)
	v_mul_i32_i24_e32 v12, v12, v88
	v_add3_u32 v137, v152, v11, v12
	v_bfe_u32 v11, v15, 4, 4
	v_bfe_u32 v12, v16, 4, 4
	v_bfe_i32 v152, v128, 0, 8
	s_delay_alu instid0(VALU_DEP_3) | instskip(NEXT) | instid1(VALU_DEP_3)
	v_mul_i32_i24_e32 v11, v11, v98
	v_mul_i32_i24_e32 v12, v12, v91
	s_delay_alu instid0(VALU_DEP_1) | instskip(SKIP_3) | instid1(VALU_DEP_3)
	v_add3_u32 v144, v153, v11, v12
	v_lshrrev_b32_e32 v11, 28, v15
	v_lshrrev_b32_e32 v12, 28, v16
	v_bfe_i32 v153, v129, 0, 8
	v_mul_i32_i24_e32 v11, v11, v95
	s_delay_alu instid0(VALU_DEP_3) | instskip(NEXT) | instid1(VALU_DEP_1)
	v_mul_i32_i24_e32 v12, v12, v86
	v_add3_u32 v151, v151, v11, v12
	v_and_b32_e32 v11, 0xf0f0f0f, v8
	v_and_b32_e32 v12, 0xf0f0f0f, v15
	v_lshrrev_b32_e32 v8, 4, v8
	v_lshrrev_b32_e32 v15, 4, v15
	s_delay_alu instid0(VALU_DEP_4) | instskip(NEXT) | instid1(VALU_DEP_4)
	v_lshrrev_b16 v11, 8, v11
	v_lshrrev_b16 v12, 8, v12
	s_delay_alu instid0(VALU_DEP_4) | instskip(NEXT) | instid1(VALU_DEP_4)
	v_lshrrev_b16 v8, 8, v8
	v_lshrrev_b16 v15, 8, v15
	s_delay_alu instid0(VALU_DEP_4) | instskip(NEXT) | instid1(VALU_DEP_4)
	v_and_b32_e32 v11, 0xffff, v11
	v_and_b32_e32 v12, 0xffff, v12
	s_delay_alu instid0(VALU_DEP_4) | instskip(NEXT) | instid1(VALU_DEP_4)
	v_and_b32_e32 v8, 15, v8
	v_and_b32_e32 v15, 15, v15
	s_delay_alu instid0(VALU_DEP_4) | instskip(NEXT) | instid1(VALU_DEP_4)
	v_mul_i32_i24_e32 v11, v11, v152
	v_mul_i32_i24_e32 v12, v12, v153
	s_delay_alu instid0(VALU_DEP_4) | instskip(NEXT) | instid1(VALU_DEP_4)
	v_and_b32_e32 v8, 0xffff, v8
	v_and_b32_e32 v15, 0xffff, v15
	s_delay_alu instid0(VALU_DEP_3)
	v_add3_u32 v156, v156, v11, v12
	ds_load_u16 v138, v138
	ds_load_2addr_b32 v[9:10], v133 offset0:2 offset1:3
	ds_load_2addr_b32 v[11:12], v133 offset0:4 offset1:5
	;; [unrolled: 1-line block ×3, first 2 shown]
	v_mul_i32_i24_e32 v8, v8, v125
	v_mul_i32_i24_e32 v15, v15, v126
	s_delay_alu instid0(VALU_DEP_1)
	v_add3_u32 v7, v7, v8, v15
	s_wait_dscnt 0x2
	v_and_b32_e32 v128, 15, v9
	v_bfe_u32 v129, v9, 8, 4
	v_bfe_u32 v8, v9, 16, 4
	;; [unrolled: 1-line block ×3, first 2 shown]
	s_delay_alu instid0(VALU_DEP_4) | instskip(NEXT) | instid1(VALU_DEP_4)
	v_mul_i32_i24_e32 v128, v124, v128
	v_mul_i32_i24_e32 v129, v150, v129
	s_delay_alu instid0(VALU_DEP_4) | instskip(NEXT) | instid1(VALU_DEP_4)
	v_mul_i32_i24_e32 v8, v119, v8
	v_mul_i32_i24_e32 v15, v118, v15
	s_delay_alu instid0(VALU_DEP_3) | instskip(SKIP_2) | instid1(VALU_DEP_3)
	v_add3_u32 v145, v145, v129, v128
	v_and_b32_e32 v128, 15, v2
	v_bfe_u32 v129, v2, 8, 4
	v_add3_u32 v8, v145, v8, v15
	s_delay_alu instid0(VALU_DEP_3) | instskip(NEXT) | instid1(VALU_DEP_3)
	v_mul_i32_i24_e32 v128, v124, v128
	v_mul_i32_i24_e32 v129, v150, v129
	v_bfe_u32 v15, v2, 16, 4
	s_delay_alu instid0(VALU_DEP_2)
	v_add3_u32 v154, v154, v129, v128
	ds_load_u16 v139, v139
	ds_load_2addr_b32 v[128:129], v141 offset0:2 offset1:3
	ds_load_2addr_b32 v[132:133], v141 offset0:4 offset1:5
	;; [unrolled: 1-line block ×3, first 2 shown]
	v_mul_i32_i24_e32 v15, v119, v15
	s_wait_dscnt 0x2
	v_and_b32_e32 v141, 15, v128
	s_delay_alu instid0(VALU_DEP_1) | instskip(SKIP_1) | instid1(VALU_DEP_1)
	v_mul_i32_i24_e32 v124, v124, v141
	v_bfe_u32 v141, v128, 8, 4
	v_mul_i32_i24_e32 v141, v150, v141
	v_bfe_u32 v150, v2, 12, 4
	s_delay_alu instid0(VALU_DEP_2) | instskip(SKIP_2) | instid1(VALU_DEP_4)
	v_add3_u32 v124, v148, v141, v124
	v_bfe_u32 v141, v9, 4, 4
	v_bfe_u32 v148, v9, 12, 4
	v_mul_i32_i24_e32 v150, v143, v150
	s_delay_alu instid0(VALU_DEP_3) | instskip(NEXT) | instid1(VALU_DEP_3)
	v_mul_i32_i24_e32 v141, v127, v141
	v_mul_i32_i24_e32 v148, v143, v148
	s_delay_alu instid0(VALU_DEP_1) | instskip(SKIP_1) | instid1(VALU_DEP_1)
	v_add3_u32 v141, v157, v141, v148
	v_bfe_u32 v148, v2, 4, 4
	v_mul_i32_i24_e32 v148, v127, v148
	s_delay_alu instid0(VALU_DEP_1) | instskip(SKIP_1) | instid1(VALU_DEP_1)
	v_add3_u32 v148, v158, v148, v150
	v_bfe_u32 v150, v128, 4, 4
	v_mul_i32_i24_e32 v127, v127, v150
	v_bfe_u32 v150, v128, 12, 4
	s_delay_alu instid0(VALU_DEP_1) | instskip(NEXT) | instid1(VALU_DEP_1)
	v_mul_i32_i24_e32 v143, v143, v150
	v_add3_u32 v127, v136, v127, v143
	v_bfe_u32 v143, v2, 24, 4
	v_and_b32_e32 v136, 0xf0f0f0f, v16
	v_lshrrev_b32_e32 v16, 4, v16
	s_delay_alu instid0(VALU_DEP_3) | instskip(NEXT) | instid1(VALU_DEP_3)
	v_mul_i32_i24_e32 v143, v118, v143
	v_lshrrev_b16 v136, 8, v136
	s_delay_alu instid0(VALU_DEP_3) | instskip(NEXT) | instid1(VALU_DEP_3)
	v_lshrrev_b16 v16, 8, v16
	v_add3_u32 v15, v154, v15, v143
	v_bfe_u32 v143, v128, 16, 4
	s_delay_alu instid0(VALU_DEP_3) | instskip(SKIP_1) | instid1(VALU_DEP_3)
	v_and_b32_e32 v16, 15, v16
	v_and_b32_e32 v136, 0xffff, v136
	v_mul_i32_i24_e32 v119, v119, v143
	v_bfe_u32 v143, v128, 24, 4
	s_delay_alu instid0(VALU_DEP_4) | instskip(NEXT) | instid1(VALU_DEP_4)
	v_and_b32_e32 v16, 0xffff, v16
	v_mul_i32_i24_e32 v136, v136, v123
	s_delay_alu instid0(VALU_DEP_3) | instskip(NEXT) | instid1(VALU_DEP_2)
	v_mul_i32_i24_e32 v118, v118, v143
	v_add3_u32 v136, v156, v136, v149
	s_delay_alu instid0(VALU_DEP_2) | instskip(SKIP_2) | instid1(VALU_DEP_2)
	v_add3_u32 v118, v124, v119, v118
	v_bfe_u32 v119, v9, 20, 4
	v_lshrrev_b32_e32 v9, 28, v9
	v_mul_i32_i24_e32 v119, v121, v119
	s_delay_alu instid0(VALU_DEP_2) | instskip(NEXT) | instid1(VALU_DEP_1)
	v_mul_i32_i24_e32 v9, v120, v9
	v_add3_u32 v9, v141, v119, v9
	v_bfe_u32 v119, v2, 20, 4
	v_lshrrev_b32_e32 v2, 28, v2
	s_delay_alu instid0(VALU_DEP_2) | instskip(NEXT) | instid1(VALU_DEP_2)
	v_mul_i32_i24_e32 v119, v121, v119
	v_mul_i32_i24_e32 v2, v120, v2
	s_delay_alu instid0(VALU_DEP_1) | instskip(SKIP_1) | instid1(VALU_DEP_1)
	v_add3_u32 v2, v148, v119, v2
	v_bfe_u32 v119, v128, 20, 4
	v_mul_i32_i24_e32 v119, v121, v119
	v_lshrrev_b32_e32 v121, 28, v128
	s_delay_alu instid0(VALU_DEP_1) | instskip(SKIP_2) | instid1(VALU_DEP_3)
	v_mul_i32_i24_e32 v120, v120, v121
	v_bfe_i32 v121, v122, 0, 8
	v_bfe_u32 v122, v10, 8, 4
	v_add3_u32 v119, v127, v119, v120
	s_delay_alu instid0(VALU_DEP_3) | instskip(NEXT) | instid1(VALU_DEP_3)
	v_mul_i32_i24_e32 v16, v16, v121
	v_mul_i32_i24_e32 v122, v140, v122
	v_add3_u32 v120, v155, v146, v136
	s_delay_alu instid0(VALU_DEP_3) | instskip(SKIP_1) | instid1(VALU_DEP_2)
	v_add3_u32 v7, v7, v16, v151
	v_and_b32_e32 v16, 15, v10
	v_add3_u32 v7, v144, v137, v7
	s_delay_alu instid0(VALU_DEP_2) | instskip(NEXT) | instid1(VALU_DEP_1)
	v_mul_i32_i24_e32 v16, v116, v16
	v_add3_u32 v8, v8, v122, v16
	v_and_b32_e32 v16, 15, v3
	v_bfe_u32 v122, v3, 8, 4
	s_delay_alu instid0(VALU_DEP_2) | instskip(NEXT) | instid1(VALU_DEP_2)
	v_mul_i32_i24_e32 v16, v116, v16
	v_mul_i32_i24_e32 v122, v140, v122
	s_delay_alu instid0(VALU_DEP_1) | instskip(SKIP_1) | instid1(VALU_DEP_1)
	v_add3_u32 v15, v15, v122, v16
	v_and_b32_e32 v16, 15, v129
	v_mul_i32_i24_e32 v16, v116, v16
	v_bfe_u32 v116, v129, 8, 4
	s_delay_alu instid0(VALU_DEP_1) | instskip(NEXT) | instid1(VALU_DEP_1)
	v_mul_i32_i24_e32 v116, v140, v116
	v_add3_u32 v16, v118, v116, v16
	v_bfe_u32 v116, v10, 4, 4
	v_bfe_u32 v118, v10, 12, 4
	s_delay_alu instid0(VALU_DEP_2) | instskip(NEXT) | instid1(VALU_DEP_2)
	v_mul_i32_i24_e32 v116, v117, v116
	v_mul_i32_i24_e32 v118, v130, v118
	s_delay_alu instid0(VALU_DEP_1) | instskip(SKIP_2) | instid1(VALU_DEP_2)
	v_add3_u32 v9, v9, v116, v118
	v_bfe_u32 v116, v3, 4, 4
	v_bfe_u32 v118, v3, 12, 4
	v_mul_i32_i24_e32 v116, v117, v116
	s_delay_alu instid0(VALU_DEP_2) | instskip(NEXT) | instid1(VALU_DEP_1)
	v_mul_i32_i24_e32 v118, v130, v118
	v_add3_u32 v2, v2, v116, v118
	v_bfe_u32 v116, v129, 4, 4
	v_bfe_u32 v118, v10, 24, 4
	s_delay_alu instid0(VALU_DEP_2) | instskip(SKIP_1) | instid1(VALU_DEP_3)
	v_mul_i32_i24_e32 v116, v117, v116
	v_bfe_u32 v117, v129, 12, 4
	v_mul_i32_i24_e32 v118, v112, v118
	s_delay_alu instid0(VALU_DEP_2) | instskip(NEXT) | instid1(VALU_DEP_1)
	v_mul_i32_i24_e32 v117, v130, v117
	v_add3_u32 v116, v119, v116, v117
	v_bfe_u32 v117, v10, 16, 4
	s_delay_alu instid0(VALU_DEP_1) | instskip(NEXT) | instid1(VALU_DEP_1)
	v_mul_i32_i24_e32 v117, v113, v117
	v_add3_u32 v8, v8, v117, v118
	v_bfe_u32 v117, v3, 16, 4
	v_bfe_u32 v118, v3, 24, 4
	s_delay_alu instid0(VALU_DEP_2) | instskip(NEXT) | instid1(VALU_DEP_2)
	v_mul_i32_i24_e32 v117, v113, v117
	v_mul_i32_i24_e32 v118, v112, v118
	s_delay_alu instid0(VALU_DEP_1) | instskip(SKIP_1) | instid1(VALU_DEP_1)
	v_add3_u32 v15, v15, v117, v118
	v_bfe_u32 v117, v129, 16, 4
	v_mul_i32_i24_e32 v113, v113, v117
	v_bfe_u32 v117, v129, 24, 4
	s_delay_alu instid0(VALU_DEP_1) | instskip(NEXT) | instid1(VALU_DEP_1)
	v_mul_i32_i24_e32 v112, v112, v117
	v_add3_u32 v16, v16, v113, v112
	v_bfe_u32 v112, v10, 20, 4
	v_lshrrev_b32_e32 v10, 28, v10
	s_delay_alu instid0(VALU_DEP_2) | instskip(NEXT) | instid1(VALU_DEP_2)
	v_mul_i32_i24_e32 v112, v115, v112
	v_mul_i32_i24_e32 v10, v114, v10
	s_delay_alu instid0(VALU_DEP_1) | instskip(SKIP_3) | instid1(VALU_DEP_3)
	v_add3_u32 v9, v9, v112, v10
	v_bfe_u32 v10, v3, 20, 4
	v_lshrrev_b32_e32 v3, 28, v3
	v_bfe_u32 v112, v11, 8, 4
	v_mul_i32_i24_e32 v10, v115, v10
	s_delay_alu instid0(VALU_DEP_3) | instskip(NEXT) | instid1(VALU_DEP_3)
	v_mul_i32_i24_e32 v3, v114, v3
	v_mul_i32_i24_e32 v112, v142, v112
	s_delay_alu instid0(VALU_DEP_2) | instskip(SKIP_2) | instid1(VALU_DEP_2)
	v_add3_u32 v2, v2, v10, v3
	v_bfe_u32 v3, v129, 20, 4
	v_lshrrev_b32_e32 v10, 28, v129
	v_mul_i32_i24_e32 v3, v115, v3
	s_delay_alu instid0(VALU_DEP_2) | instskip(NEXT) | instid1(VALU_DEP_1)
	v_mul_i32_i24_e32 v10, v114, v10
	v_add3_u32 v3, v116, v3, v10
	v_and_b32_e32 v10, 15, v11
	s_delay_alu instid0(VALU_DEP_1) | instskip(NEXT) | instid1(VALU_DEP_1)
	v_mul_i32_i24_e32 v10, v110, v10
	v_add3_u32 v8, v8, v112, v10
	v_and_b32_e32 v10, 15, v0
	v_bfe_u32 v112, v0, 8, 4
	s_delay_alu instid0(VALU_DEP_2) | instskip(NEXT) | instid1(VALU_DEP_2)
	v_mul_i32_i24_e32 v10, v110, v10
	v_mul_i32_i24_e32 v112, v142, v112
	s_delay_alu instid0(VALU_DEP_1) | instskip(SKIP_2) | instid1(VALU_DEP_1)
	v_add3_u32 v10, v15, v112, v10
	s_wait_dscnt 0x1
	v_and_b32_e32 v15, 15, v132
	v_mul_i32_i24_e32 v15, v110, v15
	v_bfe_u32 v110, v132, 8, 4
	s_delay_alu instid0(VALU_DEP_1) | instskip(NEXT) | instid1(VALU_DEP_1)
	v_mul_i32_i24_e32 v110, v142, v110
	v_add3_u32 v15, v16, v110, v15
	v_bfe_u32 v16, v11, 4, 4
	v_bfe_u32 v110, v11, 12, 4
	s_delay_alu instid0(VALU_DEP_2) | instskip(NEXT) | instid1(VALU_DEP_2)
	v_mul_i32_i24_e32 v16, v111, v16
	v_mul_i32_i24_e32 v110, v159, v110
	s_delay_alu instid0(VALU_DEP_1) | instskip(SKIP_2) | instid1(VALU_DEP_2)
	v_add3_u32 v9, v9, v16, v110
	v_bfe_u32 v16, v0, 4, 4
	v_bfe_u32 v110, v0, 12, 4
	v_mul_i32_i24_e32 v16, v111, v16
	s_delay_alu instid0(VALU_DEP_2) | instskip(NEXT) | instid1(VALU_DEP_1)
	v_mul_i32_i24_e32 v110, v159, v110
	v_add3_u32 v2, v2, v16, v110
	v_bfe_u32 v16, v132, 4, 4
	v_bfe_u32 v110, v132, 12, 4
	s_delay_alu instid0(VALU_DEP_2) | instskip(NEXT) | instid1(VALU_DEP_2)
	v_mul_i32_i24_e32 v16, v111, v16
	v_mul_i32_i24_e32 v110, v159, v110
	s_delay_alu instid0(VALU_DEP_1) | instskip(SKIP_2) | instid1(VALU_DEP_2)
	v_add3_u32 v3, v3, v16, v110
	v_bfe_u32 v16, v11, 16, 4
	v_bfe_u32 v110, v11, 24, 4
	v_mul_i32_i24_e32 v16, v107, v16
	s_delay_alu instid0(VALU_DEP_2) | instskip(NEXT) | instid1(VALU_DEP_1)
	v_mul_i32_i24_e32 v110, v106, v110
	v_add3_u32 v8, v8, v16, v110
	v_bfe_u32 v16, v0, 16, 4
	v_bfe_u32 v110, v0, 24, 4
	s_delay_alu instid0(VALU_DEP_2) | instskip(NEXT) | instid1(VALU_DEP_2)
	v_mul_i32_i24_e32 v16, v107, v16
	v_mul_i32_i24_e32 v110, v106, v110
	s_delay_alu instid0(VALU_DEP_1) | instskip(SKIP_1) | instid1(VALU_DEP_1)
	v_add3_u32 v10, v10, v16, v110
	v_bfe_u32 v16, v132, 16, 4
	v_mul_i32_i24_e32 v16, v107, v16
	v_bfe_u32 v107, v132, 24, 4
	s_delay_alu instid0(VALU_DEP_1) | instskip(NEXT) | instid1(VALU_DEP_1)
	v_mul_i32_i24_e32 v106, v106, v107
	v_add3_u32 v15, v15, v16, v106
	v_bfe_u32 v16, v11, 20, 4
	v_lshrrev_b32_e32 v11, 28, v11
	s_delay_alu instid0(VALU_DEP_2) | instskip(NEXT) | instid1(VALU_DEP_2)
	v_mul_i32_i24_e32 v16, v109, v16
	v_mul_i32_i24_e32 v11, v108, v11
	s_delay_alu instid0(VALU_DEP_1) | instskip(SKIP_2) | instid1(VALU_DEP_2)
	v_add3_u32 v9, v9, v16, v11
	v_bfe_u32 v11, v0, 20, 4
	v_lshrrev_b32_e32 v0, 28, v0
	v_mul_i32_i24_e32 v11, v109, v11
	s_delay_alu instid0(VALU_DEP_2) | instskip(NEXT) | instid1(VALU_DEP_1)
	v_mul_i32_i24_e32 v0, v108, v0
	v_add3_u32 v0, v2, v11, v0
	v_bfe_u32 v2, v132, 20, 4
	v_lshrrev_b32_e32 v11, 28, v132
	s_delay_alu instid0(VALU_DEP_2) | instskip(NEXT) | instid1(VALU_DEP_2)
	v_mul_i32_i24_e32 v2, v109, v2
	v_mul_i32_i24_e32 v11, v108, v11
	s_delay_alu instid0(VALU_DEP_1) | instskip(SKIP_2) | instid1(VALU_DEP_2)
	v_add3_u32 v2, v3, v2, v11
	v_and_b32_e32 v3, 15, v12
	v_bfe_u32 v11, v12, 8, 4
	v_mul_i32_i24_e32 v3, v103, v3
	s_delay_alu instid0(VALU_DEP_2) | instskip(NEXT) | instid1(VALU_DEP_1)
	v_mul_i32_i24_e32 v11, v152, v11
	v_add3_u32 v3, v8, v11, v3
	v_and_b32_e32 v8, 15, v1
	v_bfe_u32 v11, v1, 8, 4
	s_delay_alu instid0(VALU_DEP_2) | instskip(NEXT) | instid1(VALU_DEP_2)
	v_mul_i32_i24_e32 v8, v103, v8
	v_mul_i32_i24_e32 v11, v152, v11
	s_delay_alu instid0(VALU_DEP_1) | instskip(SKIP_2) | instid1(VALU_DEP_2)
	v_add3_u32 v8, v10, v11, v8
	v_and_b32_e32 v10, 15, v133
	v_bfe_u32 v11, v133, 8, 4
	v_mul_i32_i24_e32 v10, v103, v10
	s_delay_alu instid0(VALU_DEP_2) | instskip(NEXT) | instid1(VALU_DEP_1)
	v_mul_i32_i24_e32 v11, v152, v11
	v_add3_u32 v10, v15, v11, v10
	v_bfe_u32 v11, v12, 4, 4
	v_bfe_u32 v15, v12, 12, 4
	s_delay_alu instid0(VALU_DEP_2) | instskip(NEXT) | instid1(VALU_DEP_2)
	v_mul_i32_i24_e32 v11, v105, v11
	v_mul_i32_i24_e32 v15, v125, v15
	s_delay_alu instid0(VALU_DEP_1) | instskip(SKIP_2) | instid1(VALU_DEP_2)
	v_add3_u32 v9, v9, v11, v15
	v_bfe_u32 v11, v1, 4, 4
	v_bfe_u32 v15, v1, 12, 4
	v_mul_i32_i24_e32 v11, v105, v11
	s_delay_alu instid0(VALU_DEP_2) | instskip(NEXT) | instid1(VALU_DEP_1)
	v_mul_i32_i24_e32 v15, v125, v15
	v_add3_u32 v0, v0, v11, v15
	v_bfe_u32 v11, v133, 4, 4
	v_bfe_u32 v15, v133, 12, 4
	s_delay_alu instid0(VALU_DEP_2) | instskip(NEXT) | instid1(VALU_DEP_2)
	v_mul_i32_i24_e32 v11, v105, v11
	v_mul_i32_i24_e32 v15, v125, v15
	s_delay_alu instid0(VALU_DEP_1) | instskip(SKIP_2) | instid1(VALU_DEP_2)
	v_add3_u32 v2, v2, v11, v15
	v_bfe_u32 v11, v12, 16, 4
	;; [unrolled: 13-line block ×3, first 2 shown]
	v_bfe_u32 v15, v133, 24, 4
	v_mul_i32_i24_e32 v11, v100, v11
	s_delay_alu instid0(VALU_DEP_2) | instskip(NEXT) | instid1(VALU_DEP_1)
	v_mul_i32_i24_e32 v15, v99, v15
	v_add3_u32 v10, v10, v11, v15
	v_bfe_u32 v11, v12, 20, 4
	v_lshrrev_b32_e32 v12, 28, v12
	s_delay_alu instid0(VALU_DEP_2) | instskip(NEXT) | instid1(VALU_DEP_2)
	v_mul_i32_i24_e32 v11, v102, v11
	v_mul_i32_i24_e32 v12, v101, v12
	s_delay_alu instid0(VALU_DEP_1) | instskip(SKIP_2) | instid1(VALU_DEP_2)
	v_add3_u32 v9, v9, v11, v12
	v_bfe_u32 v11, v1, 20, 4
	v_lshrrev_b32_e32 v1, 28, v1
	v_mul_i32_i24_e32 v11, v102, v11
	s_delay_alu instid0(VALU_DEP_2) | instskip(NEXT) | instid1(VALU_DEP_1)
	v_mul_i32_i24_e32 v1, v101, v1
	v_add3_u32 v11, v0, v11, v1
	v_bfe_u32 v0, v133, 20, 4
	v_lshrrev_b32_e32 v1, 28, v133
	s_delay_alu instid0(VALU_DEP_2) | instskip(NEXT) | instid1(VALU_DEP_2)
	v_mul_i32_i24_e32 v0, v102, v0
	v_mul_i32_i24_e32 v1, v101, v1
	s_delay_alu instid0(VALU_DEP_1) | instskip(SKIP_2) | instid1(VALU_DEP_2)
	v_add3_u32 v2, v2, v0, v1
	v_and_b32_e32 v0, 15, v13
	v_bfe_u32 v1, v13, 8, 4
	v_mul_i32_i24_e32 v0, v97, v0
	s_delay_alu instid0(VALU_DEP_2) | instskip(NEXT) | instid1(VALU_DEP_1)
	v_mul_i32_i24_e32 v1, v153, v1
	v_add3_u32 v3, v3, v1, v0
	ds_load_u16 v12, v131
	ds_load_2addr_b32 v[0:1], v104 offset0:6 offset1:7
	s_wait_dscnt 0x0
	v_and_b32_e32 v15, 15, v0
	v_bfe_u32 v16, v0, 8, 4
	s_delay_alu instid0(VALU_DEP_2) | instskip(NEXT) | instid1(VALU_DEP_2)
	v_mul_i32_i24_e32 v15, v97, v15
	v_mul_i32_i24_e32 v16, v153, v16
	s_delay_alu instid0(VALU_DEP_1) | instskip(SKIP_2) | instid1(VALU_DEP_2)
	v_add3_u32 v8, v8, v16, v15
	v_and_b32_e32 v15, 15, v134
	v_bfe_u32 v16, v134, 8, 4
	v_mul_i32_i24_e32 v15, v97, v15
	s_delay_alu instid0(VALU_DEP_2) | instskip(NEXT) | instid1(VALU_DEP_1)
	v_mul_i32_i24_e32 v16, v153, v16
	v_add3_u32 v10, v10, v16, v15
	v_bfe_u32 v15, v13, 4, 4
	v_bfe_u32 v16, v13, 12, 4
	s_delay_alu instid0(VALU_DEP_2) | instskip(NEXT) | instid1(VALU_DEP_2)
	v_mul_i32_i24_e32 v15, v98, v15
	v_mul_i32_i24_e32 v16, v126, v16
	s_delay_alu instid0(VALU_DEP_1) | instskip(SKIP_2) | instid1(VALU_DEP_2)
	v_add3_u32 v9, v9, v15, v16
	v_bfe_u32 v15, v0, 4, 4
	v_bfe_u32 v16, v0, 12, 4
	v_mul_i32_i24_e32 v15, v98, v15
	s_delay_alu instid0(VALU_DEP_2) | instskip(NEXT) | instid1(VALU_DEP_1)
	v_mul_i32_i24_e32 v16, v126, v16
	v_add3_u32 v11, v11, v15, v16
	v_bfe_u32 v15, v134, 4, 4
	v_bfe_u32 v16, v134, 12, 4
	s_delay_alu instid0(VALU_DEP_2) | instskip(NEXT) | instid1(VALU_DEP_2)
	v_mul_i32_i24_e32 v15, v98, v15
	v_mul_i32_i24_e32 v16, v126, v16
	s_delay_alu instid0(VALU_DEP_1) | instskip(SKIP_2) | instid1(VALU_DEP_2)
	v_add3_u32 v2, v2, v15, v16
	v_bfe_u32 v15, v13, 16, 4
	;; [unrolled: 13-line block ×3, first 2 shown]
	v_bfe_u32 v16, v134, 24, 4
	v_mul_i32_i24_e32 v15, v93, v15
	s_delay_alu instid0(VALU_DEP_2) | instskip(NEXT) | instid1(VALU_DEP_1)
	v_mul_i32_i24_e32 v16, v92, v16
	v_add3_u32 v10, v10, v15, v16
	v_bfe_u32 v15, v13, 20, 4
	v_lshrrev_b32_e32 v13, 28, v13
	v_cvt_f32_ubyte1_e32 v16, v94
	s_delay_alu instid0(VALU_DEP_3) | instskip(NEXT) | instid1(VALU_DEP_3)
	v_mul_i32_i24_e32 v15, v96, v15
	v_mul_i32_i24_e32 v13, v95, v13
	s_delay_alu instid0(VALU_DEP_1) | instskip(SKIP_3) | instid1(VALU_DEP_3)
	v_add3_u32 v9, v9, v15, v13
	v_bfe_u32 v13, v0, 20, 4
	v_lshrrev_b32_e32 v0, 28, v0
	v_cvt_f32_ubyte1_e32 v15, v147
	v_mul_i32_i24_e32 v13, v96, v13
	s_delay_alu instid0(VALU_DEP_3) | instskip(NEXT) | instid1(VALU_DEP_1)
	v_mul_i32_i24_e32 v0, v95, v0
	v_add3_u32 v0, v11, v13, v0
	v_bfe_u32 v11, v134, 20, 4
	v_lshrrev_b32_e32 v13, 28, v134
	s_delay_alu instid0(VALU_DEP_2) | instskip(NEXT) | instid1(VALU_DEP_2)
	v_mul_i32_i24_e32 v11, v96, v11
	v_mul_i32_i24_e32 v13, v95, v13
	s_delay_alu instid0(VALU_DEP_1) | instskip(SKIP_2) | instid1(VALU_DEP_2)
	v_add3_u32 v2, v2, v11, v13
	v_and_b32_e32 v11, 15, v14
	v_bfe_u32 v13, v14, 8, 4
	v_mul_i32_i24_e32 v11, v89, v11
	s_delay_alu instid0(VALU_DEP_2) | instskip(NEXT) | instid1(VALU_DEP_1)
	v_mul_i32_i24_e32 v13, v123, v13
	v_add3_u32 v3, v3, v13, v11
	v_and_b32_e32 v11, 15, v1
	v_bfe_u32 v13, v1, 8, 4
	s_delay_alu instid0(VALU_DEP_2) | instskip(NEXT) | instid1(VALU_DEP_2)
	v_mul_i32_i24_e32 v11, v89, v11
	v_mul_i32_i24_e32 v13, v123, v13
	s_delay_alu instid0(VALU_DEP_1) | instskip(SKIP_2) | instid1(VALU_DEP_2)
	v_add3_u32 v8, v8, v13, v11
	v_and_b32_e32 v11, 15, v135
	v_bfe_u32 v13, v135, 8, 4
	v_mul_i32_i24_e32 v11, v89, v11
	s_delay_alu instid0(VALU_DEP_2) | instskip(NEXT) | instid1(VALU_DEP_1)
	v_mul_i32_i24_e32 v13, v123, v13
	v_add3_u32 v10, v10, v13, v11
	v_bfe_u32 v11, v14, 4, 4
	v_bfe_u32 v13, v14, 12, 4
	s_delay_alu instid0(VALU_DEP_2) | instskip(NEXT) | instid1(VALU_DEP_2)
	v_mul_i32_i24_e32 v11, v91, v11
	v_mul_i32_i24_e32 v13, v121, v13
	s_delay_alu instid0(VALU_DEP_1) | instskip(SKIP_2) | instid1(VALU_DEP_2)
	v_add3_u32 v9, v9, v11, v13
	v_bfe_u32 v11, v1, 4, 4
	v_bfe_u32 v13, v1, 12, 4
	v_mul_i32_i24_e32 v11, v91, v11
	s_delay_alu instid0(VALU_DEP_2) | instskip(NEXT) | instid1(VALU_DEP_1)
	v_mul_i32_i24_e32 v13, v121, v13
	v_add3_u32 v0, v0, v11, v13
	v_bfe_u32 v11, v135, 4, 4
	v_bfe_u32 v13, v135, 12, 4
	s_delay_alu instid0(VALU_DEP_2) | instskip(NEXT) | instid1(VALU_DEP_2)
	v_mul_i32_i24_e32 v11, v91, v11
	v_mul_i32_i24_e32 v13, v121, v13
	s_delay_alu instid0(VALU_DEP_1) | instskip(SKIP_2) | instid1(VALU_DEP_2)
	v_add3_u32 v2, v2, v11, v13
	v_bfe_u32 v11, v14, 16, 4
	;; [unrolled: 13-line block ×3, first 2 shown]
	v_bfe_u32 v13, v135, 24, 4
	v_mul_i32_i24_e32 v11, v84, v11
	s_delay_alu instid0(VALU_DEP_2) | instskip(SKIP_2) | instid1(VALU_DEP_3)
	v_mul_i32_i24_e32 v13, v83, v13
	v_lshrrev_b16 v84, 8, v139
	v_cvt_f32_ubyte1_e32 v83, v87
	v_add3_u32 v10, v10, v11, v13
	v_bfe_u32 v11, v14, 20, 4
	v_lshrrev_b32_e32 v13, 28, v14
	v_cvt_f32_ubyte1_e32 v14, v90
	v_and_b32_e32 v84, 0xffff, v84
	s_delay_alu instid0(VALU_DEP_4) | instskip(NEXT) | instid1(VALU_DEP_4)
	v_mul_i32_i24_e32 v11, v88, v11
	v_mul_i32_i24_e32 v13, v86, v13
	s_delay_alu instid0(VALU_DEP_3) | instskip(NEXT) | instid1(VALU_DEP_2)
	v_mul_lo_u32 v7, v7, v84
	v_add3_u32 v9, v9, v11, v13
	v_bfe_u32 v11, v1, 20, 4
	v_lshrrev_b32_e32 v1, 28, v1
	v_cvt_f32_ubyte0_e32 v13, v90
	v_cvt_f32_i32_e32 v7, v7
	s_delay_alu instid0(VALU_DEP_4) | instskip(NEXT) | instid1(VALU_DEP_4)
	v_mul_i32_i24_e32 v11, v88, v11
	v_mul_i32_i24_e32 v1, v86, v1
	s_delay_alu instid0(VALU_DEP_1) | instskip(SKIP_2) | instid1(VALU_DEP_2)
	v_add3_u32 v11, v0, v11, v1
	v_bfe_u32 v0, v135, 20, 4
	v_lshrrev_b32_e32 v1, 28, v135
	v_mul_i32_i24_e32 v0, v88, v0
	s_delay_alu instid0(VALU_DEP_2) | instskip(NEXT) | instid1(VALU_DEP_1)
	v_mul_i32_i24_e32 v1, v86, v1
	v_add3_u32 v2, v2, v0, v1
	v_lshrrev_b32_e32 v0, 1, v82
	v_cvt_f32_ubyte0_e32 v82, v87
	ds_load_b64 v[0:1], v0 offset:20560
	s_wait_dscnt 0x0
	v_fma_mix_f32 v13, v0, v13, 0 op_sel:[1,0,0] op_sel_hi:[1,0,0]
	v_fma_mix_f32 v82, v0, v82, 0 op_sel:[1,0,0] op_sel_hi:[1,0,0]
	s_delay_alu instid0(VALU_DEP_2) | instskip(SKIP_1) | instid1(VALU_DEP_3)
	v_fma_mix_f32 v13, v1, v14, v13 op_sel:[1,0,0] op_sel_hi:[1,0,0]
	v_cvt_f32_ubyte0_e32 v14, v147
	v_fma_mix_f32 v82, v1, v83, v82 op_sel:[1,0,0] op_sel_hi:[1,0,0]
	v_and_b32_e32 v83, 0xff, v139
	s_delay_alu instid0(VALU_DEP_4) | instskip(NEXT) | instid1(VALU_DEP_4)
	v_mul_f32_e32 v13, v13, v78
	v_fma_mix_f32 v14, v0, v14, 0 op_sel:[1,0,0] op_sel_hi:[1,0,0]
	s_delay_alu instid0(VALU_DEP_3) | instskip(NEXT) | instid1(VALU_DEP_2)
	v_mul_lo_u32 v83, v120, v83
	v_fma_mix_f32 v14, v1, v15, v14 op_sel:[1,0,0] op_sel_hi:[1,0,0]
	v_cvt_f32_ubyte0_e32 v15, v94
	s_delay_alu instid0(VALU_DEP_3) | instskip(NEXT) | instid1(VALU_DEP_2)
	v_cvt_f32_i32_e32 v83, v83
	v_fma_mix_f32 v15, v15, v0, 0 op_sel:[0,1,0] op_sel_hi:[0,1,0]
	s_delay_alu instid0(VALU_DEP_4) | instskip(NEXT) | instid1(VALU_DEP_3)
	v_mul_f32_e32 v14, v14, v79
	v_fma_mix_f32 v83, v83, v0, 0 op_sel_hi:[0,1,0]
	s_delay_alu instid0(VALU_DEP_3) | instskip(SKIP_4) | instid1(VALU_DEP_3)
	v_fma_mix_f32 v15, v16, v1, v15 op_sel:[0,1,0] op_sel_hi:[0,1,0]
	ds_load_u16 v16, v85
	v_lshrrev_b16 v85, 8, v138
	v_fma_mix_f32 v7, v7, v1, v83 op_sel_hi:[0,1,0]
	v_mul_f32_e32 v15, v15, v80
	v_and_b32_e32 v85, 0xffff, v85
	s_delay_alu instid0(VALU_DEP_1) | instskip(NEXT) | instid1(VALU_DEP_1)
	v_mul_lo_u32 v11, v11, v85
	v_cvt_f32_i32_e32 v11, v11
	s_wait_dscnt 0x0
	v_and_b32_e32 v84, 0xff, v16
	v_lshrrev_b16 v16, 8, v16
	s_delay_alu instid0(VALU_DEP_2) | instskip(SKIP_1) | instid1(VALU_DEP_3)
	v_mul_lo_u32 v3, v3, v84
	v_and_b32_e32 v84, 0xff, v138
	v_and_b32_e32 v16, 0xffff, v16
	s_delay_alu instid0(VALU_DEP_2) | instskip(SKIP_2) | instid1(VALU_DEP_4)
	v_mul_lo_u32 v8, v8, v84
	v_lshrrev_b16 v84, 8, v12
	v_and_b32_e32 v12, 0xff, v12
	v_mul_lo_u32 v9, v9, v16
	v_cvt_f32_i32_e32 v3, v3
	s_delay_alu instid0(VALU_DEP_4) | instskip(NEXT) | instid1(VALU_DEP_4)
	v_and_b32_e32 v84, 0xffff, v84
	v_mul_lo_u32 v10, v10, v12
	v_cvt_f32_i32_e32 v8, v8
	s_delay_alu instid0(VALU_DEP_4) | instskip(NEXT) | instid1(VALU_DEP_4)
	v_fma_mix_f32 v3, v0, v3, 0 op_sel_hi:[1,0,0]
	v_mul_lo_u32 v2, v2, v84
	v_cvt_f32_i32_e32 v9, v9
	s_delay_alu instid0(VALU_DEP_4) | instskip(SKIP_1) | instid1(VALU_DEP_3)
	v_fma_mix_f32 v8, v0, v8, 0 op_sel_hi:[1,0,0]
	v_cvt_f32_i32_e32 v10, v10
	v_fma_mix_f32 v3, v1, v9, v3 op_sel_hi:[1,0,0]
	s_delay_alu instid0(VALU_DEP_3) | instskip(SKIP_1) | instid1(VALU_DEP_4)
	v_fma_mix_f32 v8, v1, v11, v8 op_sel_hi:[1,0,0]
	v_cvt_f32_i32_e32 v2, v2
	v_fma_mix_f32 v0, v0, v10, 0 op_sel_hi:[1,0,0]
	v_mul_f32_e32 v10, v82, v77
	s_delay_alu instid0(VALU_DEP_2) | instskip(SKIP_1) | instid1(VALU_DEP_3)
	v_fma_mix_f32 v0, v1, v2, v0 op_sel_hi:[1,0,0]
	v_fma_f32 v1, v7, v81, -v15
	v_fma_f32 v2, v3, v74, -v10
	;; [unrolled: 1-line block ×3, first 2 shown]
	s_delay_alu instid0(VALU_DEP_4) | instskip(NEXT) | instid1(VALU_DEP_3)
	v_fma_f32 v0, v0, v76, -v14
	v_dual_add_f32 v4, v4, v1 :: v_dual_add_f32 v19, v19, v2
	s_delay_alu instid0(VALU_DEP_2)
	v_dual_add_f32 v53, v53, v3 :: v_dual_add_f32 v46, v46, v0
	s_wait_alu 0xfffe
	s_cbranch_vccnz .LBB191_11
; %bb.12:                               ;   in Loop: Header=BB191_5 Depth=1
	s_bitset1_b32 s16, 7
	s_wait_loadcnt 0x0
	s_wait_alu 0xfffe
	s_cmp_ge_i32 s16, s11
	s_barrier_signal -1
	s_barrier_wait -1
	global_inv scope:SCOPE_SE
	s_cbranch_scc1 .LBB191_4
; %bb.13:                               ;   in Loop: Header=BB191_5 Depth=1
	v_add_nc_u32_e32 v0, s17, v54
	s_delay_alu instid0(VALU_DEP_1)
	v_cmp_gt_i32_e32 vcc_lo, s5, v0
	s_and_b32 s17, s1, vcc_lo
	s_wait_alu 0xfffe
	s_and_saveexec_b32 s16, s17
	s_cbranch_execz .LBB191_15
; %bb.14:                               ;   in Loop: Header=BB191_5 Depth=1
	v_add_nc_u32_e32 v0, v59, v0
	s_delay_alu instid0(VALU_DEP_1)
	v_mad_co_i64_i32 v[0:1], null, v0, 36, v[5:6]
	global_load_b32 v0, v[0:1], off offset:4
	s_wait_loadcnt 0x0
	ds_store_b32 v50, v0
.LBB191_15:                             ;   in Loop: Header=BB191_5 Depth=1
	s_wait_alu 0xfffe
	s_or_b32 exec_lo, exec_lo, s16
	s_and_saveexec_b32 s16, s0
	s_cbranch_execz .LBB191_18
; %bb.16:                               ;   in Loop: Header=BB191_5 Depth=1
	v_or_b32_e32 v0, 4, v73
	s_delay_alu instid0(VALU_DEP_1)
	v_cmp_gt_i32_e32 vcc_lo, s5, v0
	s_and_b32 s17, s1, vcc_lo
	s_wait_alu 0xfffe
	s_and_b32 exec_lo, exec_lo, s17
	s_cbranch_execz .LBB191_18
; %bb.17:                               ;   in Loop: Header=BB191_5 Depth=1
	v_ashrrev_i32_e32 v0, 31, v73
	v_ashrrev_i32_e32 v1, 31, v59
	v_add_co_u32 v2, vcc_lo, v59, v73
	s_wait_alu 0xfffd
	s_delay_alu instid0(VALU_DEP_2) | instskip(NEXT) | instid1(VALU_DEP_2)
	v_add_co_ci_u32_e64 v3, null, v1, v0, vcc_lo
	v_mad_co_u64_u32 v[0:1], null, v2, 36, s[2:3]
	s_delay_alu instid0(VALU_DEP_1)
	v_mad_i32_i24 v1, v3, 36, v1
	global_load_b32 v0, v[0:1], off offset:144
	s_wait_loadcnt 0x0
	ds_store_b32 v68, v0
.LBB191_18:                             ;   in Loop: Header=BB191_5 Depth=1
	s_wait_alu 0xfffe
	s_or_b32 exec_lo, exec_lo, s16
	s_wait_loadcnt_dscnt 0x0
	s_barrier_signal -1
	s_barrier_wait -1
	global_inv scope:SCOPE_SE
	ds_load_b32 v0, v52
	ds_load_b32 v1, v55 offset:128
	ds_load_b32 v2, v56 offset:256
	;; [unrolled: 1-line block ×3, first 2 shown]
	v_dual_mov_b32 v13, v47 :: v_dual_mov_b32 v14, v62
	v_mad_u32_u24 v79, 0x84, v18, 64
	s_mov_b32 s16, 16
	s_mov_b32 s17, 0
	s_wait_dscnt 0x3
	v_cvt_f32_f16_e32 v15, v0
	v_lshrrev_b32_e32 v0, 16, v0
	s_wait_dscnt 0x2
	v_cvt_f32_f16_e32 v16, v1
	v_lshrrev_b32_e32 v1, 16, v1
	;; [unrolled: 3-line block ×3, first 2 shown]
	s_wait_dscnt 0x0
	v_lshrrev_b32_e32 v7, 16, v3
	v_cvt_f32_f16_e32 v74, v3
	v_cvt_f32_f16_e32 v75, v0
	;; [unrolled: 1-line block ×5, first 2 shown]
.LBB191_19:                             ;   Parent Loop BB191_5 Depth=1
                                        ; =>  This Inner Loop Header: Depth=2
	ds_load_b128 v[0:3], v13
	ds_load_b128 v[7:10], v13 offset:16
	s_wait_alu 0xfffe
	s_lshr_b32 s21, s16, 2
	v_add_nc_u32_e32 v147, 0x2110, v79
	s_wait_alu 0xfffe
	s_and_b32 s21, s21, 0x3ffffffc
	v_add_nc_u32_e32 v161, 0x3198, v79
	s_add_co_i32 s16, s16, 8
	s_wait_dscnt 0x1
	v_lshrrev_b16 v12, 8, v0
	v_lshrrev_b16 v135, 8, v1
	;; [unrolled: 1-line block ×4, first 2 shown]
	v_ashrrev_i32_e32 v137, 24, v0
	v_bfe_i32 v139, v0, 16, 8
	v_bfe_i32 v142, v0, 0, 8
	v_ashrrev_i32_e32 v125, 24, v1
	v_bfe_i32 v128, v1, 16, 8
	v_bfe_i32 v132, v1, 0, 8
	;; [unrolled: 3-line block ×4, first 2 shown]
	s_wait_dscnt 0x0
	v_lshrrev_b16 v127, 8, v7
	v_lshrrev_b16 v119, 8, v8
	;; [unrolled: 1-line block ×4, first 2 shown]
	v_ashrrev_i32_e32 v97, 24, v7
	v_bfe_i32 v98, v7, 16, 8
	v_bfe_i32 v100, v7, 0, 8
	v_ashrrev_i32_e32 v91, 24, v8
	v_bfe_i32 v92, v8, 16, 8
	v_bfe_i32 v94, v8, 0, 8
	;; [unrolled: 3-line block ×4, first 2 shown]
	ds_load_b128 v[0:3], v13 offset:32
	ds_load_b128 v[7:10], v13 offset:48
	v_bfe_i32 v141, v12, 0, 8
	v_bfe_i32 v135, v135, 0, 8
	;; [unrolled: 1-line block ×6, first 2 shown]
	v_add_nc_u32_e32 v13, 64, v13
	s_wait_dscnt 0x1
	v_lshrrev_b16 v11, 8, v0
	v_lshrrev_b16 v134, 8, v1
	;; [unrolled: 1-line block ×4, first 2 shown]
	v_ashrrev_i32_e32 v136, 24, v0
	v_bfe_i32 v138, v0, 16, 8
	v_bfe_i32 v140, v0, 0, 8
	v_ashrrev_i32_e32 v129, 24, v1
	v_bfe_i32 v130, v1, 16, 8
	v_bfe_i32 v133, v1, 0, 8
	;; [unrolled: 3-line block ×4, first 2 shown]
	s_wait_dscnt 0x0
	v_lshrrev_b16 v122, 8, v7
	v_lshrrev_b16 v114, 8, v8
	;; [unrolled: 1-line block ×4, first 2 shown]
	v_ashrrev_i32_e32 v101, 24, v7
	v_bfe_i32 v102, v7, 16, 8
	v_bfe_i32 v105, v7, 0, 8
	v_ashrrev_i32_e32 v95, 24, v8
	v_bfe_i32 v96, v8, 16, 8
	v_bfe_i32 v99, v8, 0, 8
	;; [unrolled: 3-line block ×4, first 2 shown]
	ds_load_2addr_b32 v[0:1], v79 offset1:1
	ds_load_2addr_b32 v[2:3], v79 offset0:2 offset1:3
	ds_load_2addr_b32 v[7:8], v79 offset0:4 offset1:5
	ds_load_b64 v[9:10], v14
	v_bfe_i32 v163, v11, 0, 8
	v_bfe_i32 v134, v134, 0, 8
	;; [unrolled: 1-line block ×7, first 2 shown]
	v_add_nc_u32_e32 v14, 8, v14
	s_wait_dscnt 0x3
	v_and_b32_e32 v12, 15, v0
	v_bfe_u32 v143, v0, 8, 4
	v_bfe_u32 v144, v0, 24, 4
	v_bfe_u32 v11, v0, 4, 4
	s_delay_alu instid0(VALU_DEP_4) | instskip(NEXT) | instid1(VALU_DEP_3)
	v_mul_i32_i24_e32 v12, v142, v12
	v_mul_i32_i24_e32 v144, v137, v144
	s_delay_alu instid0(VALU_DEP_3) | instskip(NEXT) | instid1(VALU_DEP_3)
	v_mul_i32_i24_e32 v11, v140, v11
	v_mad_i32_i24 v12, v141, v143, v12
	v_bfe_u32 v143, v0, 16, 4
	s_delay_alu instid0(VALU_DEP_1) | instskip(NEXT) | instid1(VALU_DEP_1)
	v_mul_i32_i24_e32 v143, v139, v143
	v_add3_u32 v157, v12, v143, v144
	v_bfe_u32 v12, v0, 12, 4
	s_delay_alu instid0(VALU_DEP_1) | instskip(SKIP_2) | instid1(VALU_DEP_2)
	v_mad_i32_i24 v11, v163, v12, v11
	v_bfe_u32 v12, v0, 20, 4
	v_lshrrev_b32_e32 v0, 28, v0
	v_mul_i32_i24_e32 v12, v138, v12
	s_delay_alu instid0(VALU_DEP_2) | instskip(NEXT) | instid1(VALU_DEP_1)
	v_mul_i32_i24_e32 v0, v136, v0
	v_add3_u32 v164, v11, v12, v0
	v_lshlrev_b32_e32 v0, 4, v18
	s_delay_alu instid0(VALU_DEP_1) | instskip(SKIP_3) | instid1(VALU_DEP_2)
	v_add_nc_u32_e32 v144, s17, v0
	v_add_nc_u32_e32 v0, 0x1080, v79
	s_add_co_i32 s17, s17, 2
	s_wait_alu 0xfffe
	v_add3_u32 v143, v65, s21, v144
	ds_load_2addr_b32 v[149:150], v0 offset1:1
	v_add3_u32 v146, v63, s21, v144
	v_add3_u32 v148, v64, s21, v144
	ds_load_u16 v0, v143 offset:17416
	s_wait_dscnt 0x1
	v_and_b32_e32 v11, 15, v149
	v_bfe_u32 v12, v149, 8, 4
	v_bfe_u32 v145, v149, 24, 4
	s_delay_alu instid0(VALU_DEP_3) | instskip(NEXT) | instid1(VALU_DEP_2)
	v_mul_i32_i24_e32 v11, v142, v11
	v_mul_i32_i24_e32 v145, v137, v145
	s_delay_alu instid0(VALU_DEP_2) | instskip(SKIP_1) | instid1(VALU_DEP_1)
	v_mad_i32_i24 v11, v141, v12, v11
	v_bfe_u32 v12, v149, 16, 4
	v_mul_i32_i24_e32 v12, v139, v12
	s_delay_alu instid0(VALU_DEP_1)
	v_add3_u32 v165, v11, v12, v145
	v_add_nc_u32_e32 v11, 0x3180, v79
	ds_load_u16 v145, v146 offset:18440
	ds_load_2addr_b32 v[151:152], v11 offset1:1
	s_wait_dscnt 0x0
	v_and_b32_e32 v11, 15, v152
	v_and_b32_e32 v12, 15, v151
	v_bfe_u32 v159, v151, 16, 4
	v_bfe_u32 v170, v151, 20, 4
	v_lshrrev_b32_e32 v171, 28, v151
	v_mul_i32_i24_e32 v11, v11, v132
	s_delay_alu instid0(VALU_DEP_1)
	v_mad_i32_i24 v166, v12, v142, v11
	v_add_nc_u32_e32 v11, 0x2100, v79
	v_add_nc_u32_e32 v12, 0x2108, v79
	ds_load_2addr_b32 v[153:154], v11 offset1:1
	ds_load_2addr_b32 v[155:156], v12 offset1:1
	;; [unrolled: 1-line block ×3, first 2 shown]
	ds_load_u16 v147, v148 offset:17928
	s_wait_dscnt 0x3
	v_and_b32_e32 v158, 15, v153
	s_delay_alu instid0(VALU_DEP_1) | instskip(SKIP_1) | instid1(VALU_DEP_1)
	v_mul_i32_i24_e32 v142, v142, v158
	v_bfe_u32 v158, v152, 16, 4
	v_mul_i32_i24_e32 v158, v158, v128
	s_delay_alu instid0(VALU_DEP_1) | instskip(SKIP_2) | instid1(VALU_DEP_2)
	v_mad_i32_i24 v167, v159, v139, v158
	v_bfe_u32 v158, v153, 16, 4
	v_bfe_u32 v159, v151, 24, 4
	v_mul_i32_i24_e32 v139, v139, v158
	v_bfe_u32 v158, v152, 24, 4
	s_delay_alu instid0(VALU_DEP_1) | instskip(NEXT) | instid1(VALU_DEP_1)
	v_mul_i32_i24_e32 v158, v158, v125
	v_mad_i32_i24 v168, v159, v137, v158
	v_bfe_u32 v158, v153, 24, 4
	v_add_nc_u32_e32 v159, 0x3190, v79
	s_delay_alu instid0(VALU_DEP_2) | instskip(SKIP_1) | instid1(VALU_DEP_1)
	v_mul_i32_i24_e32 v137, v137, v158
	v_bfe_u32 v158, v153, 8, 4
	v_mad_i32_i24 v142, v141, v158, v142
	s_delay_alu instid0(VALU_DEP_1) | instskip(SKIP_2) | instid1(VALU_DEP_2)
	v_add3_u32 v137, v142, v139, v137
	v_and_b32_e32 v139, 15, v1
	v_bfe_u32 v142, v1, 8, 4
	v_mul_i32_i24_e32 v139, v132, v139
	s_delay_alu instid0(VALU_DEP_2) | instskip(NEXT) | instid1(VALU_DEP_1)
	v_mul_i32_i24_e32 v142, v135, v142
	v_add3_u32 v139, v157, v142, v139
	v_add_nc_u32_e32 v142, 0x3188, v79
	ds_load_2addr_b32 v[157:158], v142 offset1:1
	ds_load_2addr_b32 v[159:160], v159 offset1:1
	;; [unrolled: 1-line block ×3, first 2 shown]
	s_wait_dscnt 0x2
	v_bfe_u32 v142, v157, 24, 4
	v_bfe_u32 v169, v158, 24, 4
	s_delay_alu instid0(VALU_DEP_2) | instskip(NEXT) | instid1(VALU_DEP_2)
	v_mul_i32_i24_e32 v142, v142, v111
	v_mul_i32_i24_e32 v169, v169, v103
	s_delay_alu instid0(VALU_DEP_1) | instskip(SKIP_2) | instid1(VALU_DEP_2)
	v_add3_u32 v142, v168, v142, v169
	v_bfe_u32 v168, v157, 16, 4
	v_bfe_u32 v169, v158, 16, 4
	v_mul_i32_i24_e32 v168, v168, v113
	s_delay_alu instid0(VALU_DEP_2) | instskip(NEXT) | instid1(VALU_DEP_1)
	v_mul_i32_i24_e32 v169, v169, v104
	v_add3_u32 v167, v167, v168, v169
	v_and_b32_e32 v168, 15, v157
	v_and_b32_e32 v169, 15, v158
	s_delay_alu instid0(VALU_DEP_2) | instskip(NEXT) | instid1(VALU_DEP_2)
	v_mul_i32_i24_e32 v168, v168, v118
	v_mul_i32_i24_e32 v169, v169, v107
	s_delay_alu instid0(VALU_DEP_1) | instskip(SKIP_2) | instid1(VALU_DEP_2)
	v_add3_u32 v166, v166, v168, v169
	v_bfe_u32 v168, v149, 4, 4
	v_bfe_u32 v169, v149, 12, 4
	v_mul_i32_i24_e32 v168, v140, v168
	s_delay_alu instid0(VALU_DEP_1) | instskip(SKIP_2) | instid1(VALU_DEP_2)
	v_mad_i32_i24 v168, v163, v169, v168
	v_bfe_u32 v169, v149, 20, 4
	v_lshrrev_b32_e32 v149, 28, v149
	v_mul_i32_i24_e32 v169, v138, v169
	s_delay_alu instid0(VALU_DEP_2) | instskip(NEXT) | instid1(VALU_DEP_1)
	v_mul_i32_i24_e32 v149, v136, v149
	v_add3_u32 v149, v168, v169, v149
	v_bfe_u32 v168, v152, 4, 4
	v_bfe_u32 v169, v151, 4, 4
	s_delay_alu instid0(VALU_DEP_2) | instskip(NEXT) | instid1(VALU_DEP_1)
	v_mul_i32_i24_e32 v168, v168, v133
	v_mad_i32_i24 v168, v169, v140, v168
	v_bfe_u32 v169, v153, 4, 4
	s_delay_alu instid0(VALU_DEP_1) | instskip(SKIP_1) | instid1(VALU_DEP_1)
	v_mul_i32_i24_e32 v140, v140, v169
	v_bfe_u32 v169, v152, 20, 4
	v_mul_i32_i24_e32 v169, v169, v130
	s_delay_alu instid0(VALU_DEP_1) | instskip(SKIP_1) | instid1(VALU_DEP_1)
	v_mad_i32_i24 v169, v170, v138, v169
	v_bfe_u32 v170, v153, 20, 4
	v_mul_i32_i24_e32 v138, v138, v170
	v_lshrrev_b32_e32 v170, 28, v152
	s_delay_alu instid0(VALU_DEP_1) | instskip(NEXT) | instid1(VALU_DEP_1)
	v_mul_i32_i24_e32 v170, v170, v129
	v_mad_i32_i24 v170, v171, v136, v170
	v_lshrrev_b32_e32 v171, 28, v153
	v_bfe_u32 v153, v153, 12, 4
	s_delay_alu instid0(VALU_DEP_2) | instskip(NEXT) | instid1(VALU_DEP_2)
	v_mul_i32_i24_e32 v136, v136, v171
	v_mad_i32_i24 v140, v163, v153, v140
	v_lshrrev_b32_e32 v153, 28, v158
	s_delay_alu instid0(VALU_DEP_2) | instskip(SKIP_2) | instid1(VALU_DEP_4)
	v_add3_u32 v136, v140, v138, v136
	v_bfe_u32 v138, v1, 4, 4
	v_bfe_u32 v140, v1, 12, 4
	v_mul_i32_i24_e32 v153, v153, v106
	s_delay_alu instid0(VALU_DEP_3) | instskip(NEXT) | instid1(VALU_DEP_3)
	v_mul_i32_i24_e32 v138, v133, v138
	v_mul_i32_i24_e32 v140, v134, v140
	s_delay_alu instid0(VALU_DEP_1) | instskip(SKIP_2) | instid1(VALU_DEP_2)
	v_add3_u32 v138, v164, v138, v140
	v_lshrrev_b32_e32 v140, 28, v157
	v_bfe_u32 v164, v158, 20, 4
	v_mul_i32_i24_e32 v140, v140, v116
	s_delay_alu instid0(VALU_DEP_2) | instskip(NEXT) | instid1(VALU_DEP_2)
	v_mul_i32_i24_e32 v164, v164, v108
	v_add3_u32 v140, v170, v140, v153
	v_bfe_u32 v153, v157, 20, 4
	s_delay_alu instid0(VALU_DEP_1) | instskip(NEXT) | instid1(VALU_DEP_1)
	v_mul_i32_i24_e32 v153, v153, v117
	v_add3_u32 v153, v169, v153, v164
	v_bfe_u32 v164, v157, 4, 4
	v_bfe_u32 v169, v158, 4, 4
	s_delay_alu instid0(VALU_DEP_2) | instskip(NEXT) | instid1(VALU_DEP_2)
	v_mul_i32_i24_e32 v164, v164, v123
	v_mul_i32_i24_e32 v169, v169, v110
	s_delay_alu instid0(VALU_DEP_1) | instskip(SKIP_2) | instid1(VALU_DEP_2)
	v_add3_u32 v164, v168, v164, v169
	v_bfe_u32 v168, v1, 16, 4
	v_bfe_u32 v169, v1, 24, 4
	v_mul_i32_i24_e32 v168, v128, v168
	s_delay_alu instid0(VALU_DEP_2) | instskip(NEXT) | instid1(VALU_DEP_1)
	v_mul_i32_i24_e32 v169, v125, v169
	v_add3_u32 v139, v139, v168, v169
	v_and_b32_e32 v168, 15, v150
	v_bfe_u32 v169, v150, 8, 4
	s_delay_alu instid0(VALU_DEP_2) | instskip(NEXT) | instid1(VALU_DEP_2)
	v_mul_i32_i24_e32 v168, v132, v168
	v_mul_i32_i24_e32 v169, v135, v169
	s_delay_alu instid0(VALU_DEP_1) | instskip(SKIP_1) | instid1(VALU_DEP_1)
	v_add3_u32 v165, v165, v169, v168
	v_and_b32_e32 v168, 15, v154
	v_mul_i32_i24_e32 v132, v132, v168
	v_bfe_u32 v168, v154, 8, 4
	s_delay_alu instid0(VALU_DEP_1) | instskip(NEXT) | instid1(VALU_DEP_1)
	v_mul_i32_i24_e32 v168, v135, v168
	v_add3_u32 v132, v137, v168, v132
	v_and_b32_e32 v137, 0xf0f0f0f, v151
	s_delay_alu instid0(VALU_DEP_1) | instskip(NEXT) | instid1(VALU_DEP_1)
	v_lshrrev_b16 v137, 8, v137
	v_and_b32_e32 v137, 0xffff, v137
	s_delay_alu instid0(VALU_DEP_1) | instskip(SKIP_1) | instid1(VALU_DEP_1)
	v_mul_i32_i24_e32 v137, v137, v141
	v_and_b32_e32 v141, 0xf0f0f0f, v152
	v_lshrrev_b16 v141, 8, v141
	s_delay_alu instid0(VALU_DEP_1) | instskip(NEXT) | instid1(VALU_DEP_1)
	v_and_b32_e32 v141, 0xffff, v141
	v_mul_i32_i24_e32 v135, v141, v135
	v_and_b32_e32 v141, 0xf0f0f0f, v157
	s_delay_alu instid0(VALU_DEP_1) | instskip(NEXT) | instid1(VALU_DEP_1)
	v_lshrrev_b16 v141, 8, v141
	v_and_b32_e32 v141, 0xffff, v141
	s_delay_alu instid0(VALU_DEP_1) | instskip(NEXT) | instid1(VALU_DEP_1)
	v_mul_i32_i24_e32 v141, v141, v131
	v_add3_u32 v135, v137, v135, v141
	s_wait_dscnt 0x1
	v_bfe_u32 v137, v159, 24, 4
	v_bfe_u32 v141, v160, 24, 4
	s_delay_alu instid0(VALU_DEP_2) | instskip(NEXT) | instid1(VALU_DEP_2)
	v_mul_i32_i24_e32 v137, v137, v97
	v_mul_i32_i24_e32 v141, v141, v91
	s_delay_alu instid0(VALU_DEP_1) | instskip(SKIP_2) | instid1(VALU_DEP_2)
	v_add3_u32 v137, v142, v137, v141
	v_and_b32_e32 v141, 15, v159
	v_and_b32_e32 v142, 15, v160
	v_mul_i32_i24_e32 v141, v141, v100
	s_delay_alu instid0(VALU_DEP_2) | instskip(NEXT) | instid1(VALU_DEP_1)
	v_mul_i32_i24_e32 v142, v142, v94
	v_add3_u32 v141, v166, v141, v142
	v_bfe_u32 v142, v159, 16, 4
	v_bfe_u32 v166, v160, 16, 4
	s_delay_alu instid0(VALU_DEP_2) | instskip(NEXT) | instid1(VALU_DEP_2)
	v_mul_i32_i24_e32 v142, v142, v98
	v_mul_i32_i24_e32 v166, v166, v92
	s_delay_alu instid0(VALU_DEP_1) | instskip(SKIP_2) | instid1(VALU_DEP_2)
	v_add3_u32 v142, v167, v142, v166
	v_bfe_u32 v166, v1, 20, 4
	v_lshrrev_b32_e32 v1, 28, v1
	v_mul_i32_i24_e32 v166, v130, v166
	s_delay_alu instid0(VALU_DEP_2) | instskip(NEXT) | instid1(VALU_DEP_1)
	v_mul_i32_i24_e32 v1, v129, v1
	v_add3_u32 v1, v138, v166, v1
	v_bfe_u32 v138, v150, 4, 4
	v_bfe_u32 v166, v150, 12, 4
	s_delay_alu instid0(VALU_DEP_2) | instskip(NEXT) | instid1(VALU_DEP_2)
	v_mul_i32_i24_e32 v138, v133, v138
	v_mul_i32_i24_e32 v166, v134, v166
	s_delay_alu instid0(VALU_DEP_1) | instskip(SKIP_1) | instid1(VALU_DEP_1)
	v_add3_u32 v138, v149, v138, v166
	v_bfe_u32 v149, v154, 4, 4
	v_mul_i32_i24_e32 v133, v133, v149
	v_bfe_u32 v149, v154, 12, 4
	s_delay_alu instid0(VALU_DEP_1) | instskip(NEXT) | instid1(VALU_DEP_1)
	v_mul_i32_i24_e32 v149, v134, v149
	v_add3_u32 v133, v136, v133, v149
	v_lshrrev_b32_e32 v136, 28, v159
	v_lshrrev_b32_e32 v149, 28, v160
	s_delay_alu instid0(VALU_DEP_2) | instskip(NEXT) | instid1(VALU_DEP_2)
	v_mul_i32_i24_e32 v136, v136, v101
	v_mul_i32_i24_e32 v149, v149, v95
	s_delay_alu instid0(VALU_DEP_1) | instskip(SKIP_2) | instid1(VALU_DEP_2)
	v_add3_u32 v136, v140, v136, v149
	v_bfe_u32 v140, v159, 4, 4
	v_bfe_u32 v149, v160, 4, 4
	v_mul_i32_i24_e32 v140, v140, v105
	s_delay_alu instid0(VALU_DEP_2) | instskip(NEXT) | instid1(VALU_DEP_1)
	v_mul_i32_i24_e32 v149, v149, v99
	v_add3_u32 v140, v164, v140, v149
	v_bfe_u32 v149, v159, 20, 4
	v_bfe_u32 v164, v160, 20, 4
	s_delay_alu instid0(VALU_DEP_2) | instskip(NEXT) | instid1(VALU_DEP_2)
	v_mul_i32_i24_e32 v149, v149, v102
	v_mul_i32_i24_e32 v164, v164, v96
	s_delay_alu instid0(VALU_DEP_1) | instskip(SKIP_2) | instid1(VALU_DEP_2)
	v_add3_u32 v149, v153, v149, v164
	v_bfe_u32 v153, v150, 16, 4
	v_bfe_u32 v164, v150, 24, 4
	v_mul_i32_i24_e32 v153, v128, v153
	s_delay_alu instid0(VALU_DEP_2) | instskip(NEXT) | instid1(VALU_DEP_1)
	v_mul_i32_i24_e32 v164, v125, v164
	v_add3_u32 v153, v165, v153, v164
	v_bfe_u32 v164, v154, 16, 4
	s_delay_alu instid0(VALU_DEP_1) | instskip(SKIP_1) | instid1(VALU_DEP_1)
	v_mul_i32_i24_e32 v128, v128, v164
	v_bfe_u32 v164, v154, 24, 4
	v_mul_i32_i24_e32 v125, v125, v164
	v_bfe_i32 v164, v127, 0, 8
	v_and_b32_e32 v127, 0xf0f0f0f, v159
	s_delay_alu instid0(VALU_DEP_3) | instskip(SKIP_2) | instid1(VALU_DEP_4)
	v_add3_u32 v132, v132, v128, v125
	v_and_b32_e32 v125, 15, v2
	v_bfe_u32 v128, v2, 8, 4
	v_lshrrev_b16 v127, 8, v127
	s_delay_alu instid0(VALU_DEP_3) | instskip(NEXT) | instid1(VALU_DEP_3)
	v_mul_i32_i24_e32 v125, v118, v125
	v_mul_i32_i24_e32 v128, v131, v128
	s_delay_alu instid0(VALU_DEP_3) | instskip(NEXT) | instid1(VALU_DEP_2)
	v_and_b32_e32 v127, 0xffff, v127
	v_add3_u32 v125, v139, v128, v125
	v_bfe_i32 v139, v124, 0, 8
	v_and_b32_e32 v124, 0xf0f0f0f, v158
	s_delay_alu instid0(VALU_DEP_4) | instskip(SKIP_1) | instid1(VALU_DEP_3)
	v_mul_i32_i24_e32 v127, v127, v164
	v_add_nc_u32_e32 v128, 0x1098, v79
	v_lshrrev_b16 v124, 8, v124
	s_delay_alu instid0(VALU_DEP_1) | instskip(NEXT) | instid1(VALU_DEP_1)
	v_and_b32_e32 v124, 0xffff, v124
	v_mul_i32_i24_e32 v124, v124, v139
	s_delay_alu instid0(VALU_DEP_1) | instskip(SKIP_3) | instid1(VALU_DEP_2)
	v_add3_u32 v135, v135, v124, v127
	s_wait_dscnt 0x0
	v_bfe_u32 v124, v161, 24, 4
	v_bfe_u32 v127, v162, 24, 4
	v_mul_i32_i24_e32 v124, v124, v85
	s_delay_alu instid0(VALU_DEP_2) | instskip(NEXT) | instid1(VALU_DEP_1)
	v_mul_i32_i24_e32 v127, v127, v80
	v_add3_u32 v137, v137, v124, v127
	v_bfe_u32 v124, v161, 16, 4
	v_bfe_u32 v127, v162, 16, 4
	s_delay_alu instid0(VALU_DEP_2) | instskip(NEXT) | instid1(VALU_DEP_2)
	v_mul_i32_i24_e32 v124, v124, v86
	v_mul_i32_i24_e32 v127, v127, v81
	s_delay_alu instid0(VALU_DEP_1) | instskip(SKIP_2) | instid1(VALU_DEP_2)
	v_add3_u32 v142, v142, v124, v127
	v_and_b32_e32 v124, 15, v161
	v_and_b32_e32 v127, 15, v162
	v_mul_i32_i24_e32 v124, v124, v88
	s_delay_alu instid0(VALU_DEP_2) | instskip(NEXT) | instid1(VALU_DEP_1)
	v_mul_i32_i24_e32 v127, v127, v84
	v_add3_u32 v141, v141, v124, v127
	v_bfe_u32 v124, v150, 20, 4
	v_lshrrev_b32_e32 v127, 28, v150
	s_delay_alu instid0(VALU_DEP_2) | instskip(NEXT) | instid1(VALU_DEP_2)
	v_mul_i32_i24_e32 v124, v130, v124
	v_mul_i32_i24_e32 v127, v129, v127
	s_delay_alu instid0(VALU_DEP_1) | instskip(SKIP_2) | instid1(VALU_DEP_2)
	v_add3_u32 v138, v138, v124, v127
	v_bfe_u32 v124, v154, 20, 4
	v_lshrrev_b32_e32 v127, 28, v154
	v_mul_i32_i24_e32 v124, v130, v124
	s_delay_alu instid0(VALU_DEP_2) | instskip(NEXT) | instid1(VALU_DEP_1)
	v_mul_i32_i24_e32 v127, v129, v127
	v_add3_u32 v130, v133, v124, v127
	v_bfe_u32 v124, v2, 4, 4
	v_bfe_i32 v133, v126, 0, 8
	v_bfe_u32 v126, v2, 12, 4
	v_lshrrev_b32_e32 v127, 4, v157
	s_delay_alu instid0(VALU_DEP_4) | instskip(NEXT) | instid1(VALU_DEP_3)
	v_mul_i32_i24_e32 v124, v123, v124
	v_mul_i32_i24_e32 v126, v133, v126
	s_delay_alu instid0(VALU_DEP_3) | instskip(NEXT) | instid1(VALU_DEP_2)
	v_lshrrev_b16 v127, 8, v127
	v_add3_u32 v1, v1, v124, v126
	v_lshrrev_b32_e32 v124, 4, v151
	v_lshrrev_b32_e32 v126, 4, v152
	s_delay_alu instid0(VALU_DEP_4) | instskip(NEXT) | instid1(VALU_DEP_3)
	v_and_b32_e32 v127, 15, v127
	v_lshrrev_b16 v124, 8, v124
	s_delay_alu instid0(VALU_DEP_3) | instskip(NEXT) | instid1(VALU_DEP_3)
	v_lshrrev_b16 v126, 8, v126
	v_and_b32_e32 v127, 0xffff, v127
	s_delay_alu instid0(VALU_DEP_3) | instskip(NEXT) | instid1(VALU_DEP_3)
	v_and_b32_e32 v124, 15, v124
	v_and_b32_e32 v126, 15, v126
	s_delay_alu instid0(VALU_DEP_3) | instskip(NEXT) | instid1(VALU_DEP_3)
	v_mul_i32_i24_e32 v127, v127, v133
	v_and_b32_e32 v124, 0xffff, v124
	s_delay_alu instid0(VALU_DEP_3) | instskip(NEXT) | instid1(VALU_DEP_2)
	v_and_b32_e32 v126, 0xffff, v126
	v_mul_i32_i24_e32 v124, v124, v163
	s_delay_alu instid0(VALU_DEP_2) | instskip(NEXT) | instid1(VALU_DEP_1)
	v_mul_i32_i24_e32 v126, v126, v134
	v_add3_u32 v134, v124, v126, v127
	v_lshrrev_b32_e32 v124, 28, v161
	v_lshrrev_b32_e32 v126, 28, v162
	s_delay_alu instid0(VALU_DEP_2) | instskip(NEXT) | instid1(VALU_DEP_2)
	v_mul_i32_i24_e32 v124, v124, v89
	v_mul_i32_i24_e32 v126, v126, v82
	s_delay_alu instid0(VALU_DEP_1) | instskip(SKIP_2) | instid1(VALU_DEP_2)
	v_add3_u32 v136, v136, v124, v126
	v_bfe_u32 v124, v161, 20, 4
	v_bfe_u32 v126, v162, 20, 4
	v_mul_i32_i24_e32 v124, v124, v90
	s_delay_alu instid0(VALU_DEP_2) | instskip(NEXT) | instid1(VALU_DEP_1)
	v_mul_i32_i24_e32 v126, v126, v83
	v_add3_u32 v149, v149, v124, v126
	v_bfe_u32 v124, v161, 4, 4
	v_bfe_u32 v126, v162, 4, 4
	s_delay_alu instid0(VALU_DEP_2) | instskip(NEXT) | instid1(VALU_DEP_2)
	v_mul_i32_i24_e32 v124, v124, v93
	v_mul_i32_i24_e32 v126, v126, v87
	s_delay_alu instid0(VALU_DEP_1) | instskip(SKIP_2) | instid1(VALU_DEP_2)
	v_add3_u32 v140, v140, v124, v126
	v_bfe_u32 v124, v2, 16, 4
	v_bfe_u32 v126, v2, 24, 4
	v_mul_i32_i24_e32 v124, v113, v124
	s_delay_alu instid0(VALU_DEP_2) | instskip(NEXT) | instid1(VALU_DEP_1)
	v_mul_i32_i24_e32 v126, v111, v126
	v_add3_u32 v150, v125, v124, v126
	v_add_nc_u32_e32 v124, 0x1088, v79
	v_add_nc_u32_e32 v126, 0x1090, v79
	ds_load_2addr_b32 v[124:125], v124 offset1:1
	ds_load_2addr_b32 v[126:127], v126 offset1:1
	;; [unrolled: 1-line block ×3, first 2 shown]
	s_wait_dscnt 0x2
	v_and_b32_e32 v151, 15, v124
	v_bfe_u32 v152, v124, 8, 4
	s_delay_alu instid0(VALU_DEP_2) | instskip(NEXT) | instid1(VALU_DEP_2)
	v_mul_i32_i24_e32 v151, v118, v151
	v_mul_i32_i24_e32 v152, v131, v152
	s_delay_alu instid0(VALU_DEP_1) | instskip(SKIP_1) | instid1(VALU_DEP_1)
	v_add3_u32 v151, v153, v152, v151
	v_and_b32_e32 v152, 15, v155
	v_mul_i32_i24_e32 v118, v118, v152
	v_bfe_u32 v152, v155, 8, 4
	s_delay_alu instid0(VALU_DEP_1) | instskip(NEXT) | instid1(VALU_DEP_1)
	v_mul_i32_i24_e32 v131, v131, v152
	v_add3_u32 v118, v132, v131, v118
	v_and_b32_e32 v131, 0xf0f0f0f, v160
	v_and_b32_e32 v132, 0xf0f0f0f, v161
	s_delay_alu instid0(VALU_DEP_2) | instskip(NEXT) | instid1(VALU_DEP_2)
	v_lshrrev_b16 v131, 8, v131
	v_lshrrev_b16 v132, 8, v132
	s_delay_alu instid0(VALU_DEP_2) | instskip(NEXT) | instid1(VALU_DEP_2)
	v_and_b32_e32 v131, 0xffff, v131
	v_and_b32_e32 v132, 0xffff, v132
	s_delay_alu instid0(VALU_DEP_2) | instskip(NEXT) | instid1(VALU_DEP_2)
	v_mul_i32_i24_e32 v131, v131, v119
	v_mul_i32_i24_e32 v132, v132, v120
	s_delay_alu instid0(VALU_DEP_1) | instskip(SKIP_2) | instid1(VALU_DEP_2)
	v_add3_u32 v131, v135, v131, v132
	v_bfe_u32 v132, v2, 20, 4
	v_lshrrev_b32_e32 v2, 28, v2
	v_mul_i32_i24_e32 v132, v117, v132
	s_delay_alu instid0(VALU_DEP_2) | instskip(NEXT) | instid1(VALU_DEP_1)
	v_mul_i32_i24_e32 v2, v116, v2
	v_add3_u32 v1, v1, v132, v2
	v_bfe_u32 v2, v124, 4, 4
	v_bfe_u32 v132, v124, 12, 4
	s_delay_alu instid0(VALU_DEP_2) | instskip(NEXT) | instid1(VALU_DEP_2)
	v_mul_i32_i24_e32 v2, v123, v2
	v_mul_i32_i24_e32 v132, v133, v132
	s_delay_alu instid0(VALU_DEP_1) | instskip(SKIP_1) | instid1(VALU_DEP_1)
	v_add3_u32 v2, v138, v2, v132
	v_bfe_u32 v132, v155, 4, 4
	v_mul_i32_i24_e32 v123, v123, v132
	v_bfe_u32 v132, v155, 12, 4
	s_delay_alu instid0(VALU_DEP_1) | instskip(SKIP_1) | instid1(VALU_DEP_2)
	v_mul_i32_i24_e32 v132, v133, v132
	v_bfe_u32 v133, v124, 24, 4
	v_add3_u32 v123, v130, v123, v132
	v_lshrrev_b32_e32 v130, 4, v158
	v_lshrrev_b32_e32 v132, 4, v159
	s_delay_alu instid0(VALU_DEP_4) | instskip(NEXT) | instid1(VALU_DEP_3)
	v_mul_i32_i24_e32 v133, v111, v133
	v_lshrrev_b16 v130, 8, v130
	s_delay_alu instid0(VALU_DEP_3) | instskip(NEXT) | instid1(VALU_DEP_2)
	v_lshrrev_b16 v132, 8, v132
	v_and_b32_e32 v130, 15, v130
	s_delay_alu instid0(VALU_DEP_2) | instskip(NEXT) | instid1(VALU_DEP_2)
	v_and_b32_e32 v132, 15, v132
	v_and_b32_e32 v130, 0xffff, v130
	s_delay_alu instid0(VALU_DEP_2) | instskip(NEXT) | instid1(VALU_DEP_2)
	v_and_b32_e32 v132, 0xffff, v132
	v_mul_i32_i24_e32 v130, v130, v121
	s_delay_alu instid0(VALU_DEP_2) | instskip(NEXT) | instid1(VALU_DEP_1)
	v_mul_i32_i24_e32 v132, v132, v122
	v_add3_u32 v130, v134, v130, v132
	v_bfe_u32 v132, v124, 16, 4
	s_delay_alu instid0(VALU_DEP_1) | instskip(NEXT) | instid1(VALU_DEP_1)
	v_mul_i32_i24_e32 v132, v113, v132
	v_add3_u32 v132, v151, v132, v133
	v_bfe_u32 v133, v155, 16, 4
	s_delay_alu instid0(VALU_DEP_1) | instskip(SKIP_1) | instid1(VALU_DEP_1)
	v_mul_i32_i24_e32 v113, v113, v133
	v_bfe_u32 v133, v155, 24, 4
	v_mul_i32_i24_e32 v111, v111, v133
	s_delay_alu instid0(VALU_DEP_1) | instskip(SKIP_2) | instid1(VALU_DEP_2)
	v_add3_u32 v111, v118, v113, v111
	v_and_b32_e32 v113, 15, v3
	v_bfe_u32 v118, v3, 8, 4
	v_mul_i32_i24_e32 v113, v107, v113
	s_delay_alu instid0(VALU_DEP_2) | instskip(NEXT) | instid1(VALU_DEP_1)
	v_mul_i32_i24_e32 v118, v139, v118
	v_add3_u32 v113, v150, v118, v113
	v_and_b32_e32 v118, 0xf0f0f0f, v162
	s_delay_alu instid0(VALU_DEP_1) | instskip(NEXT) | instid1(VALU_DEP_1)
	v_lshrrev_b16 v118, 8, v118
	v_and_b32_e32 v118, 0xffff, v118
	s_delay_alu instid0(VALU_DEP_1) | instskip(NEXT) | instid1(VALU_DEP_1)
	v_mul_i32_i24_e32 v118, v118, v112
	v_add3_u32 v118, v131, v118, v137
	v_bfe_u32 v131, v124, 20, 4
	v_lshrrev_b32_e32 v124, 28, v124
	s_delay_alu instid0(VALU_DEP_2) | instskip(NEXT) | instid1(VALU_DEP_2)
	v_mul_i32_i24_e32 v131, v117, v131
	v_mul_i32_i24_e32 v124, v116, v124
	s_delay_alu instid0(VALU_DEP_1) | instskip(SKIP_1) | instid1(VALU_DEP_1)
	v_add3_u32 v2, v2, v131, v124
	v_bfe_u32 v124, v155, 20, 4
	v_mul_i32_i24_e32 v117, v117, v124
	v_lshrrev_b32_e32 v124, 28, v155
	s_delay_alu instid0(VALU_DEP_1) | instskip(SKIP_1) | instid1(VALU_DEP_2)
	v_mul_i32_i24_e32 v116, v116, v124
	v_bfe_u32 v124, v3, 24, 4
	v_add3_u32 v116, v123, v117, v116
	v_bfe_u32 v117, v3, 4, 4
	v_bfe_u32 v123, v3, 12, 4
	s_delay_alu instid0(VALU_DEP_4) | instskip(NEXT) | instid1(VALU_DEP_3)
	v_mul_i32_i24_e32 v124, v103, v124
	v_mul_i32_i24_e32 v117, v110, v117
	s_delay_alu instid0(VALU_DEP_3) | instskip(NEXT) | instid1(VALU_DEP_1)
	v_mul_i32_i24_e32 v123, v121, v123
	v_add3_u32 v1, v1, v117, v123
	v_lshrrev_b32_e32 v117, 4, v160
	v_lshrrev_b32_e32 v123, 4, v161
	s_delay_alu instid0(VALU_DEP_2) | instskip(NEXT) | instid1(VALU_DEP_2)
	v_lshrrev_b16 v117, 8, v117
	v_lshrrev_b16 v123, 8, v123
	s_delay_alu instid0(VALU_DEP_2) | instskip(NEXT) | instid1(VALU_DEP_2)
	v_and_b32_e32 v117, 15, v117
	v_and_b32_e32 v123, 15, v123
	s_delay_alu instid0(VALU_DEP_2) | instskip(NEXT) | instid1(VALU_DEP_2)
	v_and_b32_e32 v117, 0xffff, v117
	v_and_b32_e32 v123, 0xffff, v123
	s_delay_alu instid0(VALU_DEP_2) | instskip(NEXT) | instid1(VALU_DEP_2)
	v_mul_i32_i24_e32 v117, v117, v114
	v_mul_i32_i24_e32 v123, v123, v115
	s_delay_alu instid0(VALU_DEP_1) | instskip(SKIP_1) | instid1(VALU_DEP_1)
	v_add3_u32 v117, v130, v117, v123
	v_bfe_u32 v123, v3, 16, 4
	v_mul_i32_i24_e32 v123, v104, v123
	s_delay_alu instid0(VALU_DEP_1) | instskip(SKIP_2) | instid1(VALU_DEP_2)
	v_add3_u32 v113, v113, v123, v124
	v_and_b32_e32 v123, 15, v125
	v_bfe_u32 v124, v125, 8, 4
	v_mul_i32_i24_e32 v123, v107, v123
	s_delay_alu instid0(VALU_DEP_2) | instskip(NEXT) | instid1(VALU_DEP_1)
	v_mul_i32_i24_e32 v124, v139, v124
	v_add3_u32 v123, v132, v124, v123
	v_and_b32_e32 v124, 15, v156
	s_delay_alu instid0(VALU_DEP_1) | instskip(SKIP_1) | instid1(VALU_DEP_1)
	v_mul_i32_i24_e32 v107, v107, v124
	v_bfe_u32 v124, v156, 8, 4
	v_mul_i32_i24_e32 v124, v139, v124
	s_delay_alu instid0(VALU_DEP_1) | instskip(SKIP_3) | instid1(VALU_DEP_2)
	v_add3_u32 v107, v111, v124, v107
	v_add3_u32 v111, v141, v142, v118
	v_bfe_u32 v118, v3, 20, 4
	v_lshrrev_b32_e32 v3, 28, v3
	v_mul_i32_i24_e32 v118, v108, v118
	s_delay_alu instid0(VALU_DEP_2) | instskip(NEXT) | instid1(VALU_DEP_1)
	v_mul_i32_i24_e32 v3, v106, v3
	v_add3_u32 v1, v1, v118, v3
	v_bfe_u32 v3, v125, 4, 4
	v_bfe_u32 v118, v125, 12, 4
	s_delay_alu instid0(VALU_DEP_2) | instskip(NEXT) | instid1(VALU_DEP_2)
	v_mul_i32_i24_e32 v3, v110, v3
	v_mul_i32_i24_e32 v118, v121, v118
	s_delay_alu instid0(VALU_DEP_1) | instskip(SKIP_1) | instid1(VALU_DEP_1)
	v_add3_u32 v2, v2, v3, v118
	v_bfe_u32 v3, v156, 4, 4
	v_mul_i32_i24_e32 v3, v110, v3
	v_bfe_u32 v110, v156, 12, 4
	s_delay_alu instid0(VALU_DEP_1) | instskip(NEXT) | instid1(VALU_DEP_1)
	v_mul_i32_i24_e32 v110, v121, v110
	v_add3_u32 v3, v116, v3, v110
	v_lshrrev_b32_e32 v110, 4, v162
	v_bfe_u32 v116, v125, 16, 4
	s_delay_alu instid0(VALU_DEP_2) | instskip(NEXT) | instid1(VALU_DEP_2)
	v_lshrrev_b16 v110, 8, v110
	v_mul_i32_i24_e32 v116, v104, v116
	s_delay_alu instid0(VALU_DEP_2) | instskip(NEXT) | instid1(VALU_DEP_1)
	v_and_b32_e32 v110, 15, v110
	v_and_b32_e32 v110, 0xffff, v110
	s_delay_alu instid0(VALU_DEP_1) | instskip(NEXT) | instid1(VALU_DEP_1)
	v_mul_i32_i24_e32 v110, v110, v109
	v_add3_u32 v110, v117, v110, v136
	v_bfe_u32 v117, v125, 24, 4
	s_delay_alu instid0(VALU_DEP_1) | instskip(NEXT) | instid1(VALU_DEP_1)
	v_mul_i32_i24_e32 v117, v103, v117
	v_add3_u32 v116, v123, v116, v117
	v_bfe_u32 v117, v156, 16, 4
	s_delay_alu instid0(VALU_DEP_1) | instskip(SKIP_1) | instid1(VALU_DEP_1)
	v_mul_i32_i24_e32 v104, v104, v117
	v_bfe_u32 v117, v156, 24, 4
	v_mul_i32_i24_e32 v103, v103, v117
	s_delay_alu instid0(VALU_DEP_1) | instskip(SKIP_2) | instid1(VALU_DEP_2)
	v_add3_u32 v103, v107, v104, v103
	v_and_b32_e32 v104, 15, v7
	v_bfe_u32 v107, v7, 8, 4
	v_mul_i32_i24_e32 v104, v100, v104
	s_delay_alu instid0(VALU_DEP_2) | instskip(NEXT) | instid1(VALU_DEP_1)
	v_mul_i32_i24_e32 v107, v164, v107
	v_add3_u32 v104, v113, v107, v104
	v_bfe_u32 v107, v125, 20, 4
	v_lshrrev_b32_e32 v113, 28, v125
	s_delay_alu instid0(VALU_DEP_2) | instskip(NEXT) | instid1(VALU_DEP_2)
	v_mul_i32_i24_e32 v107, v108, v107
	v_mul_i32_i24_e32 v113, v106, v113
	s_delay_alu instid0(VALU_DEP_1) | instskip(SKIP_2) | instid1(VALU_DEP_2)
	v_add3_u32 v2, v2, v107, v113
	v_bfe_u32 v107, v156, 20, 4
	v_lshrrev_b32_e32 v113, 28, v156
	v_mul_i32_i24_e32 v107, v108, v107
	s_delay_alu instid0(VALU_DEP_2) | instskip(SKIP_1) | instid1(VALU_DEP_2)
	v_mul_i32_i24_e32 v106, v106, v113
	v_bfe_u32 v108, v7, 24, 4
	v_add3_u32 v3, v3, v107, v106
	v_bfe_u32 v106, v7, 4, 4
	v_bfe_u32 v107, v7, 12, 4
	s_delay_alu instid0(VALU_DEP_4) | instskip(NEXT) | instid1(VALU_DEP_3)
	v_mul_i32_i24_e32 v108, v97, v108
	v_mul_i32_i24_e32 v106, v105, v106
	s_delay_alu instid0(VALU_DEP_3) | instskip(NEXT) | instid1(VALU_DEP_1)
	v_mul_i32_i24_e32 v107, v122, v107
	v_add3_u32 v1, v1, v106, v107
	v_bfe_u32 v107, v7, 16, 4
	v_add3_u32 v106, v140, v149, v110
	s_delay_alu instid0(VALU_DEP_2) | instskip(NEXT) | instid1(VALU_DEP_1)
	v_mul_i32_i24_e32 v107, v98, v107
	v_add3_u32 v104, v104, v107, v108
	s_wait_dscnt 0x1
	v_and_b32_e32 v107, 15, v126
	v_bfe_u32 v108, v126, 8, 4
	s_delay_alu instid0(VALU_DEP_2) | instskip(NEXT) | instid1(VALU_DEP_2)
	v_mul_i32_i24_e32 v107, v100, v107
	v_mul_i32_i24_e32 v108, v164, v108
	s_delay_alu instid0(VALU_DEP_1) | instskip(SKIP_1) | instid1(VALU_DEP_1)
	v_add3_u32 v107, v116, v108, v107
	v_and_b32_e32 v108, 15, v11
	v_mul_i32_i24_e32 v100, v100, v108
	v_bfe_u32 v108, v11, 8, 4
	s_delay_alu instid0(VALU_DEP_1) | instskip(NEXT) | instid1(VALU_DEP_1)
	v_mul_i32_i24_e32 v108, v164, v108
	v_add3_u32 v100, v103, v108, v100
	v_bfe_u32 v103, v7, 20, 4
	v_lshrrev_b32_e32 v7, 28, v7
	s_delay_alu instid0(VALU_DEP_2) | instskip(NEXT) | instid1(VALU_DEP_2)
	v_mul_i32_i24_e32 v103, v102, v103
	v_mul_i32_i24_e32 v7, v101, v7
	s_delay_alu instid0(VALU_DEP_1) | instskip(SKIP_2) | instid1(VALU_DEP_2)
	v_add3_u32 v1, v1, v103, v7
	v_bfe_u32 v7, v126, 4, 4
	v_bfe_u32 v103, v126, 12, 4
	v_mul_i32_i24_e32 v7, v105, v7
	s_delay_alu instid0(VALU_DEP_2) | instskip(NEXT) | instid1(VALU_DEP_1)
	v_mul_i32_i24_e32 v103, v122, v103
	v_add3_u32 v2, v2, v7, v103
	v_bfe_u32 v7, v11, 4, 4
	v_bfe_u32 v103, v11, 12, 4
	s_delay_alu instid0(VALU_DEP_2) | instskip(NEXT) | instid1(VALU_DEP_2)
	v_mul_i32_i24_e32 v7, v105, v7
	v_mul_i32_i24_e32 v103, v122, v103
	s_delay_alu instid0(VALU_DEP_1) | instskip(SKIP_2) | instid1(VALU_DEP_2)
	v_add3_u32 v3, v3, v7, v103
	v_bfe_u32 v7, v126, 16, 4
	v_bfe_u32 v103, v126, 24, 4
	v_mul_i32_i24_e32 v7, v98, v7
	s_delay_alu instid0(VALU_DEP_2) | instskip(NEXT) | instid1(VALU_DEP_1)
	v_mul_i32_i24_e32 v103, v97, v103
	v_add3_u32 v7, v107, v7, v103
	v_bfe_u32 v103, v11, 16, 4
	s_delay_alu instid0(VALU_DEP_1) | instskip(SKIP_1) | instid1(VALU_DEP_1)
	v_mul_i32_i24_e32 v98, v98, v103
	v_bfe_u32 v103, v11, 24, 4
	v_mul_i32_i24_e32 v97, v97, v103
	v_lshrrev_b32_e32 v103, 28, v126
	s_delay_alu instid0(VALU_DEP_2) | instskip(SKIP_2) | instid1(VALU_DEP_4)
	v_add3_u32 v97, v100, v98, v97
	v_and_b32_e32 v98, 15, v8
	v_bfe_u32 v100, v8, 8, 4
	v_mul_i32_i24_e32 v103, v101, v103
	s_delay_alu instid0(VALU_DEP_3) | instskip(NEXT) | instid1(VALU_DEP_3)
	v_mul_i32_i24_e32 v98, v94, v98
	v_mul_i32_i24_e32 v100, v119, v100
	s_delay_alu instid0(VALU_DEP_1) | instskip(SKIP_1) | instid1(VALU_DEP_1)
	v_add3_u32 v98, v104, v100, v98
	v_bfe_u32 v100, v126, 20, 4
	v_mul_i32_i24_e32 v100, v102, v100
	s_delay_alu instid0(VALU_DEP_1) | instskip(SKIP_2) | instid1(VALU_DEP_2)
	v_add3_u32 v2, v2, v100, v103
	v_bfe_u32 v100, v11, 20, 4
	v_lshrrev_b32_e32 v11, 28, v11
	v_mul_i32_i24_e32 v100, v102, v100
	s_delay_alu instid0(VALU_DEP_2) | instskip(NEXT) | instid1(VALU_DEP_1)
	v_mul_i32_i24_e32 v11, v101, v11
	v_add3_u32 v3, v3, v100, v11
	v_bfe_u32 v11, v8, 4, 4
	v_bfe_u32 v100, v8, 12, 4
	s_delay_alu instid0(VALU_DEP_2) | instskip(NEXT) | instid1(VALU_DEP_2)
	v_mul_i32_i24_e32 v11, v99, v11
	v_mul_i32_i24_e32 v100, v114, v100
	s_delay_alu instid0(VALU_DEP_1) | instskip(SKIP_2) | instid1(VALU_DEP_2)
	v_add3_u32 v1, v1, v11, v100
	v_bfe_u32 v11, v8, 16, 4
	v_bfe_u32 v100, v8, 24, 4
	v_mul_i32_i24_e32 v11, v92, v11
	s_delay_alu instid0(VALU_DEP_2) | instskip(NEXT) | instid1(VALU_DEP_1)
	v_mul_i32_i24_e32 v100, v91, v100
	v_add3_u32 v11, v98, v11, v100
	v_and_b32_e32 v98, 15, v127
	v_bfe_u32 v100, v127, 8, 4
	s_delay_alu instid0(VALU_DEP_2) | instskip(NEXT) | instid1(VALU_DEP_2)
	v_mul_i32_i24_e32 v98, v94, v98
	v_mul_i32_i24_e32 v100, v119, v100
	s_delay_alu instid0(VALU_DEP_1) | instskip(SKIP_1) | instid1(VALU_DEP_1)
	v_add3_u32 v7, v7, v100, v98
	v_and_b32_e32 v98, 15, v12
	v_mul_i32_i24_e32 v94, v94, v98
	v_bfe_u32 v98, v12, 8, 4
	s_delay_alu instid0(VALU_DEP_1) | instskip(NEXT) | instid1(VALU_DEP_1)
	v_mul_i32_i24_e32 v98, v119, v98
	v_add3_u32 v94, v97, v98, v94
	v_bfe_u32 v97, v8, 20, 4
	v_lshrrev_b32_e32 v8, 28, v8
	s_delay_alu instid0(VALU_DEP_2) | instskip(NEXT) | instid1(VALU_DEP_2)
	v_mul_i32_i24_e32 v97, v96, v97
	v_mul_i32_i24_e32 v8, v95, v8
	s_delay_alu instid0(VALU_DEP_1) | instskip(SKIP_2) | instid1(VALU_DEP_2)
	v_add3_u32 v8, v1, v97, v8
	v_bfe_u32 v1, v127, 4, 4
	v_bfe_u32 v97, v127, 12, 4
	v_mul_i32_i24_e32 v1, v99, v1
	s_delay_alu instid0(VALU_DEP_2) | instskip(NEXT) | instid1(VALU_DEP_1)
	v_mul_i32_i24_e32 v97, v114, v97
	v_add3_u32 v97, v2, v1, v97
	v_bfe_u32 v1, v12, 4, 4
	v_bfe_u32 v2, v12, 12, 4
	s_delay_alu instid0(VALU_DEP_2) | instskip(NEXT) | instid1(VALU_DEP_2)
	v_mul_i32_i24_e32 v1, v99, v1
	v_mul_i32_i24_e32 v2, v114, v2
	s_delay_alu instid0(VALU_DEP_1) | instskip(SKIP_2) | instid1(VALU_DEP_2)
	v_add3_u32 v3, v3, v1, v2
	v_bfe_u32 v1, v127, 16, 4
	v_bfe_u32 v2, v127, 24, 4
	v_mul_i32_i24_e32 v1, v92, v1
	s_delay_alu instid0(VALU_DEP_2) | instskip(NEXT) | instid1(VALU_DEP_1)
	v_mul_i32_i24_e32 v2, v91, v2
	v_add3_u32 v7, v7, v1, v2
	ds_load_2addr_b32 v[1:2], v79 offset0:6 offset1:7
	s_wait_dscnt 0x0
	v_and_b32_e32 v98, 15, v1
	v_bfe_u32 v99, v1, 8, 4
	s_delay_alu instid0(VALU_DEP_2) | instskip(NEXT) | instid1(VALU_DEP_2)
	v_mul_i32_i24_e32 v98, v88, v98
	v_mul_i32_i24_e32 v99, v120, v99
	s_delay_alu instid0(VALU_DEP_1) | instskip(SKIP_1) | instid1(VALU_DEP_1)
	v_add3_u32 v11, v11, v99, v98
	v_bfe_u32 v98, v12, 16, 4
	v_mul_i32_i24_e32 v92, v92, v98
	v_bfe_u32 v98, v12, 24, 4
	s_delay_alu instid0(VALU_DEP_1) | instskip(NEXT) | instid1(VALU_DEP_1)
	v_mul_i32_i24_e32 v91, v91, v98
	v_add3_u32 v91, v94, v92, v91
	v_bfe_u32 v92, v127, 20, 4
	v_lshrrev_b32_e32 v94, 28, v127
	s_delay_alu instid0(VALU_DEP_2) | instskip(NEXT) | instid1(VALU_DEP_2)
	v_mul_i32_i24_e32 v92, v96, v92
	v_mul_i32_i24_e32 v94, v95, v94
	s_delay_alu instid0(VALU_DEP_1) | instskip(SKIP_2) | instid1(VALU_DEP_2)
	v_add3_u32 v92, v97, v92, v94
	v_bfe_u32 v94, v1, 4, 4
	v_bfe_u32 v97, v1, 12, 4
	v_mul_i32_i24_e32 v94, v93, v94
	s_delay_alu instid0(VALU_DEP_2) | instskip(NEXT) | instid1(VALU_DEP_1)
	v_mul_i32_i24_e32 v97, v115, v97
	v_add3_u32 v94, v8, v94, v97
	v_bfe_u32 v8, v12, 20, 4
	v_lshrrev_b32_e32 v12, 28, v12
	s_delay_alu instid0(VALU_DEP_2) | instskip(NEXT) | instid1(VALU_DEP_2)
	v_mul_i32_i24_e32 v8, v96, v8
	v_mul_i32_i24_e32 v12, v95, v12
	s_delay_alu instid0(VALU_DEP_1) | instskip(SKIP_2) | instid1(VALU_DEP_2)
	v_add3_u32 v3, v3, v8, v12
	v_bfe_u32 v8, v1, 16, 4
	v_bfe_u32 v12, v1, 24, 4
	v_mul_i32_i24_e32 v8, v86, v8
	s_delay_alu instid0(VALU_DEP_2) | instskip(NEXT) | instid1(VALU_DEP_1)
	v_mul_i32_i24_e32 v12, v85, v12
	v_add3_u32 v11, v11, v8, v12
	v_and_b32_e32 v8, 15, v128
	v_bfe_u32 v12, v128, 8, 4
	s_delay_alu instid0(VALU_DEP_2) | instskip(NEXT) | instid1(VALU_DEP_2)
	v_mul_i32_i24_e32 v8, v88, v8
	v_mul_i32_i24_e32 v12, v120, v12
	s_delay_alu instid0(VALU_DEP_1)
	v_add3_u32 v12, v7, v12, v8
	v_add_nc_u32_e32 v7, 0x2118, v79
	v_add_nc_u32_e32 v79, 32, v79
	ds_load_2addr_b32 v[7:8], v7 offset1:1
	s_wait_dscnt 0x0
	v_and_b32_e32 v95, 15, v7
	s_delay_alu instid0(VALU_DEP_1) | instskip(SKIP_1) | instid1(VALU_DEP_1)
	v_mul_i32_i24_e32 v88, v88, v95
	v_bfe_u32 v95, v7, 8, 4
	v_mul_i32_i24_e32 v95, v120, v95
	s_delay_alu instid0(VALU_DEP_1) | instskip(SKIP_2) | instid1(VALU_DEP_2)
	v_add3_u32 v88, v91, v95, v88
	v_bfe_u32 v91, v1, 20, 4
	v_lshrrev_b32_e32 v1, 28, v1
	v_mul_i32_i24_e32 v91, v90, v91
	s_delay_alu instid0(VALU_DEP_2) | instskip(NEXT) | instid1(VALU_DEP_1)
	v_mul_i32_i24_e32 v1, v89, v1
	v_add3_u32 v1, v94, v91, v1
	v_bfe_u32 v91, v128, 4, 4
	v_bfe_u32 v94, v128, 12, 4
	s_delay_alu instid0(VALU_DEP_2) | instskip(NEXT) | instid1(VALU_DEP_2)
	v_mul_i32_i24_e32 v91, v93, v91
	v_mul_i32_i24_e32 v94, v115, v94
	s_delay_alu instid0(VALU_DEP_1) | instskip(SKIP_1) | instid1(VALU_DEP_1)
	v_add3_u32 v91, v92, v91, v94
	v_bfe_u32 v92, v7, 4, 4
	v_mul_i32_i24_e32 v92, v93, v92
	v_bfe_u32 v93, v7, 12, 4
	s_delay_alu instid0(VALU_DEP_1) | instskip(NEXT) | instid1(VALU_DEP_1)
	v_mul_i32_i24_e32 v93, v115, v93
	v_add3_u32 v3, v3, v92, v93
	v_bfe_u32 v92, v128, 16, 4
	v_bfe_u32 v93, v128, 24, 4
	s_delay_alu instid0(VALU_DEP_2) | instskip(NEXT) | instid1(VALU_DEP_2)
	v_mul_i32_i24_e32 v92, v86, v92
	v_mul_i32_i24_e32 v93, v85, v93
	s_delay_alu instid0(VALU_DEP_1) | instskip(SKIP_2) | instid1(VALU_DEP_2)
	v_add3_u32 v12, v12, v92, v93
	v_and_b32_e32 v92, 15, v2
	v_bfe_u32 v93, v2, 8, 4
	v_mul_i32_i24_e32 v92, v84, v92
	s_delay_alu instid0(VALU_DEP_2) | instskip(NEXT) | instid1(VALU_DEP_1)
	v_mul_i32_i24_e32 v93, v112, v93
	v_add3_u32 v11, v11, v93, v92
	v_bfe_u32 v92, v7, 16, 4
	s_delay_alu instid0(VALU_DEP_1) | instskip(SKIP_1) | instid1(VALU_DEP_1)
	v_mul_i32_i24_e32 v86, v86, v92
	v_bfe_u32 v92, v7, 24, 4
	v_mul_i32_i24_e32 v85, v85, v92
	s_delay_alu instid0(VALU_DEP_1) | instskip(SKIP_2) | instid1(VALU_DEP_2)
	v_add3_u32 v85, v88, v86, v85
	v_bfe_u32 v86, v128, 20, 4
	v_lshrrev_b32_e32 v88, 28, v128
	v_mul_i32_i24_e32 v86, v90, v86
	s_delay_alu instid0(VALU_DEP_2) | instskip(NEXT) | instid1(VALU_DEP_1)
	v_mul_i32_i24_e32 v88, v89, v88
	v_add3_u32 v86, v91, v86, v88
	v_bfe_u32 v88, v2, 4, 4
	v_bfe_u32 v91, v2, 12, 4
	s_delay_alu instid0(VALU_DEP_2) | instskip(NEXT) | instid1(VALU_DEP_2)
	v_mul_i32_i24_e32 v88, v87, v88
	v_mul_i32_i24_e32 v91, v109, v91
	s_delay_alu instid0(VALU_DEP_1) | instskip(SKIP_2) | instid1(VALU_DEP_2)
	v_add3_u32 v1, v1, v88, v91
	v_bfe_u32 v88, v7, 20, 4
	v_lshrrev_b32_e32 v7, 28, v7
	v_mul_i32_i24_e32 v88, v90, v88
	s_delay_alu instid0(VALU_DEP_2) | instskip(SKIP_2) | instid1(VALU_DEP_3)
	v_mul_i32_i24_e32 v7, v89, v7
	v_cvt_f32_ubyte1_e32 v89, v147
	v_cvt_f32_ubyte1_e32 v90, v145
	v_add3_u32 v3, v3, v88, v7
	v_bfe_u32 v7, v2, 16, 4
	v_bfe_u32 v88, v2, 24, 4
	s_delay_alu instid0(VALU_DEP_2) | instskip(NEXT) | instid1(VALU_DEP_2)
	v_mul_i32_i24_e32 v7, v81, v7
	v_mul_i32_i24_e32 v88, v80, v88
	s_delay_alu instid0(VALU_DEP_1) | instskip(SKIP_2) | instid1(VALU_DEP_2)
	v_add3_u32 v7, v11, v7, v88
	v_and_b32_e32 v11, 15, v129
	v_bfe_u32 v88, v129, 8, 4
	v_mul_i32_i24_e32 v11, v84, v11
	s_delay_alu instid0(VALU_DEP_2) | instskip(NEXT) | instid1(VALU_DEP_1)
	v_mul_i32_i24_e32 v88, v112, v88
	v_add3_u32 v11, v12, v88, v11
	v_and_b32_e32 v12, 15, v8
	s_delay_alu instid0(VALU_DEP_1) | instskip(SKIP_1) | instid1(VALU_DEP_1)
	v_mul_i32_i24_e32 v12, v84, v12
	v_bfe_u32 v84, v8, 8, 4
	v_mul_i32_i24_e32 v84, v112, v84
	s_delay_alu instid0(VALU_DEP_1) | instskip(SKIP_3) | instid1(VALU_DEP_3)
	v_add3_u32 v12, v85, v84, v12
	v_bfe_u32 v84, v2, 20, 4
	v_lshrrev_b32_e32 v2, 28, v2
	v_bfe_u32 v85, v8, 12, 4
	v_mul_i32_i24_e32 v84, v83, v84
	s_delay_alu instid0(VALU_DEP_3) | instskip(NEXT) | instid1(VALU_DEP_3)
	v_mul_i32_i24_e32 v2, v82, v2
	v_mul_i32_i24_e32 v85, v109, v85
	s_delay_alu instid0(VALU_DEP_2) | instskip(SKIP_2) | instid1(VALU_DEP_2)
	v_add3_u32 v1, v1, v84, v2
	v_bfe_u32 v2, v129, 4, 4
	v_bfe_u32 v84, v129, 12, 4
	v_mul_i32_i24_e32 v2, v87, v2
	s_delay_alu instid0(VALU_DEP_2) | instskip(NEXT) | instid1(VALU_DEP_1)
	v_mul_i32_i24_e32 v84, v109, v84
	v_add3_u32 v2, v86, v2, v84
	v_bfe_u32 v84, v8, 4, 4
	s_delay_alu instid0(VALU_DEP_1) | instskip(SKIP_1) | instid1(VALU_DEP_2)
	v_mul_i32_i24_e32 v84, v87, v84
	v_bfe_u32 v87, v8, 20, 4
	v_add3_u32 v3, v3, v84, v85
	v_bfe_u32 v84, v129, 16, 4
	v_bfe_u32 v85, v129, 24, 4
	s_delay_alu instid0(VALU_DEP_2) | instskip(NEXT) | instid1(VALU_DEP_2)
	v_mul_i32_i24_e32 v84, v81, v84
	v_mul_i32_i24_e32 v85, v80, v85
	s_delay_alu instid0(VALU_DEP_1) | instskip(SKIP_1) | instid1(VALU_DEP_1)
	v_add3_u32 v11, v11, v84, v85
	v_bfe_u32 v84, v8, 16, 4
	v_mul_i32_i24_e32 v81, v81, v84
	v_bfe_u32 v84, v8, 24, 4
	v_lshrrev_b32_e32 v8, 28, v8
	s_delay_alu instid0(VALU_DEP_2) | instskip(SKIP_1) | instid1(VALU_DEP_3)
	v_mul_i32_i24_e32 v80, v80, v84
	v_lshrrev_b32_e32 v84, 28, v129
	v_mul_i32_i24_e32 v8, v82, v8
	s_delay_alu instid0(VALU_DEP_3) | instskip(SKIP_4) | instid1(VALU_DEP_4)
	v_add3_u32 v12, v12, v81, v80
	v_lshl_or_b32 v80, v51, 2, 0x4200
	v_bfe_u32 v81, v129, 20, 4
	v_mul_i32_i24_e32 v84, v82, v84
	v_cvt_f32_ubyte0_e32 v82, v147
	v_add3_u32 v80, v80, s21, v144
	s_delay_alu instid0(VALU_DEP_4)
	v_mul_i32_i24_e32 v81, v83, v81
	v_mul_i32_i24_e32 v83, v83, v87
	v_cvt_f32_ubyte0_e32 v87, v0
	v_cvt_f32_ubyte1_e32 v0, v0
	v_fma_mix_f32 v82, v9, v82, 0 op_sel:[1,0,0] op_sel_hi:[1,0,0]
	v_add3_u32 v2, v2, v81, v84
	ds_load_u16 v81, v80 offset:8
	ds_load_u16 v84, v148 offset:17920
	;; [unrolled: 1-line block ×4, first 2 shown]
	ds_load_u16 v80, v80
	v_fma_mix_f32 v87, v9, v87, 0 op_sel:[1,0,0] op_sel_hi:[1,0,0]
	v_add3_u32 v3, v3, v83, v8
	v_fma_mix_f32 v82, v10, v89, v82 op_sel:[1,0,0] op_sel_hi:[1,0,0]
	s_add_co_i32 s21, s20, 8
	s_add_co_i32 s20, s20, 16
	v_fma_mix_f32 v0, v10, v0, v87 op_sel:[1,0,0] op_sel_hi:[1,0,0]
	s_wait_alu 0xfffe
	s_cmp_lt_u32 s20, 24
	v_mul_f32_e32 v82, v82, v77
	s_mov_b32 s20, s21
	v_mul_f32_e32 v0, v0, v76
	s_wait_dscnt 0x4
	v_cvt_f32_ubyte0_e32 v88, v81
	v_cvt_f32_ubyte1_e32 v81, v81
	s_wait_dscnt 0x2
	v_and_b32_e32 v87, 0xff, v85
	v_lshrrev_b16 v85, 8, v85
	s_wait_dscnt 0x0
	v_and_b32_e32 v89, 0xff, v80
	v_fma_mix_f32 v88, v9, v88, 0 op_sel:[1,0,0] op_sel_hi:[1,0,0]
	v_lshrrev_b16 v80, 8, v80
	v_lshrrev_b16 v91, 8, v84
	v_and_b32_e32 v84, 0xff, v84
	v_mul_lo_u32 v87, v111, v87
	v_fma_mix_f32 v81, v10, v81, v88 op_sel:[1,0,0] op_sel_hi:[1,0,0]
	v_cvt_f32_ubyte0_e32 v88, v145
	v_and_b32_e32 v85, 0xffff, v85
	v_and_b32_e32 v80, 0xffff, v80
	;; [unrolled: 1-line block ×3, first 2 shown]
	v_mul_lo_u32 v7, v7, v89
	v_fma_mix_f32 v88, v88, v9, 0 op_sel:[0,1,0] op_sel_hi:[0,1,0]
	v_mul_lo_u32 v85, v106, v85
	v_mul_lo_u32 v1, v1, v80
	v_mul_lo_u32 v3, v3, v91
	v_cvt_f32_i32_e32 v87, v87
	v_fma_mix_f32 v88, v90, v10, v88 op_sel:[0,1,0] op_sel_hi:[0,1,0]
	v_and_b32_e32 v90, 0xff, v86
	v_lshrrev_b16 v86, 8, v86
	v_cvt_f32_i32_e32 v7, v7
	v_cvt_f32_i32_e32 v85, v85
	v_fma_mix_f32 v87, v87, v9, 0 op_sel_hi:[0,1,0]
	v_mul_lo_u32 v8, v11, v90
	v_and_b32_e32 v86, 0xffff, v86
	v_mul_lo_u32 v11, v12, v84
	v_cvt_f32_i32_e32 v1, v1
	v_cvt_f32_i32_e32 v3, v3
	v_fma_mix_f32 v7, v9, v7, 0 op_sel_hi:[1,0,0]
	v_mul_lo_u32 v2, v2, v86
	v_mul_f32_e32 v81, v81, v75
	v_cvt_f32_i32_e32 v8, v8
	v_fma_mix_f32 v12, v85, v10, v87 op_sel_hi:[0,1,0]
	v_cvt_f32_i32_e32 v11, v11
	v_fma_mix_f32 v1, v10, v1, v7 op_sel_hi:[1,0,0]
	s_delay_alu instid0(VALU_DEP_4) | instskip(SKIP_1) | instid1(VALU_DEP_4)
	v_fma_mix_f32 v8, v9, v8, 0 op_sel_hi:[1,0,0]
	v_cvt_f32_i32_e32 v2, v2
	v_fma_mix_f32 v9, v9, v11, 0 op_sel_hi:[1,0,0]
	v_mul_f32_e32 v11, v88, v78
	v_fma_f32 v1, v1, v15, -v81
	s_delay_alu instid0(VALU_DEP_4) | instskip(NEXT) | instid1(VALU_DEP_4)
	v_fma_mix_f32 v2, v10, v2, v8 op_sel_hi:[1,0,0]
	v_fma_mix_f32 v3, v10, v3, v9 op_sel_hi:[1,0,0]
	s_delay_alu instid0(VALU_DEP_4) | instskip(NEXT) | instid1(VALU_DEP_4)
	v_fma_f32 v7, v12, v74, -v11
	v_add_f32_e32 v19, v19, v1
	s_delay_alu instid0(VALU_DEP_4) | instskip(NEXT) | instid1(VALU_DEP_4)
	v_fma_f32 v0, v2, v16, -v0
	v_fma_f32 v2, v3, v73, -v82
	s_delay_alu instid0(VALU_DEP_2) | instskip(NEXT) | instid1(VALU_DEP_2)
	v_dual_add_f32 v4, v4, v7 :: v_dual_add_f32 v53, v53, v0
	v_add_f32_e32 v46, v46, v2
	s_cbranch_scc1 .LBB191_19
; %bb.20:                               ;   in Loop: Header=BB191_5 Depth=1
	s_wait_loadcnt 0x0
	s_barrier_signal -1
	s_barrier_wait -1
	global_inv scope:SCOPE_SE
	s_branch .LBB191_4
.LBB191_21:
	s_mul_i32 s0, s7, s4
	s_wait_loadcnt 0x0
	v_cmp_gt_i32_e32 vcc_lo, s0, v17
	s_and_saveexec_b32 s0, vcc_lo
	s_cbranch_execz .LBB191_30
; %bb.22:
	v_mul_lo_u32 v0, v17, s6
	v_add_nc_u32_e32 v1, s18, v18
	s_mov_b32 s0, exec_lo
	s_delay_alu instid0(VALU_DEP_1)
	v_cmpx_gt_u32_e64 s6, v1
	s_cbranch_execz .LBB191_24
; %bb.23:
	s_delay_alu instid0(VALU_DEP_3) | instskip(NEXT) | instid1(VALU_DEP_1)
	v_dual_mov_b32 v3, 0 :: v_dual_add_nc_u32 v2, v0, v1
	v_lshlrev_b64_e32 v[2:3], 2, v[2:3]
	s_delay_alu instid0(VALU_DEP_1) | instskip(SKIP_1) | instid1(VALU_DEP_2)
	v_add_co_u32 v2, vcc_lo, s8, v2
	s_wait_alu 0xfffd
	v_add_co_ci_u32_e64 v3, null, s9, v3, vcc_lo
	global_store_b32 v[2:3], v19, off
.LBB191_24:
	s_wait_alu 0xfffe
	s_or_b32 exec_lo, exec_lo, s0
	v_add_nc_u32_e32 v2, 32, v1
	s_mov_b32 s0, exec_lo
	s_delay_alu instid0(VALU_DEP_1)
	v_cmpx_gt_u32_e64 s6, v2
	s_cbranch_execz .LBB191_26
; %bb.25:
	v_dual_mov_b32 v3, 0 :: v_dual_add_nc_u32 v2, v0, v2
	s_delay_alu instid0(VALU_DEP_1) | instskip(NEXT) | instid1(VALU_DEP_1)
	v_lshlrev_b64_e32 v[2:3], 2, v[2:3]
	v_add_co_u32 v2, vcc_lo, s8, v2
	s_wait_alu 0xfffd
	s_delay_alu instid0(VALU_DEP_2)
	v_add_co_ci_u32_e64 v3, null, s9, v3, vcc_lo
	global_store_b32 v[2:3], v53, off
.LBB191_26:
	s_wait_alu 0xfffe
	s_or_b32 exec_lo, exec_lo, s0
	v_add_nc_u32_e32 v2, 64, v1
	s_mov_b32 s0, exec_lo
	s_delay_alu instid0(VALU_DEP_1)
	v_cmpx_gt_u32_e64 s6, v2
	s_cbranch_execz .LBB191_28
; %bb.27:
	v_dual_mov_b32 v3, 0 :: v_dual_add_nc_u32 v2, v0, v2
	s_delay_alu instid0(VALU_DEP_1) | instskip(NEXT) | instid1(VALU_DEP_1)
	v_lshlrev_b64_e32 v[2:3], 2, v[2:3]
	v_add_co_u32 v2, vcc_lo, s8, v2
	s_wait_alu 0xfffd
	s_delay_alu instid0(VALU_DEP_2)
	v_add_co_ci_u32_e64 v3, null, s9, v3, vcc_lo
	global_store_b32 v[2:3], v46, off
.LBB191_28:
	s_wait_alu 0xfffe
	s_or_b32 exec_lo, exec_lo, s0
	v_add_nc_u32_e32 v1, 0x60, v1
	s_delay_alu instid0(VALU_DEP_1)
	v_cmp_gt_u32_e32 vcc_lo, s6, v1
	s_and_b32 exec_lo, exec_lo, vcc_lo
	s_cbranch_execz .LBB191_30
; %bb.29:
	v_dual_mov_b32 v1, 0 :: v_dual_add_nc_u32 v0, v0, v1
	s_delay_alu instid0(VALU_DEP_1) | instskip(NEXT) | instid1(VALU_DEP_1)
	v_lshlrev_b64_e32 v[0:1], 2, v[0:1]
	v_add_co_u32 v0, vcc_lo, s8, v0
	s_wait_alu 0xfffd
	s_delay_alu instid0(VALU_DEP_2)
	v_add_co_ci_u32_e64 v1, null, s9, v1, vcc_lo
	global_store_b32 v[0:1], v4, off
.LBB191_30:
	s_nop 0
	s_sendmsg sendmsg(MSG_DEALLOC_VGPRS)
	s_endpgm
	.section	.rodata,"a",@progbits
	.p2align	6, 0x0
	.amdhsa_kernel _ZL8moe_q4_KIfLb0EEvPKvS1_PT_PKiS5_S5_iiiiiii
		.amdhsa_group_segment_fixed_size 20688
		.amdhsa_private_segment_fixed_size 0
		.amdhsa_kernarg_size 76
		.amdhsa_user_sgpr_count 2
		.amdhsa_user_sgpr_dispatch_ptr 0
		.amdhsa_user_sgpr_queue_ptr 0
		.amdhsa_user_sgpr_kernarg_segment_ptr 1
		.amdhsa_user_sgpr_dispatch_id 0
		.amdhsa_user_sgpr_private_segment_size 0
		.amdhsa_wavefront_size32 1
		.amdhsa_uses_dynamic_stack 0
		.amdhsa_enable_private_segment 0
		.amdhsa_system_sgpr_workgroup_id_x 1
		.amdhsa_system_sgpr_workgroup_id_y 1
		.amdhsa_system_sgpr_workgroup_id_z 0
		.amdhsa_system_sgpr_workgroup_info 0
		.amdhsa_system_vgpr_workitem_id 1
		.amdhsa_next_free_vgpr 172
		.amdhsa_next_free_sgpr 24
		.amdhsa_reserve_vcc 1
		.amdhsa_float_round_mode_32 0
		.amdhsa_float_round_mode_16_64 0
		.amdhsa_float_denorm_mode_32 3
		.amdhsa_float_denorm_mode_16_64 3
		.amdhsa_fp16_overflow 0
		.amdhsa_workgroup_processor_mode 1
		.amdhsa_memory_ordered 1
		.amdhsa_forward_progress 1
		.amdhsa_inst_pref_size 128
		.amdhsa_round_robin_scheduling 0
		.amdhsa_exception_fp_ieee_invalid_op 0
		.amdhsa_exception_fp_denorm_src 0
		.amdhsa_exception_fp_ieee_div_zero 0
		.amdhsa_exception_fp_ieee_overflow 0
		.amdhsa_exception_fp_ieee_underflow 0
		.amdhsa_exception_fp_ieee_inexact 0
		.amdhsa_exception_int_div_zero 0
	.end_amdhsa_kernel
	.section	.text._ZL8moe_q4_KIfLb0EEvPKvS1_PT_PKiS5_S5_iiiiiii,"axG",@progbits,_ZL8moe_q4_KIfLb0EEvPKvS1_PT_PKiS5_S5_iiiiiii,comdat
.Lfunc_end191:
	.size	_ZL8moe_q4_KIfLb0EEvPKvS1_PT_PKiS5_S5_iiiiiii, .Lfunc_end191-_ZL8moe_q4_KIfLb0EEvPKvS1_PT_PKiS5_S5_iiiiiii
                                        ; -- End function
	.set _ZL8moe_q4_KIfLb0EEvPKvS1_PT_PKiS5_S5_iiiiiii.num_vgpr, 172
	.set _ZL8moe_q4_KIfLb0EEvPKvS1_PT_PKiS5_S5_iiiiiii.num_agpr, 0
	.set _ZL8moe_q4_KIfLb0EEvPKvS1_PT_PKiS5_S5_iiiiiii.numbered_sgpr, 24
	.set _ZL8moe_q4_KIfLb0EEvPKvS1_PT_PKiS5_S5_iiiiiii.num_named_barrier, 0
	.set _ZL8moe_q4_KIfLb0EEvPKvS1_PT_PKiS5_S5_iiiiiii.private_seg_size, 0
	.set _ZL8moe_q4_KIfLb0EEvPKvS1_PT_PKiS5_S5_iiiiiii.uses_vcc, 1
	.set _ZL8moe_q4_KIfLb0EEvPKvS1_PT_PKiS5_S5_iiiiiii.uses_flat_scratch, 0
	.set _ZL8moe_q4_KIfLb0EEvPKvS1_PT_PKiS5_S5_iiiiiii.has_dyn_sized_stack, 0
	.set _ZL8moe_q4_KIfLb0EEvPKvS1_PT_PKiS5_S5_iiiiiii.has_recursion, 0
	.set _ZL8moe_q4_KIfLb0EEvPKvS1_PT_PKiS5_S5_iiiiiii.has_indirect_call, 0
	.section	.AMDGPU.csdata,"",@progbits
; Kernel info:
; codeLenInByte = 16284
; TotalNumSgprs: 26
; NumVgprs: 172
; ScratchSize: 0
; MemoryBound: 0
; FloatMode: 240
; IeeeMode: 1
; LDSByteSize: 20688 bytes/workgroup (compile time only)
; SGPRBlocks: 0
; VGPRBlocks: 21
; NumSGPRsForWavesPerEU: 26
; NumVGPRsForWavesPerEU: 172
; Occupancy: 8
; WaveLimiterHint : 1
; COMPUTE_PGM_RSRC2:SCRATCH_EN: 0
; COMPUTE_PGM_RSRC2:USER_SGPR: 2
; COMPUTE_PGM_RSRC2:TRAP_HANDLER: 0
; COMPUTE_PGM_RSRC2:TGID_X_EN: 1
; COMPUTE_PGM_RSRC2:TGID_Y_EN: 1
; COMPUTE_PGM_RSRC2:TGID_Z_EN: 0
; COMPUTE_PGM_RSRC2:TIDIG_COMP_CNT: 1
	.section	.text._ZL8moe_q4_KIfLb1EEvPKvS1_PT_PKiS5_S5_iiiiiii,"axG",@progbits,_ZL8moe_q4_KIfLb1EEvPKvS1_PT_PKiS5_S5_iiiiiii,comdat
	.globl	_ZL8moe_q4_KIfLb1EEvPKvS1_PT_PKiS5_S5_iiiiiii ; -- Begin function _ZL8moe_q4_KIfLb1EEvPKvS1_PT_PKiS5_S5_iiiiiii
	.p2align	8
	.type	_ZL8moe_q4_KIfLb1EEvPKvS1_PT_PKiS5_S5_iiiiiii,@function
_ZL8moe_q4_KIfLb1EEvPKvS1_PT_PKiS5_S5_iiiiiii: ; @_ZL8moe_q4_KIfLb1EEvPKvS1_PT_PKiS5_S5_iiiiiii
; %bb.0:
	s_load_b128 s[4:7], s[0:1], 0x18
	s_mov_b32 s2, ttmp7
	s_mov_b32 s3, 0
	s_delay_alu instid0(SALU_CYCLE_1)
	s_lshl_b64 s[2:3], s[2:3], 2
	s_wait_kmcnt 0x0
	s_add_nc_u64 s[2:3], s[6:7], s[2:3]
	s_load_b32 s14, s[2:3], 0x0
	s_wait_kmcnt 0x0
	s_cmp_gt_u32 s14, 0xff
	s_cbranch_scc1 .LBB192_30
; %bb.1:
	s_load_b64 s[2:3], s[0:1], 0x28
	s_wait_kmcnt 0x0
	s_load_b32 s3, s[2:3], 0x0
	s_lshl_b32 s2, ttmp7, 3
	s_wait_kmcnt 0x0
	s_cmp_gt_u32 s2, s3
	s_cbranch_scc1 .LBB192_30
; %bb.2:
	v_bfe_u32 v1, v0, 10, 10
	v_mov_b32_e32 v20, 0
	s_lshl_b32 s11, ttmp9, 7
	s_delay_alu instid0(VALU_DEP_2) | instskip(NEXT) | instid1(VALU_DEP_2)
	v_add_nc_u32_e32 v19, s2, v1
	v_dual_mov_b32 v67, v20 :: v_dual_and_b32 v34, 0x3ff, v0
	v_dual_mov_b32 v62, v20 :: v_dual_mov_b32 v35, v20
	s_delay_alu instid0(VALU_DEP_3) | instskip(NEXT) | instid1(VALU_DEP_1)
	v_lshlrev_b64_e32 v[2:3], 2, v[19:20]
	v_add_co_u32 v2, vcc_lo, s4, v2
	s_delay_alu instid0(VALU_DEP_1)
	v_add_co_ci_u32_e64 v3, null, s5, v3, vcc_lo
	global_load_b32 v33, v[2:3], off
	s_clause 0x2
	s_load_b128 s[4:7], s[0:1], 0x30
	s_load_b64 s[12:13], s[0:1], 0x10
	s_load_b96 s[8:10], s[0:1], 0x40
	s_wait_kmcnt 0x0
	s_cmp_lt_i32 s5, 0x100
	s_cbranch_scc1 .LBB192_21
; %bb.3:
	v_add_nc_u32_e32 v3, 8, v1
	s_ashr_i32 s16, s8, 31
	s_not_b32 s17, s11
	v_and_b32_e32 v24, 3, v0
	s_ashr_i32 s15, s5, 31
	s_lshr_b32 s20, s16, 27
	s_add_co_i32 s16, s6, s17
	s_mul_i32 s14, s14, s4
	s_lshr_b32 s4, s15, 24
	v_dual_mov_b32 v35, 0 :: v_dual_lshlrev_b32 v2, 2, v34
	v_min_i32_e32 v4, s16, v1
	v_min_i32_e32 v3, s16, v3
	s_wait_alu 0xfffe
	s_add_co_i32 s4, s5, s4
	v_cmp_gt_u32_e32 vcc_lo, 2, v24
	v_add_nc_u32_e32 v6, 16, v1
	s_wait_alu 0xfffe
	s_ashr_i32 s4, s4, 8
	v_add_nc_u32_e32 v8, 24, v1
	s_wait_alu 0xfffe
	v_mul_lo_u32 v38, v4, s4
	v_mad_co_u64_u32 v[4:5], null, 0x84, v4, v[2:3]
	v_mul_lo_u32 v39, v3, s4
	v_min_i32_e32 v7, s16, v6
	v_mad_co_u64_u32 v[5:6], null, 0x84, v3, v[2:3]
	v_add_nc_u32_e32 v3, 32, v1
	v_min_i32_e32 v8, s16, v8
	s_delay_alu instid0(VALU_DEP_4)
	v_mul_lo_u32 v40, v7, s4
	v_add_nc_u32_e32 v9, 40, v1
	v_lshlrev_b32_e32 v46, 5, v1
	v_mad_co_u64_u32 v[6:7], null, 0x84, v7, v[2:3]
	v_min_i32_e32 v3, s16, v3
	v_mul_lo_u32 v41, v8, s4
	v_min_i32_e32 v10, s16, v9
	v_add_nc_u32_e32 v11, 48, v1
	v_add_nc_u32_e32 v15, v46, v34
	v_mad_co_u64_u32 v[7:8], null, 0x84, v8, v[2:3]
	v_mul_lo_u32 v42, v3, s4
	v_mad_co_u64_u32 v[8:9], null, 0x84, v3, v[2:3]
	v_add_nc_u32_e32 v3, 56, v1
	v_mul_lo_u32 v43, v10, s4
	v_min_i32_e32 v11, s16, v11
	v_add_nc_u32_e32 v12, 64, v1
	v_add_nc_u32_e32 v14, 0x48, v1
	v_mad_co_u64_u32 v[9:10], null, 0x84, v10, v[2:3]
	v_min_i32_e32 v3, s16, v3
	v_and_b32_e32 v15, 0x7f, v15
	v_mul_lo_u32 v44, v11, s4
	v_min_i32_e32 v13, s16, v12
	v_add_nc_u32_e32 v17, 0x58, v1
	v_mad_co_u64_u32 v[10:11], null, 0x84, v11, v[2:3]
	v_mul_lo_u32 v45, v3, s4
	v_mad_co_u64_u32 v[11:12], null, 0x84, v3, v[2:3]
	v_min_i32_e32 v3, s16, v14
	v_add_nc_u32_e32 v14, 0x50, v1
	v_min_i32_e32 v21, s16, v15
	v_mul_lo_u32 v47, v13, s4
	s_load_b128 s[0:3], s[0:1], 0x0
	v_mad_co_u64_u32 v[12:13], null, 0x84, v13, v[2:3]
	v_mul_lo_u32 v48, v3, s4
	v_min_i32_e32 v16, s16, v14
	v_mad_co_u64_u32 v[13:14], null, 0x84, v3, v[2:3]
	v_min_i32_e32 v3, s16, v17
	v_add_nc_u32_e32 v17, 0x60, v1
	v_add_nc_u32_e32 v18, 0x68, v1
	v_ashrrev_i32_e32 v19, 31, v21
	v_mul_lo_u32 v49, v16, s4
	v_mad_co_u64_u32 v[14:15], null, 0x84, v16, v[2:3]
	v_mul_lo_u32 v50, v3, s4
	v_min_i32_e32 v17, s16, v17
	v_mad_co_u64_u32 v[15:16], null, 0x84, v3, v[2:3]
	v_min_i32_e32 v3, s16, v18
	v_add_nc_u32_e32 v18, 0x70, v1
	v_lshrrev_b32_e32 v19, 27, v19
	v_add_nc_u32_e32 v22, 0x78, v1
	v_mul_lo_u32 v51, v17, s4
	v_mad_co_u64_u32 v[16:17], null, 0x84, v17, v[2:3]
	v_mul_lo_u32 v52, v3, s4
	v_min_i32_e32 v20, s16, v18
	v_add_nc_u32_e32 v19, v21, v19
	v_mad_co_u64_u32 v[17:18], null, 0x84, v3, v[2:3]
	v_min_i32_e32 v3, s16, v22
	v_bfe_u32 v22, v0, 2, 8
	s_mul_i32 s18, s4, s11
	v_ashrrev_i32_e32 v23, 5, v19
	s_ashr_i32 s15, s14, 31
	v_mad_co_u64_u32 v[18:19], null, 0x84, v20, v[2:3]
	v_lshl_add_u32 v19, v1, 3, v22
	s_ashr_i32 s19, s18, 31
	s_wait_kmcnt 0x0
	s_add_nc_u64 s[0:1], s[0:1], s[14:15]
	s_mul_u64 s[18:19], s[18:19], 0x90
	v_add_nc_u32_e32 v25, 0xfe, v24
	s_add_nc_u64 s[14:15], s[0:1], s[18:19]
	v_and_b32_e32 v26, 0x7f, v19
	s_abs_i32 s1, s10
	v_mul_lo_u32 v53, v20, s4
	s_cvt_f32_u32 s0, s1
	v_mad_co_u64_u32 v[19:20], null, 0x84, v3, v[2:3]
	v_lshlrev_b32_e32 v22, 2, v23
	v_lshlrev_b32_e32 v23, 2, v21
	v_mul_lo_u32 v55, v21, s4
	v_min_i32_e32 v20, s16, v26
	v_xor_b32_e32 v21, 64, v26
	v_mul_lo_u32 v54, v3, s4
	v_and_b32_e32 v3, 0xff, v25
	v_rcp_iflag_f32_e32 v25, s0
	v_add3_u32 v56, v22, v23, 0x4e40
	v_ashrrev_i32_e32 v22, 31, v20
	v_min_i32_e32 v21, s16, v21
	v_cndmask_b32_e32 v3, v3, v24, vcc_lo
	v_cmp_ne_u32_e64 s0, 0, v24
	v_and_b32_e32 v23, 4, v2
	v_cmp_lt_u32_e32 vcc_lo, 1, v24
	v_lshrrev_b32_e32 v22, 29, v22
	v_ashrrev_i32_e32 v26, 31, v21
	s_wait_alu 0xf1ff
	v_add_co_ci_u32_e64 v27, null, 0, v3, s0
	v_readfirstlane_b32 s0, v25
	s_wait_alu 0xfffd
	v_dual_cndmask_b32 v57, 0, v23 :: v_dual_add_nc_u32 v22, v20, v22
	v_lshrrev_b32_e32 v23, 29, v26
	v_lshlrev_b32_e32 v58, 1, v3
	s_mul_f32 s0, s0, 0x4f7ffffe
	s_delay_alu instid0(VALU_DEP_3)
	v_ashrrev_i32_e32 v22, 3, v22
	s_add_co_i32 s6, s8, s20
	v_add_nc_u32_e32 v3, v21, v23
	s_wait_loadcnt 0x0
	v_sub_nc_u32_e32 v23, 0, v33
	s_wait_alu 0xfffe
	s_cvt_u32_f32 s0, s0
	s_sub_co_i32 s8, 0, s1
	v_lshlrev_b32_e32 v22, 2, v22
	v_lshlrev_b32_e32 v24, 2, v24
	s_wait_alu 0xfffe
	s_mul_i32 s8, s8, s0
	v_max_i32_e32 v23, v33, v23
	s_mul_hi_u32 s8, s0, s8
	v_ashrrev_i32_e32 v3, 3, v3
	s_add_co_i32 s0, s0, s8
	v_add3_u32 v26, v22, v24, 0x4200
	s_wait_alu 0xfffe
	v_mul_hi_u32 v22, v23, s0
	v_mul_lo_u32 v60, v21, s4
	v_lshlrev_b32_e32 v3, 2, v3
	v_lshlrev_b32_e32 v28, 4, v21
	v_bfe_u32 v36, v0, 5, 5
	v_lshl_add_u32 v61, v1, 7, 0x4a40
	v_cndmask_b32_e64 v25, 0, 1, vcc_lo
	v_add3_u32 v3, v3, v24, 0x4200
	v_mul_lo_u32 v21, v22, s1
	v_and_b32_e32 v24, 31, v0
	v_bfe_u32 v65, v0, 3, 7
	v_add_nc_u32_e32 v0, 1, v22
	v_xor_b32_e32 v62, s10, v33
	v_add_nc_u32_e32 v31, 32, v34
	v_lshl_add_u32 v63, v24, 2, v61
	v_lshlrev_b32_e32 v24, 2, v36
	v_sub_nc_u32_e32 v21, v23, v21
	v_ashrrev_i32_e32 v62, 31, v62
	v_lshrrev_b32_e32 v64, 3, v31
	v_add_nc_u32_e32 v32, 0x60, v34
	v_add3_u32 v66, v24, v2, 0x4e40
	v_subrev_nc_u32_e32 v24, s1, v21
	v_cmp_le_u32_e32 vcc_lo, s1, v21
	v_and_b32_e32 v23, 60, v64
	v_lshrrev_b32_e32 v76, 3, v32
	v_and_b32_e32 v30, 28, v2
	s_ashr_i32 s6, s6, 5
	s_wait_alu 0xfffd
	v_cndmask_b32_e32 v0, v22, v0, vcc_lo
	v_dual_cndmask_b32 v21, v21, v24 :: v_dual_add_nc_u32 v22, 64, v34
	v_mul_lo_u32 v59, v20, s4
	v_lshlrev_b32_e32 v20, 4, v20
	s_delay_alu instid0(VALU_DEP_4) | instskip(NEXT) | instid1(VALU_DEP_4)
	v_add_nc_u32_e32 v24, 1, v0
	v_cmp_le_u32_e32 vcc_lo, s1, v21
	v_and_b32_e32 v37, 0x7c, v2
	v_lshrrev_b32_e32 v67, 3, v22
	s_movk_i32 s1, 0x1080
	s_wait_alu 0xfffd
	v_dual_cndmask_b32 v0, v0, v24 :: v_dual_add_nc_u32 v29, 0x5050, v2
	v_lshlrev_b32_e32 v1, 4, v1
	v_and_b32_e32 v21, 60, v67
	v_lshlrev_b32_e32 v24, 2, v31
	v_add3_u32 v68, v2, v23, 0x4e40
	v_xor_b32_e32 v0, v0, v62
	v_and_b32_e32 v23, 60, v76
	v_lshlrev_b32_e32 v31, 2, v22
	v_lshlrev_b32_e32 v32, 2, v32
	s_wait_alu 0xfffe
	v_mad_u32_u24 v71, 0x84, v34, s1
	v_sub_nc_u32_e32 v0, v0, v62
	s_movk_i32 s1, 0x2100
	s_movk_i32 s8, 0x3180
	v_cmp_gt_u32_e64 s0, 4, v34
	v_add3_u32 v69, v2, v21, 0x4e40
	v_mul_lo_u32 v72, v0, s6
	s_wait_alu 0xfffe
	v_mad_u32_u24 v73, 0x84, v34, s1
	v_mad_u32_u24 v74, 0x84, v34, s8
	v_cmp_gt_i32_e64 s1, s7, v0
	v_add_co_u32 v21, s8, s2, v30
	v_add3_u32 v70, v2, v23, 0x4e40
	s_wait_alu 0xf1ff
	v_add_co_ci_u32_e64 v22, null, s3, 0, s8
	v_add_nc_u32_e32 v75, 0x5050, v1
	v_lshlrev_b32_e32 v76, 2, v76
	v_lshlrev_b32_e32 v77, 2, v67
	v_lshlrev_b32_e32 v78, 2, v64
	v_lshlrev_b32_e32 v79, 2, v27
	v_lshlrev_b32_e32 v80, 2, v25
	v_add_nc_u32_e32 v81, v26, v20
	v_add_nc_u32_e32 v82, v3, v28
	;; [unrolled: 1-line block ×3, first 2 shown]
	v_lshlrev_b32_e32 v84, 2, v2
	v_lshlrev_b32_e32 v85, 2, v24
	;; [unrolled: 1-line block ×4, first 2 shown]
	v_dual_mov_b32 v67, 0 :: v_dual_mov_b32 v62, 0
	v_mov_b32_e32 v20, 0
	s_mov_b32 s17, 0
	s_and_b32 s8, s0, s1
	s_wait_alu 0xfffe
	s_mov_b32 s16, s17
	s_branch .LBB192_5
.LBB192_4:                              ;   in Loop: Header=BB192_5 Depth=1
	s_add_co_i32 s16, s16, 1
	s_wait_alu 0xfffe
	s_cmp_eq_u32 s16, s4
	s_cbranch_scc1 .LBB192_21
.LBB192_5:                              ; =>This Loop Header: Depth=1
                                        ;     Child Loop BB192_11 Depth 2
                                        ;     Child Loop BB192_19 Depth 2
	s_wait_alu 0xfffe
	s_mul_u64 s[18:19], s[16:17], 0x90
	s_wait_alu 0xfffe
	s_add_nc_u64 s[18:19], s[14:15], s[18:19]
	s_wait_alu 0xfffe
	v_mad_co_u64_u32 v[0:1], null, 0x90, v36, s[18:19]
	s_delay_alu instid0(VALU_DEP_1) | instskip(SKIP_3) | instid1(VALU_DEP_4)
	v_mad_co_i64_i32 v[2:3], null, 0x90, v38, v[0:1]
	v_mad_co_i64_i32 v[23:24], null, 0x90, v39, v[0:1]
	;; [unrolled: 1-line block ×4, first 2 shown]
	v_add_co_u32 v2, vcc_lo, v2, v37
	v_mad_co_i64_i32 v[29:30], null, 0x90, v42, v[0:1]
	s_wait_alu 0xfffd
	v_add_co_ci_u32_e64 v3, null, 0, v3, vcc_lo
	v_add_co_u32 v23, vcc_lo, v23, v37
	v_mad_co_i64_i32 v[31:32], null, 0x90, v43, v[0:1]
	s_wait_alu 0xfffd
	v_add_co_ci_u32_e64 v24, null, 0, v24, vcc_lo
	;; [unrolled: 4-line block ×4, first 2 shown]
	v_add_co_u32 v29, vcc_lo, v29, v37
	s_wait_alu 0xfffd
	v_add_co_ci_u32_e64 v30, null, 0, v30, vcc_lo
	v_add_co_u32 v31, vcc_lo, v31, v37
	s_wait_alu 0xfffd
	v_add_co_ci_u32_e64 v32, null, 0, v32, vcc_lo
	;; [unrolled: 3-line block ×3, first 2 shown]
	v_add_co_u32 v90, vcc_lo, v90, v37
	v_mad_co_i64_i32 v[92:93], null, 0x90, v47, v[0:1]
	s_wait_alu 0xfffd
	v_add_co_ci_u32_e64 v91, null, 0, v91, vcc_lo
	s_clause 0x7
	global_load_b32 v98, v[2:3], off offset:16
	global_load_b32 v99, v[23:24], off offset:16
	global_load_b32 v100, v[25:26], off offset:16
	global_load_b32 v101, v[27:28], off offset:16
	global_load_b32 v102, v[29:30], off offset:16
	global_load_b32 v103, v[31:32], off offset:16
	global_load_b32 v104, v[88:89], off offset:16
	global_load_b32 v105, v[90:91], off offset:16
	v_mad_co_i64_i32 v[2:3], null, 0x90, v48, v[0:1]
	v_mad_co_i64_i32 v[25:26], null, 0x90, v49, v[0:1]
	;; [unrolled: 1-line block ×3, first 2 shown]
	v_add_co_u32 v23, vcc_lo, v92, v37
	v_mad_co_i64_i32 v[29:30], null, 0x90, v51, v[0:1]
	s_wait_alu 0xfffd
	v_add_co_ci_u32_e64 v24, null, 0, v93, vcc_lo
	v_add_co_u32 v2, vcc_lo, v2, v37
	v_mad_co_i64_i32 v[88:89], null, 0x90, v59, s[18:19]
	s_wait_alu 0xfffd
	v_add_co_ci_u32_e64 v3, null, 0, v3, vcc_lo
	v_add_co_u32 v25, vcc_lo, v25, v37
	s_wait_alu 0xfffd
	v_add_co_ci_u32_e64 v26, null, 0, v26, vcc_lo
	v_add_co_u32 v27, vcc_lo, v27, v37
	v_mad_co_i64_i32 v[92:93], null, 0x90, v60, s[18:19]
	s_wait_alu 0xfffd
	v_add_co_ci_u32_e64 v28, null, 0, v28, vcc_lo
	v_add_co_u32 v29, vcc_lo, v29, v37
	s_wait_alu 0xfffd
	v_add_co_ci_u32_e64 v30, null, 0, v30, vcc_lo
	v_add_co_u32 v94, vcc_lo, v88, v79
	;; [unrolled: 3-line block ×4, first 2 shown]
	v_mad_co_i64_i32 v[31:32], null, 0x90, v52, v[0:1]
	s_wait_alu 0xfffd
	v_add_co_ci_u32_e64 v97, null, 0, v93, vcc_lo
	v_add_co_u32 v92, vcc_lo, v92, v80
	v_mad_co_i64_i32 v[90:91], null, 0x90, v53, v[0:1]
	s_wait_alu 0xfffd
	v_add_co_ci_u32_e64 v93, null, 0, v93, vcc_lo
	v_mad_co_i64_i32 v[0:1], null, 0x90, v54, v[0:1]
	s_clause 0x3
	global_load_b32 v94, v[94:95], off offset:4
	global_load_b32 v95, v[96:97], off offset:4
	;; [unrolled: 1-line block ×4, first 2 shown]
	v_add_co_u32 v31, vcc_lo, v31, v37
	s_wait_alu 0xfffd
	v_add_co_ci_u32_e64 v32, null, 0, v32, vcc_lo
	v_add_co_u32 v88, vcc_lo, v90, v37
	s_wait_alu 0xfffd
	v_add_co_ci_u32_e64 v89, null, 0, v91, vcc_lo
	;; [unrolled: 3-line block ×3, first 2 shown]
	v_mad_co_i64_i32 v[90:91], null, 0x90, v55, s[18:19]
	s_clause 0x8
	global_load_b32 v23, v[23:24], off offset:16
	global_load_b32 v2, v[2:3], off offset:16
	;; [unrolled: 1-line block ×8, first 2 shown]
	global_load_b32 v1, v[90:91], off
	s_lshl_b32 s18, s16, 8
	s_wait_loadcnt 0x14
	ds_store_b32 v4, v98
	s_wait_loadcnt 0x13
	ds_store_b32 v5, v99
	;; [unrolled: 2-line block ×14, first 2 shown]
	v_ashrrev_i32_e32 v28, v57, v94
	v_ashrrev_i32_e32 v29, v57, v95
	;; [unrolled: 1-line block ×4, first 2 shown]
	s_wait_alu 0xfffe
	s_cmp_lt_i32 s18, s5
	v_and_b32_e32 v28, 0xf0f0f0f, v28
	v_and_b32_e32 v29, 0xf0f0f0f, v29
	s_delay_alu instid0(VALU_DEP_2) | instskip(NEXT) | instid1(VALU_DEP_2)
	v_and_or_b32 v2, 0x30303030, v30, v28
	v_and_or_b32 v3, 0x30303030, v31, v29
	s_wait_loadcnt 0x2
	ds_store_b32 v18, v27
	s_wait_loadcnt 0x1
	ds_store_b32 v19, v0
	;; [unrolled: 2-line block ×3, first 2 shown]
	ds_store_b32 v81, v2
	ds_store_b32 v82, v3
	s_cbranch_scc0 .LBB192_4
; %bb.6:                                ;   in Loop: Header=BB192_5 Depth=1
	s_lshl_b32 s19, s16, 3
	s_wait_alu 0xfffe
	v_add_nc_u32_e32 v0, s19, v65
	s_delay_alu instid0(VALU_DEP_1)
	v_cmp_gt_i32_e32 vcc_lo, s6, v0
	s_and_b32 s21, s1, vcc_lo
	s_wait_alu 0xfffe
	s_and_saveexec_b32 s20, s21
	s_cbranch_execz .LBB192_8
; %bb.7:                                ;   in Loop: Header=BB192_5 Depth=1
	v_add_nc_u32_e32 v0, v72, v0
	s_delay_alu instid0(VALU_DEP_1)
	v_mad_co_i64_i32 v[0:1], null, v0, 36, v[21:22]
	global_load_b32 v0, v[0:1], off offset:4
	s_wait_loadcnt 0x0
	ds_store_b32 v63, v0
.LBB192_8:                              ;   in Loop: Header=BB192_5 Depth=1
	s_wait_alu 0xfffe
	s_or_b32 exec_lo, exec_lo, s20
	v_add_nc_u32_e32 v88, s19, v34
	s_delay_alu instid0(VALU_DEP_1)
	v_cmp_gt_i32_e32 vcc_lo, s6, v88
	s_and_b32 s21, s8, vcc_lo
	s_wait_alu 0xfffe
	s_and_saveexec_b32 s20, s21
	s_cbranch_execz .LBB192_10
; %bb.9:                                ;   in Loop: Header=BB192_5 Depth=1
	v_add_nc_u32_e32 v0, v72, v88
	s_delay_alu instid0(VALU_DEP_1)
	v_mad_co_i64_i32 v[0:1], null, v0, 36, s[2:3]
	global_load_b32 v0, v[0:1], off
	s_wait_loadcnt 0x0
	ds_store_b32 v83, v0
.LBB192_10:                             ;   in Loop: Header=BB192_5 Depth=1
	s_wait_alu 0xfffe
	s_or_b32 exec_lo, exec_lo, s20
	s_wait_dscnt 0x0
	s_barrier_signal -1
	s_barrier_wait -1
	global_inv scope:SCOPE_SE
	ds_load_b32 v0, v66
	ds_load_b32 v1, v68 offset:128
	ds_load_b32 v2, v69 offset:256
	;; [unrolled: 1-line block ×3, first 2 shown]
	s_mov_b32 s21, 0
	s_mov_b32 s20, -1
	s_wait_dscnt 0x3
	v_cvt_f32_f16_e32 v89, v0
	v_lshrrev_b32_e32 v0, 16, v0
	s_wait_dscnt 0x2
	v_cvt_f32_f16_e32 v90, v1
	v_lshrrev_b32_e32 v1, 16, v1
	s_wait_dscnt 0x1
	v_lshrrev_b32_e32 v23, 16, v2
	s_wait_dscnt 0x0
	v_lshrrev_b32_e32 v24, 16, v3
	v_cvt_f32_f16_e32 v91, v2
	v_cvt_f32_f16_e32 v92, v0
	v_cvt_f32_f16_e32 v93, v1
	v_cvt_f32_f16_e32 v94, v23
	v_cvt_f32_f16_e32 v95, v24
	v_cvt_f32_f16_e32 v96, v3
.LBB192_11:                             ;   Parent Loop BB192_5 Depth=1
                                        ; =>  This Inner Loop Header: Depth=2
	s_wait_alu 0xfffe
	v_lshl_or_b32 v97, s21, 1, v46
	s_lshr_b32 s22, s21, 2
	s_lshl_b32 s23, s21, 2
	s_wait_alu 0xfffe
	s_add_co_i32 s21, s22, 0x4200
	v_add_nc_u32_e32 v119, s23, v71
	v_lshlrev_b32_e32 v0, 2, v97
	s_wait_alu 0xfffe
	v_add3_u32 v153, s21, v78, v85
	v_add_nc_u32_e32 v161, s23, v74
	v_add3_u32 v154, s21, v76, v87
	s_and_b32 vcc_lo, exec_lo, s20
	ds_load_b128 v[23:26], v0 offset:19008
	ds_load_b128 v[27:30], v0 offset:19024
	s_mov_b32 s20, 0
	s_wait_dscnt 0x1
	v_lshrrev_b16 v31, 8, v23
	v_lshrrev_b16 v164, 8, v24
	;; [unrolled: 1-line block ×4, first 2 shown]
	v_ashrrev_i32_e32 v170, 24, v23
	v_bfe_i32 v172, v23, 16, 8
	v_bfe_i32 v175, v23, 0, 8
	v_ashrrev_i32_e32 v149, 24, v24
	v_bfe_i32 v150, v24, 16, 8
	v_bfe_i32 v163, v24, 0, 8
	;; [unrolled: 3-line block ×4, first 2 shown]
	ds_load_b128 v[23:26], v0 offset:19040
	ds_load_b128 v[0:3], v0 offset:19056
	s_wait_dscnt 0x2
	v_lshrrev_b16 v157, 8, v27
	v_lshrrev_b16 v143, 8, v28
	v_ashrrev_i32_e32 v121, 24, v27
	v_bfe_i32 v122, v27, 16, 8
	v_bfe_i32 v125, v27, 0, 8
	v_ashrrev_i32_e32 v114, 24, v28
	v_bfe_i32 v115, v28, 16, 8
	v_bfe_i32 v118, v28, 0, 8
	;; [unrolled: 1-line block ×3, first 2 shown]
	v_lshrrev_b16 v144, 8, v29
	v_lshrrev_b16 v138, 8, v30
	v_ashrrev_i32_e32 v107, 24, v29
	v_bfe_i32 v108, v29, 16, 8
	v_bfe_i32 v112, v29, 0, 8
	v_ashrrev_i32_e32 v98, 24, v30
	v_bfe_i32 v99, v30, 16, 8
	v_bfe_i32 v104, v30, 0, 8
	;; [unrolled: 1-line block ×3, first 2 shown]
	s_wait_dscnt 0x1
	v_lshrrev_b16 v173, 8, v23
	s_wait_dscnt 0x0
	v_lshrrev_b16 v147, 8, v0
	v_ashrrev_i32_e32 v123, 24, v0
	v_bfe_i32 v124, v0, 16, 8
	v_bfe_i32 v126, v0, 0, 8
	v_lshlrev_b32_e32 v0, 2, v65
	v_lshrrev_b16 v140, 8, v1
	v_ashrrev_i32_e32 v116, 24, v1
	v_bfe_i32 v117, v1, 16, 8
	v_bfe_i32 v120, v1, 0, 8
	v_add3_u32 v100, s21, v0, v84
	v_mul_u32_u24_e32 v0, 0x84, v34
	v_lshrrev_b16 v141, 8, v2
	v_ashrrev_i32_e32 v110, 24, v2
	v_bfe_i32 v111, v2, 16, 8
	v_bfe_i32 v113, v2, 0, 8
	v_add_nc_u32_e32 v148, s23, v0
	ds_load_u16 v102, v100 offset:8
	ds_load_2addr_b32 v[27:28], v148 offset1:1
	v_lshrrev_b16 v137, 8, v3
	v_ashrrev_i32_e32 v101, 24, v3
	v_bfe_i32 v103, v3, 16, 8
	v_bfe_i32 v106, v3, 0, 8
	v_ashrrev_i32_e32 v166, 24, v23
	v_bfe_i32 v167, v23, 16, 8
	v_bfe_i32 v168, v23, 0, 8
	v_lshrrev_b16 v160, 8, v24
	v_ashrrev_i32_e32 v151, 24, v24
	v_bfe_i32 v152, v24, 16, 8
	v_bfe_i32 v159, v24, 0, 8
	v_lshrrev_b16 v158, 8, v25
	;; [unrolled: 4-line block ×3, first 2 shown]
	v_ashrrev_i32_e32 v129, 24, v26
	v_bfe_i32 v130, v26, 16, 8
	v_bfe_i32 v132, v26, 0, 8
	s_wait_dscnt 0x0
	v_and_b32_e32 v0, 15, v27
	v_bfe_u32 v1, v27, 8, 4
	v_bfe_u32 v2, v27, 24, 4
	v_bfe_i32 v173, v173, 0, 8
	v_bfe_i32 v165, v165, 0, 8
	v_mul_i32_i24_e32 v0, v175, v0
	v_bfe_i32 v160, v160, 0, 8
	v_mul_i32_i24_e32 v2, v170, v2
	v_bfe_i32 v158, v158, 0, 8
	v_bfe_i32 v155, v155, 0, 8
	v_mad_i32_i24 v0, v171, v1, v0
	v_bfe_u32 v1, v27, 16, 4
	v_bfe_i32 v157, v157, 0, 8
	v_bfe_i32 v145, v145, 0, 8
	;; [unrolled: 1-line block ×4, first 2 shown]
	v_mul_i32_i24_e32 v1, v172, v1
	v_bfe_i32 v138, v138, 0, 8
	s_delay_alu instid0(VALU_DEP_2)
	v_add3_u32 v169, v0, v1, v2
	ds_load_2addr_b32 v[2:3], v119 offset0:2 offset1:3
	ds_load_2addr_b32 v[0:1], v119 offset0:4 offset1:5
	ds_load_u16 v105, v153 offset:8
	ds_load_2addr_b32 v[29:30], v119 offset1:1
	s_wait_dscnt 0x0
	v_and_b32_e32 v23, 15, v29
	v_bfe_u32 v24, v29, 8, 4
	v_bfe_u32 v25, v29, 24, 4
	s_delay_alu instid0(VALU_DEP_3) | instskip(NEXT) | instid1(VALU_DEP_2)
	v_mul_i32_i24_e32 v23, v175, v23
	v_mul_i32_i24_e32 v25, v170, v25
	s_delay_alu instid0(VALU_DEP_2) | instskip(SKIP_1) | instid1(VALU_DEP_1)
	v_mad_i32_i24 v23, v171, v24, v23
	v_bfe_u32 v24, v29, 16, 4
	v_mul_i32_i24_e32 v24, v172, v24
	s_delay_alu instid0(VALU_DEP_1)
	v_add3_u32 v174, v23, v24, v25
	ds_load_2addr_b32 v[25:26], v161 offset0:2 offset1:3
	ds_load_2addr_b32 v[23:24], v161 offset0:4 offset1:5
	ds_load_u16 v109, v154 offset:8
	ds_load_2addr_b32 v[31:32], v161 offset1:1
	s_wait_dscnt 0x0
	v_and_b32_e32 v146, 15, v32
	v_and_b32_e32 v156, 15, v31
	v_bfe_u32 v180, v31, 16, 4
	v_bfe_u32 v181, v31, 24, 4
	v_lshrrev_b32_e32 v182, 28, v31
	v_mul_i32_i24_e32 v146, v146, v163
	s_delay_alu instid0(VALU_DEP_1)
	v_mad_i32_i24 v178, v156, v175, v146
	v_add3_u32 v146, s21, v77, v86
	v_add_nc_u32_e32 v156, s23, v73
	ds_load_u16 v162, v146 offset:8
	ds_load_2addr_b32 v[176:177], v156 offset1:1
	s_mov_b32 s21, 8
	s_wait_dscnt 0x0
	v_and_b32_e32 v179, 15, v176
	s_delay_alu instid0(VALU_DEP_1) | instskip(SKIP_1) | instid1(VALU_DEP_1)
	v_mul_i32_i24_e32 v175, v175, v179
	v_bfe_u32 v179, v32, 16, 4
	v_mul_i32_i24_e32 v179, v179, v150
	s_delay_alu instid0(VALU_DEP_1) | instskip(SKIP_1) | instid1(VALU_DEP_1)
	v_mad_i32_i24 v179, v180, v172, v179
	v_bfe_u32 v180, v176, 16, 4
	v_mul_i32_i24_e32 v172, v172, v180
	v_bfe_u32 v180, v32, 24, 4
	s_delay_alu instid0(VALU_DEP_1) | instskip(NEXT) | instid1(VALU_DEP_1)
	v_mul_i32_i24_e32 v180, v180, v149
	v_mad_i32_i24 v180, v181, v170, v180
	v_bfe_u32 v181, v176, 24, 4
	s_delay_alu instid0(VALU_DEP_1) | instskip(SKIP_1) | instid1(VALU_DEP_1)
	v_mul_i32_i24_e32 v170, v170, v181
	v_bfe_u32 v181, v176, 8, 4
	v_mad_i32_i24 v175, v171, v181, v175
	v_bfe_u32 v181, v31, 20, 4
	s_delay_alu instid0(VALU_DEP_2) | instskip(SKIP_2) | instid1(VALU_DEP_2)
	v_add3_u32 v170, v175, v172, v170
	v_bfe_u32 v172, v25, 16, 4
	v_bfe_u32 v175, v26, 16, 4
	v_mul_i32_i24_e32 v172, v172, v134
	s_delay_alu instid0(VALU_DEP_2) | instskip(NEXT) | instid1(VALU_DEP_1)
	v_mul_i32_i24_e32 v175, v175, v128
	v_add3_u32 v172, v179, v172, v175
	v_and_b32_e32 v175, 15, v25
	v_and_b32_e32 v179, 15, v26
	s_delay_alu instid0(VALU_DEP_2) | instskip(NEXT) | instid1(VALU_DEP_2)
	v_mul_i32_i24_e32 v175, v175, v139
	v_mul_i32_i24_e32 v179, v179, v131
	s_delay_alu instid0(VALU_DEP_1) | instskip(SKIP_2) | instid1(VALU_DEP_2)
	v_add3_u32 v175, v178, v175, v179
	v_bfe_u32 v178, v25, 24, 4
	v_bfe_u32 v179, v26, 24, 4
	v_mul_i32_i24_e32 v178, v178, v133
	s_delay_alu instid0(VALU_DEP_2) | instskip(NEXT) | instid1(VALU_DEP_1)
	v_mul_i32_i24_e32 v179, v179, v127
	v_add3_u32 v178, v180, v178, v179
	v_bfe_u32 v179, v27, 4, 4
	v_bfe_u32 v180, v27, 12, 4
	s_delay_alu instid0(VALU_DEP_2) | instskip(NEXT) | instid1(VALU_DEP_1)
	v_mul_i32_i24_e32 v179, v168, v179
	v_mad_i32_i24 v179, v173, v180, v179
	v_bfe_u32 v180, v27, 20, 4
	v_lshrrev_b32_e32 v27, 28, v27
	s_delay_alu instid0(VALU_DEP_2) | instskip(NEXT) | instid1(VALU_DEP_2)
	v_mul_i32_i24_e32 v180, v167, v180
	v_mul_i32_i24_e32 v27, v166, v27
	s_delay_alu instid0(VALU_DEP_1) | instskip(SKIP_2) | instid1(VALU_DEP_2)
	v_add3_u32 v27, v179, v180, v27
	v_bfe_u32 v179, v29, 4, 4
	v_bfe_u32 v180, v29, 12, 4
	v_mul_i32_i24_e32 v179, v168, v179
	s_delay_alu instid0(VALU_DEP_1) | instskip(SKIP_2) | instid1(VALU_DEP_2)
	v_mad_i32_i24 v179, v173, v180, v179
	v_bfe_u32 v180, v29, 20, 4
	v_lshrrev_b32_e32 v29, 28, v29
	v_mul_i32_i24_e32 v180, v167, v180
	s_delay_alu instid0(VALU_DEP_2) | instskip(NEXT) | instid1(VALU_DEP_1)
	v_mul_i32_i24_e32 v29, v166, v29
	v_add3_u32 v29, v179, v180, v29
	v_bfe_u32 v179, v32, 4, 4
	v_bfe_u32 v180, v31, 4, 4
	s_delay_alu instid0(VALU_DEP_2) | instskip(NEXT) | instid1(VALU_DEP_1)
	v_mul_i32_i24_e32 v179, v179, v159
	v_mad_i32_i24 v179, v180, v168, v179
	v_bfe_u32 v180, v176, 4, 4
	s_delay_alu instid0(VALU_DEP_1) | instskip(SKIP_1) | instid1(VALU_DEP_1)
	v_mul_i32_i24_e32 v168, v168, v180
	v_bfe_u32 v180, v32, 20, 4
	v_mul_i32_i24_e32 v180, v180, v152
	s_delay_alu instid0(VALU_DEP_1) | instskip(SKIP_1) | instid1(VALU_DEP_1)
	v_mad_i32_i24 v180, v181, v167, v180
	v_bfe_u32 v181, v176, 20, 4
	v_mul_i32_i24_e32 v167, v167, v181
	v_lshrrev_b32_e32 v181, 28, v32
	s_delay_alu instid0(VALU_DEP_1) | instskip(NEXT) | instid1(VALU_DEP_1)
	v_mul_i32_i24_e32 v181, v181, v151
	v_mad_i32_i24 v181, v182, v166, v181
	v_lshrrev_b32_e32 v182, 28, v176
	v_bfe_u32 v176, v176, 12, 4
	s_delay_alu instid0(VALU_DEP_2) | instskip(NEXT) | instid1(VALU_DEP_2)
	v_mul_i32_i24_e32 v166, v166, v182
	v_mad_i32_i24 v168, v173, v176, v168
	v_bfe_u32 v176, v26, 4, 4
	s_delay_alu instid0(VALU_DEP_2) | instskip(SKIP_2) | instid1(VALU_DEP_4)
	v_add3_u32 v166, v168, v167, v166
	v_bfe_u32 v167, v25, 20, 4
	v_bfe_u32 v168, v26, 20, 4
	v_mul_i32_i24_e32 v176, v176, v132
	s_delay_alu instid0(VALU_DEP_3) | instskip(NEXT) | instid1(VALU_DEP_3)
	v_mul_i32_i24_e32 v167, v167, v136
	v_mul_i32_i24_e32 v168, v168, v130
	s_delay_alu instid0(VALU_DEP_1) | instskip(SKIP_2) | instid1(VALU_DEP_2)
	v_add3_u32 v167, v180, v167, v168
	v_bfe_u32 v168, v25, 4, 4
	v_and_b32_e32 v180, 0xf0f0f0f, v25
	v_mul_i32_i24_e32 v168, v168, v142
	s_delay_alu instid0(VALU_DEP_2) | instskip(NEXT) | instid1(VALU_DEP_2)
	v_lshrrev_b16 v180, 8, v180
	v_add3_u32 v168, v179, v168, v176
	v_lshrrev_b32_e32 v176, 28, v25
	v_lshrrev_b32_e32 v179, 28, v26
	s_delay_alu instid0(VALU_DEP_4) | instskip(SKIP_1) | instid1(VALU_DEP_4)
	v_and_b32_e32 v180, 0xffff, v180
	v_lshrrev_b32_e32 v25, 4, v25
	v_mul_i32_i24_e32 v176, v176, v135
	s_delay_alu instid0(VALU_DEP_4) | instskip(NEXT) | instid1(VALU_DEP_4)
	v_mul_i32_i24_e32 v179, v179, v129
	v_mul_i32_i24_e32 v180, v180, v165
	s_delay_alu instid0(VALU_DEP_4) | instskip(NEXT) | instid1(VALU_DEP_3)
	v_lshrrev_b16 v25, 8, v25
	v_add3_u32 v176, v181, v176, v179
	v_and_b32_e32 v179, 0xf0f0f0f, v31
	v_lshrrev_b32_e32 v31, 4, v31
	s_delay_alu instid0(VALU_DEP_4) | instskip(NEXT) | instid1(VALU_DEP_3)
	v_and_b32_e32 v25, 15, v25
	v_lshrrev_b16 v179, 8, v179
	s_delay_alu instid0(VALU_DEP_3) | instskip(NEXT) | instid1(VALU_DEP_3)
	v_lshrrev_b16 v31, 8, v31
	v_and_b32_e32 v25, 0xffff, v25
	s_delay_alu instid0(VALU_DEP_3) | instskip(NEXT) | instid1(VALU_DEP_3)
	v_and_b32_e32 v179, 0xffff, v179
	v_and_b32_e32 v31, 15, v31
	s_delay_alu instid0(VALU_DEP_3) | instskip(NEXT) | instid1(VALU_DEP_3)
	v_mul_i32_i24_e32 v25, v25, v158
	v_mul_i32_i24_e32 v171, v179, v171
	v_and_b32_e32 v179, 0xf0f0f0f, v32
	v_lshrrev_b32_e32 v32, 4, v32
	v_and_b32_e32 v31, 0xffff, v31
	s_delay_alu instid0(VALU_DEP_3) | instskip(NEXT) | instid1(VALU_DEP_3)
	v_lshrrev_b16 v179, 8, v179
	v_lshrrev_b16 v32, 8, v32
	s_delay_alu instid0(VALU_DEP_3) | instskip(NEXT) | instid1(VALU_DEP_3)
	v_mul_i32_i24_e32 v31, v31, v173
	v_and_b32_e32 v179, 0xffff, v179
	s_delay_alu instid0(VALU_DEP_3) | instskip(NEXT) | instid1(VALU_DEP_2)
	v_and_b32_e32 v32, 15, v32
	v_mul_i32_i24_e32 v179, v179, v164
	s_delay_alu instid0(VALU_DEP_2) | instskip(NEXT) | instid1(VALU_DEP_2)
	v_and_b32_e32 v32, 0xffff, v32
	v_add3_u32 v171, v171, v179, v180
	v_and_b32_e32 v179, 15, v28
	v_bfe_u32 v180, v28, 8, 4
	s_delay_alu instid0(VALU_DEP_4) | instskip(NEXT) | instid1(VALU_DEP_3)
	v_mul_i32_i24_e32 v32, v32, v160
	v_mul_i32_i24_e32 v179, v163, v179
	s_delay_alu instid0(VALU_DEP_3) | instskip(NEXT) | instid1(VALU_DEP_3)
	v_mul_i32_i24_e32 v180, v164, v180
	v_add3_u32 v25, v31, v32, v25
	v_bfe_u32 v31, v28, 16, 4
	v_bfe_u32 v32, v28, 24, 4
	s_delay_alu instid0(VALU_DEP_4) | instskip(SKIP_4) | instid1(VALU_DEP_4)
	v_add3_u32 v169, v169, v180, v179
	v_and_b32_e32 v179, 15, v30
	v_bfe_u32 v180, v30, 8, 4
	v_mul_i32_i24_e32 v31, v150, v31
	v_mul_i32_i24_e32 v32, v149, v32
	;; [unrolled: 1-line block ×3, first 2 shown]
	s_delay_alu instid0(VALU_DEP_4) | instskip(NEXT) | instid1(VALU_DEP_1)
	v_mul_i32_i24_e32 v180, v164, v180
	v_add3_u32 v174, v174, v180, v179
	v_and_b32_e32 v179, 15, v177
	s_delay_alu instid0(VALU_DEP_1) | instskip(SKIP_1) | instid1(VALU_DEP_1)
	v_mul_i32_i24_e32 v163, v163, v179
	v_bfe_u32 v179, v177, 8, 4
	v_mul_i32_i24_e32 v164, v164, v179
	s_delay_alu instid0(VALU_DEP_1) | instskip(SKIP_2) | instid1(VALU_DEP_2)
	v_add3_u32 v163, v170, v164, v163
	v_bfe_u32 v164, v23, 24, 4
	v_bfe_u32 v170, v24, 24, 4
	v_mul_i32_i24_e32 v164, v164, v121
	s_delay_alu instid0(VALU_DEP_2) | instskip(NEXT) | instid1(VALU_DEP_1)
	v_mul_i32_i24_e32 v170, v170, v114
	v_add3_u32 v164, v178, v164, v170
	v_and_b32_e32 v170, 15, v23
	v_and_b32_e32 v178, 15, v24
	s_delay_alu instid0(VALU_DEP_2) | instskip(NEXT) | instid1(VALU_DEP_2)
	v_mul_i32_i24_e32 v170, v170, v125
	v_mul_i32_i24_e32 v178, v178, v118
	s_delay_alu instid0(VALU_DEP_1) | instskip(SKIP_2) | instid1(VALU_DEP_2)
	v_add3_u32 v170, v175, v170, v178
	v_bfe_u32 v175, v23, 16, 4
	v_bfe_u32 v178, v24, 16, 4
	v_mul_i32_i24_e32 v175, v175, v122
	s_delay_alu instid0(VALU_DEP_2) | instskip(NEXT) | instid1(VALU_DEP_1)
	v_mul_i32_i24_e32 v178, v178, v115
	v_add3_u32 v172, v172, v175, v178
	v_bfe_u32 v175, v28, 4, 4
	v_bfe_u32 v178, v28, 12, 4
	s_delay_alu instid0(VALU_DEP_2) | instskip(NEXT) | instid1(VALU_DEP_2)
	v_mul_i32_i24_e32 v175, v159, v175
	v_mul_i32_i24_e32 v178, v160, v178
	s_delay_alu instid0(VALU_DEP_1) | instskip(SKIP_2) | instid1(VALU_DEP_2)
	v_add3_u32 v27, v27, v175, v178
	v_bfe_u32 v175, v30, 4, 4
	v_bfe_u32 v178, v30, 12, 4
	v_mul_i32_i24_e32 v175, v159, v175
	s_delay_alu instid0(VALU_DEP_2) | instskip(NEXT) | instid1(VALU_DEP_1)
	v_mul_i32_i24_e32 v178, v160, v178
	v_add3_u32 v29, v29, v175, v178
	v_bfe_u32 v175, v177, 4, 4
	s_delay_alu instid0(VALU_DEP_1) | instskip(SKIP_1) | instid1(VALU_DEP_1)
	v_mul_i32_i24_e32 v159, v159, v175
	v_bfe_u32 v175, v177, 12, 4
	v_mul_i32_i24_e32 v175, v160, v175
	v_add3_u32 v160, v169, v31, v32
	v_bfe_u32 v31, v30, 16, 4
	v_bfe_u32 v32, v30, 24, 4
	s_delay_alu instid0(VALU_DEP_4) | instskip(SKIP_1) | instid1(VALU_DEP_4)
	v_add3_u32 v159, v166, v159, v175
	v_lshrrev_b32_e32 v166, 28, v23
	v_mul_i32_i24_e32 v31, v150, v31
	s_delay_alu instid0(VALU_DEP_4) | instskip(SKIP_1) | instid1(VALU_DEP_4)
	v_mul_i32_i24_e32 v32, v149, v32
	v_lshrrev_b32_e32 v175, 28, v24
	v_mul_i32_i24_e32 v166, v166, v123
	s_delay_alu instid0(VALU_DEP_3) | instskip(SKIP_4) | instid1(VALU_DEP_4)
	v_add3_u32 v169, v174, v31, v32
	v_bfe_u32 v31, v177, 16, 4
	v_bfe_u32 v32, v177, 24, 4
	v_mul_i32_i24_e32 v175, v175, v116
	v_bfe_i32 v174, v147, 0, 8
	v_mul_i32_i24_e32 v31, v150, v31
	s_delay_alu instid0(VALU_DEP_4) | instskip(NEXT) | instid1(VALU_DEP_4)
	v_mul_i32_i24_e32 v32, v149, v32
	v_add3_u32 v166, v176, v166, v175
	v_bfe_u32 v175, v23, 4, 4
	v_bfe_u32 v176, v24, 4, 4
	s_delay_alu instid0(VALU_DEP_4) | instskip(SKIP_3) | instid1(VALU_DEP_1)
	v_add3_u32 v163, v163, v31, v32
	ds_load_2addr_b32 v[31:32], v161 offset0:6 offset1:7
	v_mul_i32_i24_e32 v175, v175, v126
	v_mul_i32_i24_e32 v176, v176, v120
	v_add3_u32 v168, v168, v175, v176
	v_bfe_u32 v175, v23, 20, 4
	v_bfe_u32 v176, v24, 20, 4
	s_delay_alu instid0(VALU_DEP_2) | instskip(NEXT) | instid1(VALU_DEP_2)
	v_mul_i32_i24_e32 v175, v175, v124
	v_mul_i32_i24_e32 v176, v176, v117
	s_delay_alu instid0(VALU_DEP_1)
	v_add3_u32 v167, v167, v175, v176
	s_wait_dscnt 0x0
	v_bfe_u32 v149, v31, 16, 4
	v_bfe_u32 v150, v32, 16, 4
	v_and_b32_e32 v175, 0xf0f0f0f, v26
	v_and_b32_e32 v176, 0xf0f0f0f, v23
	v_lshrrev_b32_e32 v26, 4, v26
	v_mul_i32_i24_e32 v149, v149, v108
	v_mul_i32_i24_e32 v150, v150, v99
	v_lshrrev_b32_e32 v23, 4, v23
	v_lshrrev_b16 v175, 8, v175
	v_lshrrev_b16 v176, 8, v176
	;; [unrolled: 1-line block ×3, first 2 shown]
	v_add3_u32 v161, v172, v149, v150
	v_and_b32_e32 v149, 15, v31
	v_and_b32_e32 v150, 15, v32
	v_lshrrev_b16 v23, 8, v23
	v_and_b32_e32 v175, 0xffff, v175
	v_and_b32_e32 v176, 0xffff, v176
	v_mul_i32_i24_e32 v149, v149, v112
	v_mul_i32_i24_e32 v150, v150, v104
	v_and_b32_e32 v26, 15, v26
	v_and_b32_e32 v23, 15, v23
	v_mul_i32_i24_e32 v175, v175, v155
	v_mul_i32_i24_e32 v176, v176, v157
	v_add3_u32 v170, v170, v149, v150
	v_bfe_u32 v149, v31, 24, 4
	v_bfe_u32 v150, v32, 24, 4
	v_and_b32_e32 v26, 0xffff, v26
	v_and_b32_e32 v23, 0xffff, v23
	v_add3_u32 v171, v171, v175, v176
	v_mul_i32_i24_e32 v149, v149, v107
	v_mul_i32_i24_e32 v150, v150, v98
	;; [unrolled: 1-line block ×4, first 2 shown]
	s_delay_alu instid0(VALU_DEP_3) | instskip(SKIP_2) | instid1(VALU_DEP_4)
	v_add3_u32 v164, v164, v149, v150
	v_bfe_u32 v149, v28, 20, 4
	v_lshrrev_b32_e32 v28, 28, v28
	v_add3_u32 v23, v25, v26, v23
	s_delay_alu instid0(VALU_DEP_3) | instskip(NEXT) | instid1(VALU_DEP_3)
	v_mul_i32_i24_e32 v149, v152, v149
	v_mul_i32_i24_e32 v28, v151, v28
	s_delay_alu instid0(VALU_DEP_1) | instskip(SKIP_2) | instid1(VALU_DEP_2)
	v_add3_u32 v172, v27, v149, v28
	v_bfe_u32 v27, v30, 20, 4
	v_lshrrev_b32_e32 v28, 28, v30
	v_mul_i32_i24_e32 v27, v152, v27
	s_delay_alu instid0(VALU_DEP_2) | instskip(NEXT) | instid1(VALU_DEP_1)
	v_mul_i32_i24_e32 v28, v151, v28
	v_add3_u32 v173, v29, v27, v28
	v_bfe_u32 v27, v177, 20, 4
	v_lshrrev_b32_e32 v28, 28, v177
	s_delay_alu instid0(VALU_DEP_2) | instskip(NEXT) | instid1(VALU_DEP_2)
	v_mul_i32_i24_e32 v27, v152, v27
	v_mul_i32_i24_e32 v28, v151, v28
	s_delay_alu instid0(VALU_DEP_1) | instskip(SKIP_2) | instid1(VALU_DEP_2)
	v_add3_u32 v151, v159, v27, v28
	v_bfe_u32 v27, v31, 20, 4
	v_bfe_u32 v28, v32, 20, 4
	v_mul_i32_i24_e32 v27, v27, v111
	s_delay_alu instid0(VALU_DEP_2) | instskip(NEXT) | instid1(VALU_DEP_1)
	v_mul_i32_i24_e32 v28, v28, v103
	v_add3_u32 v152, v167, v27, v28
	v_bfe_u32 v27, v31, 4, 4
	v_bfe_u32 v28, v32, 4, 4
	v_bfe_i32 v167, v143, 0, 8
	s_delay_alu instid0(VALU_DEP_3) | instskip(NEXT) | instid1(VALU_DEP_3)
	v_mul_i32_i24_e32 v27, v27, v113
	v_mul_i32_i24_e32 v28, v28, v106
	s_delay_alu instid0(VALU_DEP_1) | instskip(SKIP_3) | instid1(VALU_DEP_3)
	v_add3_u32 v159, v168, v27, v28
	v_lshrrev_b32_e32 v27, 28, v31
	v_lshrrev_b32_e32 v28, 28, v32
	v_bfe_i32 v168, v144, 0, 8
	v_mul_i32_i24_e32 v27, v27, v110
	s_delay_alu instid0(VALU_DEP_3) | instskip(NEXT) | instid1(VALU_DEP_1)
	v_mul_i32_i24_e32 v28, v28, v101
	v_add3_u32 v166, v166, v27, v28
	v_and_b32_e32 v27, 0xf0f0f0f, v24
	v_and_b32_e32 v28, 0xf0f0f0f, v31
	v_lshrrev_b32_e32 v24, 4, v24
	v_lshrrev_b32_e32 v31, 4, v31
	s_delay_alu instid0(VALU_DEP_4) | instskip(NEXT) | instid1(VALU_DEP_4)
	v_lshrrev_b16 v27, 8, v27
	v_lshrrev_b16 v28, 8, v28
	s_delay_alu instid0(VALU_DEP_4) | instskip(NEXT) | instid1(VALU_DEP_4)
	v_lshrrev_b16 v24, 8, v24
	v_lshrrev_b16 v31, 8, v31
	s_delay_alu instid0(VALU_DEP_4) | instskip(NEXT) | instid1(VALU_DEP_4)
	v_and_b32_e32 v27, 0xffff, v27
	v_and_b32_e32 v28, 0xffff, v28
	s_delay_alu instid0(VALU_DEP_4) | instskip(NEXT) | instid1(VALU_DEP_4)
	v_and_b32_e32 v24, 15, v24
	v_and_b32_e32 v31, 15, v31
	s_delay_alu instid0(VALU_DEP_4) | instskip(NEXT) | instid1(VALU_DEP_4)
	v_mul_i32_i24_e32 v27, v27, v167
	v_mul_i32_i24_e32 v28, v28, v168
	s_delay_alu instid0(VALU_DEP_4) | instskip(NEXT) | instid1(VALU_DEP_4)
	v_and_b32_e32 v24, 0xffff, v24
	v_and_b32_e32 v31, 0xffff, v31
	s_delay_alu instid0(VALU_DEP_3)
	v_add3_u32 v171, v171, v27, v28
	ds_load_u16 v153, v153
	ds_load_2addr_b32 v[25:26], v148 offset0:2 offset1:3
	ds_load_2addr_b32 v[27:28], v148 offset0:4 offset1:5
	ds_load_2addr_b32 v[29:30], v148 offset0:6 offset1:7
	v_mul_i32_i24_e32 v24, v24, v140
	v_mul_i32_i24_e32 v31, v31, v141
	s_delay_alu instid0(VALU_DEP_1)
	v_add3_u32 v23, v23, v24, v31
	s_wait_dscnt 0x2
	v_and_b32_e32 v143, 15, v25
	v_bfe_u32 v144, v25, 8, 4
	v_bfe_u32 v24, v25, 16, 4
	;; [unrolled: 1-line block ×3, first 2 shown]
	s_delay_alu instid0(VALU_DEP_4) | instskip(NEXT) | instid1(VALU_DEP_4)
	v_mul_i32_i24_e32 v143, v139, v143
	v_mul_i32_i24_e32 v144, v165, v144
	s_delay_alu instid0(VALU_DEP_4) | instskip(NEXT) | instid1(VALU_DEP_4)
	v_mul_i32_i24_e32 v24, v134, v24
	v_mul_i32_i24_e32 v31, v133, v31
	s_delay_alu instid0(VALU_DEP_3) | instskip(SKIP_2) | instid1(VALU_DEP_3)
	v_add3_u32 v160, v160, v144, v143
	v_and_b32_e32 v143, 15, v2
	v_bfe_u32 v144, v2, 8, 4
	v_add3_u32 v24, v160, v24, v31
	s_delay_alu instid0(VALU_DEP_3) | instskip(NEXT) | instid1(VALU_DEP_3)
	v_mul_i32_i24_e32 v143, v139, v143
	v_mul_i32_i24_e32 v144, v165, v144
	v_bfe_u32 v31, v2, 16, 4
	s_delay_alu instid0(VALU_DEP_2)
	v_add3_u32 v169, v169, v144, v143
	ds_load_u16 v154, v154
	ds_load_2addr_b32 v[143:144], v156 offset0:2 offset1:3
	ds_load_2addr_b32 v[147:148], v156 offset0:4 offset1:5
	;; [unrolled: 1-line block ×3, first 2 shown]
	v_mul_i32_i24_e32 v31, v134, v31
	s_wait_dscnt 0x2
	v_and_b32_e32 v156, 15, v143
	s_delay_alu instid0(VALU_DEP_1) | instskip(SKIP_1) | instid1(VALU_DEP_1)
	v_mul_i32_i24_e32 v139, v139, v156
	v_bfe_u32 v156, v143, 8, 4
	v_mul_i32_i24_e32 v156, v165, v156
	v_bfe_u32 v165, v2, 12, 4
	s_delay_alu instid0(VALU_DEP_2) | instskip(SKIP_2) | instid1(VALU_DEP_4)
	v_add3_u32 v139, v163, v156, v139
	v_bfe_u32 v156, v25, 4, 4
	v_bfe_u32 v163, v25, 12, 4
	v_mul_i32_i24_e32 v165, v158, v165
	s_delay_alu instid0(VALU_DEP_3) | instskip(NEXT) | instid1(VALU_DEP_3)
	v_mul_i32_i24_e32 v156, v142, v156
	v_mul_i32_i24_e32 v163, v158, v163
	s_delay_alu instid0(VALU_DEP_1) | instskip(SKIP_1) | instid1(VALU_DEP_1)
	v_add3_u32 v156, v172, v156, v163
	v_bfe_u32 v163, v2, 4, 4
	v_mul_i32_i24_e32 v163, v142, v163
	s_delay_alu instid0(VALU_DEP_1) | instskip(SKIP_1) | instid1(VALU_DEP_1)
	v_add3_u32 v163, v173, v163, v165
	v_bfe_u32 v165, v143, 4, 4
	v_mul_i32_i24_e32 v142, v142, v165
	v_bfe_u32 v165, v143, 12, 4
	s_delay_alu instid0(VALU_DEP_1) | instskip(NEXT) | instid1(VALU_DEP_1)
	v_mul_i32_i24_e32 v158, v158, v165
	v_add3_u32 v142, v151, v142, v158
	v_bfe_u32 v158, v2, 24, 4
	v_and_b32_e32 v151, 0xf0f0f0f, v32
	v_lshrrev_b32_e32 v32, 4, v32
	s_delay_alu instid0(VALU_DEP_3) | instskip(NEXT) | instid1(VALU_DEP_3)
	v_mul_i32_i24_e32 v158, v133, v158
	v_lshrrev_b16 v151, 8, v151
	s_delay_alu instid0(VALU_DEP_3) | instskip(NEXT) | instid1(VALU_DEP_3)
	v_lshrrev_b16 v32, 8, v32
	v_add3_u32 v31, v169, v31, v158
	v_bfe_u32 v158, v143, 16, 4
	s_delay_alu instid0(VALU_DEP_3) | instskip(SKIP_1) | instid1(VALU_DEP_3)
	v_and_b32_e32 v32, 15, v32
	v_and_b32_e32 v151, 0xffff, v151
	v_mul_i32_i24_e32 v134, v134, v158
	v_bfe_u32 v158, v143, 24, 4
	s_delay_alu instid0(VALU_DEP_4) | instskip(NEXT) | instid1(VALU_DEP_4)
	v_and_b32_e32 v32, 0xffff, v32
	v_mul_i32_i24_e32 v151, v151, v138
	s_delay_alu instid0(VALU_DEP_3) | instskip(NEXT) | instid1(VALU_DEP_2)
	v_mul_i32_i24_e32 v133, v133, v158
	v_add3_u32 v151, v171, v151, v164
	s_delay_alu instid0(VALU_DEP_2) | instskip(SKIP_2) | instid1(VALU_DEP_2)
	v_add3_u32 v133, v139, v134, v133
	v_bfe_u32 v134, v25, 20, 4
	v_lshrrev_b32_e32 v25, 28, v25
	v_mul_i32_i24_e32 v134, v136, v134
	s_delay_alu instid0(VALU_DEP_2) | instskip(NEXT) | instid1(VALU_DEP_1)
	v_mul_i32_i24_e32 v25, v135, v25
	v_add3_u32 v25, v156, v134, v25
	v_bfe_u32 v134, v2, 20, 4
	v_lshrrev_b32_e32 v2, 28, v2
	s_delay_alu instid0(VALU_DEP_2) | instskip(NEXT) | instid1(VALU_DEP_2)
	v_mul_i32_i24_e32 v134, v136, v134
	v_mul_i32_i24_e32 v2, v135, v2
	s_delay_alu instid0(VALU_DEP_1) | instskip(SKIP_1) | instid1(VALU_DEP_1)
	v_add3_u32 v2, v163, v134, v2
	v_bfe_u32 v134, v143, 20, 4
	v_mul_i32_i24_e32 v134, v136, v134
	v_lshrrev_b32_e32 v136, 28, v143
	s_delay_alu instid0(VALU_DEP_1) | instskip(SKIP_2) | instid1(VALU_DEP_3)
	v_mul_i32_i24_e32 v135, v135, v136
	v_bfe_i32 v136, v137, 0, 8
	v_bfe_u32 v137, v26, 8, 4
	v_add3_u32 v134, v142, v134, v135
	s_delay_alu instid0(VALU_DEP_3) | instskip(NEXT) | instid1(VALU_DEP_3)
	v_mul_i32_i24_e32 v32, v32, v136
	v_mul_i32_i24_e32 v137, v155, v137
	v_add3_u32 v135, v170, v161, v151
	s_delay_alu instid0(VALU_DEP_3) | instskip(SKIP_1) | instid1(VALU_DEP_2)
	v_add3_u32 v23, v23, v32, v166
	v_and_b32_e32 v32, 15, v26
	v_add3_u32 v23, v159, v152, v23
	s_delay_alu instid0(VALU_DEP_2) | instskip(NEXT) | instid1(VALU_DEP_1)
	v_mul_i32_i24_e32 v32, v131, v32
	v_add3_u32 v24, v24, v137, v32
	v_and_b32_e32 v32, 15, v3
	v_bfe_u32 v137, v3, 8, 4
	s_delay_alu instid0(VALU_DEP_2) | instskip(NEXT) | instid1(VALU_DEP_2)
	v_mul_i32_i24_e32 v32, v131, v32
	v_mul_i32_i24_e32 v137, v155, v137
	s_delay_alu instid0(VALU_DEP_1) | instskip(SKIP_1) | instid1(VALU_DEP_1)
	v_add3_u32 v31, v31, v137, v32
	v_and_b32_e32 v32, 15, v144
	v_mul_i32_i24_e32 v32, v131, v32
	v_bfe_u32 v131, v144, 8, 4
	s_delay_alu instid0(VALU_DEP_1) | instskip(NEXT) | instid1(VALU_DEP_1)
	v_mul_i32_i24_e32 v131, v155, v131
	v_add3_u32 v32, v133, v131, v32
	v_bfe_u32 v131, v26, 4, 4
	v_bfe_u32 v133, v26, 12, 4
	s_delay_alu instid0(VALU_DEP_2) | instskip(NEXT) | instid1(VALU_DEP_2)
	v_mul_i32_i24_e32 v131, v132, v131
	v_mul_i32_i24_e32 v133, v145, v133
	s_delay_alu instid0(VALU_DEP_1) | instskip(SKIP_2) | instid1(VALU_DEP_2)
	v_add3_u32 v25, v25, v131, v133
	v_bfe_u32 v131, v3, 4, 4
	v_bfe_u32 v133, v3, 12, 4
	v_mul_i32_i24_e32 v131, v132, v131
	s_delay_alu instid0(VALU_DEP_2) | instskip(NEXT) | instid1(VALU_DEP_1)
	v_mul_i32_i24_e32 v133, v145, v133
	v_add3_u32 v2, v2, v131, v133
	v_bfe_u32 v131, v144, 4, 4
	v_bfe_u32 v133, v26, 24, 4
	s_delay_alu instid0(VALU_DEP_2) | instskip(SKIP_1) | instid1(VALU_DEP_3)
	v_mul_i32_i24_e32 v131, v132, v131
	v_bfe_u32 v132, v144, 12, 4
	v_mul_i32_i24_e32 v133, v127, v133
	s_delay_alu instid0(VALU_DEP_2) | instskip(NEXT) | instid1(VALU_DEP_1)
	v_mul_i32_i24_e32 v132, v145, v132
	v_add3_u32 v131, v134, v131, v132
	v_bfe_u32 v132, v26, 16, 4
	s_delay_alu instid0(VALU_DEP_1) | instskip(NEXT) | instid1(VALU_DEP_1)
	v_mul_i32_i24_e32 v132, v128, v132
	v_add3_u32 v24, v24, v132, v133
	v_bfe_u32 v132, v3, 16, 4
	v_bfe_u32 v133, v3, 24, 4
	s_delay_alu instid0(VALU_DEP_2) | instskip(NEXT) | instid1(VALU_DEP_2)
	v_mul_i32_i24_e32 v132, v128, v132
	v_mul_i32_i24_e32 v133, v127, v133
	s_delay_alu instid0(VALU_DEP_1) | instskip(SKIP_1) | instid1(VALU_DEP_1)
	v_add3_u32 v31, v31, v132, v133
	v_bfe_u32 v132, v144, 16, 4
	v_mul_i32_i24_e32 v128, v128, v132
	v_bfe_u32 v132, v144, 24, 4
	s_delay_alu instid0(VALU_DEP_1) | instskip(NEXT) | instid1(VALU_DEP_1)
	v_mul_i32_i24_e32 v127, v127, v132
	v_add3_u32 v32, v32, v128, v127
	v_bfe_u32 v127, v26, 20, 4
	v_lshrrev_b32_e32 v26, 28, v26
	s_delay_alu instid0(VALU_DEP_2) | instskip(NEXT) | instid1(VALU_DEP_2)
	v_mul_i32_i24_e32 v127, v130, v127
	v_mul_i32_i24_e32 v26, v129, v26
	s_delay_alu instid0(VALU_DEP_1) | instskip(SKIP_3) | instid1(VALU_DEP_3)
	v_add3_u32 v25, v25, v127, v26
	v_bfe_u32 v26, v3, 20, 4
	v_lshrrev_b32_e32 v3, 28, v3
	v_bfe_u32 v127, v27, 8, 4
	v_mul_i32_i24_e32 v26, v130, v26
	s_delay_alu instid0(VALU_DEP_3) | instskip(NEXT) | instid1(VALU_DEP_3)
	v_mul_i32_i24_e32 v3, v129, v3
	v_mul_i32_i24_e32 v127, v157, v127
	s_delay_alu instid0(VALU_DEP_2) | instskip(SKIP_2) | instid1(VALU_DEP_2)
	v_add3_u32 v2, v2, v26, v3
	v_bfe_u32 v3, v144, 20, 4
	v_lshrrev_b32_e32 v26, 28, v144
	v_mul_i32_i24_e32 v3, v130, v3
	s_delay_alu instid0(VALU_DEP_2) | instskip(NEXT) | instid1(VALU_DEP_1)
	v_mul_i32_i24_e32 v26, v129, v26
	v_add3_u32 v3, v131, v3, v26
	v_and_b32_e32 v26, 15, v27
	s_delay_alu instid0(VALU_DEP_1) | instskip(NEXT) | instid1(VALU_DEP_1)
	v_mul_i32_i24_e32 v26, v125, v26
	v_add3_u32 v24, v24, v127, v26
	v_and_b32_e32 v26, 15, v0
	v_bfe_u32 v127, v0, 8, 4
	s_delay_alu instid0(VALU_DEP_2) | instskip(NEXT) | instid1(VALU_DEP_2)
	v_mul_i32_i24_e32 v26, v125, v26
	v_mul_i32_i24_e32 v127, v157, v127
	s_delay_alu instid0(VALU_DEP_1) | instskip(SKIP_2) | instid1(VALU_DEP_1)
	v_add3_u32 v26, v31, v127, v26
	s_wait_dscnt 0x1
	v_and_b32_e32 v31, 15, v147
	v_mul_i32_i24_e32 v31, v125, v31
	v_bfe_u32 v125, v147, 8, 4
	s_delay_alu instid0(VALU_DEP_1) | instskip(NEXT) | instid1(VALU_DEP_1)
	v_mul_i32_i24_e32 v125, v157, v125
	v_add3_u32 v31, v32, v125, v31
	v_bfe_u32 v32, v27, 4, 4
	v_bfe_u32 v125, v27, 12, 4
	s_delay_alu instid0(VALU_DEP_2) | instskip(NEXT) | instid1(VALU_DEP_2)
	v_mul_i32_i24_e32 v32, v126, v32
	v_mul_i32_i24_e32 v125, v174, v125
	s_delay_alu instid0(VALU_DEP_1) | instskip(SKIP_2) | instid1(VALU_DEP_2)
	v_add3_u32 v25, v25, v32, v125
	v_bfe_u32 v32, v0, 4, 4
	v_bfe_u32 v125, v0, 12, 4
	v_mul_i32_i24_e32 v32, v126, v32
	s_delay_alu instid0(VALU_DEP_2) | instskip(NEXT) | instid1(VALU_DEP_1)
	v_mul_i32_i24_e32 v125, v174, v125
	v_add3_u32 v2, v2, v32, v125
	v_bfe_u32 v32, v147, 4, 4
	v_bfe_u32 v125, v147, 12, 4
	s_delay_alu instid0(VALU_DEP_2) | instskip(NEXT) | instid1(VALU_DEP_2)
	v_mul_i32_i24_e32 v32, v126, v32
	v_mul_i32_i24_e32 v125, v174, v125
	s_delay_alu instid0(VALU_DEP_1) | instskip(SKIP_2) | instid1(VALU_DEP_2)
	v_add3_u32 v3, v3, v32, v125
	v_bfe_u32 v32, v27, 16, 4
	v_bfe_u32 v125, v27, 24, 4
	v_mul_i32_i24_e32 v32, v122, v32
	s_delay_alu instid0(VALU_DEP_2) | instskip(NEXT) | instid1(VALU_DEP_1)
	v_mul_i32_i24_e32 v125, v121, v125
	v_add3_u32 v24, v24, v32, v125
	v_bfe_u32 v32, v0, 16, 4
	v_bfe_u32 v125, v0, 24, 4
	s_delay_alu instid0(VALU_DEP_2) | instskip(NEXT) | instid1(VALU_DEP_2)
	v_mul_i32_i24_e32 v32, v122, v32
	v_mul_i32_i24_e32 v125, v121, v125
	s_delay_alu instid0(VALU_DEP_1) | instskip(SKIP_1) | instid1(VALU_DEP_1)
	v_add3_u32 v26, v26, v32, v125
	v_bfe_u32 v32, v147, 16, 4
	v_mul_i32_i24_e32 v32, v122, v32
	v_bfe_u32 v122, v147, 24, 4
	s_delay_alu instid0(VALU_DEP_1) | instskip(NEXT) | instid1(VALU_DEP_1)
	v_mul_i32_i24_e32 v121, v121, v122
	v_add3_u32 v31, v31, v32, v121
	v_bfe_u32 v32, v27, 20, 4
	v_lshrrev_b32_e32 v27, 28, v27
	s_delay_alu instid0(VALU_DEP_2) | instskip(NEXT) | instid1(VALU_DEP_2)
	v_mul_i32_i24_e32 v32, v124, v32
	v_mul_i32_i24_e32 v27, v123, v27
	s_delay_alu instid0(VALU_DEP_1) | instskip(SKIP_2) | instid1(VALU_DEP_2)
	v_add3_u32 v25, v25, v32, v27
	v_bfe_u32 v27, v0, 20, 4
	v_lshrrev_b32_e32 v0, 28, v0
	v_mul_i32_i24_e32 v27, v124, v27
	s_delay_alu instid0(VALU_DEP_2) | instskip(NEXT) | instid1(VALU_DEP_1)
	v_mul_i32_i24_e32 v0, v123, v0
	v_add3_u32 v0, v2, v27, v0
	v_bfe_u32 v2, v147, 20, 4
	v_lshrrev_b32_e32 v27, 28, v147
	s_delay_alu instid0(VALU_DEP_2) | instskip(NEXT) | instid1(VALU_DEP_2)
	v_mul_i32_i24_e32 v2, v124, v2
	v_mul_i32_i24_e32 v27, v123, v27
	s_delay_alu instid0(VALU_DEP_1) | instskip(SKIP_2) | instid1(VALU_DEP_2)
	v_add3_u32 v2, v3, v2, v27
	v_and_b32_e32 v3, 15, v28
	v_bfe_u32 v27, v28, 8, 4
	v_mul_i32_i24_e32 v3, v118, v3
	s_delay_alu instid0(VALU_DEP_2) | instskip(NEXT) | instid1(VALU_DEP_1)
	v_mul_i32_i24_e32 v27, v167, v27
	v_add3_u32 v3, v24, v27, v3
	v_and_b32_e32 v24, 15, v1
	v_bfe_u32 v27, v1, 8, 4
	s_delay_alu instid0(VALU_DEP_2) | instskip(NEXT) | instid1(VALU_DEP_2)
	v_mul_i32_i24_e32 v24, v118, v24
	v_mul_i32_i24_e32 v27, v167, v27
	s_delay_alu instid0(VALU_DEP_1) | instskip(SKIP_2) | instid1(VALU_DEP_2)
	v_add3_u32 v24, v26, v27, v24
	v_and_b32_e32 v26, 15, v148
	v_bfe_u32 v27, v148, 8, 4
	v_mul_i32_i24_e32 v26, v118, v26
	s_delay_alu instid0(VALU_DEP_2) | instskip(NEXT) | instid1(VALU_DEP_1)
	v_mul_i32_i24_e32 v27, v167, v27
	v_add3_u32 v26, v31, v27, v26
	v_bfe_u32 v27, v28, 4, 4
	v_bfe_u32 v31, v28, 12, 4
	s_delay_alu instid0(VALU_DEP_2) | instskip(NEXT) | instid1(VALU_DEP_2)
	v_mul_i32_i24_e32 v27, v120, v27
	v_mul_i32_i24_e32 v31, v140, v31
	s_delay_alu instid0(VALU_DEP_1) | instskip(SKIP_2) | instid1(VALU_DEP_2)
	v_add3_u32 v25, v25, v27, v31
	v_bfe_u32 v27, v1, 4, 4
	v_bfe_u32 v31, v1, 12, 4
	v_mul_i32_i24_e32 v27, v120, v27
	s_delay_alu instid0(VALU_DEP_2) | instskip(NEXT) | instid1(VALU_DEP_1)
	v_mul_i32_i24_e32 v31, v140, v31
	v_add3_u32 v0, v0, v27, v31
	v_bfe_u32 v27, v148, 4, 4
	v_bfe_u32 v31, v148, 12, 4
	s_delay_alu instid0(VALU_DEP_2) | instskip(NEXT) | instid1(VALU_DEP_2)
	v_mul_i32_i24_e32 v27, v120, v27
	v_mul_i32_i24_e32 v31, v140, v31
	s_delay_alu instid0(VALU_DEP_1) | instskip(SKIP_2) | instid1(VALU_DEP_2)
	v_add3_u32 v2, v2, v27, v31
	v_bfe_u32 v27, v28, 16, 4
	;; [unrolled: 13-line block ×3, first 2 shown]
	v_bfe_u32 v31, v148, 24, 4
	v_mul_i32_i24_e32 v27, v115, v27
	s_delay_alu instid0(VALU_DEP_2) | instskip(NEXT) | instid1(VALU_DEP_1)
	v_mul_i32_i24_e32 v31, v114, v31
	v_add3_u32 v26, v26, v27, v31
	v_bfe_u32 v27, v28, 20, 4
	v_lshrrev_b32_e32 v28, 28, v28
	s_delay_alu instid0(VALU_DEP_2) | instskip(NEXT) | instid1(VALU_DEP_2)
	v_mul_i32_i24_e32 v27, v117, v27
	v_mul_i32_i24_e32 v28, v116, v28
	s_delay_alu instid0(VALU_DEP_1) | instskip(SKIP_2) | instid1(VALU_DEP_2)
	v_add3_u32 v25, v25, v27, v28
	v_bfe_u32 v27, v1, 20, 4
	v_lshrrev_b32_e32 v1, 28, v1
	v_mul_i32_i24_e32 v27, v117, v27
	s_delay_alu instid0(VALU_DEP_2) | instskip(NEXT) | instid1(VALU_DEP_1)
	v_mul_i32_i24_e32 v1, v116, v1
	v_add3_u32 v27, v0, v27, v1
	v_bfe_u32 v0, v148, 20, 4
	v_lshrrev_b32_e32 v1, 28, v148
	s_delay_alu instid0(VALU_DEP_2) | instskip(NEXT) | instid1(VALU_DEP_2)
	v_mul_i32_i24_e32 v0, v117, v0
	v_mul_i32_i24_e32 v1, v116, v1
	s_delay_alu instid0(VALU_DEP_1) | instskip(SKIP_2) | instid1(VALU_DEP_2)
	v_add3_u32 v2, v2, v0, v1
	v_and_b32_e32 v0, 15, v29
	v_bfe_u32 v1, v29, 8, 4
	v_mul_i32_i24_e32 v0, v112, v0
	s_delay_alu instid0(VALU_DEP_2) | instskip(NEXT) | instid1(VALU_DEP_1)
	v_mul_i32_i24_e32 v1, v168, v1
	v_add3_u32 v3, v3, v1, v0
	ds_load_u16 v28, v146
	ds_load_2addr_b32 v[0:1], v119 offset0:6 offset1:7
	s_wait_dscnt 0x0
	v_and_b32_e32 v31, 15, v0
	v_bfe_u32 v32, v0, 8, 4
	s_delay_alu instid0(VALU_DEP_2) | instskip(NEXT) | instid1(VALU_DEP_2)
	v_mul_i32_i24_e32 v31, v112, v31
	v_mul_i32_i24_e32 v32, v168, v32
	s_delay_alu instid0(VALU_DEP_1) | instskip(SKIP_2) | instid1(VALU_DEP_2)
	v_add3_u32 v24, v24, v32, v31
	v_and_b32_e32 v31, 15, v149
	v_bfe_u32 v32, v149, 8, 4
	v_mul_i32_i24_e32 v31, v112, v31
	s_delay_alu instid0(VALU_DEP_2) | instskip(NEXT) | instid1(VALU_DEP_1)
	v_mul_i32_i24_e32 v32, v168, v32
	v_add3_u32 v26, v26, v32, v31
	v_bfe_u32 v31, v29, 4, 4
	v_bfe_u32 v32, v29, 12, 4
	s_delay_alu instid0(VALU_DEP_2) | instskip(NEXT) | instid1(VALU_DEP_2)
	v_mul_i32_i24_e32 v31, v113, v31
	v_mul_i32_i24_e32 v32, v141, v32
	s_delay_alu instid0(VALU_DEP_1) | instskip(SKIP_2) | instid1(VALU_DEP_2)
	v_add3_u32 v25, v25, v31, v32
	v_bfe_u32 v31, v0, 4, 4
	v_bfe_u32 v32, v0, 12, 4
	v_mul_i32_i24_e32 v31, v113, v31
	s_delay_alu instid0(VALU_DEP_2) | instskip(NEXT) | instid1(VALU_DEP_1)
	v_mul_i32_i24_e32 v32, v141, v32
	v_add3_u32 v27, v27, v31, v32
	v_bfe_u32 v31, v149, 4, 4
	v_bfe_u32 v32, v149, 12, 4
	s_delay_alu instid0(VALU_DEP_2) | instskip(NEXT) | instid1(VALU_DEP_2)
	v_mul_i32_i24_e32 v31, v113, v31
	v_mul_i32_i24_e32 v32, v141, v32
	s_delay_alu instid0(VALU_DEP_1) | instskip(SKIP_2) | instid1(VALU_DEP_2)
	v_add3_u32 v2, v2, v31, v32
	v_bfe_u32 v31, v29, 16, 4
	v_bfe_u32 v32, v29, 24, 4
	v_mul_i32_i24_e32 v31, v108, v31
	s_delay_alu instid0(VALU_DEP_2) | instskip(NEXT) | instid1(VALU_DEP_1)
	v_mul_i32_i24_e32 v32, v107, v32
	v_add3_u32 v3, v3, v31, v32
	v_bfe_u32 v31, v0, 16, 4
	v_bfe_u32 v32, v0, 24, 4
	s_delay_alu instid0(VALU_DEP_2) | instskip(NEXT) | instid1(VALU_DEP_2)
	v_mul_i32_i24_e32 v31, v108, v31
	v_mul_i32_i24_e32 v32, v107, v32
	s_delay_alu instid0(VALU_DEP_1) | instskip(SKIP_2) | instid1(VALU_DEP_2)
	v_add3_u32 v24, v24, v31, v32
	v_bfe_u32 v31, v149, 16, 4
	v_bfe_u32 v32, v149, 24, 4
	v_mul_i32_i24_e32 v31, v108, v31
	s_delay_alu instid0(VALU_DEP_2) | instskip(NEXT) | instid1(VALU_DEP_1)
	v_mul_i32_i24_e32 v32, v107, v32
	v_add3_u32 v26, v26, v31, v32
	v_bfe_u32 v31, v29, 20, 4
	v_lshrrev_b32_e32 v29, 28, v29
	v_cvt_f32_ubyte1_e32 v32, v109
	s_delay_alu instid0(VALU_DEP_3) | instskip(NEXT) | instid1(VALU_DEP_3)
	v_mul_i32_i24_e32 v31, v111, v31
	v_mul_i32_i24_e32 v29, v110, v29
	s_delay_alu instid0(VALU_DEP_1) | instskip(SKIP_3) | instid1(VALU_DEP_3)
	v_add3_u32 v25, v25, v31, v29
	v_bfe_u32 v29, v0, 20, 4
	v_lshrrev_b32_e32 v0, 28, v0
	v_cvt_f32_ubyte1_e32 v31, v162
	v_mul_i32_i24_e32 v29, v111, v29
	s_delay_alu instid0(VALU_DEP_3) | instskip(NEXT) | instid1(VALU_DEP_1)
	v_mul_i32_i24_e32 v0, v110, v0
	v_add3_u32 v0, v27, v29, v0
	v_bfe_u32 v27, v149, 20, 4
	v_lshrrev_b32_e32 v29, 28, v149
	s_delay_alu instid0(VALU_DEP_2) | instskip(NEXT) | instid1(VALU_DEP_2)
	v_mul_i32_i24_e32 v27, v111, v27
	v_mul_i32_i24_e32 v29, v110, v29
	s_delay_alu instid0(VALU_DEP_1) | instskip(SKIP_2) | instid1(VALU_DEP_2)
	v_add3_u32 v2, v2, v27, v29
	v_and_b32_e32 v27, 15, v30
	v_bfe_u32 v29, v30, 8, 4
	v_mul_i32_i24_e32 v27, v104, v27
	s_delay_alu instid0(VALU_DEP_2) | instskip(NEXT) | instid1(VALU_DEP_1)
	v_mul_i32_i24_e32 v29, v138, v29
	v_add3_u32 v3, v3, v29, v27
	v_and_b32_e32 v27, 15, v1
	v_bfe_u32 v29, v1, 8, 4
	s_delay_alu instid0(VALU_DEP_2) | instskip(NEXT) | instid1(VALU_DEP_2)
	v_mul_i32_i24_e32 v27, v104, v27
	v_mul_i32_i24_e32 v29, v138, v29
	s_delay_alu instid0(VALU_DEP_1) | instskip(SKIP_2) | instid1(VALU_DEP_2)
	v_add3_u32 v24, v24, v29, v27
	v_and_b32_e32 v27, 15, v150
	v_bfe_u32 v29, v150, 8, 4
	v_mul_i32_i24_e32 v27, v104, v27
	s_delay_alu instid0(VALU_DEP_2) | instskip(NEXT) | instid1(VALU_DEP_1)
	v_mul_i32_i24_e32 v29, v138, v29
	v_add3_u32 v26, v26, v29, v27
	v_bfe_u32 v27, v30, 4, 4
	v_bfe_u32 v29, v30, 12, 4
	s_delay_alu instid0(VALU_DEP_2) | instskip(NEXT) | instid1(VALU_DEP_2)
	v_mul_i32_i24_e32 v27, v106, v27
	v_mul_i32_i24_e32 v29, v136, v29
	s_delay_alu instid0(VALU_DEP_1) | instskip(SKIP_2) | instid1(VALU_DEP_2)
	v_add3_u32 v25, v25, v27, v29
	v_bfe_u32 v27, v1, 4, 4
	v_bfe_u32 v29, v1, 12, 4
	v_mul_i32_i24_e32 v27, v106, v27
	s_delay_alu instid0(VALU_DEP_2) | instskip(NEXT) | instid1(VALU_DEP_1)
	v_mul_i32_i24_e32 v29, v136, v29
	v_add3_u32 v0, v0, v27, v29
	v_bfe_u32 v27, v150, 4, 4
	v_bfe_u32 v29, v150, 12, 4
	s_delay_alu instid0(VALU_DEP_2) | instskip(NEXT) | instid1(VALU_DEP_2)
	v_mul_i32_i24_e32 v27, v106, v27
	v_mul_i32_i24_e32 v29, v136, v29
	s_delay_alu instid0(VALU_DEP_1) | instskip(SKIP_2) | instid1(VALU_DEP_2)
	v_add3_u32 v2, v2, v27, v29
	v_bfe_u32 v27, v30, 16, 4
	;; [unrolled: 13-line block ×3, first 2 shown]
	v_bfe_u32 v29, v150, 24, 4
	v_mul_i32_i24_e32 v27, v99, v27
	s_delay_alu instid0(VALU_DEP_2) | instskip(SKIP_2) | instid1(VALU_DEP_3)
	v_mul_i32_i24_e32 v29, v98, v29
	v_lshrrev_b16 v99, 8, v154
	v_cvt_f32_ubyte1_e32 v98, v102
	v_add3_u32 v26, v26, v27, v29
	v_bfe_u32 v27, v30, 20, 4
	v_lshrrev_b32_e32 v29, 28, v30
	v_cvt_f32_ubyte1_e32 v30, v105
	v_and_b32_e32 v99, 0xffff, v99
	s_delay_alu instid0(VALU_DEP_4) | instskip(NEXT) | instid1(VALU_DEP_4)
	v_mul_i32_i24_e32 v27, v103, v27
	v_mul_i32_i24_e32 v29, v101, v29
	s_delay_alu instid0(VALU_DEP_3) | instskip(NEXT) | instid1(VALU_DEP_2)
	v_mul_lo_u32 v23, v23, v99
	v_add3_u32 v25, v25, v27, v29
	v_bfe_u32 v27, v1, 20, 4
	v_lshrrev_b32_e32 v1, 28, v1
	v_cvt_f32_ubyte0_e32 v29, v105
	v_cvt_f32_i32_e32 v23, v23
	s_delay_alu instid0(VALU_DEP_4) | instskip(NEXT) | instid1(VALU_DEP_4)
	v_mul_i32_i24_e32 v27, v103, v27
	v_mul_i32_i24_e32 v1, v101, v1
	s_delay_alu instid0(VALU_DEP_1) | instskip(SKIP_2) | instid1(VALU_DEP_2)
	v_add3_u32 v27, v0, v27, v1
	v_bfe_u32 v0, v150, 20, 4
	v_lshrrev_b32_e32 v1, 28, v150
	v_mul_i32_i24_e32 v0, v103, v0
	s_delay_alu instid0(VALU_DEP_2) | instskip(NEXT) | instid1(VALU_DEP_1)
	v_mul_i32_i24_e32 v1, v101, v1
	v_add3_u32 v2, v2, v0, v1
	v_lshrrev_b32_e32 v0, 1, v97
	v_cvt_f32_ubyte0_e32 v97, v102
	ds_load_b64 v[0:1], v0 offset:20560
	s_wait_dscnt 0x0
	v_fma_mix_f32 v29, v0, v29, 0 op_sel:[1,0,0] op_sel_hi:[1,0,0]
	v_fma_mix_f32 v97, v0, v97, 0 op_sel:[1,0,0] op_sel_hi:[1,0,0]
	s_delay_alu instid0(VALU_DEP_2) | instskip(SKIP_1) | instid1(VALU_DEP_3)
	v_fma_mix_f32 v29, v1, v30, v29 op_sel:[1,0,0] op_sel_hi:[1,0,0]
	v_cvt_f32_ubyte0_e32 v30, v162
	v_fma_mix_f32 v97, v1, v98, v97 op_sel:[1,0,0] op_sel_hi:[1,0,0]
	s_delay_alu instid0(VALU_DEP_3) | instskip(NEXT) | instid1(VALU_DEP_3)
	v_dual_mul_f32 v29, v29, v93 :: v_dual_and_b32 v98, 0xff, v154
	v_fma_mix_f32 v30, v0, v30, 0 op_sel:[1,0,0] op_sel_hi:[1,0,0]
	s_delay_alu instid0(VALU_DEP_2) | instskip(NEXT) | instid1(VALU_DEP_2)
	v_mul_lo_u32 v98, v135, v98
	v_fma_mix_f32 v30, v1, v31, v30 op_sel:[1,0,0] op_sel_hi:[1,0,0]
	v_cvt_f32_ubyte0_e32 v31, v109
	s_delay_alu instid0(VALU_DEP_3) | instskip(NEXT) | instid1(VALU_DEP_2)
	v_cvt_f32_i32_e32 v98, v98
	v_fma_mix_f32 v31, v31, v0, 0 op_sel:[0,1,0] op_sel_hi:[0,1,0]
	s_delay_alu instid0(VALU_DEP_4) | instskip(NEXT) | instid1(VALU_DEP_3)
	v_mul_f32_e32 v30, v30, v94
	v_fma_mix_f32 v98, v98, v0, 0 op_sel_hi:[0,1,0]
	s_delay_alu instid0(VALU_DEP_3) | instskip(SKIP_3) | instid1(VALU_DEP_2)
	v_fma_mix_f32 v31, v32, v1, v31 op_sel:[0,1,0] op_sel_hi:[0,1,0]
	ds_load_u16 v32, v100
	v_lshrrev_b16 v100, 8, v153
	v_fma_mix_f32 v23, v23, v1, v98 op_sel_hi:[0,1,0]
	v_dual_mul_f32 v31, v31, v95 :: v_dual_and_b32 v100, 0xffff, v100
	s_delay_alu instid0(VALU_DEP_1) | instskip(NEXT) | instid1(VALU_DEP_1)
	v_mul_lo_u32 v27, v27, v100
	v_cvt_f32_i32_e32 v27, v27
	s_wait_dscnt 0x0
	v_and_b32_e32 v99, 0xff, v32
	v_lshrrev_b16 v32, 8, v32
	s_delay_alu instid0(VALU_DEP_2) | instskip(SKIP_1) | instid1(VALU_DEP_3)
	v_mul_lo_u32 v3, v3, v99
	v_and_b32_e32 v99, 0xff, v153
	v_and_b32_e32 v32, 0xffff, v32
	s_delay_alu instid0(VALU_DEP_2) | instskip(SKIP_2) | instid1(VALU_DEP_4)
	v_mul_lo_u32 v24, v24, v99
	v_lshrrev_b16 v99, 8, v28
	v_and_b32_e32 v28, 0xff, v28
	v_mul_lo_u32 v25, v25, v32
	v_cvt_f32_i32_e32 v3, v3
	s_delay_alu instid0(VALU_DEP_4) | instskip(NEXT) | instid1(VALU_DEP_4)
	v_and_b32_e32 v99, 0xffff, v99
	v_mul_lo_u32 v26, v26, v28
	v_cvt_f32_i32_e32 v24, v24
	s_delay_alu instid0(VALU_DEP_4) | instskip(NEXT) | instid1(VALU_DEP_4)
	v_fma_mix_f32 v3, v0, v3, 0 op_sel_hi:[1,0,0]
	v_mul_lo_u32 v2, v2, v99
	v_cvt_f32_i32_e32 v25, v25
	s_delay_alu instid0(VALU_DEP_4) | instskip(SKIP_1) | instid1(VALU_DEP_3)
	v_fma_mix_f32 v24, v0, v24, 0 op_sel_hi:[1,0,0]
	v_cvt_f32_i32_e32 v26, v26
	v_fma_mix_f32 v3, v1, v25, v3 op_sel_hi:[1,0,0]
	s_delay_alu instid0(VALU_DEP_3) | instskip(SKIP_1) | instid1(VALU_DEP_4)
	v_fma_mix_f32 v24, v1, v27, v24 op_sel_hi:[1,0,0]
	v_cvt_f32_i32_e32 v2, v2
	v_fma_mix_f32 v0, v0, v26, 0 op_sel_hi:[1,0,0]
	v_mul_f32_e32 v26, v97, v92
	s_delay_alu instid0(VALU_DEP_2) | instskip(SKIP_1) | instid1(VALU_DEP_3)
	v_fma_mix_f32 v0, v1, v2, v0 op_sel_hi:[1,0,0]
	v_fma_f32 v1, v23, v96, -v31
	v_fma_f32 v2, v3, v89, -v26
	;; [unrolled: 1-line block ×3, first 2 shown]
	s_delay_alu instid0(VALU_DEP_4) | instskip(NEXT) | instid1(VALU_DEP_3)
	v_fma_f32 v0, v0, v91, -v30
	v_dual_add_f32 v20, v20, v1 :: v_dual_add_f32 v35, v35, v2
	s_delay_alu instid0(VALU_DEP_2)
	v_dual_add_f32 v67, v67, v3 :: v_dual_add_f32 v62, v62, v0
	s_wait_alu 0xfffe
	s_cbranch_vccnz .LBB192_11
; %bb.12:                               ;   in Loop: Header=BB192_5 Depth=1
	s_bitset1_b32 s18, 7
	s_wait_loadcnt 0x0
	s_wait_alu 0xfffe
	s_cmp_ge_i32 s18, s5
	s_barrier_signal -1
	s_barrier_wait -1
	global_inv scope:SCOPE_SE
	s_cbranch_scc1 .LBB192_4
; %bb.13:                               ;   in Loop: Header=BB192_5 Depth=1
	v_add_nc_u32_e32 v0, s19, v64
	s_delay_alu instid0(VALU_DEP_1)
	v_cmp_gt_i32_e32 vcc_lo, s6, v0
	s_and_b32 s19, s1, vcc_lo
	s_wait_alu 0xfffe
	s_and_saveexec_b32 s18, s19
	s_cbranch_execz .LBB192_15
; %bb.14:                               ;   in Loop: Header=BB192_5 Depth=1
	v_add_nc_u32_e32 v0, v72, v0
	s_delay_alu instid0(VALU_DEP_1)
	v_mad_co_i64_i32 v[0:1], null, v0, 36, v[21:22]
	global_load_b32 v0, v[0:1], off offset:4
	s_wait_loadcnt 0x0
	ds_store_b32 v63, v0
.LBB192_15:                             ;   in Loop: Header=BB192_5 Depth=1
	s_wait_alu 0xfffe
	s_or_b32 exec_lo, exec_lo, s18
	s_and_saveexec_b32 s18, s0
	s_cbranch_execz .LBB192_18
; %bb.16:                               ;   in Loop: Header=BB192_5 Depth=1
	v_or_b32_e32 v0, 4, v88
	s_delay_alu instid0(VALU_DEP_1)
	v_cmp_gt_i32_e32 vcc_lo, s6, v0
	s_and_b32 s19, s1, vcc_lo
	s_wait_alu 0xfffe
	s_and_b32 exec_lo, exec_lo, s19
	s_cbranch_execz .LBB192_18
; %bb.17:                               ;   in Loop: Header=BB192_5 Depth=1
	v_ashrrev_i32_e32 v0, 31, v88
	v_ashrrev_i32_e32 v1, 31, v72
	v_add_co_u32 v2, vcc_lo, v72, v88
	s_wait_alu 0xfffd
	s_delay_alu instid0(VALU_DEP_2) | instskip(NEXT) | instid1(VALU_DEP_2)
	v_add_co_ci_u32_e64 v3, null, v1, v0, vcc_lo
	v_mad_co_u64_u32 v[0:1], null, v2, 36, s[2:3]
	s_delay_alu instid0(VALU_DEP_1)
	v_mad_i32_i24 v1, v3, 36, v1
	global_load_b32 v0, v[0:1], off offset:144
	s_wait_loadcnt 0x0
	ds_store_b32 v83, v0
.LBB192_18:                             ;   in Loop: Header=BB192_5 Depth=1
	s_wait_alu 0xfffe
	s_or_b32 exec_lo, exec_lo, s18
	s_wait_loadcnt_dscnt 0x0
	s_barrier_signal -1
	s_barrier_wait -1
	global_inv scope:SCOPE_SE
	ds_load_b32 v0, v66
	ds_load_b32 v1, v68 offset:128
	ds_load_b32 v2, v69 offset:256
	;; [unrolled: 1-line block ×3, first 2 shown]
	v_dual_mov_b32 v29, v61 :: v_dual_mov_b32 v30, v75
	v_mad_u32_u24 v94, 0x84, v34, 64
	s_mov_b32 s18, 16
	s_mov_b32 s19, 0
	s_wait_dscnt 0x3
	v_cvt_f32_f16_e32 v31, v0
	v_lshrrev_b32_e32 v0, 16, v0
	s_wait_dscnt 0x2
	v_cvt_f32_f16_e32 v32, v1
	v_lshrrev_b32_e32 v1, 16, v1
	;; [unrolled: 3-line block ×3, first 2 shown]
	s_wait_dscnt 0x0
	v_lshrrev_b32_e32 v23, 16, v3
	v_cvt_f32_f16_e32 v89, v3
	v_cvt_f32_f16_e32 v90, v0
	;; [unrolled: 1-line block ×5, first 2 shown]
.LBB192_19:                             ;   Parent Loop BB192_5 Depth=1
                                        ; =>  This Inner Loop Header: Depth=2
	ds_load_b128 v[0:3], v29
	ds_load_b128 v[23:26], v29 offset:16
	s_wait_alu 0xfffe
	s_lshr_b32 s21, s18, 2
	v_add_nc_u32_e32 v162, 0x2110, v94
	s_wait_alu 0xfffe
	s_and_b32 s21, s21, 0x3ffffffc
	v_add_nc_u32_e32 v176, 0x3198, v94
	s_add_co_i32 s18, s18, 8
	s_wait_dscnt 0x1
	v_lshrrev_b16 v28, 8, v0
	v_lshrrev_b16 v150, 8, v1
	;; [unrolled: 1-line block ×4, first 2 shown]
	v_ashrrev_i32_e32 v152, 24, v0
	v_bfe_i32 v154, v0, 16, 8
	v_bfe_i32 v157, v0, 0, 8
	v_ashrrev_i32_e32 v140, 24, v1
	v_bfe_i32 v143, v1, 16, 8
	v_bfe_i32 v147, v1, 0, 8
	;; [unrolled: 3-line block ×4, first 2 shown]
	s_wait_dscnt 0x0
	v_lshrrev_b16 v142, 8, v23
	v_lshrrev_b16 v134, 8, v24
	;; [unrolled: 1-line block ×4, first 2 shown]
	v_ashrrev_i32_e32 v112, 24, v23
	v_bfe_i32 v113, v23, 16, 8
	v_bfe_i32 v115, v23, 0, 8
	v_ashrrev_i32_e32 v106, 24, v24
	v_bfe_i32 v107, v24, 16, 8
	v_bfe_i32 v109, v24, 0, 8
	v_ashrrev_i32_e32 v100, 24, v25
	v_bfe_i32 v101, v25, 16, 8
	v_bfe_i32 v103, v25, 0, 8
	v_ashrrev_i32_e32 v95, 24, v26
	v_bfe_i32 v96, v26, 16, 8
	v_bfe_i32 v99, v26, 0, 8
	ds_load_b128 v[0:3], v29 offset:32
	ds_load_b128 v[23:26], v29 offset:48
	v_bfe_i32 v156, v28, 0, 8
	v_bfe_i32 v150, v150, 0, 8
	;; [unrolled: 1-line block ×6, first 2 shown]
	v_add_nc_u32_e32 v29, 64, v29
	s_wait_dscnt 0x1
	v_lshrrev_b16 v27, 8, v0
	v_lshrrev_b16 v149, 8, v1
	;; [unrolled: 1-line block ×4, first 2 shown]
	v_ashrrev_i32_e32 v151, 24, v0
	v_bfe_i32 v153, v0, 16, 8
	v_bfe_i32 v155, v0, 0, 8
	v_ashrrev_i32_e32 v144, 24, v1
	v_bfe_i32 v145, v1, 16, 8
	v_bfe_i32 v148, v1, 0, 8
	;; [unrolled: 3-line block ×4, first 2 shown]
	s_wait_dscnt 0x0
	v_lshrrev_b16 v137, 8, v23
	v_lshrrev_b16 v129, 8, v24
	;; [unrolled: 1-line block ×4, first 2 shown]
	v_ashrrev_i32_e32 v116, 24, v23
	v_bfe_i32 v117, v23, 16, 8
	v_bfe_i32 v120, v23, 0, 8
	v_ashrrev_i32_e32 v110, 24, v24
	v_bfe_i32 v111, v24, 16, 8
	v_bfe_i32 v114, v24, 0, 8
	;; [unrolled: 3-line block ×4, first 2 shown]
	ds_load_2addr_b32 v[0:1], v94 offset1:1
	ds_load_2addr_b32 v[2:3], v94 offset0:2 offset1:3
	ds_load_2addr_b32 v[23:24], v94 offset0:4 offset1:5
	ds_load_b64 v[25:26], v30
	v_bfe_i32 v178, v27, 0, 8
	v_bfe_i32 v149, v149, 0, 8
	v_bfe_i32 v136, v136, 0, 8
	v_bfe_i32 v137, v137, 0, 8
	v_bfe_i32 v129, v129, 0, 8
	v_bfe_i32 v130, v130, 0, 8
	v_bfe_i32 v124, v124, 0, 8
	v_add_nc_u32_e32 v30, 8, v30
	s_wait_dscnt 0x3
	v_and_b32_e32 v28, 15, v0
	v_bfe_u32 v158, v0, 8, 4
	v_bfe_u32 v159, v0, 24, 4
	;; [unrolled: 1-line block ×3, first 2 shown]
	s_delay_alu instid0(VALU_DEP_4) | instskip(NEXT) | instid1(VALU_DEP_3)
	v_mul_i32_i24_e32 v28, v157, v28
	v_mul_i32_i24_e32 v159, v152, v159
	s_delay_alu instid0(VALU_DEP_3) | instskip(NEXT) | instid1(VALU_DEP_3)
	v_mul_i32_i24_e32 v27, v155, v27
	v_mad_i32_i24 v28, v156, v158, v28
	v_bfe_u32 v158, v0, 16, 4
	s_delay_alu instid0(VALU_DEP_1) | instskip(NEXT) | instid1(VALU_DEP_1)
	v_mul_i32_i24_e32 v158, v154, v158
	v_add3_u32 v172, v28, v158, v159
	v_bfe_u32 v28, v0, 12, 4
	s_delay_alu instid0(VALU_DEP_1) | instskip(SKIP_2) | instid1(VALU_DEP_2)
	v_mad_i32_i24 v27, v178, v28, v27
	v_bfe_u32 v28, v0, 20, 4
	v_lshrrev_b32_e32 v0, 28, v0
	v_mul_i32_i24_e32 v28, v153, v28
	s_delay_alu instid0(VALU_DEP_2) | instskip(NEXT) | instid1(VALU_DEP_1)
	v_mul_i32_i24_e32 v0, v151, v0
	v_add3_u32 v179, v27, v28, v0
	v_lshlrev_b32_e32 v0, 4, v34
	s_delay_alu instid0(VALU_DEP_1) | instskip(SKIP_3) | instid1(VALU_DEP_2)
	v_add_nc_u32_e32 v159, s19, v0
	v_add_nc_u32_e32 v0, 0x1080, v94
	s_add_co_i32 s19, s19, 2
	s_wait_alu 0xfffe
	v_add3_u32 v158, v78, s21, v159
	ds_load_2addr_b32 v[164:165], v0 offset1:1
	v_add3_u32 v161, v76, s21, v159
	v_add3_u32 v163, v77, s21, v159
	ds_load_u16 v0, v158 offset:17416
	s_wait_dscnt 0x1
	v_and_b32_e32 v27, 15, v164
	v_bfe_u32 v28, v164, 8, 4
	v_bfe_u32 v160, v164, 24, 4
	s_delay_alu instid0(VALU_DEP_3) | instskip(NEXT) | instid1(VALU_DEP_2)
	v_mul_i32_i24_e32 v27, v157, v27
	v_mul_i32_i24_e32 v160, v152, v160
	s_delay_alu instid0(VALU_DEP_2) | instskip(SKIP_1) | instid1(VALU_DEP_1)
	v_mad_i32_i24 v27, v156, v28, v27
	v_bfe_u32 v28, v164, 16, 4
	v_mul_i32_i24_e32 v28, v154, v28
	s_delay_alu instid0(VALU_DEP_1)
	v_add3_u32 v180, v27, v28, v160
	v_add_nc_u32_e32 v27, 0x3180, v94
	ds_load_u16 v160, v161 offset:18440
	ds_load_2addr_b32 v[166:167], v27 offset1:1
	s_wait_dscnt 0x0
	v_and_b32_e32 v27, 15, v167
	v_and_b32_e32 v28, 15, v166
	v_bfe_u32 v174, v166, 16, 4
	v_bfe_u32 v185, v166, 20, 4
	v_lshrrev_b32_e32 v186, 28, v166
	v_mul_i32_i24_e32 v27, v27, v147
	s_delay_alu instid0(VALU_DEP_1)
	v_mad_i32_i24 v181, v28, v157, v27
	v_add_nc_u32_e32 v27, 0x2100, v94
	v_add_nc_u32_e32 v28, 0x2108, v94
	ds_load_2addr_b32 v[168:169], v27 offset1:1
	ds_load_2addr_b32 v[170:171], v28 offset1:1
	;; [unrolled: 1-line block ×3, first 2 shown]
	ds_load_u16 v162, v163 offset:17928
	s_wait_dscnt 0x3
	v_and_b32_e32 v173, 15, v168
	s_delay_alu instid0(VALU_DEP_1) | instskip(SKIP_1) | instid1(VALU_DEP_1)
	v_mul_i32_i24_e32 v157, v157, v173
	v_bfe_u32 v173, v167, 16, 4
	v_mul_i32_i24_e32 v173, v173, v143
	s_delay_alu instid0(VALU_DEP_1) | instskip(SKIP_2) | instid1(VALU_DEP_2)
	v_mad_i32_i24 v182, v174, v154, v173
	v_bfe_u32 v173, v168, 16, 4
	v_bfe_u32 v174, v166, 24, 4
	v_mul_i32_i24_e32 v154, v154, v173
	v_bfe_u32 v173, v167, 24, 4
	s_delay_alu instid0(VALU_DEP_1) | instskip(NEXT) | instid1(VALU_DEP_1)
	v_mul_i32_i24_e32 v173, v173, v140
	v_mad_i32_i24 v183, v174, v152, v173
	v_bfe_u32 v173, v168, 24, 4
	v_add_nc_u32_e32 v174, 0x3190, v94
	s_delay_alu instid0(VALU_DEP_2) | instskip(SKIP_1) | instid1(VALU_DEP_1)
	v_mul_i32_i24_e32 v152, v152, v173
	v_bfe_u32 v173, v168, 8, 4
	v_mad_i32_i24 v157, v156, v173, v157
	s_delay_alu instid0(VALU_DEP_1) | instskip(SKIP_2) | instid1(VALU_DEP_2)
	v_add3_u32 v152, v157, v154, v152
	v_and_b32_e32 v154, 15, v1
	v_bfe_u32 v157, v1, 8, 4
	v_mul_i32_i24_e32 v154, v147, v154
	s_delay_alu instid0(VALU_DEP_2) | instskip(NEXT) | instid1(VALU_DEP_1)
	v_mul_i32_i24_e32 v157, v150, v157
	v_add3_u32 v154, v172, v157, v154
	v_add_nc_u32_e32 v157, 0x3188, v94
	ds_load_2addr_b32 v[172:173], v157 offset1:1
	ds_load_2addr_b32 v[174:175], v174 offset1:1
	;; [unrolled: 1-line block ×3, first 2 shown]
	s_wait_dscnt 0x2
	v_bfe_u32 v157, v172, 24, 4
	v_bfe_u32 v184, v173, 24, 4
	s_delay_alu instid0(VALU_DEP_2) | instskip(NEXT) | instid1(VALU_DEP_2)
	v_mul_i32_i24_e32 v157, v157, v126
	v_mul_i32_i24_e32 v184, v184, v118
	s_delay_alu instid0(VALU_DEP_1) | instskip(SKIP_2) | instid1(VALU_DEP_2)
	v_add3_u32 v157, v183, v157, v184
	v_bfe_u32 v183, v172, 16, 4
	v_bfe_u32 v184, v173, 16, 4
	v_mul_i32_i24_e32 v183, v183, v128
	s_delay_alu instid0(VALU_DEP_2) | instskip(NEXT) | instid1(VALU_DEP_1)
	v_mul_i32_i24_e32 v184, v184, v119
	v_add3_u32 v182, v182, v183, v184
	v_and_b32_e32 v183, 15, v172
	v_and_b32_e32 v184, 15, v173
	s_delay_alu instid0(VALU_DEP_2) | instskip(NEXT) | instid1(VALU_DEP_2)
	v_mul_i32_i24_e32 v183, v183, v133
	v_mul_i32_i24_e32 v184, v184, v122
	s_delay_alu instid0(VALU_DEP_1) | instskip(SKIP_2) | instid1(VALU_DEP_2)
	v_add3_u32 v181, v181, v183, v184
	v_bfe_u32 v183, v164, 4, 4
	v_bfe_u32 v184, v164, 12, 4
	v_mul_i32_i24_e32 v183, v155, v183
	s_delay_alu instid0(VALU_DEP_1) | instskip(SKIP_2) | instid1(VALU_DEP_2)
	v_mad_i32_i24 v183, v178, v184, v183
	v_bfe_u32 v184, v164, 20, 4
	v_lshrrev_b32_e32 v164, 28, v164
	v_mul_i32_i24_e32 v184, v153, v184
	s_delay_alu instid0(VALU_DEP_2) | instskip(NEXT) | instid1(VALU_DEP_1)
	v_mul_i32_i24_e32 v164, v151, v164
	v_add3_u32 v164, v183, v184, v164
	v_bfe_u32 v183, v167, 4, 4
	v_bfe_u32 v184, v166, 4, 4
	s_delay_alu instid0(VALU_DEP_2) | instskip(NEXT) | instid1(VALU_DEP_1)
	v_mul_i32_i24_e32 v183, v183, v148
	v_mad_i32_i24 v183, v184, v155, v183
	v_bfe_u32 v184, v168, 4, 4
	s_delay_alu instid0(VALU_DEP_1) | instskip(SKIP_1) | instid1(VALU_DEP_1)
	v_mul_i32_i24_e32 v155, v155, v184
	v_bfe_u32 v184, v167, 20, 4
	v_mul_i32_i24_e32 v184, v184, v145
	s_delay_alu instid0(VALU_DEP_1) | instskip(SKIP_1) | instid1(VALU_DEP_1)
	v_mad_i32_i24 v184, v185, v153, v184
	v_bfe_u32 v185, v168, 20, 4
	v_mul_i32_i24_e32 v153, v153, v185
	v_lshrrev_b32_e32 v185, 28, v167
	s_delay_alu instid0(VALU_DEP_1) | instskip(NEXT) | instid1(VALU_DEP_1)
	v_mul_i32_i24_e32 v185, v185, v144
	v_mad_i32_i24 v185, v186, v151, v185
	v_lshrrev_b32_e32 v186, 28, v168
	v_bfe_u32 v168, v168, 12, 4
	s_delay_alu instid0(VALU_DEP_2) | instskip(NEXT) | instid1(VALU_DEP_2)
	v_mul_i32_i24_e32 v151, v151, v186
	v_mad_i32_i24 v155, v178, v168, v155
	v_lshrrev_b32_e32 v168, 28, v173
	s_delay_alu instid0(VALU_DEP_2) | instskip(SKIP_2) | instid1(VALU_DEP_4)
	v_add3_u32 v151, v155, v153, v151
	v_bfe_u32 v153, v1, 4, 4
	v_bfe_u32 v155, v1, 12, 4
	v_mul_i32_i24_e32 v168, v168, v121
	s_delay_alu instid0(VALU_DEP_3) | instskip(NEXT) | instid1(VALU_DEP_3)
	v_mul_i32_i24_e32 v153, v148, v153
	v_mul_i32_i24_e32 v155, v149, v155
	s_delay_alu instid0(VALU_DEP_1) | instskip(SKIP_2) | instid1(VALU_DEP_2)
	v_add3_u32 v153, v179, v153, v155
	v_lshrrev_b32_e32 v155, 28, v172
	v_bfe_u32 v179, v173, 20, 4
	v_mul_i32_i24_e32 v155, v155, v131
	s_delay_alu instid0(VALU_DEP_2) | instskip(NEXT) | instid1(VALU_DEP_2)
	v_mul_i32_i24_e32 v179, v179, v123
	v_add3_u32 v155, v185, v155, v168
	v_bfe_u32 v168, v172, 20, 4
	s_delay_alu instid0(VALU_DEP_1) | instskip(NEXT) | instid1(VALU_DEP_1)
	v_mul_i32_i24_e32 v168, v168, v132
	v_add3_u32 v168, v184, v168, v179
	v_bfe_u32 v179, v172, 4, 4
	v_bfe_u32 v184, v173, 4, 4
	s_delay_alu instid0(VALU_DEP_2) | instskip(NEXT) | instid1(VALU_DEP_2)
	v_mul_i32_i24_e32 v179, v179, v138
	v_mul_i32_i24_e32 v184, v184, v125
	s_delay_alu instid0(VALU_DEP_1) | instskip(SKIP_2) | instid1(VALU_DEP_2)
	v_add3_u32 v179, v183, v179, v184
	v_bfe_u32 v183, v1, 16, 4
	v_bfe_u32 v184, v1, 24, 4
	v_mul_i32_i24_e32 v183, v143, v183
	s_delay_alu instid0(VALU_DEP_2) | instskip(NEXT) | instid1(VALU_DEP_1)
	v_mul_i32_i24_e32 v184, v140, v184
	v_add3_u32 v154, v154, v183, v184
	v_and_b32_e32 v183, 15, v165
	v_bfe_u32 v184, v165, 8, 4
	s_delay_alu instid0(VALU_DEP_2) | instskip(NEXT) | instid1(VALU_DEP_2)
	v_mul_i32_i24_e32 v183, v147, v183
	v_mul_i32_i24_e32 v184, v150, v184
	s_delay_alu instid0(VALU_DEP_1) | instskip(SKIP_1) | instid1(VALU_DEP_1)
	v_add3_u32 v180, v180, v184, v183
	v_and_b32_e32 v183, 15, v169
	v_mul_i32_i24_e32 v147, v147, v183
	v_bfe_u32 v183, v169, 8, 4
	s_delay_alu instid0(VALU_DEP_1) | instskip(NEXT) | instid1(VALU_DEP_1)
	v_mul_i32_i24_e32 v183, v150, v183
	v_add3_u32 v147, v152, v183, v147
	v_and_b32_e32 v152, 0xf0f0f0f, v166
	s_delay_alu instid0(VALU_DEP_1) | instskip(NEXT) | instid1(VALU_DEP_1)
	v_lshrrev_b16 v152, 8, v152
	v_and_b32_e32 v152, 0xffff, v152
	s_delay_alu instid0(VALU_DEP_1) | instskip(SKIP_1) | instid1(VALU_DEP_1)
	v_mul_i32_i24_e32 v152, v152, v156
	v_and_b32_e32 v156, 0xf0f0f0f, v167
	v_lshrrev_b16 v156, 8, v156
	s_delay_alu instid0(VALU_DEP_1) | instskip(NEXT) | instid1(VALU_DEP_1)
	v_and_b32_e32 v156, 0xffff, v156
	v_mul_i32_i24_e32 v150, v156, v150
	v_and_b32_e32 v156, 0xf0f0f0f, v172
	s_delay_alu instid0(VALU_DEP_1) | instskip(NEXT) | instid1(VALU_DEP_1)
	v_lshrrev_b16 v156, 8, v156
	v_and_b32_e32 v156, 0xffff, v156
	s_delay_alu instid0(VALU_DEP_1) | instskip(NEXT) | instid1(VALU_DEP_1)
	v_mul_i32_i24_e32 v156, v156, v146
	v_add3_u32 v150, v152, v150, v156
	s_wait_dscnt 0x1
	v_bfe_u32 v152, v174, 24, 4
	v_bfe_u32 v156, v175, 24, 4
	s_delay_alu instid0(VALU_DEP_2) | instskip(NEXT) | instid1(VALU_DEP_2)
	v_mul_i32_i24_e32 v152, v152, v112
	v_mul_i32_i24_e32 v156, v156, v106
	s_delay_alu instid0(VALU_DEP_1) | instskip(SKIP_2) | instid1(VALU_DEP_2)
	v_add3_u32 v152, v157, v152, v156
	v_and_b32_e32 v156, 15, v174
	v_and_b32_e32 v157, 15, v175
	v_mul_i32_i24_e32 v156, v156, v115
	s_delay_alu instid0(VALU_DEP_2) | instskip(NEXT) | instid1(VALU_DEP_1)
	v_mul_i32_i24_e32 v157, v157, v109
	v_add3_u32 v156, v181, v156, v157
	v_bfe_u32 v157, v174, 16, 4
	v_bfe_u32 v181, v175, 16, 4
	s_delay_alu instid0(VALU_DEP_2) | instskip(NEXT) | instid1(VALU_DEP_2)
	v_mul_i32_i24_e32 v157, v157, v113
	v_mul_i32_i24_e32 v181, v181, v107
	s_delay_alu instid0(VALU_DEP_1) | instskip(SKIP_2) | instid1(VALU_DEP_2)
	v_add3_u32 v157, v182, v157, v181
	v_bfe_u32 v181, v1, 20, 4
	v_lshrrev_b32_e32 v1, 28, v1
	v_mul_i32_i24_e32 v181, v145, v181
	s_delay_alu instid0(VALU_DEP_2) | instskip(NEXT) | instid1(VALU_DEP_1)
	v_mul_i32_i24_e32 v1, v144, v1
	v_add3_u32 v1, v153, v181, v1
	v_bfe_u32 v153, v165, 4, 4
	v_bfe_u32 v181, v165, 12, 4
	s_delay_alu instid0(VALU_DEP_2) | instskip(NEXT) | instid1(VALU_DEP_2)
	v_mul_i32_i24_e32 v153, v148, v153
	v_mul_i32_i24_e32 v181, v149, v181
	s_delay_alu instid0(VALU_DEP_1) | instskip(SKIP_1) | instid1(VALU_DEP_1)
	v_add3_u32 v153, v164, v153, v181
	v_bfe_u32 v164, v169, 4, 4
	v_mul_i32_i24_e32 v148, v148, v164
	v_bfe_u32 v164, v169, 12, 4
	s_delay_alu instid0(VALU_DEP_1) | instskip(NEXT) | instid1(VALU_DEP_1)
	v_mul_i32_i24_e32 v164, v149, v164
	v_add3_u32 v148, v151, v148, v164
	v_lshrrev_b32_e32 v151, 28, v174
	v_lshrrev_b32_e32 v164, 28, v175
	s_delay_alu instid0(VALU_DEP_2) | instskip(NEXT) | instid1(VALU_DEP_2)
	v_mul_i32_i24_e32 v151, v151, v116
	v_mul_i32_i24_e32 v164, v164, v110
	s_delay_alu instid0(VALU_DEP_1) | instskip(SKIP_2) | instid1(VALU_DEP_2)
	v_add3_u32 v151, v155, v151, v164
	v_bfe_u32 v155, v174, 4, 4
	v_bfe_u32 v164, v175, 4, 4
	v_mul_i32_i24_e32 v155, v155, v120
	s_delay_alu instid0(VALU_DEP_2) | instskip(NEXT) | instid1(VALU_DEP_1)
	v_mul_i32_i24_e32 v164, v164, v114
	v_add3_u32 v155, v179, v155, v164
	v_bfe_u32 v164, v174, 20, 4
	v_bfe_u32 v179, v175, 20, 4
	s_delay_alu instid0(VALU_DEP_2) | instskip(NEXT) | instid1(VALU_DEP_2)
	v_mul_i32_i24_e32 v164, v164, v117
	v_mul_i32_i24_e32 v179, v179, v111
	s_delay_alu instid0(VALU_DEP_1) | instskip(SKIP_2) | instid1(VALU_DEP_2)
	v_add3_u32 v164, v168, v164, v179
	v_bfe_u32 v168, v165, 16, 4
	v_bfe_u32 v179, v165, 24, 4
	v_mul_i32_i24_e32 v168, v143, v168
	s_delay_alu instid0(VALU_DEP_2) | instskip(NEXT) | instid1(VALU_DEP_1)
	v_mul_i32_i24_e32 v179, v140, v179
	v_add3_u32 v168, v180, v168, v179
	v_bfe_u32 v179, v169, 16, 4
	s_delay_alu instid0(VALU_DEP_1) | instskip(SKIP_1) | instid1(VALU_DEP_1)
	v_mul_i32_i24_e32 v143, v143, v179
	v_bfe_u32 v179, v169, 24, 4
	v_mul_i32_i24_e32 v140, v140, v179
	v_bfe_i32 v179, v142, 0, 8
	v_and_b32_e32 v142, 0xf0f0f0f, v174
	s_delay_alu instid0(VALU_DEP_3) | instskip(SKIP_2) | instid1(VALU_DEP_4)
	v_add3_u32 v147, v147, v143, v140
	v_and_b32_e32 v140, 15, v2
	v_bfe_u32 v143, v2, 8, 4
	v_lshrrev_b16 v142, 8, v142
	s_delay_alu instid0(VALU_DEP_3) | instskip(NEXT) | instid1(VALU_DEP_3)
	v_mul_i32_i24_e32 v140, v133, v140
	v_mul_i32_i24_e32 v143, v146, v143
	s_delay_alu instid0(VALU_DEP_3) | instskip(NEXT) | instid1(VALU_DEP_2)
	v_and_b32_e32 v142, 0xffff, v142
	v_add3_u32 v140, v154, v143, v140
	v_bfe_i32 v154, v139, 0, 8
	v_and_b32_e32 v139, 0xf0f0f0f, v173
	s_delay_alu instid0(VALU_DEP_4) | instskip(SKIP_1) | instid1(VALU_DEP_3)
	v_mul_i32_i24_e32 v142, v142, v179
	v_add_nc_u32_e32 v143, 0x1098, v94
	v_lshrrev_b16 v139, 8, v139
	s_delay_alu instid0(VALU_DEP_1) | instskip(NEXT) | instid1(VALU_DEP_1)
	v_and_b32_e32 v139, 0xffff, v139
	v_mul_i32_i24_e32 v139, v139, v154
	s_delay_alu instid0(VALU_DEP_1) | instskip(SKIP_3) | instid1(VALU_DEP_2)
	v_add3_u32 v150, v150, v139, v142
	s_wait_dscnt 0x0
	v_bfe_u32 v139, v176, 24, 4
	v_bfe_u32 v142, v177, 24, 4
	v_mul_i32_i24_e32 v139, v139, v100
	s_delay_alu instid0(VALU_DEP_2) | instskip(NEXT) | instid1(VALU_DEP_1)
	v_mul_i32_i24_e32 v142, v142, v95
	v_add3_u32 v152, v152, v139, v142
	v_bfe_u32 v139, v176, 16, 4
	v_bfe_u32 v142, v177, 16, 4
	s_delay_alu instid0(VALU_DEP_2) | instskip(NEXT) | instid1(VALU_DEP_2)
	v_mul_i32_i24_e32 v139, v139, v101
	v_mul_i32_i24_e32 v142, v142, v96
	s_delay_alu instid0(VALU_DEP_1) | instskip(SKIP_2) | instid1(VALU_DEP_2)
	v_add3_u32 v157, v157, v139, v142
	v_and_b32_e32 v139, 15, v176
	v_and_b32_e32 v142, 15, v177
	v_mul_i32_i24_e32 v139, v139, v103
	s_delay_alu instid0(VALU_DEP_2) | instskip(NEXT) | instid1(VALU_DEP_1)
	v_mul_i32_i24_e32 v142, v142, v99
	v_add3_u32 v156, v156, v139, v142
	v_bfe_u32 v139, v165, 20, 4
	v_lshrrev_b32_e32 v142, 28, v165
	s_delay_alu instid0(VALU_DEP_2) | instskip(NEXT) | instid1(VALU_DEP_2)
	v_mul_i32_i24_e32 v139, v145, v139
	v_mul_i32_i24_e32 v142, v144, v142
	s_delay_alu instid0(VALU_DEP_1) | instskip(SKIP_2) | instid1(VALU_DEP_2)
	v_add3_u32 v153, v153, v139, v142
	v_bfe_u32 v139, v169, 20, 4
	v_lshrrev_b32_e32 v142, 28, v169
	v_mul_i32_i24_e32 v139, v145, v139
	s_delay_alu instid0(VALU_DEP_2) | instskip(NEXT) | instid1(VALU_DEP_1)
	v_mul_i32_i24_e32 v142, v144, v142
	v_add3_u32 v145, v148, v139, v142
	v_bfe_u32 v139, v2, 4, 4
	v_bfe_i32 v148, v141, 0, 8
	v_bfe_u32 v141, v2, 12, 4
	v_lshrrev_b32_e32 v142, 4, v172
	s_delay_alu instid0(VALU_DEP_4) | instskip(NEXT) | instid1(VALU_DEP_3)
	v_mul_i32_i24_e32 v139, v138, v139
	v_mul_i32_i24_e32 v141, v148, v141
	s_delay_alu instid0(VALU_DEP_3) | instskip(NEXT) | instid1(VALU_DEP_2)
	v_lshrrev_b16 v142, 8, v142
	v_add3_u32 v1, v1, v139, v141
	v_lshrrev_b32_e32 v139, 4, v166
	v_lshrrev_b32_e32 v141, 4, v167
	s_delay_alu instid0(VALU_DEP_4) | instskip(NEXT) | instid1(VALU_DEP_3)
	v_and_b32_e32 v142, 15, v142
	v_lshrrev_b16 v139, 8, v139
	s_delay_alu instid0(VALU_DEP_3) | instskip(NEXT) | instid1(VALU_DEP_3)
	v_lshrrev_b16 v141, 8, v141
	v_and_b32_e32 v142, 0xffff, v142
	s_delay_alu instid0(VALU_DEP_3) | instskip(NEXT) | instid1(VALU_DEP_3)
	v_and_b32_e32 v139, 15, v139
	v_and_b32_e32 v141, 15, v141
	s_delay_alu instid0(VALU_DEP_3) | instskip(NEXT) | instid1(VALU_DEP_3)
	v_mul_i32_i24_e32 v142, v142, v148
	v_and_b32_e32 v139, 0xffff, v139
	s_delay_alu instid0(VALU_DEP_3) | instskip(NEXT) | instid1(VALU_DEP_2)
	v_and_b32_e32 v141, 0xffff, v141
	v_mul_i32_i24_e32 v139, v139, v178
	s_delay_alu instid0(VALU_DEP_2) | instskip(NEXT) | instid1(VALU_DEP_1)
	v_mul_i32_i24_e32 v141, v141, v149
	v_add3_u32 v149, v139, v141, v142
	v_lshrrev_b32_e32 v139, 28, v176
	v_lshrrev_b32_e32 v141, 28, v177
	s_delay_alu instid0(VALU_DEP_2) | instskip(NEXT) | instid1(VALU_DEP_2)
	v_mul_i32_i24_e32 v139, v139, v104
	v_mul_i32_i24_e32 v141, v141, v97
	s_delay_alu instid0(VALU_DEP_1) | instskip(SKIP_2) | instid1(VALU_DEP_2)
	v_add3_u32 v151, v151, v139, v141
	v_bfe_u32 v139, v176, 20, 4
	v_bfe_u32 v141, v177, 20, 4
	v_mul_i32_i24_e32 v139, v139, v105
	s_delay_alu instid0(VALU_DEP_2) | instskip(NEXT) | instid1(VALU_DEP_1)
	v_mul_i32_i24_e32 v141, v141, v98
	v_add3_u32 v164, v164, v139, v141
	v_bfe_u32 v139, v176, 4, 4
	v_bfe_u32 v141, v177, 4, 4
	s_delay_alu instid0(VALU_DEP_2) | instskip(NEXT) | instid1(VALU_DEP_2)
	v_mul_i32_i24_e32 v139, v139, v108
	v_mul_i32_i24_e32 v141, v141, v102
	s_delay_alu instid0(VALU_DEP_1) | instskip(SKIP_2) | instid1(VALU_DEP_2)
	v_add3_u32 v155, v155, v139, v141
	v_bfe_u32 v139, v2, 16, 4
	v_bfe_u32 v141, v2, 24, 4
	v_mul_i32_i24_e32 v139, v128, v139
	s_delay_alu instid0(VALU_DEP_2) | instskip(NEXT) | instid1(VALU_DEP_1)
	v_mul_i32_i24_e32 v141, v126, v141
	v_add3_u32 v165, v140, v139, v141
	v_add_nc_u32_e32 v139, 0x1088, v94
	v_add_nc_u32_e32 v141, 0x1090, v94
	ds_load_2addr_b32 v[139:140], v139 offset1:1
	ds_load_2addr_b32 v[141:142], v141 offset1:1
	;; [unrolled: 1-line block ×3, first 2 shown]
	s_wait_dscnt 0x2
	v_and_b32_e32 v166, 15, v139
	v_bfe_u32 v167, v139, 8, 4
	s_delay_alu instid0(VALU_DEP_2) | instskip(NEXT) | instid1(VALU_DEP_2)
	v_mul_i32_i24_e32 v166, v133, v166
	v_mul_i32_i24_e32 v167, v146, v167
	s_delay_alu instid0(VALU_DEP_1) | instskip(SKIP_1) | instid1(VALU_DEP_1)
	v_add3_u32 v166, v168, v167, v166
	v_and_b32_e32 v167, 15, v170
	v_mul_i32_i24_e32 v133, v133, v167
	v_bfe_u32 v167, v170, 8, 4
	s_delay_alu instid0(VALU_DEP_1) | instskip(NEXT) | instid1(VALU_DEP_1)
	v_mul_i32_i24_e32 v146, v146, v167
	v_add3_u32 v133, v147, v146, v133
	v_and_b32_e32 v146, 0xf0f0f0f, v175
	v_and_b32_e32 v147, 0xf0f0f0f, v176
	s_delay_alu instid0(VALU_DEP_2) | instskip(NEXT) | instid1(VALU_DEP_2)
	v_lshrrev_b16 v146, 8, v146
	v_lshrrev_b16 v147, 8, v147
	s_delay_alu instid0(VALU_DEP_2) | instskip(NEXT) | instid1(VALU_DEP_2)
	v_and_b32_e32 v146, 0xffff, v146
	v_and_b32_e32 v147, 0xffff, v147
	s_delay_alu instid0(VALU_DEP_2) | instskip(NEXT) | instid1(VALU_DEP_2)
	v_mul_i32_i24_e32 v146, v146, v134
	v_mul_i32_i24_e32 v147, v147, v135
	s_delay_alu instid0(VALU_DEP_1) | instskip(SKIP_2) | instid1(VALU_DEP_2)
	v_add3_u32 v146, v150, v146, v147
	v_bfe_u32 v147, v2, 20, 4
	v_lshrrev_b32_e32 v2, 28, v2
	v_mul_i32_i24_e32 v147, v132, v147
	s_delay_alu instid0(VALU_DEP_2) | instskip(NEXT) | instid1(VALU_DEP_1)
	v_mul_i32_i24_e32 v2, v131, v2
	v_add3_u32 v1, v1, v147, v2
	v_bfe_u32 v2, v139, 4, 4
	v_bfe_u32 v147, v139, 12, 4
	s_delay_alu instid0(VALU_DEP_2) | instskip(NEXT) | instid1(VALU_DEP_2)
	v_mul_i32_i24_e32 v2, v138, v2
	v_mul_i32_i24_e32 v147, v148, v147
	s_delay_alu instid0(VALU_DEP_1) | instskip(SKIP_1) | instid1(VALU_DEP_1)
	v_add3_u32 v2, v153, v2, v147
	v_bfe_u32 v147, v170, 4, 4
	v_mul_i32_i24_e32 v138, v138, v147
	v_bfe_u32 v147, v170, 12, 4
	s_delay_alu instid0(VALU_DEP_1) | instskip(SKIP_1) | instid1(VALU_DEP_2)
	v_mul_i32_i24_e32 v147, v148, v147
	v_bfe_u32 v148, v139, 24, 4
	v_add3_u32 v138, v145, v138, v147
	v_lshrrev_b32_e32 v145, 4, v173
	v_lshrrev_b32_e32 v147, 4, v174
	s_delay_alu instid0(VALU_DEP_4) | instskip(NEXT) | instid1(VALU_DEP_3)
	v_mul_i32_i24_e32 v148, v126, v148
	v_lshrrev_b16 v145, 8, v145
	s_delay_alu instid0(VALU_DEP_3) | instskip(NEXT) | instid1(VALU_DEP_2)
	v_lshrrev_b16 v147, 8, v147
	v_and_b32_e32 v145, 15, v145
	s_delay_alu instid0(VALU_DEP_2) | instskip(NEXT) | instid1(VALU_DEP_2)
	v_and_b32_e32 v147, 15, v147
	v_and_b32_e32 v145, 0xffff, v145
	s_delay_alu instid0(VALU_DEP_2) | instskip(NEXT) | instid1(VALU_DEP_2)
	v_and_b32_e32 v147, 0xffff, v147
	v_mul_i32_i24_e32 v145, v145, v136
	s_delay_alu instid0(VALU_DEP_2) | instskip(NEXT) | instid1(VALU_DEP_1)
	v_mul_i32_i24_e32 v147, v147, v137
	v_add3_u32 v145, v149, v145, v147
	v_bfe_u32 v147, v139, 16, 4
	s_delay_alu instid0(VALU_DEP_1) | instskip(NEXT) | instid1(VALU_DEP_1)
	v_mul_i32_i24_e32 v147, v128, v147
	v_add3_u32 v147, v166, v147, v148
	v_bfe_u32 v148, v170, 16, 4
	s_delay_alu instid0(VALU_DEP_1) | instskip(SKIP_1) | instid1(VALU_DEP_1)
	v_mul_i32_i24_e32 v128, v128, v148
	v_bfe_u32 v148, v170, 24, 4
	v_mul_i32_i24_e32 v126, v126, v148
	s_delay_alu instid0(VALU_DEP_1) | instskip(SKIP_2) | instid1(VALU_DEP_2)
	v_add3_u32 v126, v133, v128, v126
	v_and_b32_e32 v128, 15, v3
	v_bfe_u32 v133, v3, 8, 4
	v_mul_i32_i24_e32 v128, v122, v128
	s_delay_alu instid0(VALU_DEP_2) | instskip(NEXT) | instid1(VALU_DEP_1)
	v_mul_i32_i24_e32 v133, v154, v133
	v_add3_u32 v128, v165, v133, v128
	v_and_b32_e32 v133, 0xf0f0f0f, v177
	s_delay_alu instid0(VALU_DEP_1) | instskip(NEXT) | instid1(VALU_DEP_1)
	v_lshrrev_b16 v133, 8, v133
	v_and_b32_e32 v133, 0xffff, v133
	s_delay_alu instid0(VALU_DEP_1) | instskip(NEXT) | instid1(VALU_DEP_1)
	v_mul_i32_i24_e32 v133, v133, v127
	v_add3_u32 v133, v146, v133, v152
	v_bfe_u32 v146, v139, 20, 4
	v_lshrrev_b32_e32 v139, 28, v139
	s_delay_alu instid0(VALU_DEP_2) | instskip(NEXT) | instid1(VALU_DEP_2)
	v_mul_i32_i24_e32 v146, v132, v146
	v_mul_i32_i24_e32 v139, v131, v139
	s_delay_alu instid0(VALU_DEP_1) | instskip(SKIP_1) | instid1(VALU_DEP_1)
	v_add3_u32 v2, v2, v146, v139
	v_bfe_u32 v139, v170, 20, 4
	v_mul_i32_i24_e32 v132, v132, v139
	v_lshrrev_b32_e32 v139, 28, v170
	s_delay_alu instid0(VALU_DEP_1) | instskip(SKIP_1) | instid1(VALU_DEP_2)
	v_mul_i32_i24_e32 v131, v131, v139
	v_bfe_u32 v139, v3, 24, 4
	v_add3_u32 v131, v138, v132, v131
	v_bfe_u32 v132, v3, 4, 4
	v_bfe_u32 v138, v3, 12, 4
	s_delay_alu instid0(VALU_DEP_4) | instskip(NEXT) | instid1(VALU_DEP_3)
	v_mul_i32_i24_e32 v139, v118, v139
	v_mul_i32_i24_e32 v132, v125, v132
	s_delay_alu instid0(VALU_DEP_3) | instskip(NEXT) | instid1(VALU_DEP_1)
	v_mul_i32_i24_e32 v138, v136, v138
	v_add3_u32 v1, v1, v132, v138
	v_lshrrev_b32_e32 v132, 4, v175
	v_lshrrev_b32_e32 v138, 4, v176
	s_delay_alu instid0(VALU_DEP_2) | instskip(NEXT) | instid1(VALU_DEP_2)
	v_lshrrev_b16 v132, 8, v132
	v_lshrrev_b16 v138, 8, v138
	s_delay_alu instid0(VALU_DEP_2) | instskip(NEXT) | instid1(VALU_DEP_2)
	v_and_b32_e32 v132, 15, v132
	v_and_b32_e32 v138, 15, v138
	s_delay_alu instid0(VALU_DEP_2) | instskip(NEXT) | instid1(VALU_DEP_2)
	v_and_b32_e32 v132, 0xffff, v132
	v_and_b32_e32 v138, 0xffff, v138
	s_delay_alu instid0(VALU_DEP_2) | instskip(NEXT) | instid1(VALU_DEP_2)
	v_mul_i32_i24_e32 v132, v132, v129
	v_mul_i32_i24_e32 v138, v138, v130
	s_delay_alu instid0(VALU_DEP_1) | instskip(SKIP_1) | instid1(VALU_DEP_1)
	v_add3_u32 v132, v145, v132, v138
	v_bfe_u32 v138, v3, 16, 4
	v_mul_i32_i24_e32 v138, v119, v138
	s_delay_alu instid0(VALU_DEP_1) | instskip(SKIP_2) | instid1(VALU_DEP_2)
	v_add3_u32 v128, v128, v138, v139
	v_and_b32_e32 v138, 15, v140
	v_bfe_u32 v139, v140, 8, 4
	v_mul_i32_i24_e32 v138, v122, v138
	s_delay_alu instid0(VALU_DEP_2) | instskip(NEXT) | instid1(VALU_DEP_1)
	v_mul_i32_i24_e32 v139, v154, v139
	v_add3_u32 v138, v147, v139, v138
	v_and_b32_e32 v139, 15, v171
	s_delay_alu instid0(VALU_DEP_1) | instskip(SKIP_1) | instid1(VALU_DEP_1)
	v_mul_i32_i24_e32 v122, v122, v139
	v_bfe_u32 v139, v171, 8, 4
	v_mul_i32_i24_e32 v139, v154, v139
	s_delay_alu instid0(VALU_DEP_1) | instskip(SKIP_3) | instid1(VALU_DEP_2)
	v_add3_u32 v122, v126, v139, v122
	v_add3_u32 v126, v156, v157, v133
	v_bfe_u32 v133, v3, 20, 4
	v_lshrrev_b32_e32 v3, 28, v3
	v_mul_i32_i24_e32 v133, v123, v133
	s_delay_alu instid0(VALU_DEP_2) | instskip(NEXT) | instid1(VALU_DEP_1)
	v_mul_i32_i24_e32 v3, v121, v3
	v_add3_u32 v1, v1, v133, v3
	v_bfe_u32 v3, v140, 4, 4
	v_bfe_u32 v133, v140, 12, 4
	s_delay_alu instid0(VALU_DEP_2) | instskip(NEXT) | instid1(VALU_DEP_2)
	v_mul_i32_i24_e32 v3, v125, v3
	v_mul_i32_i24_e32 v133, v136, v133
	s_delay_alu instid0(VALU_DEP_1) | instskip(SKIP_1) | instid1(VALU_DEP_1)
	v_add3_u32 v2, v2, v3, v133
	v_bfe_u32 v3, v171, 4, 4
	v_mul_i32_i24_e32 v3, v125, v3
	v_bfe_u32 v125, v171, 12, 4
	s_delay_alu instid0(VALU_DEP_1) | instskip(NEXT) | instid1(VALU_DEP_1)
	v_mul_i32_i24_e32 v125, v136, v125
	v_add3_u32 v3, v131, v3, v125
	v_lshrrev_b32_e32 v125, 4, v177
	v_bfe_u32 v131, v140, 16, 4
	s_delay_alu instid0(VALU_DEP_2) | instskip(NEXT) | instid1(VALU_DEP_2)
	v_lshrrev_b16 v125, 8, v125
	v_mul_i32_i24_e32 v131, v119, v131
	s_delay_alu instid0(VALU_DEP_2) | instskip(NEXT) | instid1(VALU_DEP_1)
	v_and_b32_e32 v125, 15, v125
	v_and_b32_e32 v125, 0xffff, v125
	s_delay_alu instid0(VALU_DEP_1) | instskip(NEXT) | instid1(VALU_DEP_1)
	v_mul_i32_i24_e32 v125, v125, v124
	v_add3_u32 v125, v132, v125, v151
	v_bfe_u32 v132, v140, 24, 4
	s_delay_alu instid0(VALU_DEP_1) | instskip(NEXT) | instid1(VALU_DEP_1)
	v_mul_i32_i24_e32 v132, v118, v132
	v_add3_u32 v131, v138, v131, v132
	v_bfe_u32 v132, v171, 16, 4
	s_delay_alu instid0(VALU_DEP_1) | instskip(SKIP_1) | instid1(VALU_DEP_1)
	v_mul_i32_i24_e32 v119, v119, v132
	v_bfe_u32 v132, v171, 24, 4
	v_mul_i32_i24_e32 v118, v118, v132
	s_delay_alu instid0(VALU_DEP_1) | instskip(SKIP_2) | instid1(VALU_DEP_2)
	v_add3_u32 v118, v122, v119, v118
	v_and_b32_e32 v119, 15, v23
	v_bfe_u32 v122, v23, 8, 4
	v_mul_i32_i24_e32 v119, v115, v119
	s_delay_alu instid0(VALU_DEP_2) | instskip(NEXT) | instid1(VALU_DEP_1)
	v_mul_i32_i24_e32 v122, v179, v122
	v_add3_u32 v119, v128, v122, v119
	v_bfe_u32 v122, v140, 20, 4
	v_lshrrev_b32_e32 v128, 28, v140
	s_delay_alu instid0(VALU_DEP_2) | instskip(NEXT) | instid1(VALU_DEP_2)
	v_mul_i32_i24_e32 v122, v123, v122
	v_mul_i32_i24_e32 v128, v121, v128
	s_delay_alu instid0(VALU_DEP_1) | instskip(SKIP_2) | instid1(VALU_DEP_2)
	v_add3_u32 v2, v2, v122, v128
	v_bfe_u32 v122, v171, 20, 4
	v_lshrrev_b32_e32 v128, 28, v171
	v_mul_i32_i24_e32 v122, v123, v122
	s_delay_alu instid0(VALU_DEP_2) | instskip(SKIP_1) | instid1(VALU_DEP_2)
	v_mul_i32_i24_e32 v121, v121, v128
	v_bfe_u32 v123, v23, 24, 4
	v_add3_u32 v3, v3, v122, v121
	v_bfe_u32 v121, v23, 4, 4
	v_bfe_u32 v122, v23, 12, 4
	s_delay_alu instid0(VALU_DEP_4) | instskip(NEXT) | instid1(VALU_DEP_3)
	v_mul_i32_i24_e32 v123, v112, v123
	v_mul_i32_i24_e32 v121, v120, v121
	s_delay_alu instid0(VALU_DEP_3) | instskip(NEXT) | instid1(VALU_DEP_1)
	v_mul_i32_i24_e32 v122, v137, v122
	v_add3_u32 v1, v1, v121, v122
	v_bfe_u32 v122, v23, 16, 4
	v_add3_u32 v121, v155, v164, v125
	s_delay_alu instid0(VALU_DEP_2) | instskip(NEXT) | instid1(VALU_DEP_1)
	v_mul_i32_i24_e32 v122, v113, v122
	v_add3_u32 v119, v119, v122, v123
	s_wait_dscnt 0x1
	v_and_b32_e32 v122, 15, v141
	v_bfe_u32 v123, v141, 8, 4
	s_delay_alu instid0(VALU_DEP_2) | instskip(NEXT) | instid1(VALU_DEP_2)
	v_mul_i32_i24_e32 v122, v115, v122
	v_mul_i32_i24_e32 v123, v179, v123
	s_delay_alu instid0(VALU_DEP_1) | instskip(SKIP_1) | instid1(VALU_DEP_1)
	v_add3_u32 v122, v131, v123, v122
	v_and_b32_e32 v123, 15, v27
	v_mul_i32_i24_e32 v115, v115, v123
	v_bfe_u32 v123, v27, 8, 4
	s_delay_alu instid0(VALU_DEP_1) | instskip(NEXT) | instid1(VALU_DEP_1)
	v_mul_i32_i24_e32 v123, v179, v123
	v_add3_u32 v115, v118, v123, v115
	v_bfe_u32 v118, v23, 20, 4
	v_lshrrev_b32_e32 v23, 28, v23
	s_delay_alu instid0(VALU_DEP_2) | instskip(NEXT) | instid1(VALU_DEP_2)
	v_mul_i32_i24_e32 v118, v117, v118
	v_mul_i32_i24_e32 v23, v116, v23
	s_delay_alu instid0(VALU_DEP_1) | instskip(SKIP_2) | instid1(VALU_DEP_2)
	v_add3_u32 v1, v1, v118, v23
	v_bfe_u32 v23, v141, 4, 4
	v_bfe_u32 v118, v141, 12, 4
	v_mul_i32_i24_e32 v23, v120, v23
	s_delay_alu instid0(VALU_DEP_2) | instskip(NEXT) | instid1(VALU_DEP_1)
	v_mul_i32_i24_e32 v118, v137, v118
	v_add3_u32 v2, v2, v23, v118
	v_bfe_u32 v23, v27, 4, 4
	v_bfe_u32 v118, v27, 12, 4
	s_delay_alu instid0(VALU_DEP_2) | instskip(NEXT) | instid1(VALU_DEP_2)
	v_mul_i32_i24_e32 v23, v120, v23
	v_mul_i32_i24_e32 v118, v137, v118
	s_delay_alu instid0(VALU_DEP_1) | instskip(SKIP_2) | instid1(VALU_DEP_2)
	v_add3_u32 v3, v3, v23, v118
	v_bfe_u32 v23, v141, 16, 4
	v_bfe_u32 v118, v141, 24, 4
	v_mul_i32_i24_e32 v23, v113, v23
	s_delay_alu instid0(VALU_DEP_2) | instskip(NEXT) | instid1(VALU_DEP_1)
	v_mul_i32_i24_e32 v118, v112, v118
	v_add3_u32 v23, v122, v23, v118
	v_bfe_u32 v118, v27, 16, 4
	s_delay_alu instid0(VALU_DEP_1) | instskip(SKIP_1) | instid1(VALU_DEP_1)
	v_mul_i32_i24_e32 v113, v113, v118
	v_bfe_u32 v118, v27, 24, 4
	v_mul_i32_i24_e32 v112, v112, v118
	v_lshrrev_b32_e32 v118, 28, v141
	s_delay_alu instid0(VALU_DEP_2) | instskip(SKIP_2) | instid1(VALU_DEP_4)
	v_add3_u32 v112, v115, v113, v112
	v_and_b32_e32 v113, 15, v24
	v_bfe_u32 v115, v24, 8, 4
	v_mul_i32_i24_e32 v118, v116, v118
	s_delay_alu instid0(VALU_DEP_3) | instskip(NEXT) | instid1(VALU_DEP_3)
	v_mul_i32_i24_e32 v113, v109, v113
	v_mul_i32_i24_e32 v115, v134, v115
	s_delay_alu instid0(VALU_DEP_1) | instskip(SKIP_1) | instid1(VALU_DEP_1)
	v_add3_u32 v113, v119, v115, v113
	v_bfe_u32 v115, v141, 20, 4
	v_mul_i32_i24_e32 v115, v117, v115
	s_delay_alu instid0(VALU_DEP_1) | instskip(SKIP_2) | instid1(VALU_DEP_2)
	v_add3_u32 v2, v2, v115, v118
	v_bfe_u32 v115, v27, 20, 4
	v_lshrrev_b32_e32 v27, 28, v27
	v_mul_i32_i24_e32 v115, v117, v115
	s_delay_alu instid0(VALU_DEP_2) | instskip(NEXT) | instid1(VALU_DEP_1)
	v_mul_i32_i24_e32 v27, v116, v27
	v_add3_u32 v3, v3, v115, v27
	v_bfe_u32 v27, v24, 4, 4
	v_bfe_u32 v115, v24, 12, 4
	s_delay_alu instid0(VALU_DEP_2) | instskip(NEXT) | instid1(VALU_DEP_2)
	v_mul_i32_i24_e32 v27, v114, v27
	v_mul_i32_i24_e32 v115, v129, v115
	s_delay_alu instid0(VALU_DEP_1) | instskip(SKIP_2) | instid1(VALU_DEP_2)
	v_add3_u32 v1, v1, v27, v115
	v_bfe_u32 v27, v24, 16, 4
	v_bfe_u32 v115, v24, 24, 4
	v_mul_i32_i24_e32 v27, v107, v27
	s_delay_alu instid0(VALU_DEP_2) | instskip(NEXT) | instid1(VALU_DEP_1)
	v_mul_i32_i24_e32 v115, v106, v115
	v_add3_u32 v27, v113, v27, v115
	v_and_b32_e32 v113, 15, v142
	v_bfe_u32 v115, v142, 8, 4
	s_delay_alu instid0(VALU_DEP_2) | instskip(NEXT) | instid1(VALU_DEP_2)
	v_mul_i32_i24_e32 v113, v109, v113
	v_mul_i32_i24_e32 v115, v134, v115
	s_delay_alu instid0(VALU_DEP_1) | instskip(SKIP_1) | instid1(VALU_DEP_1)
	v_add3_u32 v23, v23, v115, v113
	v_and_b32_e32 v113, 15, v28
	v_mul_i32_i24_e32 v109, v109, v113
	v_bfe_u32 v113, v28, 8, 4
	s_delay_alu instid0(VALU_DEP_1) | instskip(NEXT) | instid1(VALU_DEP_1)
	v_mul_i32_i24_e32 v113, v134, v113
	v_add3_u32 v109, v112, v113, v109
	v_bfe_u32 v112, v24, 20, 4
	v_lshrrev_b32_e32 v24, 28, v24
	s_delay_alu instid0(VALU_DEP_2) | instskip(NEXT) | instid1(VALU_DEP_2)
	v_mul_i32_i24_e32 v112, v111, v112
	v_mul_i32_i24_e32 v24, v110, v24
	s_delay_alu instid0(VALU_DEP_1) | instskip(SKIP_2) | instid1(VALU_DEP_2)
	v_add3_u32 v24, v1, v112, v24
	v_bfe_u32 v1, v142, 4, 4
	v_bfe_u32 v112, v142, 12, 4
	v_mul_i32_i24_e32 v1, v114, v1
	s_delay_alu instid0(VALU_DEP_2) | instskip(NEXT) | instid1(VALU_DEP_1)
	v_mul_i32_i24_e32 v112, v129, v112
	v_add3_u32 v112, v2, v1, v112
	v_bfe_u32 v1, v28, 4, 4
	v_bfe_u32 v2, v28, 12, 4
	s_delay_alu instid0(VALU_DEP_2) | instskip(NEXT) | instid1(VALU_DEP_2)
	v_mul_i32_i24_e32 v1, v114, v1
	v_mul_i32_i24_e32 v2, v129, v2
	s_delay_alu instid0(VALU_DEP_1) | instskip(SKIP_2) | instid1(VALU_DEP_2)
	v_add3_u32 v3, v3, v1, v2
	v_bfe_u32 v1, v142, 16, 4
	v_bfe_u32 v2, v142, 24, 4
	v_mul_i32_i24_e32 v1, v107, v1
	s_delay_alu instid0(VALU_DEP_2) | instskip(NEXT) | instid1(VALU_DEP_1)
	v_mul_i32_i24_e32 v2, v106, v2
	v_add3_u32 v23, v23, v1, v2
	ds_load_2addr_b32 v[1:2], v94 offset0:6 offset1:7
	s_wait_dscnt 0x0
	v_and_b32_e32 v113, 15, v1
	v_bfe_u32 v114, v1, 8, 4
	s_delay_alu instid0(VALU_DEP_2) | instskip(NEXT) | instid1(VALU_DEP_2)
	v_mul_i32_i24_e32 v113, v103, v113
	v_mul_i32_i24_e32 v114, v135, v114
	s_delay_alu instid0(VALU_DEP_1) | instskip(SKIP_1) | instid1(VALU_DEP_1)
	v_add3_u32 v27, v27, v114, v113
	v_bfe_u32 v113, v28, 16, 4
	v_mul_i32_i24_e32 v107, v107, v113
	v_bfe_u32 v113, v28, 24, 4
	s_delay_alu instid0(VALU_DEP_1) | instskip(NEXT) | instid1(VALU_DEP_1)
	v_mul_i32_i24_e32 v106, v106, v113
	v_add3_u32 v106, v109, v107, v106
	v_bfe_u32 v107, v142, 20, 4
	v_lshrrev_b32_e32 v109, 28, v142
	s_delay_alu instid0(VALU_DEP_2) | instskip(NEXT) | instid1(VALU_DEP_2)
	v_mul_i32_i24_e32 v107, v111, v107
	v_mul_i32_i24_e32 v109, v110, v109
	s_delay_alu instid0(VALU_DEP_1) | instskip(SKIP_2) | instid1(VALU_DEP_2)
	v_add3_u32 v107, v112, v107, v109
	v_bfe_u32 v109, v1, 4, 4
	v_bfe_u32 v112, v1, 12, 4
	v_mul_i32_i24_e32 v109, v108, v109
	s_delay_alu instid0(VALU_DEP_2) | instskip(NEXT) | instid1(VALU_DEP_1)
	v_mul_i32_i24_e32 v112, v130, v112
	v_add3_u32 v109, v24, v109, v112
	v_bfe_u32 v24, v28, 20, 4
	v_lshrrev_b32_e32 v28, 28, v28
	s_delay_alu instid0(VALU_DEP_2) | instskip(NEXT) | instid1(VALU_DEP_2)
	v_mul_i32_i24_e32 v24, v111, v24
	v_mul_i32_i24_e32 v28, v110, v28
	s_delay_alu instid0(VALU_DEP_1) | instskip(SKIP_2) | instid1(VALU_DEP_2)
	v_add3_u32 v3, v3, v24, v28
	v_bfe_u32 v24, v1, 16, 4
	v_bfe_u32 v28, v1, 24, 4
	v_mul_i32_i24_e32 v24, v101, v24
	s_delay_alu instid0(VALU_DEP_2) | instskip(NEXT) | instid1(VALU_DEP_1)
	v_mul_i32_i24_e32 v28, v100, v28
	v_add3_u32 v27, v27, v24, v28
	v_and_b32_e32 v24, 15, v143
	v_bfe_u32 v28, v143, 8, 4
	s_delay_alu instid0(VALU_DEP_2) | instskip(NEXT) | instid1(VALU_DEP_2)
	v_mul_i32_i24_e32 v24, v103, v24
	v_mul_i32_i24_e32 v28, v135, v28
	s_delay_alu instid0(VALU_DEP_1)
	v_add3_u32 v28, v23, v28, v24
	v_add_nc_u32_e32 v23, 0x2118, v94
	v_add_nc_u32_e32 v94, 32, v94
	ds_load_2addr_b32 v[23:24], v23 offset1:1
	s_wait_dscnt 0x0
	v_and_b32_e32 v110, 15, v23
	s_delay_alu instid0(VALU_DEP_1) | instskip(SKIP_1) | instid1(VALU_DEP_1)
	v_mul_i32_i24_e32 v103, v103, v110
	v_bfe_u32 v110, v23, 8, 4
	v_mul_i32_i24_e32 v110, v135, v110
	s_delay_alu instid0(VALU_DEP_1) | instskip(SKIP_2) | instid1(VALU_DEP_2)
	v_add3_u32 v103, v106, v110, v103
	v_bfe_u32 v106, v1, 20, 4
	v_lshrrev_b32_e32 v1, 28, v1
	v_mul_i32_i24_e32 v106, v105, v106
	s_delay_alu instid0(VALU_DEP_2) | instskip(NEXT) | instid1(VALU_DEP_1)
	v_mul_i32_i24_e32 v1, v104, v1
	v_add3_u32 v1, v109, v106, v1
	v_bfe_u32 v106, v143, 4, 4
	v_bfe_u32 v109, v143, 12, 4
	s_delay_alu instid0(VALU_DEP_2) | instskip(NEXT) | instid1(VALU_DEP_2)
	v_mul_i32_i24_e32 v106, v108, v106
	v_mul_i32_i24_e32 v109, v130, v109
	s_delay_alu instid0(VALU_DEP_1) | instskip(SKIP_1) | instid1(VALU_DEP_1)
	v_add3_u32 v106, v107, v106, v109
	v_bfe_u32 v107, v23, 4, 4
	v_mul_i32_i24_e32 v107, v108, v107
	v_bfe_u32 v108, v23, 12, 4
	s_delay_alu instid0(VALU_DEP_1) | instskip(NEXT) | instid1(VALU_DEP_1)
	v_mul_i32_i24_e32 v108, v130, v108
	v_add3_u32 v3, v3, v107, v108
	v_bfe_u32 v107, v143, 16, 4
	v_bfe_u32 v108, v143, 24, 4
	s_delay_alu instid0(VALU_DEP_2) | instskip(NEXT) | instid1(VALU_DEP_2)
	v_mul_i32_i24_e32 v107, v101, v107
	v_mul_i32_i24_e32 v108, v100, v108
	s_delay_alu instid0(VALU_DEP_1) | instskip(SKIP_2) | instid1(VALU_DEP_2)
	v_add3_u32 v28, v28, v107, v108
	v_and_b32_e32 v107, 15, v2
	v_bfe_u32 v108, v2, 8, 4
	v_mul_i32_i24_e32 v107, v99, v107
	s_delay_alu instid0(VALU_DEP_2) | instskip(NEXT) | instid1(VALU_DEP_1)
	v_mul_i32_i24_e32 v108, v127, v108
	v_add3_u32 v27, v27, v108, v107
	v_bfe_u32 v107, v23, 16, 4
	s_delay_alu instid0(VALU_DEP_1) | instskip(SKIP_1) | instid1(VALU_DEP_1)
	v_mul_i32_i24_e32 v101, v101, v107
	v_bfe_u32 v107, v23, 24, 4
	v_mul_i32_i24_e32 v100, v100, v107
	s_delay_alu instid0(VALU_DEP_1) | instskip(SKIP_2) | instid1(VALU_DEP_2)
	v_add3_u32 v100, v103, v101, v100
	v_bfe_u32 v101, v143, 20, 4
	v_lshrrev_b32_e32 v103, 28, v143
	v_mul_i32_i24_e32 v101, v105, v101
	s_delay_alu instid0(VALU_DEP_2) | instskip(NEXT) | instid1(VALU_DEP_1)
	v_mul_i32_i24_e32 v103, v104, v103
	v_add3_u32 v101, v106, v101, v103
	v_bfe_u32 v103, v2, 4, 4
	v_bfe_u32 v106, v2, 12, 4
	s_delay_alu instid0(VALU_DEP_2) | instskip(NEXT) | instid1(VALU_DEP_2)
	v_mul_i32_i24_e32 v103, v102, v103
	v_mul_i32_i24_e32 v106, v124, v106
	s_delay_alu instid0(VALU_DEP_1) | instskip(SKIP_2) | instid1(VALU_DEP_2)
	v_add3_u32 v1, v1, v103, v106
	v_bfe_u32 v103, v23, 20, 4
	v_lshrrev_b32_e32 v23, 28, v23
	v_mul_i32_i24_e32 v103, v105, v103
	s_delay_alu instid0(VALU_DEP_2) | instskip(SKIP_2) | instid1(VALU_DEP_3)
	v_mul_i32_i24_e32 v23, v104, v23
	v_cvt_f32_ubyte1_e32 v104, v162
	v_cvt_f32_ubyte1_e32 v105, v160
	v_add3_u32 v3, v3, v103, v23
	v_bfe_u32 v23, v2, 16, 4
	v_bfe_u32 v103, v2, 24, 4
	s_delay_alu instid0(VALU_DEP_2) | instskip(NEXT) | instid1(VALU_DEP_2)
	v_mul_i32_i24_e32 v23, v96, v23
	v_mul_i32_i24_e32 v103, v95, v103
	s_delay_alu instid0(VALU_DEP_1) | instskip(SKIP_2) | instid1(VALU_DEP_2)
	v_add3_u32 v23, v27, v23, v103
	v_and_b32_e32 v27, 15, v144
	v_bfe_u32 v103, v144, 8, 4
	v_mul_i32_i24_e32 v27, v99, v27
	s_delay_alu instid0(VALU_DEP_2) | instskip(NEXT) | instid1(VALU_DEP_1)
	v_mul_i32_i24_e32 v103, v127, v103
	v_add3_u32 v27, v28, v103, v27
	v_and_b32_e32 v28, 15, v24
	s_delay_alu instid0(VALU_DEP_1) | instskip(SKIP_1) | instid1(VALU_DEP_1)
	v_mul_i32_i24_e32 v28, v99, v28
	v_bfe_u32 v99, v24, 8, 4
	v_mul_i32_i24_e32 v99, v127, v99
	s_delay_alu instid0(VALU_DEP_1) | instskip(SKIP_3) | instid1(VALU_DEP_3)
	v_add3_u32 v28, v100, v99, v28
	v_bfe_u32 v99, v2, 20, 4
	v_lshrrev_b32_e32 v2, 28, v2
	v_bfe_u32 v100, v24, 12, 4
	v_mul_i32_i24_e32 v99, v98, v99
	s_delay_alu instid0(VALU_DEP_3) | instskip(NEXT) | instid1(VALU_DEP_3)
	v_mul_i32_i24_e32 v2, v97, v2
	v_mul_i32_i24_e32 v100, v124, v100
	s_delay_alu instid0(VALU_DEP_2) | instskip(SKIP_2) | instid1(VALU_DEP_2)
	v_add3_u32 v1, v1, v99, v2
	v_bfe_u32 v2, v144, 4, 4
	v_bfe_u32 v99, v144, 12, 4
	v_mul_i32_i24_e32 v2, v102, v2
	s_delay_alu instid0(VALU_DEP_2) | instskip(NEXT) | instid1(VALU_DEP_1)
	v_mul_i32_i24_e32 v99, v124, v99
	v_add3_u32 v2, v101, v2, v99
	v_bfe_u32 v99, v24, 4, 4
	s_delay_alu instid0(VALU_DEP_1) | instskip(SKIP_1) | instid1(VALU_DEP_2)
	v_mul_i32_i24_e32 v99, v102, v99
	v_bfe_u32 v102, v24, 20, 4
	v_add3_u32 v3, v3, v99, v100
	v_bfe_u32 v99, v144, 16, 4
	v_bfe_u32 v100, v144, 24, 4
	s_delay_alu instid0(VALU_DEP_2) | instskip(NEXT) | instid1(VALU_DEP_2)
	v_mul_i32_i24_e32 v99, v96, v99
	v_mul_i32_i24_e32 v100, v95, v100
	s_delay_alu instid0(VALU_DEP_1) | instskip(SKIP_1) | instid1(VALU_DEP_1)
	v_add3_u32 v27, v27, v99, v100
	v_bfe_u32 v99, v24, 16, 4
	v_mul_i32_i24_e32 v96, v96, v99
	v_bfe_u32 v99, v24, 24, 4
	v_lshrrev_b32_e32 v24, 28, v24
	s_delay_alu instid0(VALU_DEP_2) | instskip(SKIP_1) | instid1(VALU_DEP_3)
	v_mul_i32_i24_e32 v95, v95, v99
	v_lshrrev_b32_e32 v99, 28, v144
	v_mul_i32_i24_e32 v24, v97, v24
	s_delay_alu instid0(VALU_DEP_3) | instskip(SKIP_4) | instid1(VALU_DEP_4)
	v_add3_u32 v28, v28, v96, v95
	v_lshl_or_b32 v95, v65, 2, 0x4200
	v_bfe_u32 v96, v144, 20, 4
	v_mul_i32_i24_e32 v99, v97, v99
	v_cvt_f32_ubyte0_e32 v97, v162
	v_add3_u32 v95, v95, s21, v159
	s_delay_alu instid0(VALU_DEP_4)
	v_mul_i32_i24_e32 v96, v98, v96
	v_mul_i32_i24_e32 v98, v98, v102
	v_cvt_f32_ubyte0_e32 v102, v0
	v_cvt_f32_ubyte1_e32 v0, v0
	v_fma_mix_f32 v97, v25, v97, 0 op_sel:[1,0,0] op_sel_hi:[1,0,0]
	v_add3_u32 v2, v2, v96, v99
	ds_load_u16 v96, v95 offset:8
	ds_load_u16 v99, v163 offset:17920
	;; [unrolled: 1-line block ×4, first 2 shown]
	ds_load_u16 v95, v95
	v_fma_mix_f32 v102, v25, v102, 0 op_sel:[1,0,0] op_sel_hi:[1,0,0]
	v_add3_u32 v3, v3, v98, v24
	v_fma_mix_f32 v97, v26, v104, v97 op_sel:[1,0,0] op_sel_hi:[1,0,0]
	s_add_co_i32 s21, s20, 8
	s_add_co_i32 s20, s20, 16
	v_fma_mix_f32 v0, v26, v0, v102 op_sel:[1,0,0] op_sel_hi:[1,0,0]
	s_wait_alu 0xfffe
	s_cmp_lt_u32 s20, 24
	v_mul_f32_e32 v97, v97, v92
	s_mov_b32 s20, s21
	v_mul_f32_e32 v0, v0, v91
	s_wait_dscnt 0x4
	v_cvt_f32_ubyte0_e32 v103, v96
	v_cvt_f32_ubyte1_e32 v96, v96
	s_wait_dscnt 0x2
	v_and_b32_e32 v102, 0xff, v100
	v_lshrrev_b16 v100, 8, v100
	s_wait_dscnt 0x0
	v_and_b32_e32 v104, 0xff, v95
	v_fma_mix_f32 v103, v25, v103, 0 op_sel:[1,0,0] op_sel_hi:[1,0,0]
	v_lshrrev_b16 v95, 8, v95
	v_lshrrev_b16 v106, 8, v99
	v_and_b32_e32 v99, 0xff, v99
	v_mul_lo_u32 v102, v126, v102
	v_fma_mix_f32 v96, v26, v96, v103 op_sel:[1,0,0] op_sel_hi:[1,0,0]
	v_cvt_f32_ubyte0_e32 v103, v160
	v_and_b32_e32 v100, 0xffff, v100
	v_and_b32_e32 v95, 0xffff, v95
	;; [unrolled: 1-line block ×3, first 2 shown]
	v_mul_lo_u32 v23, v23, v104
	v_fma_mix_f32 v103, v103, v25, 0 op_sel:[0,1,0] op_sel_hi:[0,1,0]
	v_mul_lo_u32 v100, v121, v100
	v_mul_lo_u32 v1, v1, v95
	;; [unrolled: 1-line block ×3, first 2 shown]
	v_cvt_f32_i32_e32 v102, v102
	v_fma_mix_f32 v103, v105, v26, v103 op_sel:[0,1,0] op_sel_hi:[0,1,0]
	v_and_b32_e32 v105, 0xff, v101
	v_lshrrev_b16 v101, 8, v101
	v_cvt_f32_i32_e32 v23, v23
	v_cvt_f32_i32_e32 v100, v100
	v_fma_mix_f32 v102, v102, v25, 0 op_sel_hi:[0,1,0]
	v_mul_lo_u32 v24, v27, v105
	v_and_b32_e32 v101, 0xffff, v101
	v_mul_lo_u32 v27, v28, v99
	v_cvt_f32_i32_e32 v1, v1
	v_cvt_f32_i32_e32 v3, v3
	v_fma_mix_f32 v23, v25, v23, 0 op_sel_hi:[1,0,0]
	v_mul_lo_u32 v2, v2, v101
	v_mul_f32_e32 v96, v96, v90
	v_cvt_f32_i32_e32 v24, v24
	v_fma_mix_f32 v28, v100, v26, v102 op_sel_hi:[0,1,0]
	v_cvt_f32_i32_e32 v27, v27
	v_fma_mix_f32 v1, v26, v1, v23 op_sel_hi:[1,0,0]
	s_delay_alu instid0(VALU_DEP_4) | instskip(SKIP_1) | instid1(VALU_DEP_4)
	v_fma_mix_f32 v24, v25, v24, 0 op_sel_hi:[1,0,0]
	v_cvt_f32_i32_e32 v2, v2
	v_fma_mix_f32 v25, v25, v27, 0 op_sel_hi:[1,0,0]
	v_mul_f32_e32 v27, v103, v93
	v_fma_f32 v1, v1, v31, -v96
	s_delay_alu instid0(VALU_DEP_4) | instskip(NEXT) | instid1(VALU_DEP_4)
	v_fma_mix_f32 v2, v26, v2, v24 op_sel_hi:[1,0,0]
	v_fma_mix_f32 v3, v26, v3, v25 op_sel_hi:[1,0,0]
	s_delay_alu instid0(VALU_DEP_4) | instskip(NEXT) | instid1(VALU_DEP_4)
	v_fma_f32 v23, v28, v89, -v27
	v_add_f32_e32 v35, v35, v1
	s_delay_alu instid0(VALU_DEP_4) | instskip(NEXT) | instid1(VALU_DEP_4)
	v_fma_f32 v0, v2, v32, -v0
	v_fma_f32 v2, v3, v88, -v97
	s_delay_alu instid0(VALU_DEP_2) | instskip(NEXT) | instid1(VALU_DEP_2)
	v_dual_add_f32 v20, v20, v23 :: v_dual_add_f32 v67, v67, v0
	v_add_f32_e32 v62, v62, v2
	s_cbranch_scc1 .LBB192_19
; %bb.20:                               ;   in Loop: Header=BB192_5 Depth=1
	s_wait_loadcnt 0x0
	s_barrier_signal -1
	s_barrier_wait -1
	global_inv scope:SCOPE_SE
	s_branch .LBB192_4
.LBB192_21:
	s_mul_i32 s0, s10, s7
	s_wait_loadcnt 0x0
	s_wait_alu 0xfffe
	v_cmp_gt_i32_e32 vcc_lo, s0, v33
	s_and_saveexec_b32 s0, vcc_lo
	s_cbranch_execz .LBB192_30
; %bb.22:
	v_mul_lo_u32 v0, v33, s9
	v_add_nc_u32_e32 v1, s11, v34
	s_mov_b32 s0, exec_lo
	s_delay_alu instid0(VALU_DEP_1)
	v_cmpx_gt_u32_e64 s9, v1
	s_cbranch_execz .LBB192_24
; %bb.23:
	s_delay_alu instid0(VALU_DEP_3) | instskip(NEXT) | instid1(VALU_DEP_1)
	v_dual_mov_b32 v3, 0 :: v_dual_add_nc_u32 v2, v0, v1
	v_lshlrev_b64_e32 v[2:3], 2, v[2:3]
	s_delay_alu instid0(VALU_DEP_1) | instskip(SKIP_1) | instid1(VALU_DEP_2)
	v_add_co_u32 v2, vcc_lo, s12, v2
	s_wait_alu 0xfffd
	v_add_co_ci_u32_e64 v3, null, s13, v3, vcc_lo
	global_store_b32 v[2:3], v35, off
.LBB192_24:
	s_wait_alu 0xfffe
	s_or_b32 exec_lo, exec_lo, s0
	v_add_nc_u32_e32 v2, 32, v1
	s_mov_b32 s0, exec_lo
	s_delay_alu instid0(VALU_DEP_1)
	v_cmpx_gt_u32_e64 s9, v2
	s_cbranch_execz .LBB192_26
; %bb.25:
	v_dual_mov_b32 v3, 0 :: v_dual_add_nc_u32 v2, v0, v2
	s_delay_alu instid0(VALU_DEP_1) | instskip(NEXT) | instid1(VALU_DEP_1)
	v_lshlrev_b64_e32 v[2:3], 2, v[2:3]
	v_add_co_u32 v2, vcc_lo, s12, v2
	s_wait_alu 0xfffd
	s_delay_alu instid0(VALU_DEP_2)
	v_add_co_ci_u32_e64 v3, null, s13, v3, vcc_lo
	global_store_b32 v[2:3], v67, off
.LBB192_26:
	s_wait_alu 0xfffe
	s_or_b32 exec_lo, exec_lo, s0
	v_add_nc_u32_e32 v2, 64, v1
	s_mov_b32 s0, exec_lo
	s_delay_alu instid0(VALU_DEP_1)
	v_cmpx_gt_u32_e64 s9, v2
	s_cbranch_execz .LBB192_28
; %bb.27:
	v_dual_mov_b32 v3, 0 :: v_dual_add_nc_u32 v2, v0, v2
	s_delay_alu instid0(VALU_DEP_1) | instskip(NEXT) | instid1(VALU_DEP_1)
	v_lshlrev_b64_e32 v[2:3], 2, v[2:3]
	v_add_co_u32 v2, vcc_lo, s12, v2
	s_wait_alu 0xfffd
	s_delay_alu instid0(VALU_DEP_2)
	v_add_co_ci_u32_e64 v3, null, s13, v3, vcc_lo
	global_store_b32 v[2:3], v62, off
.LBB192_28:
	s_wait_alu 0xfffe
	s_or_b32 exec_lo, exec_lo, s0
	v_add_nc_u32_e32 v1, 0x60, v1
	s_delay_alu instid0(VALU_DEP_1)
	v_cmp_gt_u32_e32 vcc_lo, s9, v1
	s_and_b32 exec_lo, exec_lo, vcc_lo
	s_cbranch_execz .LBB192_30
; %bb.29:
	v_dual_mov_b32 v1, 0 :: v_dual_add_nc_u32 v0, v0, v1
	s_delay_alu instid0(VALU_DEP_1) | instskip(NEXT) | instid1(VALU_DEP_1)
	v_lshlrev_b64_e32 v[0:1], 2, v[0:1]
	v_add_co_u32 v0, vcc_lo, s12, v0
	s_wait_alu 0xfffd
	s_delay_alu instid0(VALU_DEP_2)
	v_add_co_ci_u32_e64 v1, null, s13, v1, vcc_lo
	global_store_b32 v[0:1], v20, off
.LBB192_30:
	s_nop 0
	s_sendmsg sendmsg(MSG_DEALLOC_VGPRS)
	s_endpgm
	.section	.rodata,"a",@progbits
	.p2align	6, 0x0
	.amdhsa_kernel _ZL8moe_q4_KIfLb1EEvPKvS1_PT_PKiS5_S5_iiiiiii
		.amdhsa_group_segment_fixed_size 20688
		.amdhsa_private_segment_fixed_size 0
		.amdhsa_kernarg_size 76
		.amdhsa_user_sgpr_count 2
		.amdhsa_user_sgpr_dispatch_ptr 0
		.amdhsa_user_sgpr_queue_ptr 0
		.amdhsa_user_sgpr_kernarg_segment_ptr 1
		.amdhsa_user_sgpr_dispatch_id 0
		.amdhsa_user_sgpr_private_segment_size 0
		.amdhsa_wavefront_size32 1
		.amdhsa_uses_dynamic_stack 0
		.amdhsa_enable_private_segment 0
		.amdhsa_system_sgpr_workgroup_id_x 1
		.amdhsa_system_sgpr_workgroup_id_y 1
		.amdhsa_system_sgpr_workgroup_id_z 0
		.amdhsa_system_sgpr_workgroup_info 0
		.amdhsa_system_vgpr_workitem_id 1
		.amdhsa_next_free_vgpr 187
		.amdhsa_next_free_sgpr 24
		.amdhsa_reserve_vcc 1
		.amdhsa_float_round_mode_32 0
		.amdhsa_float_round_mode_16_64 0
		.amdhsa_float_denorm_mode_32 3
		.amdhsa_float_denorm_mode_16_64 3
		.amdhsa_fp16_overflow 0
		.amdhsa_workgroup_processor_mode 1
		.amdhsa_memory_ordered 1
		.amdhsa_forward_progress 1
		.amdhsa_inst_pref_size 130
		.amdhsa_round_robin_scheduling 0
		.amdhsa_exception_fp_ieee_invalid_op 0
		.amdhsa_exception_fp_denorm_src 0
		.amdhsa_exception_fp_ieee_div_zero 0
		.amdhsa_exception_fp_ieee_overflow 0
		.amdhsa_exception_fp_ieee_underflow 0
		.amdhsa_exception_fp_ieee_inexact 0
		.amdhsa_exception_int_div_zero 0
	.end_amdhsa_kernel
	.section	.text._ZL8moe_q4_KIfLb1EEvPKvS1_PT_PKiS5_S5_iiiiiii,"axG",@progbits,_ZL8moe_q4_KIfLb1EEvPKvS1_PT_PKiS5_S5_iiiiiii,comdat
.Lfunc_end192:
	.size	_ZL8moe_q4_KIfLb1EEvPKvS1_PT_PKiS5_S5_iiiiiii, .Lfunc_end192-_ZL8moe_q4_KIfLb1EEvPKvS1_PT_PKiS5_S5_iiiiiii
                                        ; -- End function
	.set _ZL8moe_q4_KIfLb1EEvPKvS1_PT_PKiS5_S5_iiiiiii.num_vgpr, 187
	.set _ZL8moe_q4_KIfLb1EEvPKvS1_PT_PKiS5_S5_iiiiiii.num_agpr, 0
	.set _ZL8moe_q4_KIfLb1EEvPKvS1_PT_PKiS5_S5_iiiiiii.numbered_sgpr, 24
	.set _ZL8moe_q4_KIfLb1EEvPKvS1_PT_PKiS5_S5_iiiiiii.num_named_barrier, 0
	.set _ZL8moe_q4_KIfLb1EEvPKvS1_PT_PKiS5_S5_iiiiiii.private_seg_size, 0
	.set _ZL8moe_q4_KIfLb1EEvPKvS1_PT_PKiS5_S5_iiiiiii.uses_vcc, 1
	.set _ZL8moe_q4_KIfLb1EEvPKvS1_PT_PKiS5_S5_iiiiiii.uses_flat_scratch, 0
	.set _ZL8moe_q4_KIfLb1EEvPKvS1_PT_PKiS5_S5_iiiiiii.has_dyn_sized_stack, 0
	.set _ZL8moe_q4_KIfLb1EEvPKvS1_PT_PKiS5_S5_iiiiiii.has_recursion, 0
	.set _ZL8moe_q4_KIfLb1EEvPKvS1_PT_PKiS5_S5_iiiiiii.has_indirect_call, 0
	.section	.AMDGPU.csdata,"",@progbits
; Kernel info:
; codeLenInByte = 16616
; TotalNumSgprs: 26
; NumVgprs: 187
; ScratchSize: 0
; MemoryBound: 0
; FloatMode: 240
; IeeeMode: 1
; LDSByteSize: 20688 bytes/workgroup (compile time only)
; SGPRBlocks: 0
; VGPRBlocks: 23
; NumSGPRsForWavesPerEU: 26
; NumVGPRsForWavesPerEU: 187
; Occupancy: 8
; WaveLimiterHint : 1
; COMPUTE_PGM_RSRC2:SCRATCH_EN: 0
; COMPUTE_PGM_RSRC2:USER_SGPR: 2
; COMPUTE_PGM_RSRC2:TRAP_HANDLER: 0
; COMPUTE_PGM_RSRC2:TGID_X_EN: 1
; COMPUTE_PGM_RSRC2:TGID_Y_EN: 1
; COMPUTE_PGM_RSRC2:TGID_Z_EN: 0
; COMPUTE_PGM_RSRC2:TIDIG_COMP_CNT: 1
	.section	.text._ZL8moe_q5_KIfLb0EEvPKvS1_PT_PKiS5_S5_iiiiiii,"axG",@progbits,_ZL8moe_q5_KIfLb0EEvPKvS1_PT_PKiS5_S5_iiiiiii,comdat
	.globl	_ZL8moe_q5_KIfLb0EEvPKvS1_PT_PKiS5_S5_iiiiiii ; -- Begin function _ZL8moe_q5_KIfLb0EEvPKvS1_PT_PKiS5_S5_iiiiiii
	.p2align	8
	.type	_ZL8moe_q5_KIfLb0EEvPKvS1_PT_PKiS5_S5_iiiiiii,@function
_ZL8moe_q5_KIfLb0EEvPKvS1_PT_PKiS5_S5_iiiiiii: ; @_ZL8moe_q5_KIfLb0EEvPKvS1_PT_PKiS5_S5_iiiiiii
; %bb.0:
	s_load_b128 s[4:7], s[0:1], 0x18
	s_mov_b32 s2, ttmp7
	s_mov_b32 s3, 0
	s_delay_alu instid0(SALU_CYCLE_1)
	s_lshl_b64 s[2:3], s[2:3], 2
	s_wait_kmcnt 0x0
	s_add_nc_u64 s[2:3], s[6:7], s[2:3]
	s_load_b32 s12, s[2:3], 0x0
	s_wait_kmcnt 0x0
	s_cmp_gt_u32 s12, 0xff
	s_cbranch_scc1 .LBB193_30
; %bb.1:
	s_load_b64 s[2:3], s[0:1], 0x28
	s_wait_kmcnt 0x0
	s_load_b32 s3, s[2:3], 0x0
	s_lshl_b32 s2, ttmp7, 3
	s_wait_kmcnt 0x0
	s_cmp_gt_u32 s2, s3
	s_cbranch_scc1 .LBB193_30
; %bb.2:
	v_bfe_u32 v39, v0, 10, 10
	v_mov_b32_e32 v2, 0
	s_lshl_b32 s18, ttmp9, 7
	s_delay_alu instid0(VALU_DEP_1) | instskip(SKIP_2) | instid1(VALU_DEP_3)
	v_dual_mov_b32 v42, v2 :: v_dual_add_nc_u32 v1, s2, v39
	v_mov_b32_e32 v5, v2
	v_mov_b32_e32 v37, v2
	v_lshlrev_b64_e32 v[3:4], 2, v[1:2]
	s_delay_alu instid0(VALU_DEP_1) | instskip(NEXT) | instid1(VALU_DEP_1)
	v_add_co_u32 v3, vcc_lo, s4, v3
	v_add_co_ci_u32_e64 v4, null, s5, v4, vcc_lo
	global_load_b32 v3, v[3:4], off
	s_clause 0x2
	s_load_b64 s[10:11], s[0:1], 0x30
	s_load_b64 s[8:9], s[0:1], 0x10
	s_load_b128 s[4:7], s[0:1], 0x3c
	v_and_b32_e32 v4, 0x3ff, v0
	s_wait_kmcnt 0x0
	s_cmp_lt_i32 s11, 0x100
	s_cbranch_scc1 .LBB193_21
; %bb.3:
	s_ashr_i32 s2, s11, 31
	v_and_b32_e32 v31, 3, v0
	s_wait_alu 0xfffe
	s_lshr_b32 s2, s2, 24
	s_mul_i32 s12, s12, s10
	s_wait_alu 0xfffe
	s_add_co_i32 s13, s11, s2
	v_dual_mov_b32 v5, 0 :: v_dual_lshlrev_b32 v2, 2, v4
	s_ashr_i32 s19, s13, 8
	v_and_b32_e32 v16, 7, v0
	s_lshl_b32 s16, s19, 3
	v_lshlrev_b32_e32 v9, 5, v39
	v_mad_i32_i24 v6, s19, v39, s16
	s_abs_i32 s10, s7
	v_cmp_lt_u32_e32 vcc_lo, 1, v31
	s_cvt_f32_u32 s15, s10
	s_load_b128 s[0:3], s[0:1], 0x0
	v_lshlrev_b32_e32 v22, 3, v4
	v_lshlrev_b32_e32 v23, 2, v16
	v_add_nc_u32_e32 v24, v9, v4
	v_add_nc_u32_e32 v27, 0xfe, v31
	v_and_b32_e32 v28, 4, v2
	v_add_nc_u32_e32 v8, s16, v6
	v_cndmask_b32_e64 v37, 0, 1, vcc_lo
	v_rcp_iflag_f32_e32 v29, s15
	v_mul_u32_u24_e32 v25, 0x41, v39
	v_lshrrev_b32_e32 v34, 3, v24
	v_and_b32_e32 v35, 0xff, v27
	v_lshlrev_b32_e32 v53, 2, v37
	v_mov_b32_e32 v37, 0
	v_and_or_b32 v30, 0xc0, v22, v23
	v_cndmask_b32_e32 v23, 0, v28, vcc_lo
	v_add_nc_u32_e32 v10, s16, v8
	v_cmp_gt_u32_e32 vcc_lo, 2, v31
	s_ashr_i32 s13, s5, 31
	v_lshl_add_u32 v25, v25, 2, v30
	v_and_b32_e32 v30, 12, v34
	s_wait_alu 0xfffd
	v_dual_cndmask_b32 v34, v35, v31 :: v_dual_add_nc_u32 v11, s16, v10
	v_cmp_ne_u32_e32 vcc_lo, 0, v31
	v_readfirstlane_b32 s17, v29
	s_lshr_b32 s14, s13, 27
	v_bfe_u32 v1, v0, 2, 8
	s_wait_alu 0xfffe
	s_add_co_i32 s5, s5, s14
	s_mul_i32 s14, s19, s18
	s_wait_alu 0xfffd
	v_add_co_ci_u32_e64 v42, null, 0, v34, vcc_lo
	v_lshlrev_b32_e32 v18, 3, v39
	s_ashr_i32 s13, s12, 31
	s_wait_alu 0xfffe
	s_ashr_i32 s15, s14, 31
	s_mul_f32 s17, s17, 0x4f7ffffe
	s_wait_alu 0xfffe
	s_mul_u64 s[14:15], s[14:15], 0xb0
	s_wait_kmcnt 0x0
	s_add_nc_u64 s[0:1], s[0:1], s[12:13]
	v_lshlrev_b32_e32 v52, 2, v42
	s_wait_alu 0xfffe
	s_add_nc_u64 s[12:13], s[0:1], s[14:15]
	s_cvt_u32_f32 s0, s17
	v_dual_mov_b32 v42, 0 :: v_dual_lshlrev_b32 v33, 2, v31
	v_lshlrev_b32_e32 v31, 1, v34
	s_wait_loadcnt 0x0
	v_sub_nc_u32_e32 v34, 0, v3
	v_add_nc_u32_e32 v26, v1, v18
	s_sub_co_i32 s1, 0, s10
	v_and_b32_e32 v15, 6, v1
	v_add_nc_u16 v1, v1, v18
	s_mul_i32 s1, s1, s0
	v_max_i32_e32 v43, v3, v34
	v_and_b32_e32 v36, 0x7f, v26
	s_mul_hi_u32 s1, s0, s1
	v_lshrrev_b16 v1, 1, v1
	v_and_b32_e32 v41, 31, v0
	s_add_co_i32 s0, s0, s1
	v_xor_b32_e32 v38, 64, v36
	v_mul_hi_u32 v45, v43, s0
	v_lshl_or_b32 v35, v36, 4, v33
	v_and_b32_e32 v1, 60, v1
	v_lshlrev_b32_e32 v41, 2, v41
	v_lshrrev_b32_e32 v40, 1, v38
	v_bfe_u32 v7, v0, 5, 5
	v_lshl_or_b32 v44, v38, 4, v33
	v_add3_u32 v34, v35, v1, 0x8200
	v_lshl_or_b32 v1, v39, 7, v41
	v_mul_lo_u32 v41, v45, s10
	v_and_b32_e32 v40, 60, v40
	v_mul_i32_i24_e32 v19, s19, v39
	v_mul_i32_i24_e32 v33, s19, v36
	v_lshlrev_b32_e32 v55, 4, v39
	v_bfe_u32 v39, v0, 3, 7
	v_add3_u32 v36, v44, v40, 0x8200
	v_lshlrev_b32_e32 v44, 2, v7
	v_sub_nc_u32_e32 v0, v43, v41
	v_add_nc_u32_e32 v43, 1, v45
	v_xor_b32_e32 v47, s7, v3
	v_and_b32_e32 v32, 0x7f, v24
	v_add3_u32 v41, v44, v2, 0x8e40
	v_subrev_nc_u32_e32 v44, s10, v0
	v_cmp_le_u32_e32 vcc_lo, s10, v0
	v_ashrrev_i32_e32 v47, 31, v47
	v_mul_i32_i24_e32 v35, s19, v38
	v_add_nc_u32_e32 v38, 0x8a40, v1
	v_add_nc_u32_e32 v1, 32, v4
	s_wait_alu 0xfffd
	v_dual_cndmask_b32 v43, v45, v43 :: v_dual_cndmask_b32 v0, v0, v44
	v_add_nc_u32_e32 v45, 64, v4
	v_add_nc_u32_e32 v46, 0x60, v4
	v_lshrrev_b32_e32 v40, 3, v1
	s_delay_alu instid0(VALU_DEP_4)
	v_add_nc_u32_e32 v44, 1, v43
	v_cmp_le_u32_e32 vcc_lo, s10, v0
	v_add_nc_u32_e32 v13, s16, v11
	s_ashr_i32 s5, s5, 5
	v_mul_i32_i24_e32 v26, s19, v32
	v_lshlrev_b32_e32 v32, 2, v32
	s_wait_alu 0xfffd
	v_cndmask_b32_e32 v0, v43, v44, vcc_lo
	v_add_nc_u32_e32 v16, s16, v13
	v_lshlrev_b32_e32 v58, 2, v1
	v_and_b32_e32 v1, 60, v40
	v_lshrrev_b32_e32 v59, 3, v45
	v_xor_b32_e32 v0, v0, v47
	v_add_nc_u32_e32 v17, s16, v16
	v_lshrrev_b32_e32 v61, 3, v46
	v_and_b32_e32 v14, 28, v2
	s_movk_i32 s1, 0x2080
	v_sub_nc_u32_e32 v0, v0, v47
	v_add_nc_u32_e32 v18, s16, v17
	v_add3_u32 v29, v32, v30, 0x8e40
	v_add_nc_u32_e32 v54, 0x9050, v2
	v_and_b32_e32 v44, 60, v59
	s_wait_alu 0xfffe
	v_mul_lo_u32 v48, v0, s5
	v_add_nc_u32_e32 v21, s16, v18
	v_add3_u32 v43, v2, v1, 0x8e40
	v_and_b32_e32 v1, 60, v61
	v_lshlrev_b32_e32 v60, 2, v45
	v_lshlrev_b32_e32 v62, 2, v46
	v_add_nc_u32_e32 v22, s16, v21
	v_mad_u32_u24 v47, 0x104, v4, s1
	s_movk_i32 s1, 0x4100
	s_movk_i32 s10, 0x6180
	v_cmp_gt_u32_e64 s0, 4, v4
	v_add_nc_u32_e32 v24, s16, v22
	s_wait_alu 0xfffe
	v_mad_u32_u24 v49, 0x104, v4, s1
	v_mad_u32_u24 v50, 0x104, v4, s10
	v_cmp_gt_i32_e64 s1, s4, v0
	v_add_co_u32 v0, s10, s2, v14
	v_add_nc_u32_e32 v27, s16, v24
	v_and_b32_e32 v12, 0x7c, v2
	v_add3_u32 v44, v2, v44, 0x8e40
	v_add3_u32 v45, v2, v1, 0x8e40
	v_mul_u32_u24_e32 v46, 0x104, v4
	v_add_nc_u32_e32 v28, s16, v27
	s_wait_alu 0xf1ff
	v_add_co_ci_u32_e64 v1, null, s3, 0, s10
	v_ashrrev_i32_e32 v51, 31, v48
	v_add_nc_u32_e32 v54, v54, v55
	v_add_nc_u32_e32 v30, s16, v28
	v_lshlrev_b32_e32 v55, 2, v39
	v_lshlrev_b32_e32 v56, 2, v2
	;; [unrolled: 1-line block ×4, first 2 shown]
	v_add_nc_u32_e32 v32, s16, v30
	v_lshlrev_b32_e32 v59, 2, v59
	v_lshlrev_b32_e32 v60, 2, v60
	;; [unrolled: 1-line block ×4, first 2 shown]
	v_add_nc_u32_e32 v63, 0x800, v25
	v_add_nc_u32_e32 v64, 0x1000, v25
	;; [unrolled: 1-line block ×14, first 2 shown]
	v_dual_mov_b32 v2, 0 :: v_dual_add_nc_u32 v77, 0x7800, v25
	v_or_b32_e32 v20, 1, v15
	s_mov_b32 s15, 0
	s_and_b32 s10, s0, s1
	s_wait_alu 0xfffe
	s_mov_b32 s14, s15
	s_branch .LBB193_5
.LBB193_4:                              ;   in Loop: Header=BB193_5 Depth=1
	s_add_co_i32 s14, s14, 1
	s_wait_alu 0xfffe
	s_cmp_eq_u32 s14, s19
	s_cbranch_scc1 .LBB193_21
.LBB193_5:                              ; =>This Loop Header: Depth=1
                                        ;     Child Loop BB193_11 Depth 2
                                        ;     Child Loop BB193_19 Depth 2
	s_wait_alu 0xfffe
	s_mul_u64 s[16:17], s[14:15], 0xb0
	s_wait_alu 0xfffe
	s_add_nc_u64 s[16:17], s[12:13], s[16:17]
	s_wait_alu 0xfffe
	v_mad_co_u64_u32 v[78:79], null, 0xb0, v7, s[16:17]
	s_delay_alu instid0(VALU_DEP_1) | instskip(SKIP_3) | instid1(VALU_DEP_4)
	v_mad_co_u64_u32 v[80:81], null, 0xb0, v19, v[78:79]
	v_mad_co_u64_u32 v[82:83], null, 0xb0, v6, v[78:79]
	;; [unrolled: 1-line block ×4, first 2 shown]
	v_add_co_u32 v86, vcc_lo, v80, v12
	s_wait_alu 0xfffd
	v_add_co_ci_u32_e64 v87, null, 0, v81, vcc_lo
	v_add_co_u32 v80, vcc_lo, v80, v14
	s_wait_alu 0xfffd
	v_add_co_ci_u32_e64 v81, null, 0, v81, vcc_lo
	v_add_co_u32 v88, vcc_lo, v82, v12
	s_wait_alu 0xfffd
	v_add_co_ci_u32_e64 v89, null, 0, v83, vcc_lo
	v_add_co_u32 v82, vcc_lo, v82, v14
	s_wait_alu 0xfffd
	v_add_co_ci_u32_e64 v83, null, 0, v83, vcc_lo
	v_add_co_u32 v92, vcc_lo, v84, v12
	s_wait_alu 0xfffd
	v_add_co_ci_u32_e64 v93, null, 0, v85, vcc_lo
	v_add_co_u32 v84, vcc_lo, v84, v14
	s_wait_alu 0xfffd
	v_add_co_ci_u32_e64 v85, null, 0, v85, vcc_lo
	v_add_co_u32 v94, vcc_lo, v90, v12
	v_mad_co_u64_u32 v[96:97], null, 0xb0, v11, v[78:79]
	s_wait_alu 0xfffd
	v_add_co_ci_u32_e64 v95, null, 0, v91, vcc_lo
	v_add_co_u32 v90, vcc_lo, v90, v14
	s_wait_alu 0xfffd
	v_add_co_ci_u32_e64 v91, null, 0, v91, vcc_lo
	s_clause 0x7
	global_load_b32 v98, v[86:87], off offset:48
	global_load_b32 v99, v[80:81], off offset:16
	;; [unrolled: 1-line block ×8, first 2 shown]
	v_mad_co_u64_u32 v[80:81], null, 0xb0, v13, v[78:79]
	v_add_co_u32 v82, vcc_lo, v96, v12
	v_mad_co_u64_u32 v[88:89], null, 0xb0, v16, v[78:79]
	s_wait_alu 0xfffd
	v_add_co_ci_u32_e64 v83, null, 0, v97, vcc_lo
	v_add_co_u32 v84, vcc_lo, v96, v14
	s_wait_alu 0xfffd
	v_add_co_ci_u32_e64 v85, null, 0, v97, vcc_lo
	v_add_co_u32 v86, vcc_lo, v80, v12
	v_mad_co_u64_u32 v[90:91], null, 0xb0, v17, v[78:79]
	s_wait_alu 0xfffd
	v_add_co_ci_u32_e64 v87, null, 0, v81, vcc_lo
	v_add_co_u32 v80, vcc_lo, v80, v14
	s_wait_alu 0xfffd
	v_add_co_ci_u32_e64 v81, null, 0, v81, vcc_lo
	v_add_co_u32 v92, vcc_lo, v88, v12
	;; [unrolled: 3-line block ×4, first 2 shown]
	v_mad_co_u64_u32 v[96:97], null, 0xb0, v18, v[78:79]
	s_wait_alu 0xfffd
	v_add_co_ci_u32_e64 v95, null, 0, v91, vcc_lo
	v_add_co_u32 v90, vcc_lo, v90, v14
	s_wait_alu 0xfffd
	v_add_co_ci_u32_e64 v91, null, 0, v91, vcc_lo
	s_clause 0x7
	global_load_b32 v106, v[82:83], off offset:48
	global_load_b32 v107, v[84:85], off offset:16
	;; [unrolled: 1-line block ×8, first 2 shown]
	v_mad_co_u64_u32 v[80:81], null, 0xb0, v21, v[78:79]
	v_add_co_u32 v82, vcc_lo, v96, v12
	v_mad_co_u64_u32 v[88:89], null, 0xb0, v22, v[78:79]
	s_wait_alu 0xfffd
	v_add_co_ci_u32_e64 v83, null, 0, v97, vcc_lo
	v_add_co_u32 v84, vcc_lo, v96, v14
	s_wait_alu 0xfffd
	v_add_co_ci_u32_e64 v85, null, 0, v97, vcc_lo
	v_add_co_u32 v86, vcc_lo, v80, v12
	v_mad_co_u64_u32 v[90:91], null, 0xb0, v24, v[78:79]
	s_wait_alu 0xfffd
	v_add_co_ci_u32_e64 v87, null, 0, v81, vcc_lo
	v_add_co_u32 v80, vcc_lo, v80, v14
	s_wait_alu 0xfffd
	v_add_co_ci_u32_e64 v81, null, 0, v81, vcc_lo
	v_add_co_u32 v92, vcc_lo, v88, v12
	;; [unrolled: 3-line block ×4, first 2 shown]
	v_mad_co_u64_u32 v[96:97], null, 0xb0, v27, v[78:79]
	s_wait_alu 0xfffd
	v_add_co_ci_u32_e64 v95, null, 0, v91, vcc_lo
	v_add_co_u32 v90, vcc_lo, v90, v14
	s_wait_alu 0xfffd
	v_add_co_ci_u32_e64 v91, null, 0, v91, vcc_lo
	s_clause 0x7
	global_load_b32 v114, v[82:83], off offset:48
	global_load_b32 v115, v[84:85], off offset:16
	;; [unrolled: 1-line block ×8, first 2 shown]
	v_mad_co_u64_u32 v[80:81], null, 0xb0, v28, v[78:79]
	v_add_co_u32 v82, vcc_lo, v96, v12
	v_mad_co_u64_u32 v[88:89], null, 0xb0, v30, v[78:79]
	s_wait_alu 0xfffd
	v_add_co_ci_u32_e64 v83, null, 0, v97, vcc_lo
	v_add_co_u32 v84, vcc_lo, v96, v14
	s_wait_alu 0xfffd
	v_add_co_ci_u32_e64 v85, null, 0, v97, vcc_lo
	v_add_co_u32 v86, vcc_lo, v80, v12
	;; [unrolled: 3-line block ×3, first 2 shown]
	s_clause 0x2
	global_load_b32 v91, v[82:83], off offset:48
	global_load_b32 v95, v[84:85], off offset:16
	global_load_b32 v96, v[86:87], off offset:48
	s_wait_alu 0xfffd
	v_add_co_ci_u32_e64 v81, null, 0, v81, vcc_lo
	v_add_co_u32 v82, vcc_lo, v88, v12
	s_wait_alu 0xfffd
	v_add_co_ci_u32_e64 v83, null, 0, v89, vcc_lo
	v_add_co_u32 v84, vcc_lo, v88, v14
	v_mad_co_u64_u32 v[78:79], null, 0xb0, v32, v[78:79]
	s_wait_alu 0xfffd
	v_add_co_ci_u32_e64 v85, null, 0, v89, vcc_lo
	s_clause 0x2
	global_load_b32 v88, v[80:81], off offset:16
	global_load_b32 v89, v[82:83], off offset:48
	;; [unrolled: 1-line block ×3, first 2 shown]
	v_mad_co_u64_u32 v[80:81], null, 0xb0, v33, s[16:17]
	v_add_co_u32 v82, vcc_lo, v78, v12
	s_wait_alu 0xfffd
	v_add_co_ci_u32_e64 v83, null, 0, v79, vcc_lo
	v_add_co_u32 v78, vcc_lo, v78, v14
	v_mad_co_u64_u32 v[86:87], null, 0xb0, v35, s[16:17]
	s_wait_alu 0xfffd
	v_add_co_ci_u32_e64 v79, null, 0, v79, vcc_lo
	v_add_co_u32 v84, vcc_lo, v80, v52
	s_wait_alu 0xfffd
	v_add_co_ci_u32_e64 v85, null, 0, v81, vcc_lo
	s_clause 0x2
	global_load_b32 v118, v[82:83], off offset:48
	global_load_b32 v119, v[78:79], off offset:16
	;; [unrolled: 1-line block ×3, first 2 shown]
	v_add_co_u32 v78, vcc_lo, v80, v53
	s_wait_alu 0xfffd
	v_add_co_ci_u32_e64 v79, null, 0, v81, vcc_lo
	v_add_co_u32 v80, vcc_lo, v86, v52
	s_wait_alu 0xfffd
	v_add_co_ci_u32_e64 v81, null, 0, v87, vcc_lo
	;; [unrolled: 3-line block ×3, first 2 shown]
	s_clause 0x2
	global_load_b32 v80, v[80:81], off offset:4
	global_load_b32 v81, v[78:79], off offset:4
	;; [unrolled: 1-line block ×3, first 2 shown]
	v_mad_co_u64_u32 v[78:79], null, 0xb0, v26, s[16:17]
	s_lshl_b32 s16, s14, 8
	s_wait_alu 0xfffe
	s_cmp_lt_i32 s16, s11
	global_load_b32 v78, v[78:79], off
	s_wait_loadcnt 0x24
	v_lshrrev_b32_e32 v83, 4, v98
	s_wait_loadcnt 0x23
	v_ashrrev_i32_e32 v85, v15, v99
	v_ashrrev_i32_e32 v86, v20, v99
	v_and_b32_e32 v79, 0xf0f0f0f, v98
	s_wait_loadcnt 0x22
	v_and_b32_e32 v87, 0xf0f0f0f, v100
	v_lshrrev_b32_e32 v98, 4, v100
	s_wait_loadcnt 0x21
	v_ashrrev_i32_e32 v99, v15, v101
	v_ashrrev_i32_e32 v100, v20, v101
	s_wait_loadcnt 0x20
	v_and_b32_e32 v101, 0xf0f0f0f, v102
	v_lshrrev_b32_e32 v102, 4, v102
	s_wait_loadcnt 0x1f
	v_ashrrev_i32_e32 v120, v15, v103
	v_ashrrev_i32_e32 v103, v20, v103
	;; [unrolled: 6-line block ×3, first 2 shown]
	v_and_b32_e32 v83, 0xf0f0f0f, v83
	v_lshlrev_b32_e32 v85, 4, v85
	v_lshlrev_b32_e32 v86, 4, v86
	v_and_b32_e32 v98, 0xf0f0f0f, v98
	v_lshlrev_b32_e32 v99, 4, v99
	v_lshlrev_b32_e32 v100, 4, v100
	;; [unrolled: 3-line block ×4, first 2 shown]
	v_and_or_b32 v79, 0x10101010, v85, v79
	v_and_or_b32 v83, 0x10101010, v86, v83
	;; [unrolled: 1-line block ×8, first 2 shown]
	s_wait_loadcnt 0x1c
	v_and_b32_e32 v123, 0xf0f0f0f, v106
	v_lshrrev_b32_e32 v106, 4, v106
	s_wait_loadcnt 0x1b
	v_ashrrev_i32_e32 v124, v15, v107
	v_ashrrev_i32_e32 v107, v20, v107
	s_wait_loadcnt 0x1a
	v_and_b32_e32 v125, 0xf0f0f0f, v108
	v_lshrrev_b32_e32 v108, 4, v108
	s_wait_loadcnt 0x19
	v_ashrrev_i32_e32 v126, v15, v109
	v_ashrrev_i32_e32 v109, v20, v109
	;; [unrolled: 6-line block ×4, first 2 shown]
	v_and_b32_e32 v106, 0xf0f0f0f, v106
	v_lshlrev_b32_e32 v124, 4, v124
	v_lshlrev_b32_e32 v107, 4, v107
	v_and_b32_e32 v108, 0xf0f0f0f, v108
	v_lshlrev_b32_e32 v126, 4, v126
	v_lshlrev_b32_e32 v109, 4, v109
	;; [unrolled: 3-line block ×4, first 2 shown]
	v_and_or_b32 v101, 0x10101010, v124, v123
	v_and_or_b32 v102, 0x10101010, v107, v106
	;; [unrolled: 1-line block ×8, first 2 shown]
	s_wait_loadcnt 0x14
	v_and_b32_e32 v131, 0xf0f0f0f, v114
	v_lshrrev_b32_e32 v114, 4, v114
	s_wait_loadcnt 0x13
	v_ashrrev_i32_e32 v132, v15, v115
	v_ashrrev_i32_e32 v115, v20, v115
	s_wait_loadcnt 0x12
	v_and_b32_e32 v133, 0xf0f0f0f, v116
	v_lshrrev_b32_e32 v116, 4, v116
	s_wait_loadcnt 0x11
	v_ashrrev_i32_e32 v134, v15, v117
	v_ashrrev_i32_e32 v117, v20, v117
	;; [unrolled: 6-line block ×4, first 2 shown]
	v_and_b32_e32 v114, 0xf0f0f0f, v114
	v_lshlrev_b32_e32 v132, 4, v132
	v_lshlrev_b32_e32 v115, 4, v115
	v_and_b32_e32 v116, 0xf0f0f0f, v116
	v_lshlrev_b32_e32 v134, 4, v134
	v_lshlrev_b32_e32 v117, 4, v117
	v_and_b32_e32 v92, 0xf0f0f0f, v92
	v_lshlrev_b32_e32 v136, 4, v136
	s_wait_loadcnt 0xc
	v_and_b32_e32 v139, 0xf0f0f0f, v91
	v_lshrrev_b32_e32 v91, 4, v91
	s_wait_loadcnt 0xb
	v_ashrrev_i32_e32 v140, v15, v95
	v_ashrrev_i32_e32 v95, v20, v95
	s_wait_loadcnt 0xa
	v_and_b32_e32 v141, 0xf0f0f0f, v96
	v_lshrrev_b32_e32 v96, 4, v96
	v_lshlrev_b32_e32 v93, 4, v93
	v_and_b32_e32 v94, 0xf0f0f0f, v94
	v_lshlrev_b32_e32 v138, 4, v138
	v_lshlrev_b32_e32 v90, 4, v90
	v_and_b32_e32 v91, 0xf0f0f0f, v91
	v_lshlrev_b32_e32 v140, 4, v140
	v_lshlrev_b32_e32 v95, 4, v95
	v_and_b32_e32 v96, 0xf0f0f0f, v96
	s_wait_loadcnt 0x9
	v_ashrrev_i32_e32 v142, v15, v88
	v_ashrrev_i32_e32 v88, v20, v88
	s_wait_loadcnt 0x8
	v_and_b32_e32 v143, 0xf0f0f0f, v89
	v_lshrrev_b32_e32 v89, 4, v89
	s_wait_loadcnt 0x7
	v_ashrrev_i32_e32 v144, v15, v97
	v_ashrrev_i32_e32 v97, v20, v97
	v_lshlrev_b32_e32 v142, 4, v142
	v_lshlrev_b32_e32 v88, 4, v88
	v_and_or_b32 v109, 0x10101010, v132, v131
	v_and_or_b32 v110, 0x10101010, v115, v114
	;; [unrolled: 1-line block ×8, first 2 shown]
	ds_store_2addr_b32 v25, v79, v83 offset1:8
	ds_store_2addr_b32 v63, v85, v86 offset0:8 offset1:16
	ds_store_2addr_b32 v64, v87, v98 offset0:16 offset1:24
	;; [unrolled: 1-line block ×10, first 2 shown]
	v_and_b32_e32 v79, 0xf0f0f0f, v89
	v_lshlrev_b32_e32 v85, 4, v97
	v_and_or_b32 v94, 0x10101010, v140, v139
	v_and_or_b32 v91, 0x10101010, v95, v91
	;; [unrolled: 1-line block ×4, first 2 shown]
	ds_store_2addr_b32 v73, v93, v90 offset0:88 offset1:96
	ds_store_2addr_b32 v74, v94, v91 offset0:96 offset1:104
	;; [unrolled: 1-line block ×3, first 2 shown]
	v_and_or_b32 v79, 0x10101010, v85, v79
	s_wait_loadcnt 0x6
	v_lshrrev_b32_e32 v85, 4, v118
	s_wait_loadcnt 0x5
	v_ashrrev_i32_e32 v87, v15, v119
	v_ashrrev_i32_e32 v88, v20, v119
	v_lshlrev_b32_e32 v83, 4, v144
	s_wait_loadcnt 0x4
	v_ashrrev_i32_e32 v84, v23, v84
	s_wait_loadcnt 0x3
	v_ashrrev_i32_e32 v80, v23, v80
	v_and_b32_e32 v86, 0xf0f0f0f, v118
	v_and_b32_e32 v85, 0xf0f0f0f, v85
	v_lshlrev_b32_e32 v87, 4, v87
	v_lshlrev_b32_e32 v88, 4, v88
	v_and_or_b32 v83, 0x10101010, v83, v143
	v_and_b32_e32 v84, 0xf0f0f0f, v84
	s_wait_loadcnt 0x2
	v_ashrrev_i32_e32 v81, v31, v81
	v_and_b32_e32 v80, 0xf0f0f0f, v80
	s_wait_loadcnt 0x1
	v_ashrrev_i32_e32 v82, v31, v82
	v_and_or_b32 v86, 0x10101010, v87, v86
	v_and_or_b32 v85, 0x10101010, v88, v85
	ds_store_2addr_b32 v76, v83, v79 offset0:112 offset1:120
	v_and_or_b32 v79, 0x30303030, v81, v84
	v_and_or_b32 v80, 0x30303030, v82, v80
	ds_store_2addr_b32 v77, v86, v85 offset0:120 offset1:128
	s_wait_loadcnt 0x0
	ds_store_b32 v29, v78
	ds_store_b32 v34, v79
	;; [unrolled: 1-line block ×3, first 2 shown]
	s_cbranch_scc0 .LBB193_4
; %bb.6:                                ;   in Loop: Header=BB193_5 Depth=1
	s_lshl_b32 s17, s14, 3
	s_wait_alu 0xfffe
	v_add_nc_u32_e32 v78, s17, v39
	s_delay_alu instid0(VALU_DEP_1)
	v_cmp_gt_i32_e32 vcc_lo, s5, v78
	s_and_b32 s21, s1, vcc_lo
	s_wait_alu 0xfffe
	s_and_saveexec_b32 s20, s21
	s_cbranch_execz .LBB193_8
; %bb.7:                                ;   in Loop: Header=BB193_5 Depth=1
	v_add_nc_u32_e32 v78, v48, v78
	s_delay_alu instid0(VALU_DEP_1)
	v_mad_co_i64_i32 v[78:79], null, v78, 36, v[0:1]
	global_load_b32 v78, v[78:79], off offset:4
	s_wait_loadcnt 0x0
	ds_store_b32 v38, v78
.LBB193_8:                              ;   in Loop: Header=BB193_5 Depth=1
	s_wait_alu 0xfffe
	s_or_b32 exec_lo, exec_lo, s20
	v_add_nc_u32_e32 v78, s17, v4
	s_delay_alu instid0(VALU_DEP_1)
	v_cmp_gt_i32_e32 vcc_lo, s5, v78
	s_and_b32 s21, s10, vcc_lo
	s_wait_alu 0xfffe
	s_and_saveexec_b32 s20, s21
	s_cbranch_execz .LBB193_10
; %bb.9:                                ;   in Loop: Header=BB193_5 Depth=1
	v_add_nc_u32_e32 v79, v48, v78
	s_delay_alu instid0(VALU_DEP_1)
	v_mad_co_i64_i32 v[79:80], null, v79, 36, s[2:3]
	global_load_b32 v79, v[79:80], off
	s_wait_loadcnt 0x0
	ds_store_b32 v54, v79
.LBB193_10:                             ;   in Loop: Header=BB193_5 Depth=1
	s_wait_alu 0xfffe
	s_or_b32 exec_lo, exec_lo, s20
	s_wait_dscnt 0x0
	s_barrier_signal -1
	s_barrier_wait -1
	global_inv scope:SCOPE_SE
	ds_load_b32 v80, v41
	ds_load_b32 v81, v43 offset:128
	ds_load_b32 v82, v44 offset:256
	;; [unrolled: 1-line block ×3, first 2 shown]
	s_mov_b32 s21, 0
	s_mov_b32 s20, -1
	s_wait_dscnt 0x3
	v_lshrrev_b32_e32 v83, 16, v80
	s_wait_dscnt 0x2
	v_lshrrev_b32_e32 v84, 16, v81
	;; [unrolled: 2-line block ×4, first 2 shown]
	v_cvt_f32_f16_e32 v79, v80
	v_cvt_f32_f16_e32 v80, v81
	;; [unrolled: 1-line block ×8, first 2 shown]
.LBB193_11:                             ;   Parent Loop BB193_5 Depth=1
                                        ; =>  This Inner Loop Header: Depth=2
	s_wait_alu 0xfffe
	s_lshr_b32 s22, s21, 2
	v_lshl_or_b32 v87, s21, 1, v9
	s_lshl_b32 s21, s21, 3
	s_wait_alu 0xfffe
	s_add_co_i32 s22, s22, 0x8200
	v_add_nc_u32_e32 v88, s21, v46
	v_add_nc_u32_e32 v89, s21, v47
	;; [unrolled: 1-line block ×4, first 2 shown]
	s_wait_alu 0xfffe
	v_add3_u32 v92, s22, v55, v56
	v_add3_u32 v93, s22, v57, v58
	;; [unrolled: 1-line block ×4, first 2 shown]
	v_lshlrev_b32_e32 v99, 2, v87
	v_lshrrev_b32_e32 v167, 1, v87
	ds_load_2addr_b32 v[103:104], v88 offset0:2 offset1:3
	ds_load_2addr_b32 v[105:106], v88 offset0:4 offset1:5
	ds_load_2addr_b32 v[107:108], v88 offset0:6 offset1:7
	ds_load_2addr_b32 v[109:110], v88 offset0:8 offset1:9
	ds_load_2addr_b32 v[111:112], v88 offset0:10 offset1:11
	ds_load_2addr_b32 v[113:114], v88 offset0:12 offset1:13
	ds_load_2addr_b32 v[115:116], v88 offset0:14 offset1:15
	ds_load_2addr_b32 v[117:118], v89 offset1:1
	ds_load_2addr_b32 v[119:120], v89 offset0:2 offset1:3
	ds_load_2addr_b32 v[121:122], v89 offset0:4 offset1:5
	ds_load_2addr_b32 v[123:124], v89 offset0:6 offset1:7
	ds_load_2addr_b32 v[125:126], v89 offset0:8 offset1:9
	ds_load_2addr_b32 v[127:128], v89 offset0:10 offset1:11
	ds_load_2addr_b32 v[129:130], v89 offset0:12 offset1:13
	ds_load_2addr_b32 v[131:132], v89 offset0:14 offset1:15
	ds_load_2addr_b32 v[133:134], v90 offset1:1
	;; [unrolled: 8-line block ×4, first 2 shown]
	ds_load_u16 v169, v92
	ds_load_u16 v170, v92 offset:8
	ds_load_u16 v171, v93
	ds_load_u16 v172, v93 offset:8
	;; [unrolled: 2-line block ×4, first 2 shown]
	ds_load_b128 v[87:90], v99 offset:35392
	ds_load_b128 v[91:94], v99 offset:35408
	;; [unrolled: 1-line block ×4, first 2 shown]
	ds_load_b64 v[167:168], v167 offset:36944
	s_wait_dscnt 0x15
	v_perm_b32 v177, v149, v150, 0xc0c0501
	s_wait_dscnt 0x14
	v_perm_b32 v178, v152, v151, 0x5010c0c
	v_perm_b32 v179, v149, v150, 0xc0c0703
	;; [unrolled: 1-line block ×7, first 2 shown]
	s_wait_dscnt 0x13
	v_perm_b32 v151, v154, v153, 0xc0c0602
	s_wait_dscnt 0x12
	v_perm_b32 v152, v156, v155, 0x6020c0c
	v_perm_b32 v183, v154, v153, 0xc0c0400
	s_wait_dscnt 0x8
	v_lshrrev_b16 v197, 8, v173
	v_and_b32_e32 v173, 0xff, v173
	v_perm_b32 v184, v156, v155, 0x4000c0c
	v_perm_b32 v185, v154, v153, 0xc0c0703
	s_wait_dscnt 0x4
	v_dot4_i32_iu8 v165, v87, v165, 0 neg_lo:[1,1,0]
	v_dot4_i32_iu8 v117, v87, v117, 0 neg_lo:[1,1,0]
	;; [unrolled: 1-line block ×3, first 2 shown]
	s_wait_dscnt 0x2
	v_dot4_i32_iu8 v109, v95, v109, 0 neg_lo:[1,1,0]
	v_dot4_i32_iu8 v125, v95, v125, 0 neg_lo:[1,1,0]
	;; [unrolled: 1-line block ×3, first 2 shown]
	v_perm_b32 v201, v87, v88, 0xc0c0501
	v_perm_b32 v203, v87, v88, 0xc0c0703
	;; [unrolled: 1-line block ×4, first 2 shown]
	v_dot4_i32_iu8 v165, v88, v166, v165 neg_lo:[1,1,0]
	v_dot4_i32_iu8 v117, v88, v118, v117 neg_lo:[1,1,0]
	v_dot4_i32_iu8 v88, v88, v134, v133 neg_lo:[1,1,0]
	v_perm_b32 v216, v95, v96, 0xc0c0501
	v_perm_b32 v218, v95, v96, 0xc0c0703
	;; [unrolled: 1-line block ×4, first 2 shown]
	v_dot4_i32_iu8 v109, v96, v110, v109 neg_lo:[1,1,0]
	v_dot4_i32_iu8 v110, v96, v126, v125 neg_lo:[1,1,0]
	;; [unrolled: 1-line block ×4, first 2 shown]
	v_perm_b32 v202, v90, v89, 0x5010c0c
	v_perm_b32 v204, v90, v89, 0x7030c0c
	;; [unrolled: 1-line block ×4, first 2 shown]
	v_dot4_i32_iu8 v103, v89, v103, v165 neg_lo:[1,1,0]
	v_dot4_i32_iu8 v117, v89, v119, v117 neg_lo:[1,1,0]
	;; [unrolled: 1-line block ×4, first 2 shown]
	v_perm_b32 v186, v156, v155, 0x7030c0c
	v_perm_b32 v153, v154, v153, 0xc0c0501
	;; [unrolled: 1-line block ×3, first 2 shown]
	v_dot4_i32_iu8 v89, v98, v144, v89 neg_lo:[1,1,0]
	v_dot4_i32_iu8 v88, v91, v137, v88 neg_lo:[1,1,0]
	v_perm_b32 v155, v157, v158, 0xc0c0501
	v_perm_b32 v156, v160, v159, 0x5010c0c
	;; [unrolled: 1-line block ×3, first 2 shown]
	s_wait_dscnt 0x1
	v_dot4_i32_iu8 v89, v99, v145, v89 neg_lo:[1,1,0]
	v_dot4_i32_iu8 v88, v92, v138, v88 neg_lo:[1,1,0]
	v_perm_b32 v188, v160, v159, 0x7030c0c
	v_perm_b32 v212, v92, v91, 0xc0c0703
	;; [unrolled: 1-line block ×3, first 2 shown]
	v_dot4_i32_iu8 v89, v100, v146, v89 neg_lo:[1,1,0]
	v_dot4_i32_iu8 v88, v93, v139, v88 neg_lo:[1,1,0]
	v_perm_b32 v214, v92, v91, 0xc0c0501
	v_perm_b32 v215, v94, v93, 0x5010c0c
	;; [unrolled: 1-line block ×3, first 2 shown]
	v_dot4_i32_iu8 v89, v101, v147, v89 neg_lo:[1,1,0]
	v_dot4_i32_iu8 v88, v94, v140, v88 neg_lo:[1,1,0]
	v_perm_b32 v219, v98, v97, 0x7030c0c
	v_or_b32_e32 v177, v178, v177
	v_or_b32_e32 v178, v180, v179
	;; [unrolled: 1-line block ×5, first 2 shown]
	v_and_b32_e32 v182, 0xffff, v197
	v_dot4_i32_iu8 v89, v102, v148, v89 neg_lo:[1,1,0]
	v_mul_lo_u32 v88, v88, v173
	v_perm_b32 v189, v157, v158, 0xc0c0400
	v_perm_b32 v190, v160, v159, 0x4000c0c
	;; [unrolled: 1-line block ×12, first 2 shown]
	v_lshrrev_b16 v163, 8, v169
	v_and_b32_e32 v164, 0xff, v169
	v_cvt_f32_ubyte0_e32 v169, v170
	v_cvt_f32_ubyte0_e32 v198, v174
	v_perm_b32 v208, v92, v91, 0xc0c0602
	v_perm_b32 v209, v94, v93, 0x6020c0c
	;; [unrolled: 1-line block ×10, first 2 shown]
	v_or_b32_e32 v149, v150, v149
	v_or_b32_e32 v150, v152, v151
	;; [unrolled: 1-line block ×12, first 2 shown]
	v_dot4_i32_iu8 v109, v97, v111, v109 neg_lo:[1,1,0]
	v_dot4_i32_iu8 v110, v97, v127, v110 neg_lo:[1,1,0]
	;; [unrolled: 1-line block ×6, first 2 shown]
	v_mul_lo_u32 v89, v89, v182
	v_cvt_f32_ubyte1_e32 v170, v170
	v_cvt_f32_ubyte1_e32 v174, v174
	v_perm_b32 v223, v100, v99, 0xc0c0602
	v_perm_b32 v224, v102, v101, 0x6020c0c
	;; [unrolled: 1-line block ×4, first 2 shown]
	v_or_b32_e32 v151, v184, v183
	v_or_b32_e32 v156, v190, v189
	;; [unrolled: 1-line block ×6, first 2 shown]
	v_and_b32_e32 v162, 0xffff, v163
	s_wait_dscnt 0x0
	v_fma_mix_f32 v163, v167, v169, 0 op_sel:[1,0,0] op_sel_hi:[1,0,0]
	v_fma_mix_f32 v181, v167, v198, 0 op_sel:[1,0,0] op_sel_hi:[1,0,0]
	v_or_b32_e32 v133, v209, v208
	v_or_b32_e32 v134, v211, v210
	v_or_b32_e32 v186, v221, v220
	v_or_b32_e32 v95, v222, v95
	v_or_b32_e32 v189, v228, v227
	v_or_b32_e32 v190, v230, v229
	v_dot4_i32_iu8 v111, v179, v126, 0 neg_lo:[1,1,0]
	v_dot4_i32_iu8 v87, v149, v87, 0 neg_lo:[1,1,0]
	;; [unrolled: 1-line block ×10, first 2 shown]
	v_cvt_f32_i32_e32 v88, v88
	v_or_b32_e32 v159, v192, v191
	v_or_b32_e32 v187, v224, v223
	;; [unrolled: 1-line block ×3, first 2 shown]
	v_fma_mix_f32 v163, v168, v170, v163 op_sel:[1,0,0] op_sel_hi:[1,0,0]
	v_fma_mix_f32 v170, v168, v174, v181 op_sel:[1,0,0] op_sel_hi:[1,0,0]
	v_dot4_i32_iu8 v125, v156, v186, 0 neg_lo:[1,1,0]
	v_dot4_i32_iu8 v95, v157, v95, 0 neg_lo:[1,1,0]
	;; [unrolled: 1-line block ×8, first 2 shown]
	v_add_nc_u32_e32 v91, v96, v97
	v_dot4_i32_iu8 v97, v92, v106, v103 neg_lo:[1,1,0]
	v_dot4_i32_iu8 v99, v92, v122, v104 neg_lo:[1,1,0]
	v_cvt_f32_i32_e32 v89, v89
	v_fma_mix_f32 v88, v167, v88, 0 op_sel_hi:[1,0,0]
	v_cvt_f32_ubyte0_e32 v196, v172
	v_cvt_f32_ubyte0_e32 v200, v176
	v_mul_f32_e32 v135, v170, v84
	v_dot4_i32_iu8 v95, v158, v187, v95 neg_lo:[1,1,0]
	v_dot4_i32_iu8 v98, v159, v188, v125 neg_lo:[1,1,0]
	v_add_nc_u32_e32 v96, v112, v111
	v_dot4_i32_iu8 v103, v100, v114, v105 neg_lo:[1,1,0]
	v_dot4_i32_iu8 v104, v100, v130, v109 neg_lo:[1,1,0]
	v_add3_u32 v87, v90, v87, v91
	v_dot4_i32_iu8 v91, v93, v107, v97 neg_lo:[1,1,0]
	v_dot4_i32_iu8 v92, v93, v123, v99 neg_lo:[1,1,0]
	v_fma_mix_f32 v88, v168, v89, v88 op_sel_hi:[1,0,0]
	v_lshrrev_b16 v195, 8, v171
	v_and_b32_e32 v171, 0xff, v171
	v_cvt_f32_ubyte1_e32 v172, v172
	v_lshrrev_b16 v199, 8, v175
	v_and_b32_e32 v175, 0xff, v175
	v_cvt_f32_ubyte1_e32 v176, v176
	v_fma_mix_f32 v169, v167, v196, 0 op_sel:[1,0,0] op_sel_hi:[1,0,0]
	v_fma_mix_f32 v183, v200, v167, 0 op_sel:[0,1,0] op_sel_hi:[0,1,0]
	v_add3_u32 v90, v98, v95, v96
	v_dot4_i32_iu8 v95, v101, v115, v103 neg_lo:[1,1,0]
	v_dot4_i32_iu8 v96, v101, v131, v104 neg_lo:[1,1,0]
	;; [unrolled: 1-line block ×4, first 2 shown]
	v_fma_f32 v88, v88, v81, -v135
	v_and_b32_e32 v180, 0xffff, v195
	v_and_b32_e32 v184, 0xffff, v199
	v_fma_mix_f32 v169, v168, v172, v169 op_sel:[1,0,0] op_sel_hi:[1,0,0]
	v_fma_mix_f32 v172, v176, v168, v183 op_sel:[0,1,0] op_sel_hi:[0,1,0]
	v_mul_lo_u32 v87, v87, v175
	v_dot4_i32_iu8 v93, v102, v116, v95 neg_lo:[1,1,0]
	v_dot4_i32_iu8 v95, v102, v132, v96 neg_lo:[1,1,0]
	v_mul_lo_u32 v92, v92, v171
	v_add_f32_e32 v37, v37, v88
	v_mul_lo_u32 v91, v91, v164
	v_mul_lo_u32 v90, v90, v184
	;; [unrolled: 1-line block ×3, first 2 shown]
	v_mul_f32_e32 v95, v172, v85
	v_mul_lo_u32 v93, v93, v162
	v_cvt_f32_i32_e32 v87, v87
	v_cvt_f32_i32_e32 v92, v92
	v_mul_f32_e32 v126, v163, v82
	v_cvt_f32_i32_e32 v91, v91
	v_cvt_f32_i32_e32 v90, v90
	v_fma_mix_f32 v87, v87, v167, 0 op_sel_hi:[0,1,0]
	v_cvt_f32_i32_e32 v94, v94
	v_cvt_f32_i32_e32 v93, v93
	v_fma_mix_f32 v91, v167, v91, 0 op_sel_hi:[1,0,0]
	v_fma_mix_f32 v92, v167, v92, 0 op_sel_hi:[1,0,0]
	v_mul_f32_e32 v127, v169, v83
	v_fma_mix_f32 v87, v90, v168, v87 op_sel_hi:[0,1,0]
	s_mov_b32 s21, 8
	v_fma_mix_f32 v90, v168, v93, v91 op_sel_hi:[1,0,0]
	v_fma_mix_f32 v91, v168, v94, v92 op_sel_hi:[1,0,0]
	s_and_b32 vcc_lo, exec_lo, s20
	v_fma_f32 v87, v87, v86, -v95
	s_mov_b32 s20, 0
	v_fma_f32 v89, v90, v79, -v126
	v_fma_f32 v90, v91, v80, -v127
	s_delay_alu instid0(VALU_DEP_2) | instskip(NEXT) | instid1(VALU_DEP_2)
	v_dual_add_f32 v2, v2, v87 :: v_dual_add_f32 v5, v5, v89
	v_add_f32_e32 v42, v42, v90
	s_wait_alu 0xfffe
	s_cbranch_vccnz .LBB193_11
; %bb.12:                               ;   in Loop: Header=BB193_5 Depth=1
	s_bitset1_b32 s16, 7
	s_wait_loadcnt 0x0
	s_wait_alu 0xfffe
	s_cmp_ge_i32 s16, s11
	s_barrier_signal -1
	s_barrier_wait -1
	global_inv scope:SCOPE_SE
	s_cbranch_scc1 .LBB193_4
; %bb.13:                               ;   in Loop: Header=BB193_5 Depth=1
	v_add_nc_u32_e32 v79, s17, v40
	s_delay_alu instid0(VALU_DEP_1)
	v_cmp_gt_i32_e32 vcc_lo, s5, v79
	s_and_b32 s17, s1, vcc_lo
	s_wait_alu 0xfffe
	s_and_saveexec_b32 s16, s17
	s_cbranch_execz .LBB193_15
; %bb.14:                               ;   in Loop: Header=BB193_5 Depth=1
	v_add_nc_u32_e32 v79, v48, v79
	s_delay_alu instid0(VALU_DEP_1)
	v_mad_co_i64_i32 v[79:80], null, v79, 36, v[0:1]
	global_load_b32 v79, v[79:80], off offset:4
	s_wait_loadcnt 0x0
	ds_store_b32 v38, v79
.LBB193_15:                             ;   in Loop: Header=BB193_5 Depth=1
	s_wait_alu 0xfffe
	s_or_b32 exec_lo, exec_lo, s16
	s_and_saveexec_b32 s16, s0
	s_cbranch_execz .LBB193_18
; %bb.16:                               ;   in Loop: Header=BB193_5 Depth=1
	v_or_b32_e32 v79, 4, v78
	s_delay_alu instid0(VALU_DEP_1)
	v_cmp_gt_i32_e32 vcc_lo, s5, v79
	s_and_b32 s17, s1, vcc_lo
	s_wait_alu 0xfffe
	s_and_b32 exec_lo, exec_lo, s17
	s_cbranch_execz .LBB193_18
; %bb.17:                               ;   in Loop: Header=BB193_5 Depth=1
	v_ashrrev_i32_e32 v79, 31, v78
	v_add_co_u32 v78, vcc_lo, v48, v78
	s_wait_alu 0xfffd
	s_delay_alu instid0(VALU_DEP_2) | instskip(NEXT) | instid1(VALU_DEP_2)
	v_add_co_ci_u32_e64 v80, null, v51, v79, vcc_lo
	v_mad_co_u64_u32 v[78:79], null, v78, 36, s[2:3]
	s_delay_alu instid0(VALU_DEP_1)
	v_mad_i32_i24 v79, v80, 36, v79
	global_load_b32 v78, v[78:79], off offset:144
	s_wait_loadcnt 0x0
	ds_store_b32 v54, v78
.LBB193_18:                             ;   in Loop: Header=BB193_5 Depth=1
	s_wait_alu 0xfffe
	s_or_b32 exec_lo, exec_lo, s16
	s_wait_loadcnt_dscnt 0x0
	s_barrier_signal -1
	s_barrier_wait -1
	global_inv scope:SCOPE_SE
	ds_load_b32 v79, v41
	ds_load_b32 v80, v43 offset:128
	ds_load_b32 v81, v44 offset:256
	;; [unrolled: 1-line block ×3, first 2 shown]
	s_mov_b32 s16, 16
	s_wait_dscnt 0x3
	v_lshrrev_b32_e32 v82, 16, v79
	s_wait_dscnt 0x2
	v_lshrrev_b32_e32 v83, 16, v80
	;; [unrolled: 2-line block ×4, first 2 shown]
	v_cvt_f32_f16_e32 v78, v79
	v_cvt_f32_f16_e32 v79, v80
	;; [unrolled: 1-line block ×8, first 2 shown]
.LBB193_19:                             ;   Parent Loop BB193_5 Depth=1
                                        ; =>  This Inner Loop Header: Depth=2
	s_wait_alu 0xfffe
	s_lshl_b32 s20, s16, 1
	s_lshr_b32 s17, s16, 2
	s_lshl_b32 s21, s16, 3
	s_wait_alu 0xfffe
	v_and_or_b32 v86, s20, 16, v9
	s_and_b32 s17, s17, 0x3ffffffe
	v_add_nc_u32_e32 v87, s21, v46
	s_wait_alu 0xfffe
	s_add_co_i32 s17, s17, 0x8200
	v_add_nc_u32_e32 v88, s21, v47
	v_add_nc_u32_e32 v89, s21, v49
	;; [unrolled: 1-line block ×3, first 2 shown]
	s_wait_alu 0xfffe
	v_add3_u32 v91, s17, v55, v56
	v_add3_u32 v92, s17, v57, v58
	;; [unrolled: 1-line block ×4, first 2 shown]
	v_lshlrev_b32_e32 v98, 2, v86
	v_lshrrev_b32_e32 v166, 1, v86
	ds_load_2addr_b32 v[102:103], v87 offset0:2 offset1:3
	ds_load_2addr_b32 v[104:105], v87 offset0:4 offset1:5
	ds_load_2addr_b32 v[106:107], v87 offset0:6 offset1:7
	ds_load_2addr_b32 v[108:109], v87 offset0:8 offset1:9
	ds_load_2addr_b32 v[110:111], v87 offset0:10 offset1:11
	ds_load_2addr_b32 v[112:113], v87 offset0:12 offset1:13
	ds_load_2addr_b32 v[114:115], v87 offset0:14 offset1:15
	ds_load_2addr_b32 v[116:117], v88 offset1:1
	ds_load_2addr_b32 v[118:119], v88 offset0:2 offset1:3
	ds_load_2addr_b32 v[120:121], v88 offset0:4 offset1:5
	ds_load_2addr_b32 v[122:123], v88 offset0:6 offset1:7
	ds_load_2addr_b32 v[124:125], v88 offset0:8 offset1:9
	ds_load_2addr_b32 v[126:127], v88 offset0:10 offset1:11
	ds_load_2addr_b32 v[128:129], v88 offset0:12 offset1:13
	ds_load_2addr_b32 v[130:131], v88 offset0:14 offset1:15
	ds_load_2addr_b32 v[132:133], v89 offset1:1
	;; [unrolled: 8-line block ×4, first 2 shown]
	ds_load_u16 v168, v91
	ds_load_u16 v169, v91 offset:8
	ds_load_u16 v170, v92
	ds_load_u16 v171, v92 offset:8
	;; [unrolled: 2-line block ×4, first 2 shown]
	ds_load_b128 v[86:89], v98 offset:35392
	ds_load_b128 v[90:93], v98 offset:35408
	;; [unrolled: 1-line block ×4, first 2 shown]
	ds_load_b64 v[166:167], v166 offset:36944
	s_wait_dscnt 0x15
	v_perm_b32 v176, v148, v149, 0xc0c0501
	s_wait_dscnt 0x14
	v_perm_b32 v177, v151, v150, 0x5010c0c
	v_perm_b32 v178, v148, v149, 0xc0c0703
	;; [unrolled: 1-line block ×7, first 2 shown]
	s_wait_dscnt 0x13
	v_perm_b32 v150, v153, v152, 0xc0c0602
	s_wait_dscnt 0x12
	v_perm_b32 v151, v155, v154, 0x6020c0c
	v_perm_b32 v182, v153, v152, 0xc0c0400
	;; [unrolled: 1-line block ×7, first 2 shown]
	s_wait_dscnt 0x11
	v_perm_b32 v154, v156, v157, 0xc0c0501
	s_wait_dscnt 0x10
	v_perm_b32 v155, v159, v158, 0x5010c0c
	v_perm_b32 v186, v156, v157, 0xc0c0703
	;; [unrolled: 1-line block ×5, first 2 shown]
	s_wait_dscnt 0x4
	v_dot4_i32_iu8 v164, v86, v164, 0 neg_lo:[1,1,0]
	v_dot4_i32_iu8 v116, v86, v116, 0 neg_lo:[1,1,0]
	s_wait_dscnt 0x2
	v_dot4_i32_iu8 v108, v94, v108, 0 neg_lo:[1,1,0]
	v_dot4_i32_iu8 v124, v94, v124, 0 neg_lo:[1,1,0]
	;; [unrolled: 1-line block ×4, first 2 shown]
	v_or_b32_e32 v176, v177, v176
	v_perm_b32 v177, v86, v87, 0xc0c0501
	v_perm_b32 v200, v89, v88, 0x5010c0c
	v_or_b32_e32 v178, v179, v178
	v_perm_b32 v179, v86, v87, 0xc0c0703
	v_perm_b32 v201, v89, v88, 0x7030c0c
	;; [unrolled: 1-line block ×11, first 2 shown]
	v_or_b32_e32 v180, v181, v180
	v_perm_b32 v181, v86, v87, 0xc0c0400
	v_perm_b32 v202, v89, v88, 0x4000c0c
	v_or_b32_e32 v148, v149, v148
	v_perm_b32 v86, v86, v87, 0xc0c0602
	v_perm_b32 v149, v89, v88, 0x6020c0c
	v_or_b32_e32 v150, v151, v150
	v_perm_b32 v151, v91, v90, 0xc0c0602
	v_perm_b32 v203, v93, v92, 0x6020c0c
	v_or_b32_e32 v184, v185, v184
	v_perm_b32 v185, v91, v90, 0xc0c0703
	v_perm_b32 v205, v93, v92, 0x7030c0c
	v_or_b32_e32 v152, v153, v152
	v_perm_b32 v153, v91, v90, 0xc0c0501
	v_perm_b32 v206, v93, v92, 0x5010c0c
	v_or_b32_e32 v154, v155, v154
	v_perm_b32 v155, v94, v95, 0xc0c0501
	v_perm_b32 v207, v97, v96, 0x5010c0c
	v_or_b32_e32 v186, v187, v186
	v_perm_b32 v187, v94, v95, 0xc0c0703
	v_perm_b32 v208, v97, v96, 0x7030c0c
	v_or_b32_e32 v188, v189, v188
	v_perm_b32 v189, v94, v95, 0xc0c0400
	v_perm_b32 v94, v94, v95, 0xc0c0602
	v_dot4_i32_iu8 v164, v87, v165, v164 neg_lo:[1,1,0]
	v_dot4_i32_iu8 v116, v87, v117, v116 neg_lo:[1,1,0]
	v_dot4_i32_iu8 v108, v95, v109, v108 neg_lo:[1,1,0]
	v_dot4_i32_iu8 v109, v95, v125, v124 neg_lo:[1,1,0]
	v_dot4_i32_iu8 v87, v87, v133, v132 neg_lo:[1,1,0]
	v_dot4_i32_iu8 v95, v95, v141, v140 neg_lo:[1,1,0]
	v_or_b32_e32 v117, v200, v177
	v_or_b32_e32 v124, v201, v179
	v_perm_b32 v191, v163, v162, 0x4000c0c
	v_or_b32_e32 v182, v183, v182
	v_perm_b32 v183, v91, v90, 0xc0c0400
	v_perm_b32 v204, v93, v92, 0x4000c0c
	;; [unrolled: 1-line block ×3, first 2 shown]
	v_or_b32_e32 v156, v157, v156
	v_perm_b32 v157, v97, v96, 0x6020c0c
	v_or_b32_e32 v158, v159, v158
	s_wait_dscnt 0x1
	v_perm_b32 v159, v99, v98, 0xc0c0602
	v_perm_b32 v210, v101, v100, 0x6020c0c
	v_or_b32_e32 v192, v193, v192
	v_perm_b32 v193, v99, v98, 0xc0c0703
	v_perm_b32 v212, v101, v100, 0x7030c0c
	v_or_b32_e32 v160, v161, v160
	;; [unrolled: 3-line block ×3, first 2 shown]
	v_or_b32_e32 v86, v149, v86
	v_or_b32_e32 v132, v203, v151
	;; [unrolled: 1-line block ×6, first 2 shown]
	v_dot4_i32_iu8 v102, v88, v102, v164 neg_lo:[1,1,0]
	v_dot4_i32_iu8 v116, v88, v118, v116 neg_lo:[1,1,0]
	;; [unrolled: 1-line block ×8, first 2 shown]
	v_or_b32_e32 v190, v191, v190
	v_perm_b32 v191, v99, v98, 0xc0c0400
	v_perm_b32 v211, v101, v100, 0x4000c0c
	v_or_b32_e32 v133, v204, v183
	v_or_b32_e32 v153, v209, v189
	;; [unrolled: 1-line block ×6, first 2 shown]
	v_dot4_i32_iu8 v110, v180, v125, 0 neg_lo:[1,1,0]
	v_dot4_i32_iu8 v86, v148, v86, 0 neg_lo:[1,1,0]
	;; [unrolled: 1-line block ×9, first 2 shown]
	v_or_b32_e32 v157, v211, v191
	v_dot4_i32_iu8 v124, v188, v153, 0 neg_lo:[1,1,0]
	v_dot4_i32_iu8 v94, v156, v94, 0 neg_lo:[1,1,0]
	v_dot4_i32_iu8 v108, v97, v111, v108 neg_lo:[1,1,0]
	v_dot4_i32_iu8 v86, v150, v132, v86 neg_lo:[1,1,0]
	v_dot4_i32_iu8 v89, v182, v133, v110 neg_lo:[1,1,0]
	v_dot4_i32_iu8 v110, v192, v159, v118 neg_lo:[1,1,0]
	v_dot4_i32_iu8 v111, v160, v161, v117 neg_lo:[1,1,0]
	v_dot4_i32_iu8 v102, v90, v104, v102 neg_lo:[1,1,0]
	v_dot4_i32_iu8 v103, v90, v120, v103 neg_lo:[1,1,0]
	v_dot4_i32_iu8 v87, v90, v136, v87 neg_lo:[1,1,0]
	v_add_nc_u32_e32 v90, v95, v96
	v_dot4_i32_iu8 v109, v97, v127, v109 neg_lo:[1,1,0]
	v_lshrrev_b16 v198, 8, v174
	v_and_b32_e32 v174, 0xff, v174
	v_dot4_i32_iu8 v88, v97, v143, v88 neg_lo:[1,1,0]
	v_dot4_i32_iu8 v94, v158, v155, v94 neg_lo:[1,1,0]
	;; [unrolled: 1-line block ×3, first 2 shown]
	v_add_nc_u32_e32 v95, v111, v110
	v_add3_u32 v86, v89, v86, v90
	v_dot4_i32_iu8 v104, v98, v112, v108 neg_lo:[1,1,0]
	v_dot4_i32_iu8 v108, v98, v128, v109 neg_lo:[1,1,0]
	v_and_b32_e32 v198, 0xffff, v198
	v_add3_u32 v89, v97, v94, v95
	v_mul_lo_u32 v86, v86, v174
	v_lshrrev_b16 v162, 8, v168
	v_and_b32_e32 v163, 0xff, v168
	v_cvt_f32_ubyte0_e32 v168, v169
	v_cvt_f32_ubyte0_e32 v195, v171
	;; [unrolled: 1-line block ×3, first 2 shown]
	v_dot4_i32_iu8 v88, v98, v144, v88 neg_lo:[1,1,0]
	v_dot4_i32_iu8 v96, v91, v105, v102 neg_lo:[1,1,0]
	v_dot4_i32_iu8 v98, v91, v121, v103 neg_lo:[1,1,0]
	v_dot4_i32_iu8 v102, v99, v113, v104 neg_lo:[1,1,0]
	v_dot4_i32_iu8 v103, v99, v129, v108 neg_lo:[1,1,0]
	v_mul_lo_u32 v89, v89, v198
	v_cvt_f32_ubyte1_e32 v169, v169
	v_lshrrev_b16 v194, 8, v170
	v_cvt_f32_ubyte1_e32 v171, v171
	v_cvt_f32_ubyte1_e32 v175, v175
	s_wait_dscnt 0x0
	v_fma_mix_f32 v168, v166, v168, 0 op_sel:[1,0,0] op_sel_hi:[1,0,0]
	v_fma_mix_f32 v195, v166, v195, 0 op_sel:[1,0,0] op_sel_hi:[1,0,0]
	;; [unrolled: 1-line block ×3, first 2 shown]
	v_dot4_i32_iu8 v87, v91, v137, v87 neg_lo:[1,1,0]
	v_dot4_i32_iu8 v94, v100, v114, v102 neg_lo:[1,1,0]
	;; [unrolled: 1-line block ×3, first 2 shown]
	v_cvt_f32_i32_e32 v86, v86
	v_and_b32_e32 v194, 0xffff, v194
	v_fma_mix_f32 v165, v167, v169, v168 op_sel:[1,0,0] op_sel_hi:[1,0,0]
	v_fma_mix_f32 v168, v167, v171, v195 op_sel:[1,0,0] op_sel_hi:[1,0,0]
	;; [unrolled: 1-line block ×3, first 2 shown]
	v_dot4_i32_iu8 v90, v92, v106, v96 neg_lo:[1,1,0]
	v_dot4_i32_iu8 v91, v92, v122, v98 neg_lo:[1,1,0]
	;; [unrolled: 1-line block ×5, first 2 shown]
	v_cvt_f32_i32_e32 v89, v89
	v_fma_mix_f32 v86, v86, v166, 0 op_sel_hi:[0,1,0]
	v_dot4_i32_iu8 v88, v99, v145, v88 neg_lo:[1,1,0]
	v_dot4_i32_iu8 v90, v93, v107, v90 neg_lo:[1,1,0]
	;; [unrolled: 1-line block ×4, first 2 shown]
	v_mul_lo_u32 v93, v94, v194
	v_mul_f32_e32 v94, v171, v84
	v_fma_mix_f32 v86, v89, v167, v86 op_sel_hi:[0,1,0]
	v_and_b32_e32 v170, 0xff, v170
	v_lshrrev_b16 v196, 8, v172
	v_and_b32_e32 v172, 0xff, v172
	v_dot4_i32_iu8 v88, v100, v146, v88 neg_lo:[1,1,0]
	v_fma_f32 v86, v86, v85, -v94
	v_and_b32_e32 v162, 0xffff, v162
	v_and_b32_e32 v196, 0xffff, v196
	v_mul_lo_u32 v91, v91, v170
	v_dot4_i32_iu8 v88, v101, v147, v88 neg_lo:[1,1,0]
	v_mul_lo_u32 v87, v87, v172
	v_add_f32_e32 v2, v2, v86
	v_mul_lo_u32 v90, v90, v163
	v_cvt_f32_ubyte0_e32 v197, v173
	v_mul_lo_u32 v92, v92, v162
	v_mul_lo_u32 v88, v88, v196
	v_cvt_f32_ubyte1_e32 v173, v173
	v_cvt_f32_i32_e32 v91, v91
	v_fma_mix_f32 v197, v166, v197, 0 op_sel:[1,0,0] op_sel_hi:[1,0,0]
	v_cvt_f32_i32_e32 v87, v87
	v_cvt_f32_i32_e32 v90, v90
	;; [unrolled: 1-line block ×4, first 2 shown]
	v_fma_mix_f32 v169, v167, v173, v197 op_sel:[1,0,0] op_sel_hi:[1,0,0]
	v_cvt_f32_i32_e32 v88, v88
	v_fma_mix_f32 v90, v166, v90, 0 op_sel_hi:[1,0,0]
	v_fma_mix_f32 v91, v166, v91, 0 op_sel_hi:[1,0,0]
	v_fma_mix_f32 v87, v166, v87, 0 op_sel_hi:[1,0,0]
	v_dual_mul_f32 v125, v165, v81 :: v_dual_mul_f32 v126, v168, v82
	v_mul_f32_e32 v134, v169, v83
	v_fma_mix_f32 v89, v167, v92, v90 op_sel_hi:[1,0,0]
	v_fma_mix_f32 v90, v167, v93, v91 op_sel_hi:[1,0,0]
	;; [unrolled: 1-line block ×3, first 2 shown]
	s_add_co_i32 s17, s16, 8
	s_cmp_lt_u32 s16, 24
	v_fma_f32 v88, v89, v78, -v125
	v_fma_f32 v89, v90, v79, -v126
	;; [unrolled: 1-line block ×3, first 2 shown]
	s_wait_alu 0xfffe
	s_mov_b32 s16, s17
	s_delay_alu instid0(VALU_DEP_2) | instskip(NEXT) | instid1(VALU_DEP_2)
	v_dual_add_f32 v5, v5, v88 :: v_dual_add_f32 v42, v42, v89
	v_add_f32_e32 v37, v37, v87
	s_cbranch_scc1 .LBB193_19
; %bb.20:                               ;   in Loop: Header=BB193_5 Depth=1
	s_wait_loadcnt 0x0
	s_barrier_signal -1
	s_barrier_wait -1
	global_inv scope:SCOPE_SE
	s_branch .LBB193_4
.LBB193_21:
	s_mul_i32 s0, s7, s4
	s_wait_loadcnt 0x0
	s_wait_alu 0xfffe
	v_cmp_gt_i32_e32 vcc_lo, s0, v3
	s_and_saveexec_b32 s0, vcc_lo
	s_cbranch_execz .LBB193_30
; %bb.22:
	v_mul_lo_u32 v0, v3, s6
	v_add_nc_u32_e32 v1, s18, v4
	s_mov_b32 s0, exec_lo
	s_delay_alu instid0(VALU_DEP_1)
	v_cmpx_gt_u32_e64 s6, v1
	s_cbranch_execz .LBB193_24
; %bb.23:
	s_delay_alu instid0(VALU_DEP_3) | instskip(NEXT) | instid1(VALU_DEP_1)
	v_dual_mov_b32 v4, 0 :: v_dual_add_nc_u32 v3, v0, v1
	v_lshlrev_b64_e32 v[3:4], 2, v[3:4]
	s_delay_alu instid0(VALU_DEP_1) | instskip(SKIP_1) | instid1(VALU_DEP_2)
	v_add_co_u32 v3, vcc_lo, s8, v3
	s_wait_alu 0xfffd
	v_add_co_ci_u32_e64 v4, null, s9, v4, vcc_lo
	global_store_b32 v[3:4], v5, off
.LBB193_24:
	s_wait_alu 0xfffe
	s_or_b32 exec_lo, exec_lo, s0
	v_add_nc_u32_e32 v3, 32, v1
	s_mov_b32 s0, exec_lo
	s_delay_alu instid0(VALU_DEP_1)
	v_cmpx_gt_u32_e64 s6, v3
	s_cbranch_execz .LBB193_26
; %bb.25:
	v_dual_mov_b32 v4, 0 :: v_dual_add_nc_u32 v3, v0, v3
	s_delay_alu instid0(VALU_DEP_1) | instskip(NEXT) | instid1(VALU_DEP_1)
	v_lshlrev_b64_e32 v[3:4], 2, v[3:4]
	v_add_co_u32 v3, vcc_lo, s8, v3
	s_wait_alu 0xfffd
	s_delay_alu instid0(VALU_DEP_2)
	v_add_co_ci_u32_e64 v4, null, s9, v4, vcc_lo
	global_store_b32 v[3:4], v42, off
.LBB193_26:
	s_wait_alu 0xfffe
	s_or_b32 exec_lo, exec_lo, s0
	v_add_nc_u32_e32 v3, 64, v1
	s_mov_b32 s0, exec_lo
	s_delay_alu instid0(VALU_DEP_1)
	v_cmpx_gt_u32_e64 s6, v3
	s_cbranch_execz .LBB193_28
; %bb.27:
	v_dual_mov_b32 v4, 0 :: v_dual_add_nc_u32 v3, v0, v3
	s_delay_alu instid0(VALU_DEP_1) | instskip(NEXT) | instid1(VALU_DEP_1)
	v_lshlrev_b64_e32 v[3:4], 2, v[3:4]
	v_add_co_u32 v3, vcc_lo, s8, v3
	s_wait_alu 0xfffd
	s_delay_alu instid0(VALU_DEP_2)
	v_add_co_ci_u32_e64 v4, null, s9, v4, vcc_lo
	global_store_b32 v[3:4], v37, off
.LBB193_28:
	s_wait_alu 0xfffe
	s_or_b32 exec_lo, exec_lo, s0
	v_add_nc_u32_e32 v1, 0x60, v1
	s_delay_alu instid0(VALU_DEP_1)
	v_cmp_gt_u32_e32 vcc_lo, s6, v1
	s_and_b32 exec_lo, exec_lo, vcc_lo
	s_cbranch_execz .LBB193_30
; %bb.29:
	v_dual_mov_b32 v1, 0 :: v_dual_add_nc_u32 v0, v0, v1
	s_delay_alu instid0(VALU_DEP_1) | instskip(NEXT) | instid1(VALU_DEP_1)
	v_lshlrev_b64_e32 v[0:1], 2, v[0:1]
	v_add_co_u32 v0, vcc_lo, s8, v0
	s_wait_alu 0xfffd
	s_delay_alu instid0(VALU_DEP_2)
	v_add_co_ci_u32_e64 v1, null, s9, v1, vcc_lo
	global_store_b32 v[0:1], v2, off
.LBB193_30:
	s_nop 0
	s_sendmsg sendmsg(MSG_DEALLOC_VGPRS)
	s_endpgm
	.section	.rodata,"a",@progbits
	.p2align	6, 0x0
	.amdhsa_kernel _ZL8moe_q5_KIfLb0EEvPKvS1_PT_PKiS5_S5_iiiiiii
		.amdhsa_group_segment_fixed_size 37072
		.amdhsa_private_segment_fixed_size 0
		.amdhsa_kernarg_size 76
		.amdhsa_user_sgpr_count 2
		.amdhsa_user_sgpr_dispatch_ptr 0
		.amdhsa_user_sgpr_queue_ptr 0
		.amdhsa_user_sgpr_kernarg_segment_ptr 1
		.amdhsa_user_sgpr_dispatch_id 0
		.amdhsa_user_sgpr_private_segment_size 0
		.amdhsa_wavefront_size32 1
		.amdhsa_uses_dynamic_stack 0
		.amdhsa_enable_private_segment 0
		.amdhsa_system_sgpr_workgroup_id_x 1
		.amdhsa_system_sgpr_workgroup_id_y 1
		.amdhsa_system_sgpr_workgroup_id_z 0
		.amdhsa_system_sgpr_workgroup_info 0
		.amdhsa_system_vgpr_workitem_id 1
		.amdhsa_next_free_vgpr 231
		.amdhsa_next_free_sgpr 23
		.amdhsa_reserve_vcc 1
		.amdhsa_float_round_mode_32 0
		.amdhsa_float_round_mode_16_64 0
		.amdhsa_float_denorm_mode_32 3
		.amdhsa_float_denorm_mode_16_64 3
		.amdhsa_fp16_overflow 0
		.amdhsa_workgroup_processor_mode 1
		.amdhsa_memory_ordered 1
		.amdhsa_forward_progress 1
		.amdhsa_inst_pref_size 78
		.amdhsa_round_robin_scheduling 0
		.amdhsa_exception_fp_ieee_invalid_op 0
		.amdhsa_exception_fp_denorm_src 0
		.amdhsa_exception_fp_ieee_div_zero 0
		.amdhsa_exception_fp_ieee_overflow 0
		.amdhsa_exception_fp_ieee_underflow 0
		.amdhsa_exception_fp_ieee_inexact 0
		.amdhsa_exception_int_div_zero 0
	.end_amdhsa_kernel
	.section	.text._ZL8moe_q5_KIfLb0EEvPKvS1_PT_PKiS5_S5_iiiiiii,"axG",@progbits,_ZL8moe_q5_KIfLb0EEvPKvS1_PT_PKiS5_S5_iiiiiii,comdat
.Lfunc_end193:
	.size	_ZL8moe_q5_KIfLb0EEvPKvS1_PT_PKiS5_S5_iiiiiii, .Lfunc_end193-_ZL8moe_q5_KIfLb0EEvPKvS1_PT_PKiS5_S5_iiiiiii
                                        ; -- End function
	.set _ZL8moe_q5_KIfLb0EEvPKvS1_PT_PKiS5_S5_iiiiiii.num_vgpr, 231
	.set _ZL8moe_q5_KIfLb0EEvPKvS1_PT_PKiS5_S5_iiiiiii.num_agpr, 0
	.set _ZL8moe_q5_KIfLb0EEvPKvS1_PT_PKiS5_S5_iiiiiii.numbered_sgpr, 23
	.set _ZL8moe_q5_KIfLb0EEvPKvS1_PT_PKiS5_S5_iiiiiii.num_named_barrier, 0
	.set _ZL8moe_q5_KIfLb0EEvPKvS1_PT_PKiS5_S5_iiiiiii.private_seg_size, 0
	.set _ZL8moe_q5_KIfLb0EEvPKvS1_PT_PKiS5_S5_iiiiiii.uses_vcc, 1
	.set _ZL8moe_q5_KIfLb0EEvPKvS1_PT_PKiS5_S5_iiiiiii.uses_flat_scratch, 0
	.set _ZL8moe_q5_KIfLb0EEvPKvS1_PT_PKiS5_S5_iiiiiii.has_dyn_sized_stack, 0
	.set _ZL8moe_q5_KIfLb0EEvPKvS1_PT_PKiS5_S5_iiiiiii.has_recursion, 0
	.set _ZL8moe_q5_KIfLb0EEvPKvS1_PT_PKiS5_S5_iiiiiii.has_indirect_call, 0
	.section	.AMDGPU.csdata,"",@progbits
; Kernel info:
; codeLenInByte = 9872
; TotalNumSgprs: 25
; NumVgprs: 231
; ScratchSize: 0
; MemoryBound: 0
; FloatMode: 240
; IeeeMode: 1
; LDSByteSize: 37072 bytes/workgroup (compile time only)
; SGPRBlocks: 0
; VGPRBlocks: 28
; NumSGPRsForWavesPerEU: 25
; NumVGPRsForWavesPerEU: 231
; Occupancy: 6
; WaveLimiterHint : 1
; COMPUTE_PGM_RSRC2:SCRATCH_EN: 0
; COMPUTE_PGM_RSRC2:USER_SGPR: 2
; COMPUTE_PGM_RSRC2:TRAP_HANDLER: 0
; COMPUTE_PGM_RSRC2:TGID_X_EN: 1
; COMPUTE_PGM_RSRC2:TGID_Y_EN: 1
; COMPUTE_PGM_RSRC2:TGID_Z_EN: 0
; COMPUTE_PGM_RSRC2:TIDIG_COMP_CNT: 1
	.section	.text._ZL8moe_q5_KIfLb1EEvPKvS1_PT_PKiS5_S5_iiiiiii,"axG",@progbits,_ZL8moe_q5_KIfLb1EEvPKvS1_PT_PKiS5_S5_iiiiiii,comdat
	.globl	_ZL8moe_q5_KIfLb1EEvPKvS1_PT_PKiS5_S5_iiiiiii ; -- Begin function _ZL8moe_q5_KIfLb1EEvPKvS1_PT_PKiS5_S5_iiiiiii
	.p2align	8
	.type	_ZL8moe_q5_KIfLb1EEvPKvS1_PT_PKiS5_S5_iiiiiii,@function
_ZL8moe_q5_KIfLb1EEvPKvS1_PT_PKiS5_S5_iiiiiii: ; @_ZL8moe_q5_KIfLb1EEvPKvS1_PT_PKiS5_S5_iiiiiii
; %bb.0:
	s_load_b128 s[4:7], s[0:1], 0x18
	s_mov_b32 s2, ttmp7
	s_mov_b32 s3, 0
	s_delay_alu instid0(SALU_CYCLE_1)
	s_lshl_b64 s[2:3], s[2:3], 2
	s_wait_kmcnt 0x0
	s_add_nc_u64 s[2:3], s[6:7], s[2:3]
	s_load_b32 s14, s[2:3], 0x0
	s_wait_kmcnt 0x0
	s_cmp_gt_u32 s14, 0xff
	s_cbranch_scc1 .LBB194_30
; %bb.1:
	s_load_b64 s[2:3], s[0:1], 0x28
	s_wait_kmcnt 0x0
	s_load_b32 s3, s[2:3], 0x0
	s_lshl_b32 s2, ttmp7, 3
	s_wait_kmcnt 0x0
	s_cmp_gt_u32 s2, s3
	s_cbranch_scc1 .LBB194_30
; %bb.2:
	v_bfe_u32 v18, v0, 10, 10
	v_mov_b32_e32 v17, 0
	s_lshl_b32 s11, ttmp9, 7
	s_delay_alu instid0(VALU_DEP_2) | instskip(NEXT) | instid1(VALU_DEP_2)
	v_add_nc_u32_e32 v16, s2, v18
	v_dual_mov_b32 v50, v17 :: v_dual_and_b32 v21, 0x3ff, v0
	v_dual_mov_b32 v53, v17 :: v_dual_mov_b32 v22, v17
	s_delay_alu instid0(VALU_DEP_3) | instskip(NEXT) | instid1(VALU_DEP_1)
	v_lshlrev_b64_e32 v[1:2], 2, v[16:17]
	v_add_co_u32 v1, vcc_lo, s4, v1
	s_delay_alu instid0(VALU_DEP_1)
	v_add_co_ci_u32_e64 v2, null, s5, v2, vcc_lo
	global_load_b32 v20, v[1:2], off
	s_clause 0x2
	s_load_b128 s[4:7], s[0:1], 0x30
	s_load_b64 s[12:13], s[0:1], 0x10
	s_load_b96 s[8:10], s[0:1], 0x40
	s_wait_kmcnt 0x0
	s_cmp_lt_i32 s5, 0x100
	s_cbranch_scc1 .LBB194_21
; %bb.3:
	s_ashr_i32 s15, s5, 31
	s_mul_i32 s14, s14, s4
	s_lshr_b32 s4, s15, 24
	v_dual_mov_b32 v22, 0 :: v_dual_lshlrev_b32 v1, 1, v0
	s_wait_alu 0xfffe
	s_add_co_i32 s4, s5, s4
	v_and_b32_e32 v2, 7, v0
	s_wait_alu 0xfffe
	s_ashr_i32 s4, s4, 8
	v_lshlrev_b32_e32 v36, 5, v18
	s_ashr_i32 s17, s8, 31
	s_wait_alu 0xfffe
	s_mul_i32 s16, s4, s11
	v_and_or_b32 v1, v1, 48, v2
	s_not_b32 s20, s11
	s_lshr_b32 s21, s17, 27
	s_ashr_i32 s17, s16, 31
	v_add_nc_u32_e32 v2, 8, v18
	v_add_nc_u32_e32 v5, 16, v18
	;; [unrolled: 1-line block ×3, first 2 shown]
	s_mul_u64 s[18:19], s[16:17], 0xb0
	s_add_co_i32 s16, s6, s20
	v_add_nc_u32_e32 v6, 24, v18
	v_add_nc_u32_e32 v7, 32, v18
	v_min_i32_e32 v3, s16, v18
	v_lshlrev_b32_e32 v17, 2, v1
	v_add_nc_u32_e32 v8, 40, v18
	v_min_i32_e32 v4, s16, v2
	v_add_nc_u32_e32 v9, 48, v18
	v_min_i32_e32 v5, s16, v5
	v_add_nc_u32_e32 v10, 56, v18
	v_and_b32_e32 v14, 0x7f, v14
	v_min_i32_e32 v6, s16, v6
	v_add_nc_u32_e32 v11, 64, v18
	v_min_i32_e32 v7, s16, v7
	v_add_nc_u32_e32 v12, 0x48, v18
	v_mad_co_u64_u32 v[1:2], null, 0x104, v3, v[17:18]
	v_min_i32_e32 v8, s16, v8
	v_add_nc_u32_e32 v13, 0x50, v18
	v_mul_lo_u32 v28, v3, s4
	v_mad_co_u64_u32 v[2:3], null, 0x104, v4, v[17:18]
	v_min_i32_e32 v9, s16, v9
	v_add_nc_u32_e32 v15, 0x58, v18
	v_add_nc_u32_e32 v16, 0x60, v18
	v_mul_lo_u32 v29, v4, s4
	v_mad_co_u64_u32 v[3:4], null, 0x104, v5, v[17:18]
	v_min_i32_e32 v10, s16, v10
	v_min_i32_e32 v45, s16, v14
	v_mul_lo_u32 v30, v5, s4
	v_mad_co_u64_u32 v[4:5], null, 0x104, v6, v[17:18]
	v_min_i32_e32 v11, s16, v11
	v_mul_lo_u32 v31, v6, s4
	v_mad_co_u64_u32 v[5:6], null, 0x104, v7, v[17:18]
	;; [unrolled: 3-line block ×4, first 2 shown]
	v_min_i32_e32 v15, s16, v15
	v_min_i32_e32 v14, s16, v16
	v_add_nc_u32_e32 v16, 0x68, v18
	v_mul_lo_u32 v34, v9, s4
	v_mad_co_u64_u32 v[8:9], null, 0x104, v10, v[17:18]
	v_ashrrev_i32_e32 v42, 31, v45
	v_mul_lo_u32 v35, v10, s4
	v_mad_co_u64_u32 v[9:10], null, 0x104, v11, v[17:18]
	v_mul_lo_u32 v37, v11, s4
	v_mad_co_u64_u32 v[10:11], null, 0x104, v12, v[17:18]
	s_load_b128 s[0:3], s[0:1], 0x0
	v_mul_lo_u32 v38, v12, s4
	v_mad_co_u64_u32 v[11:12], null, 0x104, v13, v[17:18]
	v_mul_lo_u32 v39, v13, s4
	v_mul_lo_u32 v40, v15, s4
	v_mad_co_u64_u32 v[12:13], null, 0x104, v15, v[17:18]
	v_min_i32_e32 v15, s16, v16
	v_add_nc_u32_e32 v16, 0x70, v18
	v_lshrrev_b32_e32 v43, 27, v42
	v_bfe_u32 v19, v0, 2, 8
	v_mul_lo_u32 v41, v14, s4
	v_mad_co_u64_u32 v[13:14], null, 0x104, v14, v[17:18]
	v_min_i32_e32 v16, s16, v16
	v_add_nc_u32_e32 v46, v45, v43
	v_mul_lo_u32 v42, v15, s4
	v_mad_co_u64_u32 v[14:15], null, 0x104, v15, v[17:18]
	s_delay_alu instid0(VALU_DEP_4)
	v_mul_lo_u32 v43, v16, s4
	v_mad_co_u64_u32 v[15:16], null, 0x104, v16, v[17:18]
	v_ashrrev_i32_e32 v46, 5, v46
	v_lshl_add_u32 v16, v18, 3, v19
	v_add_nc_u32_e32 v44, 0x78, v18
	v_and_b32_e32 v25, 6, v19
	v_and_b32_e32 v51, 3, v0
	v_lshlrev_b32_e32 v19, 2, v46
	v_lshlrev_b32_e32 v46, 2, v45
	v_and_b32_e32 v49, 0x7f, v16
	s_ashr_i32 s15, s14, 31
	v_min_i32_e32 v47, s16, v44
	s_wait_kmcnt 0x0
	s_add_nc_u64 s[0:1], s[0:1], s[14:15]
	v_add_nc_u32_e32 v48, 0xfe, v51
	s_add_nc_u64 s[14:15], s[0:1], s[18:19]
	v_add3_u32 v46, v19, v46, 0x8e40
	v_min_i32_e32 v19, s16, v49
	s_abs_i32 s1, s10
	v_mad_co_u64_u32 v[16:17], null, 0x104, v47, v[17:18]
	s_cvt_f32_u32 s0, s1
	v_mul_lo_u32 v44, v47, s4
	v_and_b32_e32 v17, 0xff, v48
	v_xor_b32_e32 v47, 64, v49
	v_ashrrev_i32_e32 v48, 31, v19
	v_cmp_gt_u32_e32 vcc_lo, 2, v51
	v_rcp_iflag_f32_e32 v49, s0
	v_lshlrev_b32_e32 v50, 2, v21
	v_min_i32_e32 v52, s16, v47
	v_lshrrev_b32_e32 v48, 29, v48
	s_wait_alu 0xfffd
	v_cndmask_b32_e32 v17, v17, v51, vcc_lo
	v_cmp_ne_u32_e64 s0, 0, v51
	v_cmp_lt_u32_e32 vcc_lo, 1, v51
	v_ashrrev_i32_e32 v53, 31, v52
	v_add_nc_u32_e32 v48, v19, v48
	s_add_co_i32 s6, s8, s21
	s_wait_alu 0xf1ff
	v_add_co_ci_u32_e64 v65, null, 0, v17, s0
	v_readfirstlane_b32 s0, v49
	v_lshrrev_b32_e32 v53, 29, v53
	v_ashrrev_i32_e32 v54, 3, v48
	v_lshlrev_b32_e32 v48, 1, v17
	s_sub_co_i32 s8, 0, s1
	s_mul_f32 s0, s0, 0x4f7ffffe
	v_add_nc_u32_e32 v17, v52, v53
	v_lshlrev_b32_e32 v53, 2, v54
	v_lshlrev_b32_e32 v54, 2, v51
	s_wait_loadcnt 0x0
	v_sub_nc_u32_e32 v51, 0, v20
	s_wait_alu 0xfffe
	s_cvt_u32_f32 s0, s0
	v_and_b32_e32 v55, 31, v0
	v_mul_lo_u32 v49, v19, s4
	v_lshlrev_b32_e32 v67, 4, v19
	s_wait_alu 0xfffe
	s_mul_i32 s8, s8, s0
	v_max_i32_e32 v56, v20, v51
	s_mul_hi_u32 s8, s0, s8
	v_lshlrev_b32_e32 v55, 2, v55
	s_add_co_i32 s0, s0, s8
	v_bfe_u32 v23, v0, 5, 5
	s_wait_alu 0xfffe
	v_mul_hi_u32 v57, v56, s0
	v_and_b32_e32 v47, 4, v50
	v_lshl_or_b32 v19, v18, 7, v55
	v_lshlrev_b32_e32 v70, 4, v18
	v_lshlrev_b32_e32 v58, 2, v23
	s_wait_alu 0xfffd
	v_cndmask_b32_e64 v66, 0, 1, vcc_lo
	v_cndmask_b32_e32 v47, 0, v47, vcc_lo
	v_xor_b32_e32 v60, s10, v20
	v_mul_lo_u32 v55, v57, s1
	v_ashrrev_i32_e32 v17, 3, v17
	v_mul_lo_u32 v51, v52, s4
	v_lshlrev_b32_e32 v68, 4, v52
	v_ashrrev_i32_e32 v60, 31, v60
	v_add_nc_u32_e32 v52, 0x8a40, v19
	v_lshlrev_b32_e32 v17, 2, v17
	v_add_nc_u32_e32 v19, 32, v21
	v_sub_nc_u32_e32 v18, v56, v55
	v_add3_u32 v55, v58, v50, 0x8e40
	v_add_nc_u32_e32 v56, 1, v57
	v_add3_u32 v53, v53, v54, 0x8200
	v_add3_u32 v17, v17, v54, 0x8200
	v_subrev_nc_u32_e32 v58, s1, v18
	v_cmp_le_u32_e32 vcc_lo, s1, v18
	v_lshrrev_b32_e32 v54, 3, v19
	v_add_nc_u32_e32 v59, 0x60, v21
	s_ashr_i32 s6, s6, 5
	s_wait_alu 0xfffd
	v_dual_cndmask_b32 v56, v57, v56 :: v_dual_lshlrev_b32 v73, 2, v19
	v_dual_cndmask_b32 v18, v18, v58 :: v_dual_add_nc_u32 v57, 64, v21
	v_and_b32_e32 v19, 60, v54
	v_lshrrev_b32_e32 v76, 3, v59
	s_delay_alu instid0(VALU_DEP_4) | instskip(NEXT) | instid1(VALU_DEP_4)
	v_add_nc_u32_e32 v58, 1, v56
	v_cmp_le_u32_e32 vcc_lo, s1, v18
	v_lshrrev_b32_e32 v74, 3, v57
	v_and_b32_e32 v26, 28, v50
	s_movk_i32 s1, 0x2080
	v_add_nc_u32_e32 v69, 0x9050, v50
	s_wait_alu 0xfffd
	v_cndmask_b32_e32 v18, v56, v58, vcc_lo
	v_bfe_u32 v0, v0, 3, 7
	v_and_b32_e32 v58, 60, v74
	v_add3_u32 v56, v50, v19, 0x8e40
	v_and_b32_e32 v19, 60, v76
	v_xor_b32_e32 v18, v18, v60
	v_lshlrev_b32_e32 v75, 2, v57
	v_lshlrev_b32_e32 v77, 2, v59
	s_movk_i32 s8, 0x6180
	v_mul_lo_u32 v45, v45, s4
	v_sub_nc_u32_e32 v18, v18, v60
	s_wait_alu 0xfffe
	v_mad_u32_u24 v60, 0x104, v21, s1
	s_movk_i32 s1, 0x4100
	v_cmp_gt_u32_e64 s0, 4, v21
	s_wait_alu 0xfffe
	v_mad_u32_u24 v62, 0x104, v21, s1
	v_mul_lo_u32 v61, v18, s6
	v_mad_u32_u24 v63, 0x104, v21, s8
	v_cmp_gt_i32_e64 s1, s7, v18
	v_add_co_u32 v18, s8, s2, v26
	v_and_b32_e32 v24, 0x7c, v50
	v_or_b32_e32 v27, 1, v25
	v_add3_u32 v57, v50, v58, 0x8e40
	v_add3_u32 v58, v50, v19, 0x8e40
	v_mul_u32_u24_e32 v59, 0x104, v21
	s_wait_alu 0xf1ff
	v_add_co_ci_u32_e64 v19, null, s3, 0, s8
	v_ashrrev_i32_e32 v64, 31, v61
	v_lshlrev_b32_e32 v65, 2, v65
	v_lshlrev_b32_e32 v66, 2, v66
	v_add_nc_u32_e32 v67, v53, v67
	v_add_nc_u32_e32 v68, v17, v68
	;; [unrolled: 1-line block ×3, first 2 shown]
	v_lshlrev_b32_e32 v70, 2, v0
	v_lshlrev_b32_e32 v71, 2, v50
	;; [unrolled: 1-line block ×8, first 2 shown]
	v_dual_mov_b32 v53, 0 :: v_dual_mov_b32 v50, 0
	v_mov_b32_e32 v17, 0
	s_mov_b32 s17, 0
	s_and_b32 s8, s0, s1
	s_wait_alu 0xfffe
	s_mov_b32 s16, s17
	s_branch .LBB194_5
.LBB194_4:                              ;   in Loop: Header=BB194_5 Depth=1
	s_add_co_i32 s16, s16, 1
	s_wait_alu 0xfffe
	s_cmp_eq_u32 s16, s4
	s_cbranch_scc1 .LBB194_21
.LBB194_5:                              ; =>This Loop Header: Depth=1
                                        ;     Child Loop BB194_11 Depth 2
                                        ;     Child Loop BB194_19 Depth 2
	s_wait_alu 0xfffe
	s_mul_u64 s[18:19], s[16:17], 0xb0
	s_wait_alu 0xfffe
	s_add_nc_u64 s[18:19], s[14:15], s[18:19]
	s_wait_alu 0xfffe
	v_mad_co_u64_u32 v[78:79], null, 0xb0, v23, s[18:19]
	s_delay_alu instid0(VALU_DEP_1) | instskip(SKIP_3) | instid1(VALU_DEP_4)
	v_mad_co_i64_i32 v[80:81], null, 0xb0, v28, v[78:79]
	v_mad_co_i64_i32 v[82:83], null, 0xb0, v29, v[78:79]
	;; [unrolled: 1-line block ×4, first 2 shown]
	v_add_co_u32 v86, vcc_lo, v80, v24
	s_wait_alu 0xfffd
	v_add_co_ci_u32_e64 v87, null, 0, v81, vcc_lo
	v_add_co_u32 v80, vcc_lo, v80, v26
	s_wait_alu 0xfffd
	v_add_co_ci_u32_e64 v81, null, 0, v81, vcc_lo
	;; [unrolled: 3-line block ×6, first 2 shown]
	v_add_co_u32 v94, vcc_lo, v90, v24
	v_mad_co_i64_i32 v[96:97], null, 0xb0, v32, v[78:79]
	s_wait_alu 0xfffd
	v_add_co_ci_u32_e64 v95, null, 0, v91, vcc_lo
	v_add_co_u32 v90, vcc_lo, v90, v26
	s_wait_alu 0xfffd
	v_add_co_ci_u32_e64 v91, null, 0, v91, vcc_lo
	s_clause 0x7
	global_load_b32 v102, v[86:87], off offset:48
	global_load_b32 v103, v[80:81], off offset:16
	;; [unrolled: 1-line block ×8, first 2 shown]
	v_mad_co_i64_i32 v[80:81], null, 0xb0, v33, v[78:79]
	v_add_co_u32 v82, vcc_lo, v96, v24
	v_mad_co_i64_i32 v[88:89], null, 0xb0, v34, v[78:79]
	s_wait_alu 0xfffd
	v_add_co_ci_u32_e64 v83, null, 0, v97, vcc_lo
	v_add_co_u32 v84, vcc_lo, v96, v26
	s_wait_alu 0xfffd
	v_add_co_ci_u32_e64 v85, null, 0, v97, vcc_lo
	v_add_co_u32 v86, vcc_lo, v80, v24
	v_mad_co_i64_i32 v[90:91], null, 0xb0, v35, v[78:79]
	s_wait_alu 0xfffd
	v_add_co_ci_u32_e64 v87, null, 0, v81, vcc_lo
	v_add_co_u32 v80, vcc_lo, v80, v26
	s_wait_alu 0xfffd
	v_add_co_ci_u32_e64 v81, null, 0, v81, vcc_lo
	v_add_co_u32 v92, vcc_lo, v88, v24
	;; [unrolled: 3-line block ×4, first 2 shown]
	v_mad_co_i64_i32 v[96:97], null, 0xb0, v37, v[78:79]
	s_wait_alu 0xfffd
	v_add_co_ci_u32_e64 v95, null, 0, v91, vcc_lo
	v_add_co_u32 v90, vcc_lo, v90, v26
	s_wait_alu 0xfffd
	v_add_co_ci_u32_e64 v91, null, 0, v91, vcc_lo
	s_clause 0x7
	global_load_b32 v110, v[82:83], off offset:48
	global_load_b32 v111, v[84:85], off offset:16
	;; [unrolled: 1-line block ×8, first 2 shown]
	v_mad_co_i64_i32 v[82:83], null, 0xb0, v38, v[78:79]
	v_add_co_u32 v80, vcc_lo, v96, v24
	v_mad_co_i64_i32 v[86:87], null, 0xb0, v39, v[78:79]
	s_wait_alu 0xfffd
	v_add_co_ci_u32_e64 v81, null, 0, v97, vcc_lo
	v_add_co_u32 v84, vcc_lo, v96, v26
	s_wait_alu 0xfffd
	v_add_co_ci_u32_e64 v85, null, 0, v97, vcc_lo
	v_add_co_u32 v88, vcc_lo, v82, v24
	v_mad_co_i64_i32 v[92:93], null, 0xb0, v40, v[78:79]
	s_wait_alu 0xfffd
	v_add_co_ci_u32_e64 v89, null, 0, v83, vcc_lo
	v_add_co_u32 v82, vcc_lo, v82, v26
	s_wait_alu 0xfffd
	v_add_co_ci_u32_e64 v83, null, 0, v83, vcc_lo
	;; [unrolled: 7-line block ×3, first 2 shown]
	v_add_co_u32 v96, vcc_lo, v92, v24
	s_wait_alu 0xfffd
	v_add_co_ci_u32_e64 v97, null, 0, v93, vcc_lo
	v_add_co_u32 v92, vcc_lo, v92, v26
	s_wait_alu 0xfffd
	v_add_co_ci_u32_e64 v93, null, 0, v93, vcc_lo
	v_add_co_u32 v98, vcc_lo, v94, v24
	v_mad_co_i64_i32 v[100:101], null, 0xb0, v42, v[78:79]
	s_wait_alu 0xfffd
	v_add_co_ci_u32_e64 v99, null, 0, v95, vcc_lo
	v_add_co_u32 v94, vcc_lo, v94, v26
	s_wait_alu 0xfffd
	v_add_co_ci_u32_e64 v95, null, 0, v95, vcc_lo
	s_clause 0x9
	global_load_b32 v118, v[80:81], off offset:48
	global_load_b32 v119, v[84:85], off offset:16
	;; [unrolled: 1-line block ×10, first 2 shown]
	v_mad_co_i64_i32 v[80:81], null, 0xb0, v43, v[78:79]
	v_add_co_u32 v82, vcc_lo, v100, v24
	s_wait_alu 0xfffd
	v_add_co_ci_u32_e64 v83, null, 0, v101, vcc_lo
	v_add_co_u32 v84, vcc_lo, v100, v26
	v_mad_co_i64_i32 v[78:79], null, 0xb0, v44, v[78:79]
	s_wait_alu 0xfffd
	v_add_co_ci_u32_e64 v85, null, 0, v101, vcc_lo
	v_add_co_u32 v86, vcc_lo, v80, v24
	s_wait_alu 0xfffd
	v_add_co_ci_u32_e64 v87, null, 0, v81, vcc_lo
	v_add_co_u32 v80, vcc_lo, v80, v26
	s_wait_alu 0xfffd
	v_add_co_ci_u32_e64 v81, null, 0, v81, vcc_lo
	s_clause 0x3
	global_load_b32 v95, v[82:83], off offset:48
	global_load_b32 v97, v[84:85], off offset:16
	;; [unrolled: 1-line block ×4, first 2 shown]
	v_add_co_u32 v80, vcc_lo, v78, v24
	v_mad_co_i64_i32 v[82:83], null, 0xb0, v49, s[18:19]
	s_wait_alu 0xfffd
	v_add_co_ci_u32_e64 v81, null, 0, v79, vcc_lo
	v_add_co_u32 v78, vcc_lo, v78, v26
	v_mad_co_i64_i32 v[84:85], null, 0xb0, v51, s[18:19]
	s_wait_alu 0xfffd
	v_add_co_ci_u32_e64 v79, null, 0, v79, vcc_lo
	s_clause 0x1
	global_load_b32 v98, v[80:81], off offset:48
	global_load_b32 v99, v[78:79], off offset:16
	v_add_co_u32 v78, vcc_lo, v82, v65
	s_wait_alu 0xfffd
	v_add_co_ci_u32_e64 v79, null, 0, v83, vcc_lo
	v_add_co_u32 v80, vcc_lo, v84, v65
	s_wait_alu 0xfffd
	v_add_co_ci_u32_e64 v81, null, 0, v85, vcc_lo
	;; [unrolled: 3-line block ×3, first 2 shown]
	s_clause 0x1
	global_load_b32 v100, v[78:79], off offset:4
	global_load_b32 v101, v[80:81], off offset:4
	v_add_co_u32 v78, vcc_lo, v84, v66
	v_mad_co_i64_i32 v[80:81], null, 0xb0, v45, s[18:19]
	s_wait_alu 0xfffd
	v_add_co_ci_u32_e64 v79, null, 0, v85, vcc_lo
	s_clause 0x2
	global_load_b32 v82, v[82:83], off offset:4
	global_load_b32 v78, v[78:79], off offset:4
	global_load_b32 v79, v[80:81], off
	s_lshl_b32 s18, s16, 8
	s_wait_alu 0xfffe
	s_cmp_lt_i32 s18, s5
	s_wait_loadcnt 0x24
	v_lshrrev_b32_e32 v81, 4, v102
	s_wait_loadcnt 0x23
	v_ashrrev_i32_e32 v83, v25, v103
	v_ashrrev_i32_e32 v84, v27, v103
	v_and_b32_e32 v80, 0xf0f0f0f, v102
	s_wait_loadcnt 0x22
	v_and_b32_e32 v85, 0xf0f0f0f, v104
	v_lshrrev_b32_e32 v102, 4, v104
	s_wait_loadcnt 0x21
	v_ashrrev_i32_e32 v103, v25, v105
	v_ashrrev_i32_e32 v104, v27, v105
	s_wait_loadcnt 0x20
	v_and_b32_e32 v105, 0xf0f0f0f, v106
	v_lshrrev_b32_e32 v106, 4, v106
	s_wait_loadcnt 0x1f
	v_ashrrev_i32_e32 v120, v25, v107
	v_ashrrev_i32_e32 v107, v27, v107
	;; [unrolled: 6-line block ×3, first 2 shown]
	v_and_b32_e32 v81, 0xf0f0f0f, v81
	v_lshlrev_b32_e32 v83, 4, v83
	v_lshlrev_b32_e32 v84, 4, v84
	v_and_b32_e32 v102, 0xf0f0f0f, v102
	v_lshlrev_b32_e32 v103, 4, v103
	v_lshlrev_b32_e32 v104, 4, v104
	;; [unrolled: 3-line block ×4, first 2 shown]
	v_and_or_b32 v80, 0x10101010, v83, v80
	v_and_or_b32 v81, 0x10101010, v84, v81
	;; [unrolled: 1-line block ×8, first 2 shown]
	s_wait_loadcnt 0x1c
	v_and_b32_e32 v123, 0xf0f0f0f, v110
	v_lshrrev_b32_e32 v110, 4, v110
	s_wait_loadcnt 0x1b
	v_ashrrev_i32_e32 v124, v25, v111
	v_ashrrev_i32_e32 v111, v27, v111
	s_wait_loadcnt 0x1a
	v_and_b32_e32 v125, 0xf0f0f0f, v112
	v_lshrrev_b32_e32 v112, 4, v112
	s_wait_loadcnt 0x19
	v_ashrrev_i32_e32 v126, v25, v113
	v_ashrrev_i32_e32 v113, v27, v113
	;; [unrolled: 6-line block ×4, first 2 shown]
	v_and_b32_e32 v110, 0xf0f0f0f, v110
	v_lshlrev_b32_e32 v124, 4, v124
	v_lshlrev_b32_e32 v111, 4, v111
	v_and_b32_e32 v112, 0xf0f0f0f, v112
	v_lshlrev_b32_e32 v126, 4, v126
	v_lshlrev_b32_e32 v113, 4, v113
	;; [unrolled: 3-line block ×4, first 2 shown]
	v_and_or_b32 v105, 0x10101010, v124, v123
	v_and_or_b32 v106, 0x10101010, v111, v110
	;; [unrolled: 1-line block ×8, first 2 shown]
	s_wait_loadcnt 0x14
	v_and_b32_e32 v131, 0xf0f0f0f, v118
	v_lshrrev_b32_e32 v118, 4, v118
	s_wait_loadcnt 0x13
	v_ashrrev_i32_e32 v132, v25, v119
	v_ashrrev_i32_e32 v119, v27, v119
	s_wait_loadcnt 0x12
	v_and_b32_e32 v133, 0xf0f0f0f, v88
	v_lshrrev_b32_e32 v88, 4, v88
	s_wait_loadcnt 0x11
	v_ashrrev_i32_e32 v134, v25, v89
	v_ashrrev_i32_e32 v89, v27, v89
	s_wait_loadcnt 0x10
	v_and_b32_e32 v135, 0xf0f0f0f, v90
	v_lshrrev_b32_e32 v90, 4, v90
	s_wait_loadcnt 0xf
	v_ashrrev_i32_e32 v136, v25, v91
	v_ashrrev_i32_e32 v91, v27, v91
	s_wait_loadcnt 0xe
	v_and_b32_e32 v137, 0xf0f0f0f, v96
	v_lshrrev_b32_e32 v96, 4, v96
	s_wait_loadcnt 0xd
	v_ashrrev_i32_e32 v138, v25, v92
	v_ashrrev_i32_e32 v92, v27, v92
	s_wait_loadcnt 0xc
	v_and_b32_e32 v139, 0xf0f0f0f, v93
	v_lshrrev_b32_e32 v93, 4, v93
	s_wait_loadcnt 0xb
	v_ashrrev_i32_e32 v140, v25, v94
	v_ashrrev_i32_e32 v94, v27, v94
	v_and_b32_e32 v118, 0xf0f0f0f, v118
	v_lshlrev_b32_e32 v132, 4, v132
	v_lshlrev_b32_e32 v119, 4, v119
	v_and_b32_e32 v88, 0xf0f0f0f, v88
	v_lshlrev_b32_e32 v134, 4, v134
	v_lshlrev_b32_e32 v89, 4, v89
	;; [unrolled: 3-line block ×3, first 2 shown]
	v_and_b32_e32 v96, 0xf0f0f0f, v96
	s_wait_loadcnt 0x7
	v_ashrrev_i32_e32 v144, v25, v87
	v_ashrrev_i32_e32 v87, v27, v87
	v_lshlrev_b32_e32 v138, 4, v138
	v_lshlrev_b32_e32 v92, 4, v92
	v_and_b32_e32 v93, 0xf0f0f0f, v93
	v_lshlrev_b32_e32 v140, 4, v140
	v_lshlrev_b32_e32 v94, 4, v94
	v_lshrrev_b32_e32 v143, 4, v86
	v_and_b32_e32 v141, 0xf0f0f0f, v95
	v_lshrrev_b32_e32 v95, 4, v95
	v_ashrrev_i32_e32 v142, v25, v97
	v_ashrrev_i32_e32 v97, v27, v97
	v_and_or_b32 v113, 0x10101010, v132, v131
	v_and_or_b32 v114, 0x10101010, v119, v118
	;; [unrolled: 1-line block ×10, first 2 shown]
	ds_store_2addr_b32 v1, v80, v81 offset1:8
	ds_store_2addr_b32 v2, v83, v84 offset1:8
	;; [unrolled: 1-line block ×13, first 2 shown]
	v_and_b32_e32 v81, 0xf0f0f0f, v86
	v_lshlrev_b32_e32 v84, 4, v144
	v_lshlrev_b32_e32 v85, 4, v87
	s_wait_loadcnt 0x5
	v_ashrrev_i32_e32 v87, v25, v99
	v_and_b32_e32 v83, 0xf0f0f0f, v143
	v_lshrrev_b32_e32 v86, 4, v98
	v_ashrrev_i32_e32 v88, v27, v99
	v_and_b32_e32 v95, 0xf0f0f0f, v95
	v_lshlrev_b32_e32 v142, 4, v142
	v_lshlrev_b32_e32 v97, 4, v97
	v_and_or_b32 v81, 0x10101010, v84, v81
	v_and_b32_e32 v84, 0xf0f0f0f, v98
	v_lshlrev_b32_e32 v87, 4, v87
	s_wait_loadcnt 0x4
	v_ashrrev_i32_e32 v89, v47, v100
	v_and_or_b32 v83, 0x10101010, v85, v83
	s_wait_loadcnt 0x3
	v_ashrrev_i32_e32 v85, v47, v101
	v_and_b32_e32 v86, 0xf0f0f0f, v86
	v_lshlrev_b32_e32 v88, 4, v88
	v_and_or_b32 v94, 0x10101010, v142, v141
	v_and_or_b32 v80, 0x10101010, v97, v95
	;; [unrolled: 1-line block ×3, first 2 shown]
	v_and_b32_e32 v87, 0xf0f0f0f, v89
	s_wait_loadcnt 0x2
	v_ashrrev_i32_e32 v82, v48, v82
	v_and_b32_e32 v85, 0xf0f0f0f, v85
	s_wait_loadcnt 0x1
	v_ashrrev_i32_e32 v78, v48, v78
	v_and_or_b32 v86, 0x10101010, v88, v86
	ds_store_2addr_b32 v14, v94, v80 offset1:8
	ds_store_2addr_b32 v15, v81, v83 offset1:8
	;; [unrolled: 1-line block ×3, first 2 shown]
	v_and_or_b32 v80, 0x30303030, v82, v87
	v_and_or_b32 v78, 0x30303030, v78, v85
	s_wait_loadcnt 0x0
	ds_store_b32 v46, v79
	ds_store_b32 v67, v80
	;; [unrolled: 1-line block ×3, first 2 shown]
	s_cbranch_scc0 .LBB194_4
; %bb.6:                                ;   in Loop: Header=BB194_5 Depth=1
	s_lshl_b32 s19, s16, 3
	s_wait_alu 0xfffe
	v_add_nc_u32_e32 v78, s19, v0
	s_delay_alu instid0(VALU_DEP_1)
	v_cmp_gt_i32_e32 vcc_lo, s6, v78
	s_and_b32 s21, s1, vcc_lo
	s_wait_alu 0xfffe
	s_and_saveexec_b32 s20, s21
	s_cbranch_execz .LBB194_8
; %bb.7:                                ;   in Loop: Header=BB194_5 Depth=1
	v_add_nc_u32_e32 v78, v61, v78
	s_delay_alu instid0(VALU_DEP_1)
	v_mad_co_i64_i32 v[78:79], null, v78, 36, v[18:19]
	global_load_b32 v78, v[78:79], off offset:4
	s_wait_loadcnt 0x0
	ds_store_b32 v52, v78
.LBB194_8:                              ;   in Loop: Header=BB194_5 Depth=1
	s_wait_alu 0xfffe
	s_or_b32 exec_lo, exec_lo, s20
	v_add_nc_u32_e32 v78, s19, v21
	s_delay_alu instid0(VALU_DEP_1)
	v_cmp_gt_i32_e32 vcc_lo, s6, v78
	s_and_b32 s21, s8, vcc_lo
	s_wait_alu 0xfffe
	s_and_saveexec_b32 s20, s21
	s_cbranch_execz .LBB194_10
; %bb.9:                                ;   in Loop: Header=BB194_5 Depth=1
	v_add_nc_u32_e32 v79, v61, v78
	s_delay_alu instid0(VALU_DEP_1)
	v_mad_co_i64_i32 v[79:80], null, v79, 36, s[2:3]
	global_load_b32 v79, v[79:80], off
	s_wait_loadcnt 0x0
	ds_store_b32 v69, v79
.LBB194_10:                             ;   in Loop: Header=BB194_5 Depth=1
	s_wait_alu 0xfffe
	s_or_b32 exec_lo, exec_lo, s20
	s_wait_dscnt 0x0
	s_barrier_signal -1
	s_barrier_wait -1
	global_inv scope:SCOPE_SE
	ds_load_b32 v80, v55
	ds_load_b32 v81, v56 offset:128
	ds_load_b32 v82, v57 offset:256
	;; [unrolled: 1-line block ×3, first 2 shown]
	s_mov_b32 s21, 0
	s_mov_b32 s20, -1
	s_wait_dscnt 0x3
	v_lshrrev_b32_e32 v83, 16, v80
	s_wait_dscnt 0x2
	v_lshrrev_b32_e32 v84, 16, v81
	;; [unrolled: 2-line block ×4, first 2 shown]
	v_cvt_f32_f16_e32 v79, v80
	v_cvt_f32_f16_e32 v80, v81
	;; [unrolled: 1-line block ×8, first 2 shown]
.LBB194_11:                             ;   Parent Loop BB194_5 Depth=1
                                        ; =>  This Inner Loop Header: Depth=2
	s_wait_alu 0xfffe
	s_lshr_b32 s22, s21, 2
	v_lshl_or_b32 v87, s21, 1, v36
	s_lshl_b32 s21, s21, 3
	s_wait_alu 0xfffe
	s_add_co_i32 s22, s22, 0x8200
	v_add_nc_u32_e32 v88, s21, v59
	v_add_nc_u32_e32 v89, s21, v60
	;; [unrolled: 1-line block ×4, first 2 shown]
	s_wait_alu 0xfffe
	v_add3_u32 v92, s22, v70, v71
	v_add3_u32 v93, s22, v72, v73
	;; [unrolled: 1-line block ×4, first 2 shown]
	v_lshlrev_b32_e32 v99, 2, v87
	v_lshrrev_b32_e32 v167, 1, v87
	ds_load_2addr_b32 v[103:104], v88 offset0:2 offset1:3
	ds_load_2addr_b32 v[105:106], v88 offset0:4 offset1:5
	ds_load_2addr_b32 v[107:108], v88 offset0:6 offset1:7
	ds_load_2addr_b32 v[109:110], v88 offset0:8 offset1:9
	ds_load_2addr_b32 v[111:112], v88 offset0:10 offset1:11
	ds_load_2addr_b32 v[113:114], v88 offset0:12 offset1:13
	ds_load_2addr_b32 v[115:116], v88 offset0:14 offset1:15
	ds_load_2addr_b32 v[117:118], v89 offset1:1
	ds_load_2addr_b32 v[119:120], v89 offset0:2 offset1:3
	ds_load_2addr_b32 v[121:122], v89 offset0:4 offset1:5
	ds_load_2addr_b32 v[123:124], v89 offset0:6 offset1:7
	ds_load_2addr_b32 v[125:126], v89 offset0:8 offset1:9
	ds_load_2addr_b32 v[127:128], v89 offset0:10 offset1:11
	ds_load_2addr_b32 v[129:130], v89 offset0:12 offset1:13
	ds_load_2addr_b32 v[131:132], v89 offset0:14 offset1:15
	ds_load_2addr_b32 v[133:134], v90 offset1:1
	;; [unrolled: 8-line block ×4, first 2 shown]
	ds_load_u16 v169, v92
	ds_load_u16 v170, v92 offset:8
	ds_load_u16 v171, v93
	ds_load_u16 v172, v93 offset:8
	;; [unrolled: 2-line block ×4, first 2 shown]
	ds_load_b128 v[87:90], v99 offset:35392
	ds_load_b128 v[91:94], v99 offset:35408
	;; [unrolled: 1-line block ×4, first 2 shown]
	ds_load_b64 v[167:168], v167 offset:36944
	s_wait_dscnt 0x15
	v_perm_b32 v177, v149, v150, 0xc0c0501
	s_wait_dscnt 0x14
	v_perm_b32 v178, v152, v151, 0x5010c0c
	v_perm_b32 v179, v149, v150, 0xc0c0703
	;; [unrolled: 1-line block ×7, first 2 shown]
	s_wait_dscnt 0x13
	v_perm_b32 v151, v154, v153, 0xc0c0602
	s_wait_dscnt 0x12
	v_perm_b32 v152, v156, v155, 0x6020c0c
	v_perm_b32 v183, v154, v153, 0xc0c0400
	;; [unrolled: 1-line block ×6, first 2 shown]
	s_wait_dscnt 0x4
	v_dot4_i32_iu8 v165, v87, v165, 0 neg_lo:[1,1,0]
	v_dot4_i32_iu8 v117, v87, v117, 0 neg_lo:[1,1,0]
	s_wait_dscnt 0x2
	v_dot4_i32_iu8 v109, v95, v109, 0 neg_lo:[1,1,0]
	v_dot4_i32_iu8 v125, v95, v125, 0 neg_lo:[1,1,0]
	v_dot4_i32_iu8 v133, v87, v133, 0 neg_lo:[1,1,0]
	v_dot4_i32_iu8 v141, v95, v141, 0 neg_lo:[1,1,0]
	v_perm_b32 v201, v87, v88, 0xc0c0501
	v_perm_b32 v202, v90, v89, 0x5010c0c
	;; [unrolled: 1-line block ×23, first 2 shown]
	v_or_b32_e32 v177, v178, v177
	v_or_b32_e32 v178, v180, v179
	v_dot4_i32_iu8 v165, v88, v166, v165 neg_lo:[1,1,0]
	v_dot4_i32_iu8 v117, v88, v118, v117 neg_lo:[1,1,0]
	v_dot4_i32_iu8 v109, v96, v110, v109 neg_lo:[1,1,0]
	v_dot4_i32_iu8 v110, v96, v126, v125 neg_lo:[1,1,0]
	v_dot4_i32_iu8 v88, v88, v134, v133 neg_lo:[1,1,0]
	v_dot4_i32_iu8 v96, v96, v142, v141 neg_lo:[1,1,0]
	v_or_b32_e32 v118, v202, v201
	v_or_b32_e32 v125, v204, v203
	v_perm_b32 v189, v157, v158, 0xc0c0400
	v_perm_b32 v190, v160, v159, 0x4000c0c
	;; [unrolled: 1-line block ×17, first 2 shown]
	s_wait_dscnt 0x1
	v_perm_b32 v227, v100, v99, 0xc0c0703
	v_perm_b32 v228, v102, v101, 0x7030c0c
	;; [unrolled: 1-line block ×4, first 2 shown]
	v_or_b32_e32 v179, v182, v181
	v_or_b32_e32 v149, v150, v149
	;; [unrolled: 1-line block ×13, first 2 shown]
	v_dot4_i32_iu8 v103, v89, v103, v165 neg_lo:[1,1,0]
	v_dot4_i32_iu8 v117, v89, v119, v117 neg_lo:[1,1,0]
	;; [unrolled: 1-line block ×8, first 2 shown]
	v_perm_b32 v192, v164, v163, 0x4000c0c
	v_perm_b32 v223, v100, v99, 0xc0c0602
	;; [unrolled: 1-line block ×5, first 2 shown]
	v_or_b32_e32 v151, v184, v183
	v_or_b32_e32 v156, v190, v189
	;; [unrolled: 1-line block ×12, first 2 shown]
	v_dot4_i32_iu8 v111, v179, v126, 0 neg_lo:[1,1,0]
	v_dot4_i32_iu8 v87, v149, v87, 0 neg_lo:[1,1,0]
	;; [unrolled: 1-line block ×9, first 2 shown]
	v_or_b32_e32 v159, v192, v191
	v_or_b32_e32 v187, v224, v223
	;; [unrolled: 1-line block ×3, first 2 shown]
	v_dot4_i32_iu8 v125, v156, v186, 0 neg_lo:[1,1,0]
	v_dot4_i32_iu8 v95, v157, v95, 0 neg_lo:[1,1,0]
	;; [unrolled: 1-line block ×10, first 2 shown]
	v_add_nc_u32_e32 v91, v96, v97
	v_dot4_i32_iu8 v110, v98, v128, v110 neg_lo:[1,1,0]
	v_lshrrev_b16 v199, 8, v175
	v_and_b32_e32 v175, 0xff, v175
	v_dot4_i32_iu8 v89, v98, v144, v89 neg_lo:[1,1,0]
	v_dot4_i32_iu8 v95, v158, v187, v95 neg_lo:[1,1,0]
	;; [unrolled: 1-line block ×3, first 2 shown]
	v_add_nc_u32_e32 v96, v112, v111
	v_add3_u32 v87, v90, v87, v91
	v_dot4_i32_iu8 v105, v99, v113, v109 neg_lo:[1,1,0]
	v_dot4_i32_iu8 v109, v99, v129, v110 neg_lo:[1,1,0]
	v_and_b32_e32 v184, 0xffff, v199
	v_add3_u32 v90, v98, v95, v96
	v_mul_lo_u32 v87, v87, v175
	v_lshrrev_b16 v163, 8, v169
	v_and_b32_e32 v164, 0xff, v169
	v_cvt_f32_ubyte0_e32 v169, v170
	v_cvt_f32_ubyte0_e32 v196, v172
	;; [unrolled: 1-line block ×3, first 2 shown]
	v_dot4_i32_iu8 v89, v99, v145, v89 neg_lo:[1,1,0]
	v_dot4_i32_iu8 v97, v92, v106, v103 neg_lo:[1,1,0]
	;; [unrolled: 1-line block ×5, first 2 shown]
	v_mul_lo_u32 v90, v90, v184
	v_lshrrev_b16 v195, 8, v171
	v_cvt_f32_ubyte1_e32 v172, v172
	v_cvt_f32_ubyte1_e32 v176, v176
	v_and_b32_e32 v162, 0xffff, v163
	s_wait_dscnt 0x0
	v_fma_mix_f32 v163, v167, v169, 0 op_sel:[1,0,0] op_sel_hi:[1,0,0]
	v_fma_mix_f32 v169, v167, v196, 0 op_sel:[1,0,0] op_sel_hi:[1,0,0]
	;; [unrolled: 1-line block ×3, first 2 shown]
	v_dot4_i32_iu8 v88, v92, v138, v88 neg_lo:[1,1,0]
	v_dot4_i32_iu8 v95, v101, v115, v103 neg_lo:[1,1,0]
	;; [unrolled: 1-line block ×3, first 2 shown]
	v_cvt_f32_i32_e32 v87, v87
	v_and_b32_e32 v180, 0xffff, v195
	v_fma_mix_f32 v169, v168, v172, v169 op_sel:[1,0,0] op_sel_hi:[1,0,0]
	v_fma_mix_f32 v172, v176, v168, v183 op_sel:[0,1,0] op_sel_hi:[0,1,0]
	v_dot4_i32_iu8 v91, v93, v107, v97 neg_lo:[1,1,0]
	v_dot4_i32_iu8 v92, v93, v123, v99 neg_lo:[1,1,0]
	;; [unrolled: 1-line block ×5, first 2 shown]
	v_cvt_f32_i32_e32 v90, v90
	v_fma_mix_f32 v87, v87, v167, 0 op_sel_hi:[0,1,0]
	v_dot4_i32_iu8 v89, v100, v146, v89 neg_lo:[1,1,0]
	v_dot4_i32_iu8 v91, v94, v108, v91 neg_lo:[1,1,0]
	;; [unrolled: 1-line block ×4, first 2 shown]
	v_mul_lo_u32 v94, v95, v180
	v_mul_f32_e32 v95, v172, v85
	v_fma_mix_f32 v87, v90, v168, v87 op_sel_hi:[0,1,0]
	v_and_b32_e32 v171, 0xff, v171
	v_lshrrev_b16 v197, 8, v173
	v_and_b32_e32 v173, 0xff, v173
	v_dot4_i32_iu8 v89, v101, v147, v89 neg_lo:[1,1,0]
	v_fma_f32 v87, v87, v86, -v95
	v_mul_lo_u32 v92, v92, v171
	v_and_b32_e32 v182, 0xffff, v197
	v_mul_lo_u32 v88, v88, v173
	v_dot4_i32_iu8 v89, v102, v148, v89 neg_lo:[1,1,0]
	v_add_f32_e32 v17, v17, v87
	v_mul_lo_u32 v91, v91, v164
	v_cvt_f32_ubyte0_e32 v198, v174
	v_mul_lo_u32 v93, v93, v162
	v_mul_lo_u32 v89, v89, v182
	v_cvt_f32_ubyte1_e32 v170, v170
	v_cvt_f32_ubyte1_e32 v174, v174
	v_fma_mix_f32 v181, v167, v198, 0 op_sel:[1,0,0] op_sel_hi:[1,0,0]
	v_cvt_f32_i32_e32 v92, v92
	v_cvt_f32_i32_e32 v91, v91
	;; [unrolled: 1-line block ×3, first 2 shown]
	v_fma_mix_f32 v163, v168, v170, v163 op_sel:[1,0,0] op_sel_hi:[1,0,0]
	v_fma_mix_f32 v170, v168, v174, v181 op_sel:[1,0,0] op_sel_hi:[1,0,0]
	v_cvt_f32_i32_e32 v93, v93
	v_cvt_f32_i32_e32 v94, v94
	;; [unrolled: 1-line block ×3, first 2 shown]
	v_fma_mix_f32 v91, v167, v91, 0 op_sel_hi:[1,0,0]
	v_fma_mix_f32 v92, v167, v92, 0 op_sel_hi:[1,0,0]
	;; [unrolled: 1-line block ×3, first 2 shown]
	v_dual_mul_f32 v126, v163, v82 :: v_dual_mul_f32 v127, v169, v83
	v_mul_f32_e32 v135, v170, v84
	v_fma_mix_f32 v90, v168, v93, v91 op_sel_hi:[1,0,0]
	v_fma_mix_f32 v91, v168, v94, v92 op_sel_hi:[1,0,0]
	;; [unrolled: 1-line block ×3, first 2 shown]
	s_mov_b32 s21, 8
	s_and_b32 vcc_lo, exec_lo, s20
	v_fma_f32 v89, v90, v79, -v126
	v_fma_f32 v90, v91, v80, -v127
	;; [unrolled: 1-line block ×3, first 2 shown]
	s_mov_b32 s20, 0
	s_delay_alu instid0(VALU_DEP_2) | instskip(NEXT) | instid1(VALU_DEP_2)
	v_dual_add_f32 v22, v22, v89 :: v_dual_add_f32 v53, v53, v90
	v_add_f32_e32 v50, v50, v88
	s_wait_alu 0xfffe
	s_cbranch_vccnz .LBB194_11
; %bb.12:                               ;   in Loop: Header=BB194_5 Depth=1
	s_bitset1_b32 s18, 7
	s_wait_loadcnt 0x0
	s_wait_alu 0xfffe
	s_cmp_ge_i32 s18, s5
	s_barrier_signal -1
	s_barrier_wait -1
	global_inv scope:SCOPE_SE
	s_cbranch_scc1 .LBB194_4
; %bb.13:                               ;   in Loop: Header=BB194_5 Depth=1
	v_add_nc_u32_e32 v79, s19, v54
	s_delay_alu instid0(VALU_DEP_1)
	v_cmp_gt_i32_e32 vcc_lo, s6, v79
	s_and_b32 s19, s1, vcc_lo
	s_wait_alu 0xfffe
	s_and_saveexec_b32 s18, s19
	s_cbranch_execz .LBB194_15
; %bb.14:                               ;   in Loop: Header=BB194_5 Depth=1
	v_add_nc_u32_e32 v79, v61, v79
	s_delay_alu instid0(VALU_DEP_1)
	v_mad_co_i64_i32 v[79:80], null, v79, 36, v[18:19]
	global_load_b32 v79, v[79:80], off offset:4
	s_wait_loadcnt 0x0
	ds_store_b32 v52, v79
.LBB194_15:                             ;   in Loop: Header=BB194_5 Depth=1
	s_wait_alu 0xfffe
	s_or_b32 exec_lo, exec_lo, s18
	s_and_saveexec_b32 s18, s0
	s_cbranch_execz .LBB194_18
; %bb.16:                               ;   in Loop: Header=BB194_5 Depth=1
	v_or_b32_e32 v79, 4, v78
	s_delay_alu instid0(VALU_DEP_1)
	v_cmp_gt_i32_e32 vcc_lo, s6, v79
	s_and_b32 s19, s1, vcc_lo
	s_wait_alu 0xfffe
	s_and_b32 exec_lo, exec_lo, s19
	s_cbranch_execz .LBB194_18
; %bb.17:                               ;   in Loop: Header=BB194_5 Depth=1
	v_ashrrev_i32_e32 v79, 31, v78
	v_add_co_u32 v78, vcc_lo, v61, v78
	s_wait_alu 0xfffd
	s_delay_alu instid0(VALU_DEP_2) | instskip(NEXT) | instid1(VALU_DEP_2)
	v_add_co_ci_u32_e64 v80, null, v64, v79, vcc_lo
	v_mad_co_u64_u32 v[78:79], null, v78, 36, s[2:3]
	s_delay_alu instid0(VALU_DEP_1)
	v_mad_i32_i24 v79, v80, 36, v79
	global_load_b32 v78, v[78:79], off offset:144
	s_wait_loadcnt 0x0
	ds_store_b32 v69, v78
.LBB194_18:                             ;   in Loop: Header=BB194_5 Depth=1
	s_wait_alu 0xfffe
	s_or_b32 exec_lo, exec_lo, s18
	s_wait_loadcnt_dscnt 0x0
	s_barrier_signal -1
	s_barrier_wait -1
	global_inv scope:SCOPE_SE
	ds_load_b32 v79, v55
	ds_load_b32 v80, v56 offset:128
	ds_load_b32 v81, v57 offset:256
	;; [unrolled: 1-line block ×3, first 2 shown]
	s_mov_b32 s18, 16
	s_wait_dscnt 0x3
	v_lshrrev_b32_e32 v82, 16, v79
	s_wait_dscnt 0x2
	v_lshrrev_b32_e32 v83, 16, v80
	;; [unrolled: 2-line block ×4, first 2 shown]
	v_cvt_f32_f16_e32 v78, v79
	v_cvt_f32_f16_e32 v79, v80
	;; [unrolled: 1-line block ×8, first 2 shown]
.LBB194_19:                             ;   Parent Loop BB194_5 Depth=1
                                        ; =>  This Inner Loop Header: Depth=2
	s_wait_alu 0xfffe
	s_lshl_b32 s20, s18, 1
	s_lshr_b32 s19, s18, 2
	s_lshl_b32 s21, s18, 3
	s_wait_alu 0xfffe
	v_and_or_b32 v86, s20, 16, v36
	s_and_b32 s19, s19, 0x3ffffffe
	v_add_nc_u32_e32 v87, s21, v59
	s_wait_alu 0xfffe
	s_add_co_i32 s19, s19, 0x8200
	v_add_nc_u32_e32 v88, s21, v60
	v_add_nc_u32_e32 v89, s21, v62
	;; [unrolled: 1-line block ×3, first 2 shown]
	s_wait_alu 0xfffe
	v_add3_u32 v91, s19, v70, v71
	v_add3_u32 v92, s19, v72, v73
	;; [unrolled: 1-line block ×4, first 2 shown]
	v_lshlrev_b32_e32 v98, 2, v86
	v_lshrrev_b32_e32 v166, 1, v86
	ds_load_2addr_b32 v[102:103], v87 offset0:2 offset1:3
	ds_load_2addr_b32 v[104:105], v87 offset0:4 offset1:5
	ds_load_2addr_b32 v[106:107], v87 offset0:6 offset1:7
	ds_load_2addr_b32 v[108:109], v87 offset0:8 offset1:9
	ds_load_2addr_b32 v[110:111], v87 offset0:10 offset1:11
	ds_load_2addr_b32 v[112:113], v87 offset0:12 offset1:13
	ds_load_2addr_b32 v[114:115], v87 offset0:14 offset1:15
	ds_load_2addr_b32 v[116:117], v88 offset1:1
	ds_load_2addr_b32 v[118:119], v88 offset0:2 offset1:3
	ds_load_2addr_b32 v[120:121], v88 offset0:4 offset1:5
	ds_load_2addr_b32 v[122:123], v88 offset0:6 offset1:7
	ds_load_2addr_b32 v[124:125], v88 offset0:8 offset1:9
	ds_load_2addr_b32 v[126:127], v88 offset0:10 offset1:11
	ds_load_2addr_b32 v[128:129], v88 offset0:12 offset1:13
	ds_load_2addr_b32 v[130:131], v88 offset0:14 offset1:15
	ds_load_2addr_b32 v[132:133], v89 offset1:1
	ds_load_2addr_b32 v[134:135], v89 offset0:2 offset1:3
	ds_load_2addr_b32 v[136:137], v89 offset0:4 offset1:5
	ds_load_2addr_b32 v[138:139], v89 offset0:6 offset1:7
	ds_load_2addr_b32 v[140:141], v89 offset0:8 offset1:9
	ds_load_2addr_b32 v[142:143], v89 offset0:10 offset1:11
	ds_load_2addr_b32 v[144:145], v89 offset0:12 offset1:13
	ds_load_2addr_b32 v[146:147], v89 offset0:14 offset1:15
	ds_load_2addr_b32 v[148:149], v90 offset1:1
	ds_load_2addr_b32 v[150:151], v90 offset0:2 offset1:3
	ds_load_2addr_b32 v[152:153], v90 offset0:4 offset1:5
	ds_load_2addr_b32 v[154:155], v90 offset0:6 offset1:7
	ds_load_2addr_b32 v[156:157], v90 offset0:8 offset1:9
	ds_load_2addr_b32 v[158:159], v90 offset0:10 offset1:11
	ds_load_2addr_b32 v[160:161], v90 offset0:12 offset1:13
	ds_load_2addr_b32 v[162:163], v90 offset0:14 offset1:15
	ds_load_2addr_b32 v[164:165], v87 offset1:1
	ds_load_u16 v168, v91
	ds_load_u16 v169, v91 offset:8
	ds_load_u16 v170, v92
	ds_load_u16 v171, v92 offset:8
	;; [unrolled: 2-line block ×4, first 2 shown]
	ds_load_b128 v[86:89], v98 offset:35392
	ds_load_b128 v[90:93], v98 offset:35408
	;; [unrolled: 1-line block ×4, first 2 shown]
	ds_load_b64 v[166:167], v166 offset:36944
	s_wait_dscnt 0x15
	v_perm_b32 v176, v148, v149, 0xc0c0501
	s_wait_dscnt 0x14
	v_perm_b32 v177, v151, v150, 0x5010c0c
	v_perm_b32 v178, v148, v149, 0xc0c0703
	;; [unrolled: 1-line block ×7, first 2 shown]
	s_wait_dscnt 0x13
	v_perm_b32 v150, v153, v152, 0xc0c0602
	s_wait_dscnt 0x12
	v_perm_b32 v151, v155, v154, 0x6020c0c
	v_perm_b32 v182, v153, v152, 0xc0c0400
	;; [unrolled: 1-line block ×6, first 2 shown]
	s_wait_dscnt 0x4
	v_dot4_i32_iu8 v164, v86, v164, 0 neg_lo:[1,1,0]
	v_dot4_i32_iu8 v116, v86, v116, 0 neg_lo:[1,1,0]
	;; [unrolled: 1-line block ×3, first 2 shown]
	v_perm_b32 v153, v155, v154, 0x5010c0c
	v_perm_b32 v154, v156, v157, 0xc0c0501
	;; [unrolled: 1-line block ×7, first 2 shown]
	s_wait_dscnt 0x2
	v_dot4_i32_iu8 v108, v94, v108, 0 neg_lo:[1,1,0]
	v_dot4_i32_iu8 v124, v94, v124, 0 neg_lo:[1,1,0]
	;; [unrolled: 1-line block ×3, first 2 shown]
	v_or_b32_e32 v176, v177, v176
	v_perm_b32 v177, v86, v87, 0xc0c0501
	v_or_b32_e32 v178, v179, v178
	v_perm_b32 v179, v86, v87, 0xc0c0703
	;; [unrolled: 2-line block ×3, first 2 shown]
	v_perm_b32 v86, v86, v87, 0xc0c0602
	v_dot4_i32_iu8 v164, v87, v165, v164 neg_lo:[1,1,0]
	v_dot4_i32_iu8 v116, v87, v117, v116 neg_lo:[1,1,0]
	;; [unrolled: 1-line block ×3, first 2 shown]
	v_or_b32_e32 v154, v155, v154
	v_perm_b32 v155, v94, v95, 0xc0c0501
	v_or_b32_e32 v186, v187, v186
	v_perm_b32 v187, v94, v95, 0xc0c0703
	;; [unrolled: 2-line block ×3, first 2 shown]
	v_perm_b32 v94, v94, v95, 0xc0c0602
	v_dot4_i32_iu8 v108, v95, v109, v108 neg_lo:[1,1,0]
	v_dot4_i32_iu8 v109, v95, v125, v124 neg_lo:[1,1,0]
	;; [unrolled: 1-line block ×4, first 2 shown]
	v_perm_b32 v200, v89, v88, 0x5010c0c
	v_perm_b32 v201, v89, v88, 0x7030c0c
	;; [unrolled: 1-line block ×3, first 2 shown]
	v_or_b32_e32 v148, v149, v148
	v_perm_b32 v149, v89, v88, 0x6020c0c
	v_dot4_i32_iu8 v102, v88, v102, v164 neg_lo:[1,1,0]
	v_dot4_i32_iu8 v116, v88, v118, v116 neg_lo:[1,1,0]
	;; [unrolled: 1-line block ×4, first 2 shown]
	v_lshrrev_b16 v196, 8, v172
	v_and_b32_e32 v172, 0xff, v172
	v_perm_b32 v156, v156, v157, 0xc0c0602
	v_dot4_i32_iu8 v88, v97, v143, v88 neg_lo:[1,1,0]
	v_dot4_i32_iu8 v87, v90, v136, v87 neg_lo:[1,1,0]
	v_perm_b32 v157, v159, v158, 0x6020c0c
	v_perm_b32 v158, v161, v160, 0xc0c0602
	;; [unrolled: 1-line block ×3, first 2 shown]
	s_wait_dscnt 0x1
	v_dot4_i32_iu8 v88, v98, v144, v88 neg_lo:[1,1,0]
	v_dot4_i32_iu8 v87, v91, v137, v87 neg_lo:[1,1,0]
	v_perm_b32 v190, v161, v160, 0xc0c0400
	v_perm_b32 v192, v161, v160, 0xc0c0703
	;; [unrolled: 1-line block ×3, first 2 shown]
	v_dot4_i32_iu8 v88, v99, v145, v88 neg_lo:[1,1,0]
	v_dot4_i32_iu8 v87, v92, v138, v87 neg_lo:[1,1,0]
	v_perm_b32 v160, v161, v160, 0xc0c0501
	v_perm_b32 v161, v163, v162, 0x5010c0c
	v_or_b32_e32 v150, v151, v150
	v_dot4_i32_iu8 v88, v100, v146, v88 neg_lo:[1,1,0]
	v_dot4_i32_iu8 v87, v93, v139, v87 neg_lo:[1,1,0]
	v_perm_b32 v151, v91, v90, 0xc0c0602
	v_perm_b32 v203, v93, v92, 0x6020c0c
	v_or_b32_e32 v184, v185, v184
	v_perm_b32 v185, v91, v90, 0xc0c0703
	v_perm_b32 v205, v93, v92, 0x7030c0c
	v_or_b32_e32 v152, v153, v152
	v_perm_b32 v153, v91, v90, 0xc0c0501
	v_perm_b32 v206, v93, v92, 0x5010c0c
	;; [unrolled: 1-line block ×4, first 2 shown]
	v_or_b32_e32 v117, v200, v177
	v_or_b32_e32 v124, v201, v179
	v_and_b32_e32 v196, 0xffff, v196
	v_dot4_i32_iu8 v88, v101, v147, v88 neg_lo:[1,1,0]
	v_mul_lo_u32 v87, v87, v172
	v_perm_b32 v191, v163, v162, 0x4000c0c
	v_lshrrev_b16 v162, 8, v168
	v_and_b32_e32 v163, 0xff, v168
	v_cvt_f32_ubyte0_e32 v168, v169
	v_cvt_f32_ubyte0_e32 v197, v173
	v_or_b32_e32 v182, v183, v182
	v_perm_b32 v183, v91, v90, 0xc0c0400
	v_perm_b32 v204, v93, v92, 0x4000c0c
	v_perm_b32 v209, v97, v96, 0x4000c0c
	v_or_b32_e32 v156, v157, v156
	v_perm_b32 v157, v97, v96, 0x6020c0c
	v_or_b32_e32 v158, v159, v158
	v_perm_b32 v159, v99, v98, 0xc0c0602
	v_perm_b32 v210, v101, v100, 0x6020c0c
	v_or_b32_e32 v192, v193, v192
	v_perm_b32 v193, v99, v98, 0xc0c0703
	;; [unrolled: 3-line block ×3, first 2 shown]
	v_perm_b32 v213, v101, v100, 0x5010c0c
	v_or_b32_e32 v125, v202, v181
	v_or_b32_e32 v86, v149, v86
	;; [unrolled: 1-line block ×7, first 2 shown]
	v_dot4_i32_iu8 v108, v96, v110, v108 neg_lo:[1,1,0]
	v_dot4_i32_iu8 v109, v96, v126, v109 neg_lo:[1,1,0]
	;; [unrolled: 1-line block ×6, first 2 shown]
	v_mul_lo_u32 v88, v88, v196
	v_cvt_f32_ubyte1_e32 v169, v169
	v_cvt_f32_ubyte1_e32 v173, v173
	v_or_b32_e32 v190, v191, v190
	v_perm_b32 v191, v99, v98, 0xc0c0400
	v_perm_b32 v211, v101, v100, 0x4000c0c
	s_wait_dscnt 0x0
	v_fma_mix_f32 v168, v166, v168, 0 op_sel:[1,0,0] op_sel_hi:[1,0,0]
	v_fma_mix_f32 v197, v166, v197, 0 op_sel:[1,0,0] op_sel_hi:[1,0,0]
	v_or_b32_e32 v133, v204, v183
	v_or_b32_e32 v153, v209, v189
	;; [unrolled: 1-line block ×6, first 2 shown]
	v_dot4_i32_iu8 v110, v180, v125, 0 neg_lo:[1,1,0]
	v_dot4_i32_iu8 v86, v148, v86, 0 neg_lo:[1,1,0]
	;; [unrolled: 1-line block ×10, first 2 shown]
	v_cvt_f32_i32_e32 v87, v87
	v_or_b32_e32 v157, v211, v191
	v_fma_mix_f32 v165, v167, v169, v168 op_sel:[1,0,0] op_sel_hi:[1,0,0]
	v_fma_mix_f32 v169, v167, v173, v197 op_sel:[1,0,0] op_sel_hi:[1,0,0]
	v_dot4_i32_iu8 v124, v188, v153, 0 neg_lo:[1,1,0]
	v_dot4_i32_iu8 v94, v156, v94, 0 neg_lo:[1,1,0]
	;; [unrolled: 1-line block ×8, first 2 shown]
	v_add_nc_u32_e32 v90, v95, v96
	v_dot4_i32_iu8 v96, v91, v105, v102 neg_lo:[1,1,0]
	v_dot4_i32_iu8 v98, v91, v121, v103 neg_lo:[1,1,0]
	v_cvt_f32_i32_e32 v88, v88
	v_fma_mix_f32 v87, v166, v87, 0 op_sel_hi:[1,0,0]
	v_mul_f32_e32 v134, v169, v83
	v_dot4_i32_iu8 v94, v158, v155, v94 neg_lo:[1,1,0]
	v_dot4_i32_iu8 v97, v190, v157, v124 neg_lo:[1,1,0]
	v_add_nc_u32_e32 v95, v111, v110
	v_dot4_i32_iu8 v102, v99, v113, v104 neg_lo:[1,1,0]
	v_dot4_i32_iu8 v103, v99, v129, v108 neg_lo:[1,1,0]
	v_add3_u32 v86, v89, v86, v90
	v_dot4_i32_iu8 v90, v92, v106, v96 neg_lo:[1,1,0]
	v_dot4_i32_iu8 v91, v92, v122, v98 neg_lo:[1,1,0]
	v_fma_mix_f32 v87, v167, v88, v87 op_sel_hi:[1,0,0]
	v_lshrrev_b16 v194, 8, v170
	v_and_b32_e32 v170, 0xff, v170
	v_lshrrev_b16 v198, 8, v174
	v_and_b32_e32 v174, 0xff, v174
	v_add3_u32 v89, v97, v94, v95
	v_dot4_i32_iu8 v94, v100, v114, v102 neg_lo:[1,1,0]
	v_dot4_i32_iu8 v95, v100, v130, v103 neg_lo:[1,1,0]
	;; [unrolled: 1-line block ×4, first 2 shown]
	v_fma_f32 v87, v87, v80, -v134
	v_and_b32_e32 v162, 0xffff, v162
	v_and_b32_e32 v194, 0xffff, v194
	;; [unrolled: 1-line block ×3, first 2 shown]
	v_mul_lo_u32 v86, v86, v174
	v_dot4_i32_iu8 v92, v101, v115, v94 neg_lo:[1,1,0]
	v_dot4_i32_iu8 v94, v101, v131, v95 neg_lo:[1,1,0]
	v_mul_lo_u32 v91, v91, v170
	v_add_f32_e32 v50, v50, v87
	v_mul_lo_u32 v90, v90, v163
	v_cvt_f32_ubyte0_e32 v195, v171
	v_cvt_f32_ubyte0_e32 v199, v175
	v_mul_lo_u32 v89, v89, v198
	v_mul_lo_u32 v92, v92, v162
	;; [unrolled: 1-line block ×3, first 2 shown]
	v_cvt_f32_ubyte1_e32 v171, v171
	v_cvt_f32_ubyte1_e32 v175, v175
	v_fma_mix_f32 v195, v166, v195, 0 op_sel:[1,0,0] op_sel_hi:[1,0,0]
	v_fma_mix_f32 v199, v199, v166, 0 op_sel:[0,1,0] op_sel_hi:[0,1,0]
	v_cvt_f32_i32_e32 v86, v86
	v_cvt_f32_i32_e32 v90, v90
	;; [unrolled: 1-line block ×3, first 2 shown]
	v_fma_mix_f32 v168, v167, v171, v195 op_sel:[1,0,0] op_sel_hi:[1,0,0]
	v_fma_mix_f32 v171, v175, v167, v199 op_sel:[0,1,0] op_sel_hi:[0,1,0]
	v_cvt_f32_i32_e32 v89, v89
	v_fma_mix_f32 v86, v86, v166, 0 op_sel_hi:[0,1,0]
	v_cvt_f32_i32_e32 v92, v92
	v_cvt_f32_i32_e32 v93, v93
	v_fma_mix_f32 v90, v166, v90, 0 op_sel_hi:[1,0,0]
	v_fma_mix_f32 v91, v166, v91, 0 op_sel_hi:[1,0,0]
	v_dual_mul_f32 v125, v165, v81 :: v_dual_mul_f32 v126, v168, v82
	v_mul_f32_e32 v94, v171, v84
	v_fma_mix_f32 v86, v89, v167, v86 op_sel_hi:[0,1,0]
	v_fma_mix_f32 v89, v167, v92, v90 op_sel_hi:[1,0,0]
	;; [unrolled: 1-line block ×3, first 2 shown]
	s_add_co_i32 s19, s18, 8
	s_cmp_lt_u32 s18, 24
	v_fma_f32 v86, v86, v85, -v94
	v_fma_f32 v88, v89, v78, -v125
	;; [unrolled: 1-line block ×3, first 2 shown]
	s_wait_alu 0xfffe
	s_mov_b32 s18, s19
	s_delay_alu instid0(VALU_DEP_2) | instskip(NEXT) | instid1(VALU_DEP_2)
	v_dual_add_f32 v17, v17, v86 :: v_dual_add_f32 v22, v22, v88
	v_add_f32_e32 v53, v53, v89
	s_cbranch_scc1 .LBB194_19
; %bb.20:                               ;   in Loop: Header=BB194_5 Depth=1
	s_wait_loadcnt 0x0
	s_barrier_signal -1
	s_barrier_wait -1
	global_inv scope:SCOPE_SE
	s_branch .LBB194_4
.LBB194_21:
	s_mul_i32 s0, s10, s7
	s_wait_loadcnt 0x0
	s_wait_alu 0xfffe
	v_cmp_gt_i32_e32 vcc_lo, s0, v20
	s_and_saveexec_b32 s0, vcc_lo
	s_cbranch_execz .LBB194_30
; %bb.22:
	v_mul_lo_u32 v0, v20, s9
	v_add_nc_u32_e32 v1, s11, v21
	s_mov_b32 s0, exec_lo
	s_delay_alu instid0(VALU_DEP_1)
	v_cmpx_gt_u32_e64 s9, v1
	s_cbranch_execz .LBB194_24
; %bb.23:
	s_delay_alu instid0(VALU_DEP_3) | instskip(NEXT) | instid1(VALU_DEP_1)
	v_dual_mov_b32 v3, 0 :: v_dual_add_nc_u32 v2, v0, v1
	v_lshlrev_b64_e32 v[2:3], 2, v[2:3]
	s_delay_alu instid0(VALU_DEP_1) | instskip(SKIP_1) | instid1(VALU_DEP_2)
	v_add_co_u32 v2, vcc_lo, s12, v2
	s_wait_alu 0xfffd
	v_add_co_ci_u32_e64 v3, null, s13, v3, vcc_lo
	global_store_b32 v[2:3], v22, off
.LBB194_24:
	s_wait_alu 0xfffe
	s_or_b32 exec_lo, exec_lo, s0
	v_add_nc_u32_e32 v2, 32, v1
	s_mov_b32 s0, exec_lo
	s_delay_alu instid0(VALU_DEP_1)
	v_cmpx_gt_u32_e64 s9, v2
	s_cbranch_execz .LBB194_26
; %bb.25:
	v_dual_mov_b32 v3, 0 :: v_dual_add_nc_u32 v2, v0, v2
	s_delay_alu instid0(VALU_DEP_1) | instskip(NEXT) | instid1(VALU_DEP_1)
	v_lshlrev_b64_e32 v[2:3], 2, v[2:3]
	v_add_co_u32 v2, vcc_lo, s12, v2
	s_wait_alu 0xfffd
	s_delay_alu instid0(VALU_DEP_2)
	v_add_co_ci_u32_e64 v3, null, s13, v3, vcc_lo
	global_store_b32 v[2:3], v53, off
.LBB194_26:
	s_wait_alu 0xfffe
	s_or_b32 exec_lo, exec_lo, s0
	v_add_nc_u32_e32 v2, 64, v1
	s_mov_b32 s0, exec_lo
	s_delay_alu instid0(VALU_DEP_1)
	v_cmpx_gt_u32_e64 s9, v2
	s_cbranch_execz .LBB194_28
; %bb.27:
	v_dual_mov_b32 v3, 0 :: v_dual_add_nc_u32 v2, v0, v2
	s_delay_alu instid0(VALU_DEP_1) | instskip(NEXT) | instid1(VALU_DEP_1)
	v_lshlrev_b64_e32 v[2:3], 2, v[2:3]
	v_add_co_u32 v2, vcc_lo, s12, v2
	s_wait_alu 0xfffd
	s_delay_alu instid0(VALU_DEP_2)
	v_add_co_ci_u32_e64 v3, null, s13, v3, vcc_lo
	global_store_b32 v[2:3], v50, off
.LBB194_28:
	s_wait_alu 0xfffe
	s_or_b32 exec_lo, exec_lo, s0
	v_add_nc_u32_e32 v1, 0x60, v1
	s_delay_alu instid0(VALU_DEP_1)
	v_cmp_gt_u32_e32 vcc_lo, s9, v1
	s_and_b32 exec_lo, exec_lo, vcc_lo
	s_cbranch_execz .LBB194_30
; %bb.29:
	v_dual_mov_b32 v1, 0 :: v_dual_add_nc_u32 v0, v0, v1
	s_delay_alu instid0(VALU_DEP_1) | instskip(NEXT) | instid1(VALU_DEP_1)
	v_lshlrev_b64_e32 v[0:1], 2, v[0:1]
	v_add_co_u32 v0, vcc_lo, s12, v0
	s_wait_alu 0xfffd
	s_delay_alu instid0(VALU_DEP_2)
	v_add_co_ci_u32_e64 v1, null, s13, v1, vcc_lo
	global_store_b32 v[0:1], v17, off
.LBB194_30:
	s_nop 0
	s_sendmsg sendmsg(MSG_DEALLOC_VGPRS)
	s_endpgm
	.section	.rodata,"a",@progbits
	.p2align	6, 0x0
	.amdhsa_kernel _ZL8moe_q5_KIfLb1EEvPKvS1_PT_PKiS5_S5_iiiiiii
		.amdhsa_group_segment_fixed_size 37072
		.amdhsa_private_segment_fixed_size 0
		.amdhsa_kernarg_size 76
		.amdhsa_user_sgpr_count 2
		.amdhsa_user_sgpr_dispatch_ptr 0
		.amdhsa_user_sgpr_queue_ptr 0
		.amdhsa_user_sgpr_kernarg_segment_ptr 1
		.amdhsa_user_sgpr_dispatch_id 0
		.amdhsa_user_sgpr_private_segment_size 0
		.amdhsa_wavefront_size32 1
		.amdhsa_uses_dynamic_stack 0
		.amdhsa_enable_private_segment 0
		.amdhsa_system_sgpr_workgroup_id_x 1
		.amdhsa_system_sgpr_workgroup_id_y 1
		.amdhsa_system_sgpr_workgroup_id_z 0
		.amdhsa_system_sgpr_workgroup_info 0
		.amdhsa_system_vgpr_workitem_id 1
		.amdhsa_next_free_vgpr 231
		.amdhsa_next_free_sgpr 23
		.amdhsa_reserve_vcc 1
		.amdhsa_float_round_mode_32 0
		.amdhsa_float_round_mode_16_64 0
		.amdhsa_float_denorm_mode_32 3
		.amdhsa_float_denorm_mode_16_64 3
		.amdhsa_fp16_overflow 0
		.amdhsa_workgroup_processor_mode 1
		.amdhsa_memory_ordered 1
		.amdhsa_forward_progress 1
		.amdhsa_inst_pref_size 80
		.amdhsa_round_robin_scheduling 0
		.amdhsa_exception_fp_ieee_invalid_op 0
		.amdhsa_exception_fp_denorm_src 0
		.amdhsa_exception_fp_ieee_div_zero 0
		.amdhsa_exception_fp_ieee_overflow 0
		.amdhsa_exception_fp_ieee_underflow 0
		.amdhsa_exception_fp_ieee_inexact 0
		.amdhsa_exception_int_div_zero 0
	.end_amdhsa_kernel
	.section	.text._ZL8moe_q5_KIfLb1EEvPKvS1_PT_PKiS5_S5_iiiiiii,"axG",@progbits,_ZL8moe_q5_KIfLb1EEvPKvS1_PT_PKiS5_S5_iiiiiii,comdat
.Lfunc_end194:
	.size	_ZL8moe_q5_KIfLb1EEvPKvS1_PT_PKiS5_S5_iiiiiii, .Lfunc_end194-_ZL8moe_q5_KIfLb1EEvPKvS1_PT_PKiS5_S5_iiiiiii
                                        ; -- End function
	.set _ZL8moe_q5_KIfLb1EEvPKvS1_PT_PKiS5_S5_iiiiiii.num_vgpr, 231
	.set _ZL8moe_q5_KIfLb1EEvPKvS1_PT_PKiS5_S5_iiiiiii.num_agpr, 0
	.set _ZL8moe_q5_KIfLb1EEvPKvS1_PT_PKiS5_S5_iiiiiii.numbered_sgpr, 23
	.set _ZL8moe_q5_KIfLb1EEvPKvS1_PT_PKiS5_S5_iiiiiii.num_named_barrier, 0
	.set _ZL8moe_q5_KIfLb1EEvPKvS1_PT_PKiS5_S5_iiiiiii.private_seg_size, 0
	.set _ZL8moe_q5_KIfLb1EEvPKvS1_PT_PKiS5_S5_iiiiiii.uses_vcc, 1
	.set _ZL8moe_q5_KIfLb1EEvPKvS1_PT_PKiS5_S5_iiiiiii.uses_flat_scratch, 0
	.set _ZL8moe_q5_KIfLb1EEvPKvS1_PT_PKiS5_S5_iiiiiii.has_dyn_sized_stack, 0
	.set _ZL8moe_q5_KIfLb1EEvPKvS1_PT_PKiS5_S5_iiiiiii.has_recursion, 0
	.set _ZL8moe_q5_KIfLb1EEvPKvS1_PT_PKiS5_S5_iiiiiii.has_indirect_call, 0
	.section	.AMDGPU.csdata,"",@progbits
; Kernel info:
; codeLenInByte = 10176
; TotalNumSgprs: 25
; NumVgprs: 231
; ScratchSize: 0
; MemoryBound: 0
; FloatMode: 240
; IeeeMode: 1
; LDSByteSize: 37072 bytes/workgroup (compile time only)
; SGPRBlocks: 0
; VGPRBlocks: 28
; NumSGPRsForWavesPerEU: 25
; NumVGPRsForWavesPerEU: 231
; Occupancy: 6
; WaveLimiterHint : 1
; COMPUTE_PGM_RSRC2:SCRATCH_EN: 0
; COMPUTE_PGM_RSRC2:USER_SGPR: 2
; COMPUTE_PGM_RSRC2:TRAP_HANDLER: 0
; COMPUTE_PGM_RSRC2:TGID_X_EN: 1
; COMPUTE_PGM_RSRC2:TGID_Y_EN: 1
; COMPUTE_PGM_RSRC2:TGID_Z_EN: 0
; COMPUTE_PGM_RSRC2:TIDIG_COMP_CNT: 1
	.section	.text._ZL8moe_q6_KIfLb0EEvPKvS1_PT_PKiS5_S5_iiiiiii,"axG",@progbits,_ZL8moe_q6_KIfLb0EEvPKvS1_PT_PKiS5_S5_iiiiiii,comdat
	.globl	_ZL8moe_q6_KIfLb0EEvPKvS1_PT_PKiS5_S5_iiiiiii ; -- Begin function _ZL8moe_q6_KIfLb0EEvPKvS1_PT_PKiS5_S5_iiiiiii
	.p2align	8
	.type	_ZL8moe_q6_KIfLb0EEvPKvS1_PT_PKiS5_S5_iiiiiii,@function
_ZL8moe_q6_KIfLb0EEvPKvS1_PT_PKiS5_S5_iiiiiii: ; @_ZL8moe_q6_KIfLb0EEvPKvS1_PT_PKiS5_S5_iiiiiii
; %bb.0:
	s_load_b128 s[4:7], s[0:1], 0x18
	s_mov_b32 s2, ttmp7
	s_mov_b32 s3, 0
	s_delay_alu instid0(SALU_CYCLE_1)
	s_lshl_b64 s[2:3], s[2:3], 2
	s_wait_kmcnt 0x0
	s_add_nc_u64 s[2:3], s[6:7], s[2:3]
	s_load_b32 s12, s[2:3], 0x0
	s_wait_kmcnt 0x0
	s_cmp_gt_u32 s12, 0xff
	s_cbranch_scc1 .LBB195_30
; %bb.1:
	s_load_b64 s[2:3], s[0:1], 0x28
	s_wait_kmcnt 0x0
	s_load_b32 s3, s[2:3], 0x0
	s_lshl_b32 s2, ttmp7, 3
	s_wait_kmcnt 0x0
	s_cmp_gt_u32 s2, s3
	s_cbranch_scc1 .LBB195_30
; %bb.2:
	v_bfe_u32 v3, v0, 10, 10
	v_mov_b32_e32 v2, 0
	s_lshl_b32 s18, ttmp9, 7
	s_delay_alu instid0(VALU_DEP_2) | instskip(NEXT) | instid1(VALU_DEP_2)
	v_add_nc_u32_e32 v1, s2, v3
	v_dual_mov_b32 v41, v2 :: v_dual_and_b32 v6, 0x3ff, v0
	v_mov_b32_e32 v47, v2
	v_mov_b32_e32 v7, v2
	s_delay_alu instid0(VALU_DEP_4) | instskip(NEXT) | instid1(VALU_DEP_1)
	v_lshlrev_b64_e32 v[4:5], 2, v[1:2]
	v_add_co_u32 v4, vcc_lo, s4, v4
	s_delay_alu instid0(VALU_DEP_1)
	v_add_co_ci_u32_e64 v5, null, s5, v5, vcc_lo
	global_load_b32 v5, v[4:5], off
	s_clause 0x2
	s_load_b64 s[10:11], s[0:1], 0x30
	s_load_b64 s[8:9], s[0:1], 0x10
	s_load_b128 s[4:7], s[0:1], 0x3c
	s_wait_kmcnt 0x0
	s_cmp_lt_i32 s11, 0x100
	s_cbranch_scc1 .LBB195_21
; %bb.3:
	v_and_b32_e32 v1, 31, v0
	v_dual_mov_b32 v7, 0 :: v_dual_and_b32 v4, 7, v0
	v_lshrrev_b32_e32 v2, 1, v0
	v_lshlrev_b32_e32 v19, 3, v3
	v_bfe_u32 v20, v0, 2, 8
	v_lshlrev_b32_e32 v23, 1, v1
	s_ashr_i32 s2, s11, 31
	s_abs_i32 s16, s7
	s_wait_alu 0xfffe
	s_lshr_b32 s13, s2, 24
	s_load_b128 s[0:3], s[0:1], 0x0
	v_and_or_b32 v2, v2, 8, v4
	v_add_nc_u16 v4, v1, -16
	v_cmp_gt_u32_e32 vcc_lo, 16, v1
	v_add_nc_u32_e32 v25, v20, v19
	v_add_nc_u16 v41, v20, v19
	v_add_nc_u32_e32 v19, 0xe0, v23
	s_cvt_f32_u32 s15, s16
	v_lshlrev_b32_e32 v38, 2, v0
	v_lshlrev_b32_e32 v15, 2, v1
	s_wait_alu 0xfffd
	v_dual_cndmask_b32 v1, v4, v1 :: v_dual_cndmask_b32 v4, v19, v23
	v_rcp_iflag_f32_e32 v29, s15
	v_lshlrev_b32_e32 v21, 2, v2
	s_add_co_i32 s13, s11, s13
	s_ashr_i32 s14, s5, 31
	v_and_b32_e32 v2, 0xfe, v4
	s_ashr_i32 s19, s13, 8
	s_wait_alu 0xfffe
	s_lshr_b32 s14, s14, 27
	s_mul_i32 s12, s12, s10
	v_and_b32_e32 v17, 15, v0
	v_mul_u32_u24_e32 v18, 0x41, v3
	s_wait_alu 0xfffe
	s_add_co_i32 s5, s5, s14
	s_mul_i32 s14, s19, s18
	v_sub_nc_u32_e32 v2, v23, v2
	v_readfirstlane_b32 s17, v29
	s_ashr_i32 s13, s12, 31
	s_wait_alu 0xfffe
	s_ashr_i32 s15, s14, 31
	s_wait_kmcnt 0x0
	s_add_nc_u64 s[0:1], s[0:1], s[12:13]
	s_wait_alu 0xfffe
	s_mul_u64 s[14:15], s[14:15], 0xd2
	v_lshlrev_b32_e32 v27, 2, v17
	v_lshlrev_b32_e32 v28, 2, v18
	v_cmp_lt_u16_e32 vcc_lo, 7, v1
	v_lshlrev_b32_e32 v1, 2, v2
	v_lshlrev_b32_e32 v11, 5, v3
	s_wait_alu 0xfffe
	s_add_nc_u64 s[12:13], s[0:1], s[14:15]
	s_mul_f32 s0, s17, 0x4f7ffffe
	s_sub_co_i32 s1, 0, s16
	v_add3_u32 v27, v1, v27, v28
	v_lshrrev_b16 v1, 1, v41
	s_wait_loadcnt 0x0
	v_sub_nc_u32_e32 v41, 0, v5
	s_cvt_u32_f32 s0, s0
	v_add_nc_u32_e32 v24, v11, v6
	v_and_b32_e32 v42, 0x7f, v25
	v_and_b32_e32 v38, 12, v38
	s_mul_i32 s1, s1, s0
	v_max_i32_e32 v41, v5, v41
	v_and_b32_e32 v4, 0x7f, v24
	v_lshrrev_b32_e32 v26, 3, v24
	s_mul_hi_u32 s1, s0, s1
	v_bfe_u32 v8, v0, 5, 5
	s_add_co_i32 s0, s0, s1
	v_mul_i32_i24_e32 v25, s19, v4
	v_mul_hi_u32 v47, v41, s0
	v_and_b32_e32 v2, 12, v26
	v_lshlrev_b32_e32 v4, 2, v4
	v_mul_i32_i24_e32 v40, s19, v42
	v_lshlrev_b32_e32 v51, 2, v8
	v_bfe_u32 v48, v0, 3, 7
	s_wait_alu 0xfffd
	v_cndmask_b32_e64 v24, 0, 2, vcc_lo
	v_add3_u32 v39, v4, v2, 0x8e40
	v_xor_b32_e32 v4, 64, v42
	v_mul_lo_u32 v50, v47, s16
	v_lshl_or_b32 v2, v42, 4, v38
	s_lshl_b32 s10, s19, 3
	v_add_nc_u32_e32 v55, 0x60, v6
	v_lshrrev_b32_e32 v42, 1, v4
	v_mad_i32_i24 v9, s19, v3, s10
	v_and_b32_e32 v1, 60, v1
	v_xor_b32_e32 v53, s7, v5
	v_sub_nc_u32_e32 v0, v41, v50
	v_and_b32_e32 v46, 60, v42
	v_lshlrev_b32_e32 v42, 2, v6
	v_add_nc_u32_e32 v41, 1, v47
	v_add_nc_u32_e32 v10, s10, v9
	v_cmp_le_u32_e32 vcc_lo, s16, v0
	v_lshl_or_b32 v45, v4, 4, v38
	v_add3_u32 v50, v51, v42, 0x8e40
	v_subrev_nc_u32_e32 v51, s16, v0
	v_add3_u32 v43, v2, v1, 0x8200
	s_wait_alu 0xfffd
	v_cndmask_b32_e32 v41, v47, v41, vcc_lo
	v_add_nc_u32_e32 v47, 64, v6
	v_lshl_or_b32 v1, v3, 7, v15
	v_cndmask_b32_e32 v0, v0, v51, vcc_lo
	v_ashrrev_i32_e32 v56, 31, v53
	v_add_nc_u32_e32 v54, 1, v41
	v_lshrrev_b32_e32 v51, 3, v47
	v_lshlrev_b32_e32 v47, 2, v47
	v_cmp_le_u32_e32 vcc_lo, s16, v0
	v_add3_u32 v45, v45, v46, 0x8200
	v_add_nc_u32_e32 v46, 0x8a40, v1
	v_add_nc_u32_e32 v1, 32, v6
	v_lshlrev_b32_e32 v72, 2, v47
	s_wait_alu 0xfffd
	v_dual_cndmask_b32 v0, v41, v54 :: v_dual_and_b32 v41, 60, v51
	v_dual_mov_b32 v47, 0 :: v_dual_add_nc_u32 v12, s10, v10
	v_lshrrev_b32_e32 v49, 3, v1
	s_delay_alu instid0(VALU_DEP_3) | instskip(NEXT) | instid1(VALU_DEP_4)
	v_xor_b32_e32 v0, v0, v56
	v_add3_u32 v54, v42, v41, 0x8e40
	v_lshlrev_b32_e32 v41, 2, v55
	s_ashr_i32 s5, s5, 5
	v_lshlrev_b32_e32 v71, 2, v1
	v_sub_nc_u32_e32 v0, v0, v56
	v_and_b32_e32 v1, 60, v49
	v_lshlrev_b32_e32 v73, 2, v41
	v_mov_b32_e32 v41, 0
	v_add_nc_u32_e32 v13, s10, v12
	v_lshrrev_b32_e32 v52, 3, v55
	s_wait_alu 0xfffe
	v_mul_lo_u32 v58, v0, s5
	v_mul_i32_i24_e32 v44, s19, v4
	v_and_b32_e32 v4, 28, v42
	v_add_nc_u32_e32 v14, s10, v13
	v_mul_i32_i24_e32 v19, s19, v3
	v_add_nc_u32_e32 v29, 0x30c0, v27
	v_add_nc_u32_e32 v2, 0x9050, v42
	v_lshlrev_b32_e32 v3, 4, v3
	v_add_nc_u32_e32 v16, s10, v14
	v_add3_u32 v53, v42, v1, 0x8e40
	v_and_b32_e32 v1, 60, v52
	s_movk_i32 s1, 0x104
	v_cmp_gt_u32_e64 s0, 4, v6
	v_add_nc_u32_e32 v17, s10, v16
	s_wait_alu 0xfffe
	v_mad_u32_u24 v60, v6, s1, 0x6180
	v_cmp_gt_i32_e64 s1, s4, v0
	v_add_nc_u32_e32 v30, 0x5140, v27
	v_add_nc_u32_e32 v31, 0x5960, v27
	;; [unrolled: 1-line block ×8, first 2 shown]
	v_add3_u32 v55, v42, v1, 0x8e40
	v_mul_u32_u24_e32 v56, 0x104, v6
	v_ashrrev_i32_e32 v61, 31, v58
	v_add_nc_u32_e32 v62, 0x800, v27
	v_add_nc_u32_e32 v22, s10, v20
	;; [unrolled: 1-line block ×12, first 2 shown]
	v_dual_mov_b32 v2, 0 :: v_dual_lshlrev_b32 v71, 2, v71
	s_mov_b32 s15, 0
	s_delay_alu instid0(VALU_DEP_2) | instskip(SKIP_2) | instid1(VALU_DEP_1)
	v_add_nc_u32_e32 v28, s10, v26
	s_wait_alu 0xfffe
	s_mov_b32 s14, s15
	v_add_nc_u32_e32 v32, s10, v28
	s_delay_alu instid0(VALU_DEP_1)
	v_add_nc_u32_e32 v37, s10, v32
	s_movk_i32 s10, 0x2080
	s_wait_alu 0xfffe
	v_mad_u32_u24 v57, 0x104, v6, s10
	s_movk_i32 s10, 0x4100
	s_wait_alu 0xfffe
	v_mad_u32_u24 v59, 0x104, v6, s10
	v_add_co_u32 v0, s10, s2, v4
	s_wait_alu 0xf1ff
	v_add_co_ci_u32_e64 v1, null, s3, 0, s10
	s_and_b32 s10, s0, s1
	s_branch .LBB195_5
.LBB195_4:                              ;   in Loop: Header=BB195_5 Depth=1
	s_add_co_i32 s14, s14, 1
	s_wait_alu 0xfffe
	s_cmp_eq_u32 s14, s19
	s_cbranch_scc1 .LBB195_21
.LBB195_5:                              ; =>This Loop Header: Depth=1
                                        ;     Child Loop BB195_11 Depth 2
                                        ;     Child Loop BB195_19 Depth 2
	s_mul_u64 s[16:17], s[14:15], 0xd2
	s_wait_alu 0xfffe
	s_add_nc_u64 s[16:17], s[12:13], s[16:17]
	s_wait_alu 0xfffe
	v_mad_co_u64_u32 v[3:4], null, 0xd2, v8, s[16:17]
	s_delay_alu instid0(VALU_DEP_1) | instskip(SKIP_3) | instid1(VALU_DEP_4)
	v_mad_co_u64_u32 v[74:75], null, 0xd2, v19, v[3:4]
	v_mad_co_u64_u32 v[76:77], null, 0xd2, v9, v[3:4]
	;; [unrolled: 1-line block ×4, first 2 shown]
	v_add_co_u32 v80, vcc_lo, v74, v15
	s_wait_alu 0xfffd
	v_add_co_ci_u32_e64 v81, null, 0, v75, vcc_lo
	v_add_co_u32 v74, vcc_lo, v74, v21
	s_wait_alu 0xfffd
	v_add_co_ci_u32_e64 v75, null, 0, v75, vcc_lo
	;; [unrolled: 3-line block ×4, first 2 shown]
	v_add_co_u32 v84, vcc_lo, v78, v15
	v_mad_co_u64_u32 v[93:94], null, 0xd2, v13, v[3:4]
	s_wait_alu 0xfffd
	v_add_co_ci_u32_e64 v85, null, 0, v79, vcc_lo
	v_add_co_u32 v78, vcc_lo, v78, v21
	s_wait_alu 0xfffd
	v_add_co_ci_u32_e64 v79, null, 0, v79, vcc_lo
	v_add_co_u32 v95, vcc_lo, v86, v15
	s_wait_alu 0xfffd
	v_add_co_ci_u32_e64 v96, null, 0, v87, vcc_lo
	v_add_co_u32 v97, vcc_lo, v86, v21
	s_wait_alu 0xfffd
	v_add_co_ci_u32_e64 v98, null, 0, v87, vcc_lo
	v_add_co_u32 v99, vcc_lo, v93, v15
	s_wait_alu 0xfffd
	v_add_co_ci_u32_e64 v100, null, 0, v94, vcc_lo
	s_clause 0x8
	global_load_b32 v91, v[80:81], off
	global_load_b32 v92, v[74:75], off offset:128
	global_load_b32 v89, v[82:83], off
	global_load_b32 v90, v[76:77], off offset:128
	;; [unrolled: 2-line block ×4, first 2 shown]
	global_load_b32 v88, v[99:100], off
	v_mad_co_u64_u32 v[74:75], null, 0xd2, v14, v[3:4]
	v_mad_co_u64_u32 v[78:79], null, 0xd2, v16, v[3:4]
	v_add_co_u32 v76, vcc_lo, v93, v21
	s_wait_alu 0xfffd
	v_add_co_ci_u32_e64 v77, null, 0, v94, vcc_lo
	s_delay_alu instid0(VALU_DEP_4)
	v_add_co_u32 v80, vcc_lo, v74, v15
	s_wait_alu 0xfffd
	v_add_co_ci_u32_e64 v81, null, 0, v75, vcc_lo
	v_add_co_u32 v74, vcc_lo, v74, v21
	s_wait_alu 0xfffd
	v_add_co_ci_u32_e64 v75, null, 0, v75, vcc_lo
	;; [unrolled: 3-line block ×4, first 2 shown]
	s_clause 0x4
	global_load_b32 v113, v[76:77], off offset:128
	global_load_b32 v114, v[80:81], off
	global_load_b32 v115, v[74:75], off offset:128
	global_load_b32 v77, v[82:83], off
	global_load_b32 v116, v[78:79], off offset:128
	v_mad_co_u64_u32 v[74:75], null, 0xd2, v17, v[3:4]
	v_mad_co_u64_u32 v[78:79], null, 0xd2, v18, v[3:4]
	;; [unrolled: 1-line block ×4, first 2 shown]
	s_delay_alu instid0(VALU_DEP_4)
	v_add_co_u32 v99, vcc_lo, v74, v15
	s_wait_alu 0xfffd
	v_add_co_ci_u32_e64 v100, null, 0, v75, vcc_lo
	v_add_co_u32 v74, vcc_lo, v74, v21
	s_wait_alu 0xfffd
	v_add_co_ci_u32_e64 v75, null, 0, v75, vcc_lo
	s_clause 0x1
	global_load_b32 v117, v[99:100], off
	global_load_b32 v118, v[74:75], off offset:128
	v_add_co_u32 v101, vcc_lo, v78, v15
	s_wait_alu 0xfffd
	v_add_co_ci_u32_e64 v102, null, 0, v79, vcc_lo
	v_add_co_u32 v78, vcc_lo, v78, v21
	v_mad_co_u64_u32 v[93:94], null, 0xd2, v23, v[3:4]
	s_wait_alu 0xfffd
	v_add_co_ci_u32_e64 v79, null, 0, v79, vcc_lo
	v_add_co_u32 v103, vcc_lo, v80, v15
	s_wait_alu 0xfffd
	v_add_co_ci_u32_e64 v104, null, 0, v81, vcc_lo
	v_add_co_u32 v80, vcc_lo, v80, v21
	v_mad_co_u64_u32 v[95:96], null, 0xd2, v26, v[3:4]
	s_wait_alu 0xfffd
	v_add_co_ci_u32_e64 v81, null, 0, v81, vcc_lo
	;; [unrolled: 7-line block ×3, first 2 shown]
	v_add_co_u32 v74, vcc_lo, v93, v15
	s_wait_alu 0xfffd
	v_add_co_ci_u32_e64 v75, null, 0, v94, vcc_lo
	v_add_co_u32 v99, vcc_lo, v93, v21
	s_wait_alu 0xfffd
	v_add_co_ci_u32_e64 v100, null, 0, v94, vcc_lo
	;; [unrolled: 3-line block ×6, first 2 shown]
	s_clause 0xb
	global_load_b32 v98, v[101:102], off
	global_load_b32 v101, v[78:79], off offset:128
	global_load_b32 v83, v[103:104], off
	global_load_b32 v93, v[80:81], off offset:128
	global_load_b32 v81, v[105:106], off
	global_load_b32 v82, v[107:108], off offset:128
	global_load_b32 v79, v[74:75], off
	global_load_b32 v80, v[99:100], off offset:128
	global_load_b32 v76, v[109:110], off
	global_load_b32 v78, v[94:95], off offset:128
	global_load_b32 v74, v[111:112], off
	global_load_b32 v75, v[96:97], off offset:128
	s_wait_loadcnt 0x1b
	v_and_b32_e32 v94, 0xf0f0f0f, v91
	v_lshrrev_b32_e32 v91, 4, v91
	s_wait_loadcnt 0x1a
	v_ashrrev_i32_e32 v92, v24, v92
	s_wait_loadcnt 0x19
	v_and_b32_e32 v95, 0xf0f0f0f, v89
	v_lshrrev_b32_e32 v89, 4, v89
	s_wait_loadcnt 0x18
	v_ashrrev_i32_e32 v90, v24, v90
	;; [unrolled: 5-line block ×4, first 2 shown]
	s_wait_loadcnt 0x13
	v_and_b32_e32 v99, 0xf0f0f0f, v88
	v_lshrrev_b32_e32 v88, 4, v88
	v_and_b32_e32 v91, 0xf0f0f0f, v91
	v_lshlrev_b32_e32 v107, 4, v92
	v_and_b32_e32 v89, 0xf0f0f0f, v89
	v_lshlrev_b32_e32 v108, 4, v90
	v_and_b32_e32 v86, 0xf0f0f0f, v86
	v_lshlrev_b32_e32 v109, 4, v87
	v_and_b32_e32 v84, 0xf0f0f0f, v84
	v_lshlrev_b32_e32 v110, 4, v85
	v_and_b32_e32 v88, 0xf0f0f0f, v88
	v_and_or_b32 v94, 0x30303030, v107, v94
	v_and_or_b32 v91, 0x30303030, v92, v91
	;; [unrolled: 1-line block ×6, first 2 shown]
	s_wait_loadcnt 0x12
	v_ashrrev_i32_e32 v100, v24, v113
	s_wait_loadcnt 0x11
	v_lshrrev_b32_e32 v103, 4, v114
	s_wait_loadcnt 0x10
	v_ashrrev_i32_e32 v104, v24, v115
	v_and_b32_e32 v102, 0xf0f0f0f, v114
	v_and_or_b32 v87, 0x30303030, v110, v97
	v_lshlrev_b32_e32 v111, 4, v100
	v_and_b32_e32 v103, 0xf0f0f0f, v103
	v_lshlrev_b32_e32 v112, 4, v104
	v_and_or_b32 v84, 0x30303030, v85, v84
	v_and_or_b32 v88, 0x30303030, v100, v88
	;; [unrolled: 1-line block ×3, first 2 shown]
	v_lshrrev_b32_e32 v97, 16, v94
	v_and_b32_e32 v99, 0x3f00, v94
	v_lshlrev_b16 v94, 8, v94
	v_lshrrev_b32_e32 v100, 16, v91
	v_and_or_b32 v95, 0x30303030, v112, v102
	v_and_or_b32 v96, 0x30303030, v104, v103
	v_and_b32_e32 v102, 0x3f00, v91
	v_lshlrev_b16 v91, 8, v91
	v_lshrrev_b32_e32 v103, 16, v92
	v_lshrrev_b32_e32 v107, 16, v89
	v_and_b32_e32 v104, 0x3f00, v92
	v_lshlrev_b16 v92, 8, v92
	v_lshrrev_b32_e32 v109, 16, v90
	v_lshrrev_b32_e32 v111, 16, v86
	s_wait_loadcnt 0xe
	v_ashrrev_i32_e32 v106, v24, v116
	v_and_b32_e32 v108, 0x3f00, v89
	v_lshlrev_b16 v89, 8, v89
	v_lshrrev_b32_e32 v114, 16, v87
	v_lshrrev_b32_e32 v116, 16, v84
	v_and_b32_e32 v110, 0x3f00, v90
	v_lshlrev_b16 v90, 8, v90
	v_lshrrev_b32_e32 v120, 16, v85
	v_lshrrev_b32_e32 v122, 16, v88
	v_add_nc_u16 v94, 0xe000, v94
	v_and_b32_e32 v128, 0x3f00, v97
	v_lshlrev_b16 v97, 8, v97
	v_and_b32_e32 v129, 0x3f00, v100
	v_lshlrev_b16 v100, 8, v100
	v_add_nc_u16 v91, 0xe000, v91
	v_and_b32_e32 v130, 0x3f00, v103
	v_lshlrev_b16 v103, 8, v103
	v_and_b32_e32 v131, 0x3f00, v107
	v_lshlrev_b16 v107, 8, v107
	v_and_b32_e32 v112, 0x3f00, v86
	v_lshlrev_b16 v86, 8, v86
	v_add_nc_u16 v92, 0xe000, v92
	v_and_b32_e32 v132, 0x3f00, v109
	v_lshlrev_b16 v109, 8, v109
	v_and_b32_e32 v133, 0x3f00, v111
	v_lshlrev_b16 v111, 8, v111
	v_and_b32_e32 v115, 0x3f00, v87
	v_lshlrev_b16 v87, 8, v87
	v_and_b32_e32 v119, 0x3f00, v84
	v_lshlrev_b16 v84, 8, v84
	v_add_nc_u16 v89, 0xe000, v89
	v_and_b32_e32 v134, 0x3f00, v114
	v_lshlrev_b16 v114, 8, v114
	;; [unrolled: 9-line block ×3, first 2 shown]
	v_and_b32_e32 v137, 0x3f00, v122
	v_lshlrev_b16 v122, 8, v122
	v_lshrrev_b16 v94, 8, v94
	v_add_nc_u16 v97, 0xe000, v97
	v_add_nc_u16 v100, 0xe000, v100
	v_lshrrev_b16 v91, 8, v91
	v_add_nc_u16 v103, 0xe000, v103
	v_add_nc_u16 v107, 0xe000, v107
	v_add_nc_u16 v86, 0xe000, v86
	v_lshrrev_b16 v92, 8, v92
	v_add_nc_u16 v109, 0xe000, v109
	v_add_nc_u16 v111, 0xe000, v111
	v_add_nc_u16 v87, 0xe000, v87
	v_add_nc_u16 v84, 0xe000, v84
	v_lshrrev_b16 v89, 8, v89
	v_add_nc_u16 v114, 0xe000, v114
	v_add_nc_u16 v116, 0xe000, v116
	v_add_nc_u16 v85, 0xe000, v85
	v_add_nc_u16 v88, 0xe000, v88
	v_lshrrev_b16 v90, 8, v90
	v_add_nc_u16 v120, 0xe000, v120
	v_add_nc_u16 v122, 0xe000, v122
	v_or_b32_e32 v94, v99, v94
	v_lshrrev_b16 v97, 8, v97
	v_lshrrev_b16 v99, 8, v100
	v_or_b32_e32 v91, v102, v91
	v_lshrrev_b16 v100, 8, v103
	v_lshrrev_b16 v102, 8, v107
	v_lshrrev_b16 v86, 8, v86
	v_or_b32_e32 v92, v104, v92
	v_lshrrev_b16 v103, 8, v109
	v_lshrrev_b16 v104, 8, v111
	v_lshrrev_b16 v87, 8, v87
	v_lshrrev_b16 v84, 8, v84
	v_or_b32_e32 v89, v108, v89
	v_lshrrev_b16 v107, 8, v114
	;; [unrolled: 5-line block ×3, first 2 shown]
	v_lshrrev_b16 v110, 8, v122
	v_or_b32_e32 v97, v128, v97
	v_or_b32_e32 v99, v129, v99
	;; [unrolled: 1-line block ×11, first 2 shown]
	v_lshrrev_b32_e32 v126, 16, v96
	v_or_b32_e32 v85, v121, v85
	v_or_b32_e32 v88, v123, v88
	v_add_nc_u16 v94, 0xe000, v94
	v_add_nc_u16 v91, 0xe000, v91
	v_or_b32_e32 v109, v136, v109
	v_or_b32_e32 v110, v137, v110
	v_add_nc_u16 v97, 0xe000, v97
	v_add_nc_u16 v99, 0xe000, v99
	;; [unrolled: 1-line block ×14, first 2 shown]
	v_and_b32_e32 v139, 0x3f00, v126
	v_lshlrev_b16 v126, 8, v126
	v_add_nc_u16 v85, 0xe000, v85
	v_add_nc_u16 v88, 0xe000, v88
	v_and_b32_e32 v94, 0xffff, v94
	v_and_b32_e32 v91, 0xffff, v91
	v_add_nc_u16 v109, 0xe000, v109
	v_add_nc_u16 v110, 0xe000, v110
	v_lshlrev_b32_e32 v97, 16, v97
	v_lshlrev_b32_e32 v99, 16, v99
	v_and_b32_e32 v92, 0xffff, v92
	v_and_b32_e32 v89, 0xffff, v89
	v_lshlrev_b32_e32 v100, 16, v100
	v_lshlrev_b32_e32 v102, 16, v102
	v_and_b32_e32 v90, 0xffff, v90
	v_and_b32_e32 v86, 0xffff, v86
	v_lshlrev_b32_e32 v103, 16, v103
	v_lshlrev_b32_e32 v104, 16, v104
	v_and_b32_e32 v127, 0x3f00, v96
	v_lshlrev_b16 v96, 8, v96
	v_and_b32_e32 v87, 0xffff, v87
	v_and_b32_e32 v84, 0xffff, v84
	v_lshlrev_b32_e32 v107, 16, v107
	v_lshlrev_b32_e32 v108, 16, v108
	v_add_nc_u16 v126, 0xe000, v126
	v_and_b32_e32 v85, 0xffff, v85
	v_and_b32_e32 v88, 0xffff, v88
	v_lshlrev_b32_e32 v109, 16, v109
	v_lshlrev_b32_e32 v110, 16, v110
	v_or_b32_e32 v94, v94, v97
	v_or_b32_e32 v91, v91, v99
	;; [unrolled: 1-line block ×6, first 2 shown]
	v_add_nc_u16 v96, 0xe000, v96
	v_or_b32_e32 v87, v87, v107
	v_or_b32_e32 v84, v84, v108
	;; [unrolled: 1-line block ×4, first 2 shown]
	ds_store_2addr_b32 v27, v94, v91 offset1:16
	ds_store_2addr_b32 v62, v92, v89 offset0:8 offset1:24
	ds_store_2addr_b32 v63, v90, v86 offset0:16 offset1:32
	;; [unrolled: 1-line block ×3, first 2 shown]
	v_lshrrev_b16 v84, 8, v126
	v_lshrrev_b32_e32 v124, 16, v95
	v_lshrrev_b16 v96, 8, v96
	ds_store_2addr_b32 v65, v85, v88 offset0:32 offset1:48
	v_and_b32_e32 v105, 0xf0f0f0f, v77
	v_or_b32_e32 v87, v139, v84
	v_mad_co_u64_u32 v[84:85], null, 0xd2, v32, v[3:4]
	v_lshlrev_b32_e32 v113, 4, v106
	v_and_b32_e32 v125, 0x3f00, v95
	v_lshlrev_b16 v95, 8, v95
	v_and_b32_e32 v138, 0x3f00, v124
	v_lshlrev_b16 v124, 8, v124
	v_or_b32_e32 v86, v127, v96
	v_and_or_b32 v89, 0x30303030, v113, v105
	v_add_nc_u16 v95, 0xe000, v95
	v_add_nc_u16 v92, 0xe000, v87
	;; [unrolled: 1-line block ×4, first 2 shown]
	v_add_co_u32 v86, vcc_lo, v84, v15
	s_wait_alu 0xfffd
	v_add_co_ci_u32_e64 v87, null, 0, v85, vcc_lo
	v_add_co_u32 v84, vcc_lo, v84, v21
	s_wait_alu 0xfffd
	v_add_co_ci_u32_e64 v85, null, 0, v85, vcc_lo
	v_lshrrev_b16 v95, 8, v95
	v_lshrrev_b16 v111, 8, v124
	v_lshrrev_b32_e32 v77, 4, v77
	v_lshlrev_b16 v90, 8, v89
	s_clause 0x1
	global_load_b32 v96, v[86:87], off
	global_load_b32 v97, v[84:85], off offset:128
	v_or_b32_e32 v95, v125, v95
	v_or_b32_e32 v111, v138, v111
	v_and_b32_e32 v77, 0xf0f0f0f, v77
	v_add_nc_u16 v90, 0xe000, v90
	v_lshrrev_b32_e32 v94, 16, v89
	v_add_nc_u16 v95, 0xe000, v95
	v_add_nc_u16 v111, 0xe000, v111
	v_and_b32_e32 v89, 0x3f00, v89
	v_lshrrev_b16 v90, 8, v90
	v_and_or_b32 v77, 0x30303030, v106, v77
	v_and_b32_e32 v95, 0xffff, v95
	v_lshlrev_b32_e32 v111, 16, v111
	v_and_b32_e32 v84, 0xffff, v91
	v_lshlrev_b32_e32 v85, 16, v92
	v_or_b32_e32 v87, v89, v90
	v_lshlrev_b16 v89, 8, v77
	v_lshrrev_b32_e32 v91, 16, v77
	v_or_b32_e32 v88, v95, v111
	v_or_b32_e32 v84, v84, v85
	v_lshlrev_b16 v95, 8, v94
	v_add_nc_u16 v85, 0xe000, v89
	v_lshlrev_b16 v89, 8, v91
	v_and_b32_e32 v77, 0x3f00, v77
	ds_store_2addr_b32 v66, v88, v84 offset0:40 offset1:56
	v_mad_co_u64_u32 v[3:4], null, 0xd2, v37, v[3:4]
	v_lshrrev_b16 v85, 8, v85
	v_add_nc_u16 v84, 0xe000, v89
	v_add_nc_u16 v86, 0xe000, v95
	v_and_b32_e32 v90, 0x3f00, v94
	s_wait_loadcnt 0xe
	v_ashrrev_i32_e32 v88, v24, v118
	v_or_b32_e32 v77, v77, v85
	v_and_b32_e32 v85, 0x3f00, v91
	v_lshrrev_b16 v84, 8, v84
	v_lshrrev_b16 v86, 8, v86
	v_lshlrev_b32_e32 v91, 4, v88
	v_lshrrev_b32_e32 v92, 4, v117
	v_add_nc_u16 v77, 0xe000, v77
	v_or_b32_e32 v89, v85, v84
	v_add_co_u32 v84, vcc_lo, v3, v15
	s_wait_alu 0xfffd
	v_add_co_ci_u32_e64 v85, null, 0, v4, vcc_lo
	v_add_co_u32 v3, vcc_lo, v3, v21
	v_or_b32_e32 v86, v90, v86
	v_and_b32_e32 v90, 0xf0f0f0f, v117
	s_wait_alu 0xfffd
	v_add_co_ci_u32_e64 v4, null, 0, v4, vcc_lo
	v_add_nc_u16 v89, 0xe000, v89
	v_add_nc_u16 v87, 0xe000, v87
	v_and_or_b32 v90, 0x30303030, v91, v90
	s_clause 0x1
	global_load_b32 v91, v[84:85], off
	global_load_b32 v94, v[3:4], off offset:128
	v_and_b32_e32 v3, 0xf0f0f0f, v92
	v_add_nc_u16 v86, 0xe000, v86
	v_and_b32_e32 v4, 0xffff, v77
	v_lshlrev_b32_e32 v77, 16, v89
	v_lshrrev_b32_e32 v84, 16, v90
	v_and_or_b32 v3, 0x30303030, v88, v3
	v_and_b32_e32 v87, 0xffff, v87
	v_lshlrev_b32_e32 v86, 16, v86
	v_or_b32_e32 v4, v4, v77
	v_lshlrev_b16 v77, 8, v84
	v_lshrrev_b32_e32 v89, 16, v3
	v_lshlrev_b16 v85, 8, v90
	v_or_b32_e32 v86, v87, v86
	v_lshlrev_b16 v87, 8, v3
	v_and_b32_e32 v88, 0x3f00, v90
	v_add_nc_u16 v77, 0xe000, v77
	v_lshlrev_b16 v90, 8, v89
	v_add_nc_u16 v85, 0xe000, v85
	v_add_nc_u16 v87, 0xe000, v87
	v_and_b32_e32 v84, 0x3f00, v84
	v_lshrrev_b16 v77, 8, v77
	ds_store_2addr_b32 v29, v86, v4 offset1:16
	v_add_nc_u16 v4, 0xe000, v90
	v_lshrrev_b16 v85, 8, v85
	v_and_b32_e32 v3, 0x3f00, v3
	v_lshrrev_b16 v87, 8, v87
	v_or_b32_e32 v77, v84, v77
	v_and_b32_e32 v84, 0x3f00, v89
	v_lshrrev_b16 v4, 8, v4
	v_or_b32_e32 v85, v88, v85
	v_or_b32_e32 v3, v3, v87
	s_wait_loadcnt 0xe
	v_ashrrev_i32_e32 v88, v24, v101
	v_add_nc_u16 v77, 0xe000, v77
	v_or_b32_e32 v4, v84, v4
	v_add_nc_u16 v85, 0xe000, v85
	v_add_nc_u16 v3, 0xe000, v3
	v_and_b32_e32 v84, 0xf0f0f0f, v98
	v_lshlrev_b32_e32 v86, 4, v88
	v_add_nc_u16 v87, 0xe000, v4
	v_and_b32_e32 v89, 0xffff, v85
	v_and_b32_e32 v90, 0xffff, v3
	v_mad_co_u64_u32 v[3:4], null, 0xd2, v25, s[16:17]
	v_and_or_b32 v92, 0x30303030, v86, v84
	v_mad_co_u64_u32 v[84:85], null, 0xd2, v40, s[16:17]
	v_lshlrev_b32_e32 v95, 16, v87
	v_mad_co_u64_u32 v[86:87], null, 0xd2, v44, s[16:17]
	global_load_u16 v100, v[3:4], off offset:208
	v_lshrrev_b32_e32 v98, 4, v98
	v_lshlrev_b16 v99, 8, v92
	v_add_co_u32 v3, vcc_lo, v84, v38
	s_wait_alu 0xfffd
	v_add_co_ci_u32_e64 v4, null, 0, v85, vcc_lo
	v_add_co_u32 v84, vcc_lo, v86, v38
	s_wait_alu 0xfffd
	v_add_co_ci_u32_e64 v85, null, 0, v87, vcc_lo
	s_clause 0x1
	global_load_b32 v3, v[3:4], off offset:192
	global_load_b32 v4, v[84:85], off offset:192
	v_and_b32_e32 v86, 0xf0f0f0f, v98
	v_lshlrev_b32_e32 v77, 16, v77
	v_add_nc_u16 v98, 0xe000, v99
	v_lshrrev_b32_e32 v87, 16, v92
	v_and_b32_e32 v84, 0x3f00, v92
	v_and_or_b32 v85, 0x30303030, v88, v86
	v_or_b32_e32 v77, v89, v77
	v_lshrrev_b16 v86, 8, v98
	v_or_b32_e32 v88, v90, v95
	v_lshlrev_b16 v89, 8, v87
	v_lshrrev_b32_e32 v90, 16, v85
	v_and_b32_e32 v87, 0x3f00, v87
	v_or_b32_e32 v84, v84, v86
	v_lshlrev_b16 v86, 8, v85
	ds_store_2addr_b32 v67, v77, v88 offset0:8 offset1:24
	v_lshlrev_b16 v88, 8, v90
	v_add_nc_u16 v77, 0xe000, v89
	v_and_b32_e32 v85, 0x3f00, v85
	v_add_nc_u16 v86, 0xe000, v86
	v_and_b32_e32 v89, 0x3f00, v90
	v_add_nc_u16 v88, 0xe000, v88
	v_lshrrev_b16 v77, 8, v77
	s_wait_loadcnt 0xf
	v_ashrrev_i32_e32 v90, v24, v93
	v_lshrrev_b16 v86, 8, v86
	v_add_nc_u16 v84, 0xe000, v84
	v_lshrrev_b16 v88, 8, v88
	v_or_b32_e32 v77, v87, v77
	v_lshlrev_b32_e32 v87, 4, v90
	v_or_b32_e32 v85, v85, v86
	v_and_b32_e32 v86, 0xf0f0f0f, v83
	v_or_b32_e32 v88, v89, v88
	v_add_nc_u16 v77, 0xe000, v77
	v_lshrrev_b32_e32 v83, 4, v83
	v_add_nc_u16 v85, 0xe000, v85
	v_and_or_b32 v86, 0x30303030, v87, v86
	v_add_nc_u16 v87, 0xe000, v88
	v_and_b32_e32 v84, 0xffff, v84
	v_lshlrev_b32_e32 v77, 16, v77
	v_and_b32_e32 v85, 0xffff, v85
	v_lshlrev_b16 v88, 8, v86
	v_lshlrev_b32_e32 v87, 16, v87
	v_and_b32_e32 v83, 0xf0f0f0f, v83
	v_or_b32_e32 v77, v84, v77
	v_lshrrev_b32_e32 v84, 16, v86
	v_add_nc_u16 v88, 0xe000, v88
	v_or_b32_e32 v85, v85, v87
	v_and_or_b32 v83, 0x30303030, v90, v83
	v_and_b32_e32 v86, 0x3f00, v86
	v_lshlrev_b16 v87, 8, v84
	v_lshrrev_b16 v88, 8, v88
	ds_store_2addr_b32 v68, v77, v85 offset0:16 offset1:32
	v_lshrrev_b32_e32 v77, 16, v83
	v_lshlrev_b16 v85, 8, v83
	v_add_nc_u16 v87, 0xe000, v87
	v_or_b32_e32 v86, v86, v88
	v_and_b32_e32 v84, 0x3f00, v84
	v_lshlrev_b16 v88, 8, v77
	v_add_nc_u16 v85, 0xe000, v85
	v_lshrrev_b16 v87, 8, v87
	v_and_b32_e32 v83, 0x3f00, v83
	s_wait_loadcnt 0xd
	v_ashrrev_i32_e32 v82, v24, v82
	v_add_nc_u16 v88, 0xe000, v88
	v_lshrrev_b16 v85, 8, v85
	v_or_b32_e32 v84, v84, v87
	v_and_b32_e32 v77, 0x3f00, v77
	v_add_nc_u16 v86, 0xe000, v86
	v_lshrrev_b16 v87, 8, v88
	v_or_b32_e32 v83, v83, v85
	v_and_b32_e32 v85, 0xf0f0f0f, v81
	v_lshlrev_b32_e32 v88, 4, v82
	v_add_nc_u16 v84, 0xe000, v84
	v_or_b32_e32 v77, v77, v87
	v_lshrrev_b32_e32 v81, 4, v81
	v_and_b32_e32 v86, 0xffff, v86
	v_and_or_b32 v85, 0x30303030, v88, v85
	v_add_nc_u16 v83, 0xe000, v83
	v_lshlrev_b32_e32 v84, 16, v84
	v_add_nc_u16 v77, 0xe000, v77
	v_and_b32_e32 v81, 0xf0f0f0f, v81
	v_lshrrev_b32_e32 v87, 16, v85
	v_lshlrev_b16 v88, 8, v85
	v_and_b32_e32 v83, 0xffff, v83
	v_lshlrev_b32_e32 v77, 16, v77
	v_or_b32_e32 v84, v86, v84
	v_lshlrev_b16 v86, 8, v87
	v_add_nc_u16 v88, 0xe000, v88
	v_and_or_b32 v81, 0x30303030, v82, v81
	v_or_b32_e32 v77, v83, v77
	v_and_b32_e32 v82, 0x3f00, v85
	v_add_nc_u16 v83, 0xe000, v86
	v_lshrrev_b16 v85, 8, v88
	v_and_b32_e32 v86, 0x3f00, v87
	v_lshrrev_b32_e32 v87, 16, v81
	v_lshlrev_b16 v88, 8, v81
	v_lshrrev_b16 v83, 8, v83
	ds_store_2addr_b32 v69, v84, v77 offset0:24 offset1:40
	v_or_b32_e32 v77, v82, v85
	v_lshlrev_b16 v82, 8, v87
	v_add_nc_u16 v84, 0xe000, v88
	s_wait_loadcnt 0xb
	v_ashrrev_i32_e32 v80, v24, v80
	v_or_b32_e32 v83, v86, v83
	v_and_b32_e32 v81, 0x3f00, v81
	v_add_nc_u16 v82, 0xe000, v82
	v_lshrrev_b16 v84, 8, v84
	v_and_b32_e32 v85, 0x3f00, v87
	v_and_b32_e32 v86, 0xf0f0f0f, v79
	v_lshlrev_b32_e32 v87, 4, v80
	v_lshrrev_b16 v82, 8, v82
	v_or_b32_e32 v81, v81, v84
	v_lshrrev_b32_e32 v79, 4, v79
	v_add_nc_u16 v77, 0xe000, v77
	v_and_or_b32 v84, 0x30303030, v87, v86
	v_or_b32_e32 v82, v85, v82
	v_add_nc_u16 v83, 0xe000, v83
	v_add_nc_u16 v81, 0xe000, v81
	v_and_b32_e32 v79, 0xf0f0f0f, v79
	v_lshlrev_b16 v85, 8, v84
	v_add_nc_u16 v82, 0xe000, v82
	v_and_b32_e32 v77, 0xffff, v77
	v_lshlrev_b32_e32 v83, 16, v83
	v_and_b32_e32 v81, 0xffff, v81
	v_add_nc_u16 v85, 0xe000, v85
	v_lshrrev_b32_e32 v86, 16, v84
	v_lshlrev_b32_e32 v82, 16, v82
	v_and_b32_e32 v84, 0x3f00, v84
	v_and_or_b32 v79, 0x30303030, v80, v79
	v_lshrrev_b16 v85, 8, v85
	v_lshlrev_b16 v87, 8, v86
	v_or_b32_e32 v77, v77, v83
	v_or_b32_e32 v80, v81, v82
	v_and_b32_e32 v83, 0x3f00, v86
	v_or_b32_e32 v82, v84, v85
	v_lshrrev_b32_e32 v84, 16, v79
	v_add_nc_u16 v81, 0xe000, v87
	v_lshlrev_b16 v85, 8, v79
	ds_store_2addr_b32 v30, v77, v80 offset1:16
	v_add_nc_u16 v77, 0xe000, v82
	v_lshlrev_b16 v80, 8, v84
	v_lshrrev_b16 v81, 8, v81
	v_add_nc_u16 v82, 0xe000, v85
	s_wait_loadcnt 0x9
	v_ashrrev_i32_e32 v78, v24, v78
	v_and_b32_e32 v79, 0x3f00, v79
	v_add_nc_u16 v80, 0xe000, v80
	v_or_b32_e32 v81, v83, v81
	v_lshrrev_b16 v82, 8, v82
	v_and_b32_e32 v83, 0x3f00, v84
	v_and_b32_e32 v84, 0xf0f0f0f, v76
	v_lshlrev_b32_e32 v85, 4, v78
	v_lshrrev_b16 v80, 8, v80
	v_or_b32_e32 v79, v79, v82
	v_lshrrev_b32_e32 v76, 4, v76
	v_add_nc_u16 v81, 0xe000, v81
	v_and_or_b32 v82, 0x30303030, v85, v84
	v_or_b32_e32 v80, v83, v80
	v_add_nc_u16 v79, 0xe000, v79
	v_and_b32_e32 v76, 0xf0f0f0f, v76
	v_and_b32_e32 v77, 0xffff, v77
	v_lshlrev_b16 v83, 8, v82
	v_add_nc_u16 v80, 0xe000, v80
	v_lshrrev_b32_e32 v84, 16, v82
	v_lshlrev_b32_e32 v81, 16, v81
	v_and_b32_e32 v79, 0xffff, v79
	v_add_nc_u16 v83, 0xe000, v83
	v_lshlrev_b32_e32 v80, 16, v80
	v_lshlrev_b16 v85, 8, v84
	v_and_or_b32 v76, 0x30303030, v78, v76
	v_and_b32_e32 v82, 0x3f00, v82
	v_lshrrev_b16 v78, 8, v83
	v_or_b32_e32 v77, v77, v81
	v_add_nc_u16 v81, 0xe000, v85
	v_or_b32_e32 v79, v79, v80
	v_lshrrev_b32_e32 v80, 16, v76
	v_or_b32_e32 v78, v82, v78
	v_and_b32_e32 v82, 0x3f00, v84
	v_lshrrev_b16 v81, 8, v81
	v_lshlrev_b16 v83, 8, v76
	v_lshlrev_b16 v84, 8, v80
	s_wait_loadcnt 0x7
	v_ashrrev_i32_e32 v75, v24, v75
	v_and_b32_e32 v76, 0x3f00, v76
	v_or_b32_e32 v81, v82, v81
	v_add_nc_u16 v82, 0xe000, v83
	v_add_nc_u16 v83, 0xe000, v84
	v_and_b32_e32 v84, 0xf0f0f0f, v74
	v_lshlrev_b32_e32 v85, 4, v75
	v_add_nc_u16 v78, 0xe000, v78
	v_lshrrev_b16 v82, 8, v82
	v_and_b32_e32 v80, 0x3f00, v80
	v_lshrrev_b16 v83, 8, v83
	v_and_or_b32 v84, 0x30303030, v85, v84
	v_add_nc_u16 v81, 0xe000, v81
	v_or_b32_e32 v76, v76, v82
	v_and_b32_e32 v78, 0xffff, v78
	v_or_b32_e32 v80, v80, v83
	v_lshrrev_b32_e32 v82, 16, v84
	v_lshlrev_b32_e32 v81, 16, v81
	v_lshlrev_b16 v83, 8, v84
	v_add_nc_u16 v76, 0xe000, v76
	v_add_nc_u16 v80, 0xe000, v80
	v_lshlrev_b16 v85, 8, v82
	v_or_b32_e32 v78, v78, v81
	v_add_nc_u16 v81, 0xe000, v83
	v_lshrrev_b32_e32 v74, 4, v74
	v_and_b32_e32 v76, 0xffff, v76
	v_add_nc_u16 v83, 0xe000, v85
	v_lshlrev_b32_e32 v80, 16, v80
	v_and_b32_e32 v84, 0x3f00, v84
	v_lshrrev_b16 v81, 8, v81
	v_and_b32_e32 v82, 0x3f00, v82
	v_lshrrev_b16 v83, 8, v83
	v_and_b32_e32 v74, 0xf0f0f0f, v74
	v_or_b32_e32 v76, v76, v80
	ds_store_2addr_b32 v31, v77, v79 offset1:16
	v_or_b32_e32 v77, v84, v81
	v_or_b32_e32 v79, v82, v83
	v_and_or_b32 v74, 0x30303030, v75, v74
	s_wait_loadcnt 0x5
	v_ashrrev_i32_e32 v75, v24, v97
	ds_store_2addr_b32 v33, v78, v76 offset1:16
	v_add_nc_u16 v76, 0xe000, v77
	v_add_nc_u16 v77, 0xe000, v79
	v_lshlrev_b16 v78, 8, v74
	v_and_b32_e32 v79, 0xf0f0f0f, v96
	v_lshlrev_b32_e32 v80, 4, v75
	v_and_b32_e32 v76, 0xffff, v76
	v_lshrrev_b32_e32 v81, 16, v74
	v_add_nc_u16 v78, 0xe000, v78
	v_lshlrev_b32_e32 v77, 16, v77
	v_and_or_b32 v79, 0x30303030, v80, v79
	v_and_b32_e32 v74, 0x3f00, v74
	v_lshlrev_b16 v80, 8, v81
	v_lshrrev_b16 v78, 8, v78
	v_or_b32_e32 v76, v76, v77
	v_lshlrev_b16 v77, 8, v79
	v_lshrrev_b32_e32 v82, 4, v96
	v_add_nc_u16 v80, 0xe000, v80
	v_or_b32_e32 v74, v74, v78
	v_and_b32_e32 v78, 0x3f00, v81
	v_add_nc_u16 v77, 0xe000, v77
	v_and_b32_e32 v81, 0xf0f0f0f, v82
	v_lshrrev_b32_e32 v82, 16, v79
	v_lshrrev_b16 v80, 8, v80
	v_and_b32_e32 v79, 0x3f00, v79
	v_lshrrev_b16 v77, 8, v77
	v_and_or_b32 v75, 0x30303030, v75, v81
	v_lshlrev_b16 v81, 8, v82
	v_or_b32_e32 v78, v78, v80
	v_add_nc_u16 v74, 0xe000, v74
	v_or_b32_e32 v77, v79, v77
	v_lshlrev_b16 v79, 8, v75
	v_add_nc_u16 v80, 0xe000, v81
	v_and_b32_e32 v81, 0x3f00, v82
	v_and_b32_e32 v82, 0x3f00, v75
	v_lshrrev_b32_e32 v75, 16, v75
	v_add_nc_u16 v79, 0xe000, v79
	v_lshrrev_b16 v80, 8, v80
	v_add_nc_u16 v78, 0xe000, v78
	s_wait_loadcnt 0x4
	v_lshrrev_b32_e32 v83, 4, v91
	v_lshlrev_b16 v85, 8, v75
	v_lshrrev_b16 v79, 8, v79
	v_or_b32_e32 v80, v81, v80
	s_wait_loadcnt 0x3
	v_ashrrev_i32_e32 v81, v24, v94
	v_and_b32_e32 v83, 0xf0f0f0f, v83
	v_and_b32_e32 v75, 0x3f00, v75
	v_or_b32_e32 v79, v82, v79
	v_and_b32_e32 v82, 0xf0f0f0f, v91
	v_lshlrev_b32_e32 v84, 4, v81
	v_and_or_b32 v81, 0x30303030, v81, v83
	v_and_b32_e32 v74, 0xffff, v74
	v_add_nc_u16 v77, 0xe000, v77
	v_lshlrev_b32_e32 v78, 16, v78
	v_and_or_b32 v82, 0x30303030, v84, v82
	v_lshrrev_b32_e32 v86, 16, v81
	v_add_nc_u16 v84, 0xe000, v85
	v_lshlrev_b16 v88, 8, v81
	v_and_b32_e32 v81, 0x3f00, v81
	v_lshrrev_b32_e32 v83, 16, v82
	v_lshlrev_b16 v85, 8, v82
	v_lshlrev_b16 v89, 8, v86
	v_add_nc_u16 v88, 0xe000, v88
	v_lshrrev_b16 v84, 8, v84
	v_lshlrev_b16 v87, 8, v83
	v_add_nc_u16 v85, 0xe000, v85
	v_add_nc_u16 v89, 0xe000, v89
	v_and_b32_e32 v82, 0x3f00, v82
	v_and_b32_e32 v83, 0x3f00, v83
	v_add_nc_u16 v87, 0xe000, v87
	v_lshrrev_b16 v85, 8, v85
	v_lshrrev_b16 v88, 8, v88
	v_and_b32_e32 v86, 0x3f00, v86
	v_lshrrev_b16 v89, 8, v89
	v_lshrrev_b16 v87, 8, v87
	v_or_b32_e32 v75, v75, v84
	v_or_b32_e32 v82, v82, v85
	;; [unrolled: 1-line block ×5, first 2 shown]
	v_add_nc_u16 v80, 0xe000, v80
	v_add_nc_u16 v79, 0xe000, v79
	;; [unrolled: 1-line block ×7, first 2 shown]
	v_and_b32_e32 v77, 0xffff, v77
	v_lshlrev_b32_e32 v80, 16, v80
	v_and_b32_e32 v79, 0xffff, v79
	v_lshlrev_b32_e32 v75, 16, v75
	;; [unrolled: 2-line block ×4, first 2 shown]
	v_or_b32_e32 v74, v74, v78
	v_or_b32_e32 v77, v77, v80
	;; [unrolled: 1-line block ×5, first 2 shown]
	ds_store_2addr_b32 v34, v76, v74 offset1:16
	s_wait_loadcnt 0x2
	v_cvt_f32_f16_e32 v74, v100
	s_lshl_b32 s16, s14, 8
	ds_store_2addr_b32 v35, v77, v75 offset1:16
	s_wait_alu 0xfffe
	s_cmp_lt_i32 s16, s11
	ds_store_2addr_b32 v36, v78, v79 offset1:16
	ds_store_b32 v39, v74
	s_wait_loadcnt 0x1
	ds_store_b32 v43, v3
	s_wait_loadcnt 0x0
	ds_store_b32 v45, v4
	s_cbranch_scc0 .LBB195_4
; %bb.6:                                ;   in Loop: Header=BB195_5 Depth=1
	s_lshl_b32 s17, s14, 3
	s_wait_alu 0xfffe
	v_add_nc_u32_e32 v3, s17, v48
	s_delay_alu instid0(VALU_DEP_1)
	v_cmp_gt_i32_e32 vcc_lo, s5, v3
	s_and_b32 s21, s1, vcc_lo
	s_wait_alu 0xfffe
	s_and_saveexec_b32 s20, s21
	s_cbranch_execz .LBB195_8
; %bb.7:                                ;   in Loop: Header=BB195_5 Depth=1
	v_add_nc_u32_e32 v3, v58, v3
	s_delay_alu instid0(VALU_DEP_1)
	v_mad_co_i64_i32 v[3:4], null, v3, 36, v[0:1]
	global_load_b32 v3, v[3:4], off offset:4
	s_wait_loadcnt 0x0
	ds_store_b32 v46, v3
.LBB195_8:                              ;   in Loop: Header=BB195_5 Depth=1
	s_wait_alu 0xfffe
	s_or_b32 exec_lo, exec_lo, s20
	v_add_nc_u32_e32 v77, s17, v6
	s_delay_alu instid0(VALU_DEP_1)
	v_cmp_gt_i32_e32 vcc_lo, s5, v77
	s_and_b32 s21, s10, vcc_lo
	s_wait_alu 0xfffe
	s_and_saveexec_b32 s20, s21
	s_cbranch_execz .LBB195_10
; %bb.9:                                ;   in Loop: Header=BB195_5 Depth=1
	v_add_nc_u32_e32 v3, v58, v77
	s_delay_alu instid0(VALU_DEP_1)
	v_mad_co_i64_i32 v[3:4], null, v3, 36, s[2:3]
	global_load_b32 v3, v[3:4], off
	s_wait_loadcnt 0x0
	v_cvt_f32_f16_e32 v3, v3
	ds_store_b32 v70, v3
.LBB195_10:                             ;   in Loop: Header=BB195_5 Depth=1
	s_wait_alu 0xfffe
	s_or_b32 exec_lo, exec_lo, s20
	s_wait_dscnt 0x0
	s_barrier_signal -1
	s_barrier_wait -1
	global_inv scope:SCOPE_SE
	ds_load_b32 v78, v50
	ds_load_b32 v79, v53 offset:128
	ds_load_b32 v80, v54 offset:256
	ds_load_b32 v81, v55 offset:384
	s_mov_b32 s21, 0
	s_mov_b32 s20, -1
.LBB195_11:                             ;   Parent Loop BB195_5 Depth=1
                                        ; =>  This Inner Loop Header: Depth=2
	s_wait_alu 0xfffe
	s_lshl_b32 s22, s21, 3
	v_lshlrev_b32_e32 v3, 2, v49
	s_wait_alu 0xfffe
	v_add_nc_u32_e32 v76, s22, v60
	v_lshl_or_b32 v82, s21, 1, v11
	s_lshr_b32 s21, s21, 1
	v_add_nc_u32_e32 v107, s22, v56
	s_wait_alu 0xfffe
	s_add_co_i32 s21, s21, 0x8200
	ds_load_b128 v[83:86], v76 offset:34
	ds_load_b64 v[91:92], v76 offset:50
	s_wait_alu 0xfffe
	v_add3_u32 v4, s21, v3, v71
	v_lshlrev_b32_e32 v120, 2, v82
	v_add_nc_u32_e32 v123, s22, v57
	v_add_nc_u32_e32 v124, s22, v59
	v_lshrrev_b32_e32 v82, 1, v82
	s_and_b32 vcc_lo, exec_lo, s20
	s_mov_b32 s20, 0
	s_wait_dscnt 0x1
	v_ashrrev_i32_e32 v108, 24, v86
	v_bfe_i32 v109, v86, 16, 8
	v_ashrrev_i32_e32 v110, 24, v84
	v_bfe_i32 v111, v84, 0, 8
	v_bfe_i32 v112, v85, 8, 8
	;; [unrolled: 1-line block ×5, first 2 shown]
	v_perm_b32 v116, v86, v83, 0xc0c0402
	v_perm_b32 v117, v85, v83, 0xc0c0600
	;; [unrolled: 1-line block ×4, first 2 shown]
	ds_load_2addr_b32 v[74:75], v107 offset0:12 offset1:13
	ds_load_b32 v121, v4
	ds_load_2addr_b32 v[93:94], v107 offset0:14 offset1:15
	ds_load_b128 v[83:86], v120 offset:35440
	ds_load_b128 v[87:90], v120 offset:35424
	s_wait_dscnt 0x1
	v_perm_b32 v4, v74, v85, 0x6040501
	v_perm_b32 v95, v83, v93, 0x6040501
	;; [unrolled: 1-line block ×3, first 2 shown]
	v_bfe_i32 v129, v84, 16, 8
	v_ashrrev_i32_e32 v133, 24, v84
	v_bfe_i32 v134, v83, 8, 8
	v_dot4_i32_iu8 v4, v95, v4, 0 neg_lo:[1,1,0]
	v_perm_b32 v95, v75, v83, 0x6040503
	v_perm_b32 v75, v93, v75, 0x7060403
	v_bfe_i32 v135, v83, 0, 8
	v_perm_b32 v136, v86, v83, 0xc0c0503
	v_perm_b32 v137, v86, v84, 0xc0c0701
	v_dot4_i32_iu8 v74, v95, v74, v4 neg_lo:[1,1,0]
	v_lshlrev_b32_e32 v4, 2, v51
	v_perm_b32 v138, v86, v84, 0xc0c0600
	v_perm_b32 v139, v86, v83, 0xc0c0402
	v_bfe_i32 v128, v85, 8, 8
	v_ashrrev_i32_e32 v130, 24, v85
	v_add3_u32 v95, s21, v4, v72
	v_bfe_i32 v131, v85, 16, 8
	v_bfe_i32 v132, v85, 0, 8
	s_wait_dscnt 0x0
	v_bfe_i32 v143, v89, 8, 8
	v_bfe_i32 v144, v88, 16, 8
	ds_load_b32 v122, v95
	ds_load_2addr_b32 v[95:96], v123 offset0:12 offset1:13
	ds_load_2addr_b32 v[97:98], v123 offset0:14 offset1:15
	;; [unrolled: 1-line block ×3, first 2 shown]
	v_ashrrev_i32_e32 v145, 24, v89
	v_bfe_i32 v146, v89, 16, 8
	v_bfe_i32 v147, v89, 0, 8
	v_ashrrev_i32_e32 v148, 24, v88
	v_bfe_i32 v149, v87, 8, 8
	v_bfe_i32 v150, v87, 0, 8
	v_perm_b32 v151, v90, v88, 0xc0c0600
	v_perm_b32 v152, v90, v87, 0xc0c0402
	;; [unrolled: 1-line block ×4, first 2 shown]
	s_wait_dscnt 0x2
	v_perm_b32 v101, v95, v85, 0x6040501
	s_wait_dscnt 0x1
	v_perm_b32 v102, v83, v97, 0x6040501
	v_perm_b32 v95, v84, v95, 0x6040503
	;; [unrolled: 1-line block ×3, first 2 shown]
	s_delay_alu instid0(VALU_DEP_3) | instskip(SKIP_2) | instid1(VALU_DEP_2)
	v_dot4_i32_iu8 v101, v102, v101, 0 neg_lo:[1,1,0]
	v_perm_b32 v102, v96, v83, 0x6040503
	v_perm_b32 v96, v85, v84, 0x7060403
	v_dot4_i32_iu8 v95, v102, v95, v101 neg_lo:[1,1,0]
	ds_load_2addr_b32 v[101:102], v124 offset0:12 offset1:13
	ds_load_2addr_b32 v[103:104], v124 offset0:14 offset1:15
	;; [unrolled: 1-line block ×3, first 2 shown]
	v_dot4_i32_iu8 v74, v96, v75, v74 neg_lo:[1,1,0]
	v_dot4_i32_iu8 v75, v96, v93, v95 neg_lo:[1,1,0]
	s_wait_dscnt 0x2
	v_perm_b32 v125, v101, v85, 0x6040501
	s_wait_dscnt 0x1
	v_perm_b32 v126, v83, v103, 0x6040501
	v_perm_b32 v101, v84, v101, 0x6040503
	s_delay_alu instid0(VALU_DEP_2) | instskip(SKIP_2) | instid1(VALU_DEP_2)
	v_dot4_i32_iu8 v125, v126, v125, 0 neg_lo:[1,1,0]
	v_perm_b32 v126, v102, v83, 0x6040503
	v_perm_b32 v102, v103, v102, 0x7060403
	v_dot4_i32_iu8 v101, v126, v101, v125 neg_lo:[1,1,0]
	v_dot4_i32_iu8 v125, v86, v94, v74 neg_lo:[1,1,0]
	;; [unrolled: 1-line block ×3, first 2 shown]
	v_perm_b32 v98, v87, v99, 0x6040501
	s_delay_alu instid0(VALU_DEP_4) | instskip(SKIP_2) | instid1(VALU_DEP_2)
	v_dot4_i32_iu8 v93, v96, v102, v101 neg_lo:[1,1,0]
	s_wait_dscnt 0x0
	v_perm_b32 v102, v87, v105, 0x6040501
	v_dot4_i32_iu8 v127, v86, v104, v93 neg_lo:[1,1,0]
	ds_load_2addr_b32 v[74:75], v107 offset0:8 offset1:9
	ds_load_2addr_b32 v[83:84], v107 offset0:10 offset1:11
	ds_load_2addr_b32 v[93:94], v107 offset0:6 offset1:7
	s_wait_dscnt 0x2
	v_perm_b32 v85, v74, v89, 0x6040501
	s_wait_dscnt 0x1
	v_perm_b32 v86, v87, v83, 0x6040501
	v_perm_b32 v74, v88, v74, 0x6040503
	s_delay_alu instid0(VALU_DEP_2) | instskip(SKIP_2) | instid1(VALU_DEP_2)
	v_dot4_i32_iu8 v85, v86, v85, 0 neg_lo:[1,1,0]
	v_perm_b32 v86, v75, v87, 0x6040503
	v_perm_b32 v75, v83, v75, 0x7060403
	v_dot4_i32_iu8 v74, v86, v74, v85 neg_lo:[1,1,0]
	ds_load_2addr_b32 v[85:86], v123 offset0:8 offset1:9
	ds_load_2addr_b32 v[95:96], v123 offset0:6 offset1:7
	s_wait_dscnt 0x1
	v_perm_b32 v97, v85, v89, 0x6040501
	v_perm_b32 v85, v88, v85, 0x6040503
	s_delay_alu instid0(VALU_DEP_2) | instskip(SKIP_2) | instid1(VALU_DEP_2)
	v_dot4_i32_iu8 v97, v98, v97, 0 neg_lo:[1,1,0]
	v_perm_b32 v98, v86, v87, 0x6040503
	v_perm_b32 v86, v99, v86, 0x7060403
	v_dot4_i32_iu8 v85, v98, v85, v97 neg_lo:[1,1,0]
	ds_load_2addr_b32 v[97:98], v124 offset0:8 offset1:9
	s_wait_dscnt 0x0
	v_perm_b32 v101, v97, v89, 0x6040501
	v_perm_b32 v97, v88, v97, 0x6040503
	;; [unrolled: 1-line block ×3, first 2 shown]
	s_delay_alu instid0(VALU_DEP_3) | instskip(SKIP_2) | instid1(VALU_DEP_2)
	v_dot4_i32_iu8 v101, v102, v101, 0 neg_lo:[1,1,0]
	v_perm_b32 v102, v98, v87, 0x6040503
	v_perm_b32 v98, v89, v88, 0x7060403
	v_dot4_i32_iu8 v97, v102, v97, v101 neg_lo:[1,1,0]
	s_delay_alu instid0(VALU_DEP_2) | instskip(SKIP_1) | instid1(VALU_DEP_3)
	v_dot4_i32_iu8 v74, v98, v75, v74 neg_lo:[1,1,0]
	v_dot4_i32_iu8 v75, v98, v86, v85 neg_lo:[1,1,0]
	;; [unrolled: 1-line block ×3, first 2 shown]
	s_delay_alu instid0(VALU_DEP_3) | instskip(NEXT) | instid1(VALU_DEP_3)
	v_dot4_i32_iu8 v140, v90, v84, v74 neg_lo:[1,1,0]
	v_dot4_i32_iu8 v141, v90, v100, v75 neg_lo:[1,1,0]
	ds_load_2addr_b32 v[74:75], v107 offset0:4 offset1:5
	v_dot4_i32_iu8 v142, v90, v106, v83 neg_lo:[1,1,0]
	ds_load_b128 v[83:86], v120 offset:35408
	ds_load_b128 v[87:90], v120 offset:35392
	s_wait_dscnt 0x2
	v_perm_b32 v97, v74, v93, 0x6050401
	s_wait_dscnt 0x1
	v_perm_b32 v120, v83, v85, 0x6050401
	v_perm_b32 v98, v75, v83, 0x6040503
	;; [unrolled: 1-line block ×4, first 2 shown]
	v_bfe_i32 v165, v83, 8, 8
	v_dot4_i32_iu8 v97, v97, v120, 0 neg_lo:[1,1,0]
	v_bfe_i32 v166, v83, 0, 8
	v_bfe_i32 v156, v86, 16, 8
	v_ashrrev_i32_e32 v157, 24, v86
	v_ashrrev_i32_e32 v158, 24, v84
	v_dot4_i32_iu8 v74, v74, v98, v97 neg_lo:[1,1,0]
	ds_load_2addr_b32 v[97:98], v123 offset0:4 offset1:5
	ds_load_2addr_b32 v[99:100], v123 offset0:2 offset1:3
	v_bfe_i32 v159, v84, 0, 8
	v_bfe_i32 v160, v84, 16, 8
	;; [unrolled: 1-line block ×4, first 2 shown]
	v_ashrrev_i32_e32 v163, 24, v85
	v_bfe_i32 v164, v85, 16, 8
	s_wait_dscnt 0x2
	v_bfe_i32 v168, v88, 0, 8
	v_bfe_i32 v169, v88, 16, 8
	v_ashrrev_i32_e32 v172, 24, v89
	v_bfe_i32 v173, v89, 16, 8
	v_bfe_i32 v174, v87, 8, 8
	;; [unrolled: 1-line block ×5, first 2 shown]
	s_wait_dscnt 0x1
	v_perm_b32 v101, v97, v95, 0x6050401
	v_perm_b32 v102, v98, v83, 0x6040503
	v_perm_b32 v97, v84, v97, 0x6040503
	v_perm_b32 v93, v95, v98, 0x7060403
	v_perm_b32 v98, v85, v84, 0x7060403
	v_dot4_i32_iu8 v101, v101, v120, 0 neg_lo:[1,1,0]
	s_delay_alu instid0(VALU_DEP_2) | instskip(NEXT) | instid1(VALU_DEP_2)
	v_dot4_i32_iu8 v74, v98, v75, v74 neg_lo:[1,1,0]
	v_dot4_i32_iu8 v97, v97, v102, v101 neg_lo:[1,1,0]
	ds_load_2addr_b32 v[101:102], v124 offset0:6 offset1:7
	ds_load_2addr_b32 v[103:104], v124 offset0:4 offset1:5
	;; [unrolled: 1-line block ×3, first 2 shown]
	v_dot4_i32_iu8 v75, v98, v93, v97 neg_lo:[1,1,0]
	v_dot4_i32_iu8 v97, v94, v86, v74 neg_lo:[1,1,0]
	v_lshlrev_b32_e32 v74, 2, v48
	s_wait_dscnt 0x1
	v_perm_b32 v155, v103, v101, 0x6050401
	v_perm_b32 v103, v84, v103, 0x6040503
	;; [unrolled: 1-line block ×3, first 2 shown]
	s_delay_alu instid0(VALU_DEP_3) | instskip(SKIP_2) | instid1(VALU_DEP_2)
	v_dot4_i32_iu8 v120, v155, v120, 0 neg_lo:[1,1,0]
	v_perm_b32 v155, v104, v83, 0x6040503
	v_bfe_i32 v104, v83, 16, 8
	v_dot4_i32_iu8 v103, v103, v155, v120 neg_lo:[1,1,0]
	v_ashrrev_i32_e32 v120, 24, v83
	v_bfe_i32 v155, v85, 0, 8
	s_delay_alu instid0(VALU_DEP_3) | instskip(SKIP_3) | instid1(VALU_DEP_4)
	v_dot4_i32_iu8 v93, v98, v95, v103 neg_lo:[1,1,0]
	v_dot4_i32_iu8 v98, v96, v86, v75 neg_lo:[1,1,0]
	v_lshlrev_b32_e32 v75, 2, v42
	v_bfe_i32 v103, v85, 8, 8
	v_dot4_i32_iu8 v101, v102, v86, v93 neg_lo:[1,1,0]
	v_lshrrev_b16 v102, 8, v84
	s_delay_alu instid0(VALU_DEP_4)
	v_add3_u32 v83, s21, v74, v75
	ds_load_b32 v167, v83
	ds_load_2addr_b32 v[83:84], v107 offset0:2 offset1:3
	ds_load_2addr_b32 v[85:86], v107 offset1:1
	v_perm_b32 v107, v87, v89, 0x6050401
	v_bfe_i32 v102, v102, 0, 8
	s_wait_dscnt 0x0
	v_perm_b32 v93, v85, v83, 0x6050401
	v_perm_b32 v94, v86, v87, 0x6040503
	;; [unrolled: 1-line block ×4, first 2 shown]
	s_delay_alu instid0(VALU_DEP_4) | instskip(NEXT) | instid1(VALU_DEP_1)
	v_dot4_i32_iu8 v93, v93, v107, 0 neg_lo:[1,1,0]
	v_dot4_i32_iu8 v85, v85, v94, v93 neg_lo:[1,1,0]
	ds_load_2addr_b32 v[93:94], v123 offset1:1
	s_wait_dscnt 0x0
	v_perm_b32 v95, v93, v99, 0x6050401
	v_perm_b32 v96, v94, v87, 0x6040503
	v_perm_b32 v93, v88, v93, 0x6040503
	v_perm_b32 v86, v99, v94, 0x7060403
	v_bfe_i32 v99, v89, 8, 8
	v_dot4_i32_iu8 v95, v95, v107, 0 neg_lo:[1,1,0]
	s_delay_alu instid0(VALU_DEP_1)
	v_dot4_i32_iu8 v93, v93, v96, v95 neg_lo:[1,1,0]
	ds_load_2addr_b32 v[95:96], v124 offset1:1
	v_ashrrev_i32_e32 v124, 24, v88
	s_wait_dscnt 0x0
	v_perm_b32 v123, v95, v105, 0x6050401
	v_perm_b32 v94, v105, v96, 0x7060403
	;; [unrolled: 1-line block ×3, first 2 shown]
	v_ashrrev_i32_e32 v105, 24, v87
	s_delay_alu instid0(VALU_DEP_4) | instskip(SKIP_2) | instid1(VALU_DEP_2)
	v_dot4_i32_iu8 v107, v123, v107, 0 neg_lo:[1,1,0]
	v_perm_b32 v123, v96, v87, 0x6040503
	v_perm_b32 v96, v89, v88, 0x7060403
	v_dot4_i32_iu8 v95, v95, v123, v107 neg_lo:[1,1,0]
	s_delay_alu instid0(VALU_DEP_2)
	v_dot4_i32_iu8 v83, v96, v83, v85 neg_lo:[1,1,0]
	v_dot4_i32_iu8 v85, v96, v86, v93 neg_lo:[1,1,0]
	v_bfe_i32 v107, v90, 16, 8
	v_ashrrev_i32_e32 v123, 24, v90
	v_dot4_i32_iu8 v86, v96, v94, v95 neg_lo:[1,1,0]
	v_dot4_i32_iu8 v93, v84, v90, v83 neg_lo:[1,1,0]
	v_bfe_i32 v83, v92, 16, 8
	v_dot4_i32_iu8 v94, v100, v90, v85 neg_lo:[1,1,0]
	v_lshrrev_b16 v96, 8, v88
	v_dot4_i32_iu8 v95, v106, v90, v86 neg_lo:[1,1,0]
	v_bfe_i32 v100, v87, 16, 8
	v_mul_i32_i24_e32 v83, v83, v132
	ds_load_b32 v132, v76 offset:60
	ds_load_u16 v176, v76 offset:58
	v_bfe_i32 v106, v89, 0, 8
	v_bfe_i32 v96, v96, 0, 8
	s_wait_dscnt 0x1
	v_perm_b32 v84, v132, v91, 0xc0c0501
	s_delay_alu instid0(VALU_DEP_1) | instskip(SKIP_3) | instid1(VALU_DEP_2)
	v_dot4_i32_iu8 v136, v84, v136, v83 neg_lo:[1,1,0]
	s_wait_dscnt 0x0
	v_bfe_i32 v83, v176, 0, 8
	v_perm_b32 v84, v132, v91, 0xc0c0602
	v_mul_i32_i24_e32 v83, v83, v131
	s_delay_alu instid0(VALU_DEP_1) | instskip(SKIP_3) | instid1(VALU_DEP_3)
	v_dot4_i32_iu8 v131, v84, v138, v83 neg_lo:[1,1,0]
	v_bfe_i32 v83, v92, 8, 8
	v_perm_b32 v84, v132, v91, 0xc0c0400
	v_perm_b32 v91, v132, v91, 0xc0c0703
	v_mul_i32_i24_e32 v83, v83, v133
	s_delay_alu instid0(VALU_DEP_1) | instskip(SKIP_2) | instid1(VALU_DEP_1)
	v_dot4_i32_iu8 v133, v84, v139, v83 neg_lo:[1,1,0]
	v_mul_i32_i24_e32 v83, v109, v135
	v_ashrrev_i32_e32 v84, 24, v92
	v_mad_i32_i24 v109, v84, v128, v83
	v_mul_i32_i24_e32 v83, v113, v146
	s_delay_alu instid0(VALU_DEP_1) | instskip(SKIP_1) | instid1(VALU_DEP_1)
	v_dot4_i32_iu8 v113, v116, v151, v83 neg_lo:[1,1,0]
	v_mul_i32_i24_e32 v83, v115, v148
	v_dot4_i32_iu8 v115, v117, v152, v83 neg_lo:[1,1,0]
	v_mul_i32_i24_e32 v83, v112, v145
	s_delay_alu instid0(VALU_DEP_1) | instskip(SKIP_1) | instid1(VALU_DEP_1)
	v_dot4_i32_iu8 v112, v118, v153, v83 neg_lo:[1,1,0]
	v_mul_i32_i24_e32 v83, v114, v147
	v_dot4_i32_iu8 v114, v119, v154, v83 neg_lo:[1,1,0]
	ds_load_u16 v116, v76 offset:32
	ds_load_2addr_b32 v[83:84], v76 offset0:6 offset1:7
	s_wait_dscnt 0x1
	v_bfe_i32 v85, v116, 0, 8
	s_delay_alu instid0(VALU_DEP_1) | instskip(NEXT) | instid1(VALU_DEP_1)
	v_mul_i32_i24_e32 v85, v85, v150
	v_mad_i32_i24 v110, v110, v143, v85
	s_wait_dscnt 0x0
	v_bfe_i32 v85, v84, 0, 8
	s_delay_alu instid0(VALU_DEP_1) | instskip(SKIP_4) | instid1(VALU_DEP_1)
	v_mul_i32_i24_e32 v89, v85, v162
	ds_load_2addr_b32 v[85:86], v76 offset0:4 offset1:5
	ds_load_2addr_b32 v[87:88], v76 offset0:2 offset1:3
	s_wait_dscnt 0x1
	v_bfe_i32 v90, v86, 16, 8
	v_mad_i32_i24 v117, v90, v160, v89
	v_bfe_i32 v89, v83, 16, 8
	v_bfe_i32 v90, v86, 0, 8
	s_delay_alu instid0(VALU_DEP_2) | instskip(NEXT) | instid1(VALU_DEP_1)
	v_mul_i32_i24_e32 v89, v89, v164
	v_mad_i32_i24 v118, v90, v159, v89
	v_bfe_i32 v89, v84, 8, 8
	v_ashrrev_i32_e32 v90, 24, v86
	v_lshrrev_b16 v86, 8, v86
	s_delay_alu instid0(VALU_DEP_3) | instskip(NEXT) | instid1(VALU_DEP_2)
	v_mul_i32_i24_e32 v89, v89, v161
	v_bfe_i32 v86, v86, 0, 8
	s_delay_alu instid0(VALU_DEP_2) | instskip(SKIP_2) | instid1(VALU_DEP_4)
	v_mad_i32_i24 v119, v90, v158, v89
	v_bfe_i32 v89, v85, 8, 8
	v_bfe_i32 v90, v83, 8, 8
	v_mul_i32_i24_e32 v86, v86, v102
	v_ashrrev_i32_e32 v102, 24, v85
	s_delay_alu instid0(VALU_DEP_4) | instskip(NEXT) | instid1(VALU_DEP_2)
	v_mul_i32_i24_e32 v89, v89, v165
	v_mul_i32_i24_e32 v102, v102, v120
	s_delay_alu instid0(VALU_DEP_2) | instskip(SKIP_4) | instid1(VALU_DEP_4)
	v_mad_i32_i24 v103, v90, v103, v89
	v_bfe_i32 v89, v84, 16, 8
	v_bfe_i32 v90, v83, 0, 8
	v_ashrrev_i32_e32 v83, 24, v83
	v_ashrrev_i32_e32 v84, 24, v84
	v_mul_i32_i24_e32 v89, v89, v156
	s_delay_alu instid0(VALU_DEP_3) | instskip(NEXT) | instid1(VALU_DEP_3)
	v_mul_i32_i24_e32 v83, v83, v163
	v_mul_i32_i24_e32 v84, v84, v157
	s_delay_alu instid0(VALU_DEP_3)
	v_mad_i32_i24 v128, v90, v155, v89
	ds_load_2addr_b32 v[89:90], v76 offset1:1
	s_wait_dscnt 0x1
	v_bfe_i32 v76, v88, 0, 8
	v_add3_u32 v83, v86, v83, v119
	v_bfe_i32 v86, v85, 16, 8
	v_bfe_i32 v85, v85, 0, 8
	s_delay_alu instid0(VALU_DEP_4) | instskip(NEXT) | instid1(VALU_DEP_4)
	v_mul_i32_i24_e32 v135, v76, v171
	v_add3_u32 v83, v118, v117, v83
	s_delay_alu instid0(VALU_DEP_4) | instskip(NEXT) | instid1(VALU_DEP_4)
	v_mul_i32_i24_e32 v86, v86, v104
	v_mul_i32_i24_e32 v85, v85, v166
	v_lshlrev_b32_e32 v76, 2, v52
	s_delay_alu instid0(VALU_DEP_3) | instskip(NEXT) | instid1(VALU_DEP_3)
	v_add3_u32 v86, v86, v102, v128
	v_add3_u32 v83, v83, v85, v103
	v_add_nc_u32_e32 v102, v115, v113
	s_delay_alu instid0(VALU_DEP_4)
	v_add3_u32 v138, s21, v76, v73
	s_mov_b32 s21, 8
	s_wait_dscnt 0x0
	v_bfe_i32 v139, v90, 16, 8
	v_bfe_i32 v143, v90, 0, 8
	v_ashrrev_i32_e32 v145, 24, v90
	v_lshrrev_b16 v90, 8, v90
	v_bfe_i32 v85, v89, 0, 8
	v_mad_i32_i24 v135, v139, v169, v135
	v_bfe_i32 v139, v87, 16, 8
	ds_load_b32 v138, v138
	v_bfe_i32 v90, v90, 0, 8
	v_mul_i32_i24_e32 v85, v85, v175
	v_mul_i32_i24_e32 v139, v139, v173
	s_delay_alu instid0(VALU_DEP_3) | instskip(SKIP_1) | instid1(VALU_DEP_3)
	v_mul_i32_i24_e32 v90, v90, v96
	v_ashrrev_i32_e32 v96, 24, v89
	v_mad_i32_i24 v139, v143, v168, v139
	v_bfe_i32 v143, v88, 8, 8
	s_delay_alu instid0(VALU_DEP_3) | instskip(NEXT) | instid1(VALU_DEP_2)
	v_mul_i32_i24_e32 v96, v96, v105
	v_mul_i32_i24_e32 v143, v143, v170
	s_delay_alu instid0(VALU_DEP_1) | instskip(SKIP_2) | instid1(VALU_DEP_2)
	v_mad_i32_i24 v124, v145, v124, v143
	v_bfe_i32 v143, v89, 8, 8
	v_bfe_i32 v145, v87, 8, 8
	v_mul_i32_i24_e32 v143, v143, v174
	s_delay_alu instid0(VALU_DEP_1) | instskip(SKIP_1) | instid1(VALU_DEP_1)
	v_mad_i32_i24 v99, v145, v99, v143
	v_bfe_i32 v143, v88, 16, 8
	v_mul_i32_i24_e32 v107, v143, v107
	v_bfe_i32 v143, v87, 0, 8
	v_ashrrev_i32_e32 v87, 24, v87
	s_delay_alu instid0(VALU_DEP_2) | instskip(NEXT) | instid1(VALU_DEP_2)
	v_mad_i32_i24 v106, v143, v106, v107
	v_mul_i32_i24_e32 v87, v87, v172
	v_lshrrev_b16 v107, 8, v176
	s_delay_alu instid0(VALU_DEP_2) | instskip(SKIP_1) | instid1(VALU_DEP_3)
	v_add3_u32 v87, v90, v87, v124
	v_bfe_i32 v90, v89, 16, 8
	v_bfe_i32 v107, v107, 0, 8
	v_bfe_i32 v89, v121, 0, 8
	s_delay_alu instid0(VALU_DEP_4) | instskip(NEXT) | instid1(VALU_DEP_4)
	v_add3_u32 v87, v139, v135, v87
	v_mul_i32_i24_e32 v90, v90, v100
	s_delay_alu instid0(VALU_DEP_4) | instskip(SKIP_1) | instid1(VALU_DEP_4)
	v_mul_i32_i24_e32 v107, v107, v130
	v_add_nc_u32_e32 v100, v114, v112
	v_add3_u32 v85, v87, v85, v99
	s_delay_alu instid0(VALU_DEP_4) | instskip(SKIP_3) | instid1(VALU_DEP_3)
	v_add3_u32 v90, v90, v96, v106
	v_lshrrev_b16 v96, 8, v116
	v_dot4_i32_iu8 v91, v91, v137, v107 neg_lo:[1,1,0]
	v_bfe_i32 v87, v92, 0, 8
	v_bfe_i32 v96, v96, 0, 8
	s_delay_alu instid0(VALU_DEP_3) | instskip(NEXT) | instid1(VALU_DEP_3)
	v_add_nc_u32_e32 v91, v136, v91
	v_mul_i32_i24_e32 v87, v87, v129
	s_delay_alu instid0(VALU_DEP_3) | instskip(NEXT) | instid1(VALU_DEP_1)
	v_mul_i32_i24_e32 v96, v96, v149
	v_add3_u32 v96, v102, v100, v96
	v_mul_i32_i24_e32 v100, v108, v134
	v_add_nc_u32_e32 v102, v133, v131
	s_delay_alu instid0(VALU_DEP_1) | instskip(SKIP_1) | instid1(VALU_DEP_2)
	v_add3_u32 v91, v102, v91, v100
	v_mul_i32_i24_e32 v100, v111, v144
	v_add3_u32 v92, v91, v109, v87
	v_add3_u32 v91, v83, v86, v84
	v_ashrrev_i32_e32 v83, 24, v88
	v_bfe_i32 v84, v167, 16, 8
	v_ashrrev_i32_e32 v86, 24, v121
	v_ashrrev_i32_e32 v87, 24, v122
	v_bfe_i32 v88, v167, 0, 8
	v_mul_i32_i24_e32 v83, v83, v123
	v_mul_lo_u32 v84, v140, v84
	v_add3_u32 v96, v96, v110, v100
	s_delay_alu instid0(VALU_DEP_3)
	v_add3_u32 v99, v85, v90, v83
	v_ashrrev_i32_e32 v85, 24, v167
	v_bfe_i32 v90, v122, 0, 8
	ds_load_b64 v[82:83], v82 offset:36944
	v_mad_co_u64_u32 v[84:85], null, v125, v85, v[84:85]
	v_bfe_i32 v85, v121, 16, 8
	s_delay_alu instid0(VALU_DEP_1) | instskip(NEXT) | instid1(VALU_DEP_3)
	v_mul_lo_u32 v85, v141, v85
	v_cvt_f32_i32_e32 v84, v84
	s_delay_alu instid0(VALU_DEP_2) | instskip(SKIP_1) | instid1(VALU_DEP_1)
	v_mad_co_u64_u32 v[85:86], null, v126, v86, v[85:86]
	v_bfe_i32 v86, v122, 16, 8
	v_mul_lo_u32 v86, v142, v86
	s_delay_alu instid0(VALU_DEP_3) | instskip(NEXT) | instid1(VALU_DEP_2)
	v_cvt_f32_i32_e32 v85, v85
	v_mad_co_u64_u32 v[86:87], null, v127, v87, v[86:87]
	v_bfe_i32 v87, v167, 8, 8
	s_delay_alu instid0(VALU_DEP_1) | instskip(NEXT) | instid1(VALU_DEP_3)
	v_mul_lo_u32 v87, v97, v87
	v_cvt_f32_i32_e32 v86, v86
	s_delay_alu instid0(VALU_DEP_2) | instskip(SKIP_3) | instid1(VALU_DEP_2)
	v_mad_co_u64_u32 v[87:88], null, v93, v88, v[87:88]
	v_bfe_i32 v88, v121, 8, 8
	s_wait_dscnt 0x1
	v_ashrrev_i32_e32 v93, 24, v138
	v_mul_lo_u32 v88, v98, v88
	s_delay_alu instid0(VALU_DEP_4) | instskip(SKIP_1) | instid1(VALU_DEP_1)
	v_cvt_f32_i32_e32 v87, v87
	s_wait_dscnt 0x0
	v_fma_f32 v87, v82, v87, 0
	s_delay_alu instid0(VALU_DEP_3) | instskip(SKIP_1) | instid1(VALU_DEP_3)
	v_mad_co_u64_u32 v[88:89], null, v94, v89, v[88:89]
	v_bfe_i32 v89, v122, 8, 8
	v_fmac_f32_e32 v87, v83, v84
	s_delay_alu instid0(VALU_DEP_2) | instskip(NEXT) | instid1(VALU_DEP_4)
	v_mul_lo_u32 v89, v101, v89
	v_cvt_f32_i32_e32 v88, v88
	s_delay_alu instid0(VALU_DEP_3) | instskip(NEXT) | instid1(VALU_DEP_2)
	v_fmac_f32_e32 v7, v78, v87
	v_fma_f32 v88, v82, v88, 0
	s_delay_alu instid0(VALU_DEP_4) | instskip(SKIP_1) | instid1(VALU_DEP_3)
	v_mad_co_u64_u32 v[89:90], null, v95, v90, v[89:90]
	v_bfe_i32 v90, v138, 8, 8
	v_fmac_f32_e32 v88, v83, v85
	s_delay_alu instid0(VALU_DEP_2) | instskip(SKIP_2) | instid1(VALU_DEP_4)
	v_mul_lo_u32 v90, v91, v90
	v_bfe_i32 v91, v138, 0, 8
	v_cvt_f32_i32_e32 v89, v89
	v_fmac_f32_e32 v47, v79, v88
	s_delay_alu instid0(VALU_DEP_2) | instskip(NEXT) | instid1(VALU_DEP_4)
	v_fma_f32 v89, v82, v89, 0
	v_mad_co_u64_u32 v[90:91], null, v99, v91, v[90:91]
	v_bfe_i32 v91, v138, 16, 8
	s_delay_alu instid0(VALU_DEP_3) | instskip(NEXT) | instid1(VALU_DEP_2)
	v_fmac_f32_e32 v89, v83, v86
	v_mul_lo_u32 v91, v96, v91
	s_delay_alu instid0(VALU_DEP_4) | instskip(NEXT) | instid1(VALU_DEP_3)
	v_cvt_f32_i32_e32 v90, v90
	v_fmac_f32_e32 v41, v80, v89
	s_delay_alu instid0(VALU_DEP_2) | instskip(NEXT) | instid1(VALU_DEP_4)
	v_fma_f32 v82, v82, v90, 0
	v_mad_co_u64_u32 v[91:92], null, v92, v93, v[91:92]
	s_delay_alu instid0(VALU_DEP_1) | instskip(NEXT) | instid1(VALU_DEP_1)
	v_cvt_f32_i32_e32 v91, v91
	v_fmac_f32_e32 v82, v83, v91
	s_delay_alu instid0(VALU_DEP_1)
	v_fmac_f32_e32 v2, v81, v82
	s_wait_alu 0xfffe
	s_cbranch_vccnz .LBB195_11
; %bb.12:                               ;   in Loop: Header=BB195_5 Depth=1
	s_bitset1_b32 s16, 7
	s_wait_loadcnt 0x0
	s_wait_alu 0xfffe
	s_cmp_ge_i32 s16, s11
	s_barrier_signal -1
	s_barrier_wait -1
	global_inv scope:SCOPE_SE
	s_cbranch_scc1 .LBB195_4
; %bb.13:                               ;   in Loop: Header=BB195_5 Depth=1
	v_add_nc_u32_e32 v78, s17, v49
	s_delay_alu instid0(VALU_DEP_1)
	v_cmp_gt_i32_e32 vcc_lo, s5, v78
	s_and_b32 s17, s1, vcc_lo
	s_wait_alu 0xfffe
	s_and_saveexec_b32 s16, s17
	s_cbranch_execz .LBB195_15
; %bb.14:                               ;   in Loop: Header=BB195_5 Depth=1
	v_add_nc_u32_e32 v78, v58, v78
	s_delay_alu instid0(VALU_DEP_1)
	v_mad_co_i64_i32 v[78:79], null, v78, 36, v[0:1]
	global_load_b32 v78, v[78:79], off offset:4
	s_wait_loadcnt 0x0
	ds_store_b32 v46, v78
.LBB195_15:                             ;   in Loop: Header=BB195_5 Depth=1
	s_wait_alu 0xfffe
	s_or_b32 exec_lo, exec_lo, s16
	s_and_saveexec_b32 s16, s0
	s_cbranch_execz .LBB195_18
; %bb.16:                               ;   in Loop: Header=BB195_5 Depth=1
	v_or_b32_e32 v78, 4, v77
	s_delay_alu instid0(VALU_DEP_1)
	v_cmp_gt_i32_e32 vcc_lo, s5, v78
	s_and_b32 s17, s1, vcc_lo
	s_wait_alu 0xfffe
	s_and_b32 exec_lo, exec_lo, s17
	s_cbranch_execz .LBB195_18
; %bb.17:                               ;   in Loop: Header=BB195_5 Depth=1
	v_ashrrev_i32_e32 v78, 31, v77
	v_add_co_u32 v77, vcc_lo, v58, v77
	s_wait_alu 0xfffd
	s_delay_alu instid0(VALU_DEP_2) | instskip(NEXT) | instid1(VALU_DEP_2)
	v_add_co_ci_u32_e64 v79, null, v61, v78, vcc_lo
	v_mad_co_u64_u32 v[77:78], null, v77, 36, s[2:3]
	s_delay_alu instid0(VALU_DEP_1)
	v_mad_i32_i24 v78, v79, 36, v78
	global_load_b32 v77, v[77:78], off offset:144
	s_wait_loadcnt 0x0
	v_cvt_f32_f16_e32 v77, v77
	ds_store_b32 v70, v77
.LBB195_18:                             ;   in Loop: Header=BB195_5 Depth=1
	s_wait_alu 0xfffe
	s_or_b32 exec_lo, exec_lo, s16
	s_wait_loadcnt_dscnt 0x0
	s_barrier_signal -1
	s_barrier_wait -1
	global_inv scope:SCOPE_SE
	ds_load_b32 v77, v50
	ds_load_b32 v78, v53 offset:128
	ds_load_b32 v79, v54 offset:256
	;; [unrolled: 1-line block ×3, first 2 shown]
	s_mov_b32 s16, 16
.LBB195_19:                             ;   Parent Loop BB195_5 Depth=1
                                        ; =>  This Inner Loop Header: Depth=2
	s_wait_alu 0xfffe
	s_lshl_b32 s17, s16, 3
	s_lshl_b32 s20, s16, 1
	s_wait_alu 0xfffe
	v_add_nc_u32_e32 v107, s17, v60
	s_lshr_b32 s21, s16, 1
	v_and_or_b32 v108, s20, 16, v11
	s_wait_alu 0xfffe
	s_add_co_i32 s20, s21, 0x8200
	v_add_nc_u32_e32 v109, s17, v56
	ds_load_b128 v[81:84], v107 offset:34
	ds_load_b64 v[89:90], v107 offset:50
	s_wait_alu 0xfffe
	v_add3_u32 v85, s20, v3, v71
	v_lshlrev_b32_e32 v110, 2, v108
	v_add_nc_u32_e32 v125, s17, v57
	v_add_nc_u32_e32 v126, s17, v59
	s_add_co_i32 s17, s16, 8
	s_cmp_lt_u32 s16, 24
	s_wait_alu 0xfffe
	s_mov_b32 s16, s17
	s_wait_dscnt 0x1
	v_ashrrev_i32_e32 v111, 24, v84
	v_bfe_i32 v112, v84, 16, 8
	v_ashrrev_i32_e32 v113, 24, v82
	v_bfe_i32 v114, v82, 0, 8
	v_bfe_i32 v115, v83, 8, 8
	;; [unrolled: 1-line block ×5, first 2 shown]
	v_perm_b32 v119, v84, v81, 0xc0c0402
	v_perm_b32 v120, v83, v81, 0xc0c0600
	;; [unrolled: 1-line block ×4, first 2 shown]
	ds_load_2addr_b32 v[91:92], v109 offset0:12 offset1:13
	ds_load_b32 v123, v85
	ds_load_2addr_b32 v[93:94], v109 offset0:14 offset1:15
	ds_load_b128 v[81:84], v110 offset:35440
	ds_load_b128 v[85:88], v110 offset:35424
	s_wait_dscnt 0x1
	v_perm_b32 v95, v91, v83, 0x6040501
	v_perm_b32 v96, v81, v93, 0x6040501
	;; [unrolled: 1-line block ×3, first 2 shown]
	v_bfe_i32 v130, v83, 8, 8
	v_bfe_i32 v131, v82, 16, 8
	v_ashrrev_i32_e32 v132, 24, v83
	v_dot4_i32_iu8 v95, v96, v95, 0 neg_lo:[1,1,0]
	v_perm_b32 v96, v92, v81, 0x6040503
	v_perm_b32 v92, v93, v92, 0x7060403
	v_bfe_i32 v133, v83, 16, 8
	v_bfe_i32 v134, v83, 0, 8
	v_ashrrev_i32_e32 v135, 24, v82
	v_dot4_i32_iu8 v91, v96, v91, v95 neg_lo:[1,1,0]
	v_add3_u32 v95, s20, v4, v72
	v_bfe_i32 v136, v81, 8, 8
	v_bfe_i32 v137, v81, 0, 8
	v_perm_b32 v138, v84, v82, 0xc0c0600
	v_perm_b32 v139, v84, v81, 0xc0c0402
	ds_load_b32 v124, v95
	ds_load_2addr_b32 v[95:96], v125 offset0:12 offset1:13
	ds_load_2addr_b32 v[97:98], v125 offset0:14 offset1:15
	;; [unrolled: 1-line block ×3, first 2 shown]
	v_perm_b32 v140, v84, v82, 0xc0c0701
	v_perm_b32 v141, v84, v81, 0xc0c0503
	s_wait_dscnt 0x4
	v_bfe_i32 v145, v87, 8, 8
	v_bfe_i32 v146, v86, 16, 8
	v_ashrrev_i32_e32 v147, 24, v87
	v_bfe_i32 v148, v87, 16, 8
	v_bfe_i32 v149, v87, 0, 8
	v_ashrrev_i32_e32 v150, 24, v86
	v_bfe_i32 v151, v85, 8, 8
	v_bfe_i32 v152, v85, 0, 8
	v_perm_b32 v153, v88, v86, 0xc0c0600
	v_perm_b32 v154, v88, v85, 0xc0c0402
	;; [unrolled: 1-line block ×4, first 2 shown]
	s_wait_dscnt 0x2
	v_perm_b32 v101, v95, v83, 0x6040501
	s_wait_dscnt 0x1
	v_perm_b32 v102, v81, v97, 0x6040501
	v_perm_b32 v95, v82, v95, 0x6040503
	;; [unrolled: 1-line block ×3, first 2 shown]
	s_delay_alu instid0(VALU_DEP_3) | instskip(SKIP_2) | instid1(VALU_DEP_2)
	v_dot4_i32_iu8 v101, v102, v101, 0 neg_lo:[1,1,0]
	v_perm_b32 v102, v96, v81, 0x6040503
	v_perm_b32 v96, v83, v82, 0x7060403
	v_dot4_i32_iu8 v95, v102, v95, v101 neg_lo:[1,1,0]
	ds_load_2addr_b32 v[101:102], v126 offset0:12 offset1:13
	ds_load_2addr_b32 v[103:104], v126 offset0:14 offset1:15
	;; [unrolled: 1-line block ×3, first 2 shown]
	v_dot4_i32_iu8 v91, v96, v92, v91 neg_lo:[1,1,0]
	v_dot4_i32_iu8 v92, v96, v93, v95 neg_lo:[1,1,0]
	s_wait_dscnt 0x2
	v_perm_b32 v127, v101, v83, 0x6040501
	s_wait_dscnt 0x1
	v_perm_b32 v128, v81, v103, 0x6040501
	v_perm_b32 v101, v82, v101, 0x6040503
	s_delay_alu instid0(VALU_DEP_2) | instskip(SKIP_2) | instid1(VALU_DEP_2)
	v_dot4_i32_iu8 v127, v128, v127, 0 neg_lo:[1,1,0]
	v_perm_b32 v128, v102, v81, 0x6040503
	v_perm_b32 v102, v103, v102, 0x7060403
	v_dot4_i32_iu8 v101, v128, v101, v127 neg_lo:[1,1,0]
	v_dot4_i32_iu8 v127, v84, v94, v91 neg_lo:[1,1,0]
	;; [unrolled: 1-line block ×3, first 2 shown]
	v_perm_b32 v98, v85, v99, 0x6040501
	s_delay_alu instid0(VALU_DEP_4) | instskip(SKIP_2) | instid1(VALU_DEP_2)
	v_dot4_i32_iu8 v93, v96, v102, v101 neg_lo:[1,1,0]
	s_wait_dscnt 0x0
	v_perm_b32 v102, v85, v105, 0x6040501
	v_dot4_i32_iu8 v129, v84, v104, v93 neg_lo:[1,1,0]
	ds_load_2addr_b32 v[81:82], v109 offset0:8 offset1:9
	ds_load_2addr_b32 v[83:84], v109 offset0:10 offset1:11
	;; [unrolled: 1-line block ×3, first 2 shown]
	s_wait_dscnt 0x2
	v_perm_b32 v93, v81, v87, 0x6040501
	s_wait_dscnt 0x1
	v_perm_b32 v94, v85, v83, 0x6040501
	v_perm_b32 v81, v86, v81, 0x6040503
	s_delay_alu instid0(VALU_DEP_2) | instskip(SKIP_2) | instid1(VALU_DEP_2)
	v_dot4_i32_iu8 v93, v94, v93, 0 neg_lo:[1,1,0]
	v_perm_b32 v94, v82, v85, 0x6040503
	v_perm_b32 v82, v83, v82, 0x7060403
	v_dot4_i32_iu8 v81, v94, v81, v93 neg_lo:[1,1,0]
	ds_load_2addr_b32 v[93:94], v125 offset0:8 offset1:9
	ds_load_2addr_b32 v[95:96], v125 offset0:6 offset1:7
	s_wait_dscnt 0x1
	v_perm_b32 v97, v93, v87, 0x6040501
	v_perm_b32 v93, v86, v93, 0x6040503
	s_delay_alu instid0(VALU_DEP_2) | instskip(SKIP_2) | instid1(VALU_DEP_2)
	v_dot4_i32_iu8 v97, v98, v97, 0 neg_lo:[1,1,0]
	v_perm_b32 v98, v94, v85, 0x6040503
	v_perm_b32 v94, v99, v94, 0x7060403
	v_dot4_i32_iu8 v93, v98, v93, v97 neg_lo:[1,1,0]
	ds_load_2addr_b32 v[97:98], v126 offset0:8 offset1:9
	s_wait_dscnt 0x0
	v_perm_b32 v101, v97, v87, 0x6040501
	v_perm_b32 v97, v86, v97, 0x6040503
	;; [unrolled: 1-line block ×3, first 2 shown]
	s_delay_alu instid0(VALU_DEP_3) | instskip(SKIP_2) | instid1(VALU_DEP_2)
	v_dot4_i32_iu8 v101, v102, v101, 0 neg_lo:[1,1,0]
	v_perm_b32 v102, v98, v85, 0x6040503
	v_perm_b32 v98, v87, v86, 0x7060403
	v_dot4_i32_iu8 v97, v102, v97, v101 neg_lo:[1,1,0]
	s_delay_alu instid0(VALU_DEP_2)
	v_dot4_i32_iu8 v81, v98, v82, v81 neg_lo:[1,1,0]
	v_dot4_i32_iu8 v82, v98, v94, v93 neg_lo:[1,1,0]
	ds_load_2addr_b32 v[93:94], v109 offset0:4 offset1:5
	v_dot4_i32_iu8 v83, v98, v83, v97 neg_lo:[1,1,0]
	v_dot4_i32_iu8 v142, v88, v84, v81 neg_lo:[1,1,0]
	;; [unrolled: 1-line block ×3, first 2 shown]
	s_delay_alu instid0(VALU_DEP_3)
	v_dot4_i32_iu8 v144, v88, v106, v83 neg_lo:[1,1,0]
	ds_load_b128 v[81:84], v110 offset:35408
	ds_load_b128 v[85:88], v110 offset:35392
	s_wait_dscnt 0x2
	v_perm_b32 v97, v93, v91, 0x6050401
	v_perm_b32 v91, v91, v94, 0x7060403
	s_wait_dscnt 0x1
	v_perm_b32 v110, v81, v83, 0x6050401
	v_perm_b32 v98, v94, v81, 0x6040503
	;; [unrolled: 1-line block ×3, first 2 shown]
	v_bfe_i32 v165, v81, 8, 8
	v_bfe_i32 v166, v81, 0, 8
	v_dot4_i32_iu8 v97, v97, v110, 0 neg_lo:[1,1,0]
	v_ashrrev_i32_e32 v158, 24, v82
	v_bfe_i32 v159, v82, 0, 8
	v_bfe_i32 v160, v82, 16, 8
	v_bfe_i32 v161, v84, 8, 8
	v_dot4_i32_iu8 v93, v93, v98, v97 neg_lo:[1,1,0]
	ds_load_2addr_b32 v[97:98], v125 offset0:4 offset1:5
	ds_load_2addr_b32 v[99:100], v125 offset0:2 offset1:3
	v_bfe_i32 v162, v84, 0, 8
	v_ashrrev_i32_e32 v163, 24, v83
	v_bfe_i32 v164, v83, 16, 8
	s_wait_dscnt 0x2
	v_bfe_i32 v168, v86, 0, 8
	v_bfe_i32 v169, v86, 16, 8
	v_ashrrev_i32_e32 v172, 24, v87
	v_bfe_i32 v173, v87, 16, 8
	v_bfe_i32 v174, v85, 8, 8
	;; [unrolled: 1-line block ×5, first 2 shown]
	s_wait_dscnt 0x1
	v_perm_b32 v101, v97, v95, 0x6050401
	v_perm_b32 v102, v98, v81, 0x6040503
	;; [unrolled: 1-line block ×5, first 2 shown]
	v_dot4_i32_iu8 v101, v101, v110, 0 neg_lo:[1,1,0]
	s_delay_alu instid0(VALU_DEP_2) | instskip(NEXT) | instid1(VALU_DEP_2)
	v_dot4_i32_iu8 v91, v98, v91, v93 neg_lo:[1,1,0]
	v_dot4_i32_iu8 v97, v97, v102, v101 neg_lo:[1,1,0]
	ds_load_2addr_b32 v[101:102], v126 offset0:6 offset1:7
	ds_load_2addr_b32 v[103:104], v126 offset0:4 offset1:5
	;; [unrolled: 1-line block ×3, first 2 shown]
	v_dot4_i32_iu8 v93, v98, v94, v97 neg_lo:[1,1,0]
	s_delay_alu instid0(VALU_DEP_1)
	v_dot4_i32_iu8 v96, v96, v84, v93 neg_lo:[1,1,0]
	s_wait_dscnt 0x1
	v_perm_b32 v157, v103, v101, 0x6050401
	v_perm_b32 v103, v82, v103, 0x6040503
	;; [unrolled: 1-line block ×3, first 2 shown]
	v_bfe_i32 v101, v83, 8, 8
	s_delay_alu instid0(VALU_DEP_4) | instskip(SKIP_2) | instid1(VALU_DEP_2)
	v_dot4_i32_iu8 v110, v157, v110, 0 neg_lo:[1,1,0]
	v_perm_b32 v157, v104, v81, 0x6040503
	v_bfe_i32 v104, v83, 0, 8
	v_dot4_i32_iu8 v103, v103, v157, v110 neg_lo:[1,1,0]
	v_bfe_i32 v110, v84, 16, 8
	v_ashrrev_i32_e32 v157, 24, v84
	s_delay_alu instid0(VALU_DEP_3) | instskip(SKIP_3) | instid1(VALU_DEP_4)
	v_dot4_i32_iu8 v94, v98, v95, v103 neg_lo:[1,1,0]
	v_ashrrev_i32_e32 v103, 24, v81
	v_dot4_i32_iu8 v95, v92, v84, v91 neg_lo:[1,1,0]
	v_lshrrev_b16 v98, 8, v82
	v_dot4_i32_iu8 v97, v102, v84, v94 neg_lo:[1,1,0]
	v_bfe_i32 v102, v81, 16, 8
	v_add3_u32 v81, s20, v74, v75
	ds_load_b32 v167, v81
	ds_load_2addr_b32 v[81:82], v109 offset0:2 offset1:3
	ds_load_2addr_b32 v[83:84], v109 offset1:1
	v_perm_b32 v109, v85, v87, 0x6050401
	v_bfe_i32 v98, v98, 0, 8
	s_wait_dscnt 0x0
	v_perm_b32 v91, v83, v81, 0x6050401
	v_perm_b32 v92, v84, v85, 0x6040503
	;; [unrolled: 1-line block ×4, first 2 shown]
	s_delay_alu instid0(VALU_DEP_4) | instskip(NEXT) | instid1(VALU_DEP_1)
	v_dot4_i32_iu8 v91, v91, v109, 0 neg_lo:[1,1,0]
	v_dot4_i32_iu8 v83, v83, v92, v91 neg_lo:[1,1,0]
	ds_load_2addr_b32 v[91:92], v125 offset1:1
	s_wait_dscnt 0x0
	v_perm_b32 v93, v91, v99, 0x6050401
	v_perm_b32 v94, v92, v85, 0x6040503
	;; [unrolled: 1-line block ×4, first 2 shown]
	v_bfe_i32 v99, v87, 8, 8
	v_dot4_i32_iu8 v93, v93, v109, 0 neg_lo:[1,1,0]
	s_delay_alu instid0(VALU_DEP_1)
	v_dot4_i32_iu8 v91, v91, v94, v93 neg_lo:[1,1,0]
	ds_load_2addr_b32 v[93:94], v126 offset1:1
	v_ashrrev_i32_e32 v126, 24, v86
	s_wait_dscnt 0x0
	v_perm_b32 v125, v93, v105, 0x6050401
	v_perm_b32 v92, v105, v94, 0x7060403
	v_perm_b32 v93, v86, v93, 0x6040503
	v_ashrrev_i32_e32 v105, 24, v85
	s_delay_alu instid0(VALU_DEP_4) | instskip(SKIP_2) | instid1(VALU_DEP_2)
	v_dot4_i32_iu8 v109, v125, v109, 0 neg_lo:[1,1,0]
	v_perm_b32 v125, v94, v85, 0x6040503
	v_perm_b32 v94, v87, v86, 0x7060403
	v_dot4_i32_iu8 v93, v93, v125, v109 neg_lo:[1,1,0]
	s_delay_alu instid0(VALU_DEP_2)
	v_dot4_i32_iu8 v81, v94, v81, v83 neg_lo:[1,1,0]
	v_dot4_i32_iu8 v83, v94, v84, v91 neg_lo:[1,1,0]
	v_bfe_i32 v109, v88, 16, 8
	v_ashrrev_i32_e32 v125, 24, v88
	v_dot4_i32_iu8 v84, v94, v92, v93 neg_lo:[1,1,0]
	v_dot4_i32_iu8 v91, v82, v88, v81 neg_lo:[1,1,0]
	ds_load_u16 v81, v107 offset:58
	ds_load_b32 v82, v107 offset:60
	v_dot4_i32_iu8 v92, v100, v88, v83 neg_lo:[1,1,0]
	v_lshrrev_b16 v94, 8, v86
	v_dot4_i32_iu8 v93, v106, v88, v84 neg_lo:[1,1,0]
	v_bfe_i32 v100, v85, 16, 8
	v_bfe_i32 v106, v87, 0, 8
	s_delay_alu instid0(VALU_DEP_4)
	v_bfe_i32 v94, v94, 0, 8
	s_wait_dscnt 0x1
	v_bfe_i32 v83, v81, 0, 8
	s_wait_dscnt 0x0
	v_perm_b32 v84, v82, v89, 0xc0c0602
	v_lshrrev_b16 v81, 8, v81
	s_delay_alu instid0(VALU_DEP_3) | instskip(NEXT) | instid1(VALU_DEP_2)
	v_mul_i32_i24_e32 v83, v83, v133
	v_bfe_i32 v81, v81, 0, 8
	s_delay_alu instid0(VALU_DEP_2) | instskip(SKIP_2) | instid1(VALU_DEP_4)
	v_dot4_i32_iu8 v133, v84, v138, v83 neg_lo:[1,1,0]
	v_bfe_i32 v83, v90, 8, 8
	v_perm_b32 v84, v82, v89, 0xc0c0400
	v_mul_i32_i24_e32 v81, v81, v132
	s_delay_alu instid0(VALU_DEP_3) | instskip(NEXT) | instid1(VALU_DEP_1)
	v_mul_i32_i24_e32 v83, v83, v135
	v_dot4_i32_iu8 v135, v84, v139, v83 neg_lo:[1,1,0]
	v_perm_b32 v83, v82, v89, 0xc0c0703
	v_perm_b32 v82, v82, v89, 0xc0c0501
	s_delay_alu instid0(VALU_DEP_2) | instskip(SKIP_1) | instid1(VALU_DEP_1)
	v_dot4_i32_iu8 v132, v83, v140, v81 neg_lo:[1,1,0]
	v_bfe_i32 v81, v90, 16, 8
	v_mul_i32_i24_e32 v81, v81, v134
	s_delay_alu instid0(VALU_DEP_1) | instskip(SKIP_3) | instid1(VALU_DEP_4)
	v_dot4_i32_iu8 v89, v82, v141, v81 neg_lo:[1,1,0]
	v_mul_i32_i24_e32 v81, v112, v137
	v_ashrrev_i32_e32 v82, 24, v90
	v_bfe_i32 v90, v90, 0, 8
	v_add_nc_u32_e32 v89, v89, v132
	s_delay_alu instid0(VALU_DEP_3) | instskip(SKIP_1) | instid1(VALU_DEP_4)
	v_mad_i32_i24 v112, v82, v130, v81
	v_mul_i32_i24_e32 v81, v116, v148
	v_mul_i32_i24_e32 v90, v90, v131
	s_delay_alu instid0(VALU_DEP_2) | instskip(SKIP_1) | instid1(VALU_DEP_1)
	v_dot4_i32_iu8 v116, v119, v153, v81 neg_lo:[1,1,0]
	v_mul_i32_i24_e32 v81, v118, v150
	v_dot4_i32_iu8 v118, v120, v154, v81 neg_lo:[1,1,0]
	v_mul_i32_i24_e32 v81, v115, v147
	s_delay_alu instid0(VALU_DEP_1) | instskip(SKIP_1) | instid1(VALU_DEP_1)
	v_dot4_i32_iu8 v115, v121, v155, v81 neg_lo:[1,1,0]
	v_mul_i32_i24_e32 v81, v117, v149
	v_dot4_i32_iu8 v117, v122, v156, v81 neg_lo:[1,1,0]
	ds_load_u16 v119, v107 offset:32
	ds_load_2addr_b32 v[81:82], v107 offset0:6 offset1:7
	s_wait_dscnt 0x1
	v_bfe_i32 v83, v119, 0, 8
	s_delay_alu instid0(VALU_DEP_1) | instskip(NEXT) | instid1(VALU_DEP_1)
	v_mul_i32_i24_e32 v83, v83, v152
	v_mad_i32_i24 v113, v113, v145, v83
	s_wait_dscnt 0x0
	v_bfe_i32 v83, v82, 0, 8
	s_delay_alu instid0(VALU_DEP_1) | instskip(SKIP_4) | instid1(VALU_DEP_1)
	v_mul_i32_i24_e32 v87, v83, v162
	ds_load_2addr_b32 v[83:84], v107 offset0:4 offset1:5
	ds_load_2addr_b32 v[85:86], v107 offset0:2 offset1:3
	s_wait_dscnt 0x1
	v_bfe_i32 v88, v84, 16, 8
	v_mad_i32_i24 v120, v88, v160, v87
	v_bfe_i32 v87, v81, 16, 8
	v_bfe_i32 v88, v84, 0, 8
	s_delay_alu instid0(VALU_DEP_2) | instskip(NEXT) | instid1(VALU_DEP_1)
	v_mul_i32_i24_e32 v87, v87, v164
	v_mad_i32_i24 v121, v88, v159, v87
	v_bfe_i32 v87, v82, 8, 8
	v_ashrrev_i32_e32 v88, 24, v84
	v_lshrrev_b16 v84, 8, v84
	s_delay_alu instid0(VALU_DEP_3) | instskip(NEXT) | instid1(VALU_DEP_2)
	v_mul_i32_i24_e32 v87, v87, v161
	v_bfe_i32 v84, v84, 0, 8
	s_delay_alu instid0(VALU_DEP_2) | instskip(SKIP_2) | instid1(VALU_DEP_4)
	v_mad_i32_i24 v122, v88, v158, v87
	v_bfe_i32 v87, v83, 8, 8
	v_bfe_i32 v88, v81, 8, 8
	v_mul_i32_i24_e32 v84, v84, v98
	v_ashrrev_i32_e32 v98, 24, v83
	s_delay_alu instid0(VALU_DEP_4) | instskip(NEXT) | instid1(VALU_DEP_2)
	v_mul_i32_i24_e32 v87, v87, v165
	v_mul_i32_i24_e32 v98, v98, v103
	s_delay_alu instid0(VALU_DEP_2) | instskip(SKIP_4) | instid1(VALU_DEP_4)
	v_mad_i32_i24 v101, v88, v101, v87
	v_bfe_i32 v87, v82, 16, 8
	v_bfe_i32 v88, v81, 0, 8
	v_ashrrev_i32_e32 v81, 24, v81
	v_ashrrev_i32_e32 v82, 24, v82
	v_mul_i32_i24_e32 v87, v87, v110
	v_add3_u32 v110, s20, v76, v73
	s_delay_alu instid0(VALU_DEP_4) | instskip(NEXT) | instid1(VALU_DEP_4)
	v_mul_i32_i24_e32 v81, v81, v163
	v_mul_i32_i24_e32 v82, v82, v157
	s_delay_alu instid0(VALU_DEP_4)
	v_mad_i32_i24 v104, v88, v104, v87
	ds_load_2addr_b32 v[87:88], v107 offset1:1
	s_wait_dscnt 0x1
	v_bfe_i32 v107, v86, 0, 8
	v_add3_u32 v81, v84, v81, v122
	v_bfe_i32 v84, v83, 16, 8
	v_bfe_i32 v83, v83, 0, 8
	ds_load_b32 v110, v110
	v_mul_i32_i24_e32 v107, v107, v171
	v_add3_u32 v81, v121, v120, v81
	v_mul_i32_i24_e32 v84, v84, v102
	v_mul_i32_i24_e32 v83, v83, v166
	s_delay_alu instid0(VALU_DEP_2) | instskip(SKIP_1) | instid1(VALU_DEP_3)
	v_add3_u32 v84, v84, v98, v104
	v_add_nc_u32_e32 v98, v135, v133
	v_add3_u32 v81, v81, v83, v101
	s_wait_dscnt 0x1
	v_bfe_i32 v130, v88, 16, 8
	v_bfe_i32 v134, v88, 0, 8
	v_ashrrev_i32_e32 v137, 24, v88
	v_lshrrev_b16 v88, 8, v88
	v_bfe_i32 v83, v87, 0, 8
	v_mad_i32_i24 v107, v130, v169, v107
	v_bfe_i32 v130, v85, 16, 8
	s_delay_alu instid0(VALU_DEP_4) | instskip(NEXT) | instid1(VALU_DEP_4)
	v_bfe_i32 v88, v88, 0, 8
	v_mul_i32_i24_e32 v83, v83, v175
	s_delay_alu instid0(VALU_DEP_3) | instskip(NEXT) | instid1(VALU_DEP_3)
	v_mul_i32_i24_e32 v130, v130, v173
	v_mul_i32_i24_e32 v88, v88, v94
	v_ashrrev_i32_e32 v94, 24, v87
	s_delay_alu instid0(VALU_DEP_3) | instskip(SKIP_1) | instid1(VALU_DEP_3)
	v_mad_i32_i24 v130, v134, v168, v130
	v_bfe_i32 v134, v86, 8, 8
	v_mul_i32_i24_e32 v94, v94, v105
	s_delay_alu instid0(VALU_DEP_2) | instskip(NEXT) | instid1(VALU_DEP_1)
	v_mul_i32_i24_e32 v134, v134, v170
	v_mad_i32_i24 v126, v137, v126, v134
	v_bfe_i32 v134, v87, 8, 8
	v_bfe_i32 v137, v85, 8, 8
	s_delay_alu instid0(VALU_DEP_2) | instskip(NEXT) | instid1(VALU_DEP_1)
	v_mul_i32_i24_e32 v134, v134, v174
	v_mad_i32_i24 v99, v137, v99, v134
	v_bfe_i32 v134, v86, 16, 8
	s_delay_alu instid0(VALU_DEP_1) | instskip(SKIP_2) | instid1(VALU_DEP_2)
	v_mul_i32_i24_e32 v109, v134, v109
	v_bfe_i32 v134, v85, 0, 8
	v_ashrrev_i32_e32 v85, 24, v85
	v_mad_i32_i24 v106, v134, v106, v109
	s_delay_alu instid0(VALU_DEP_2) | instskip(NEXT) | instid1(VALU_DEP_1)
	v_mul_i32_i24_e32 v85, v85, v172
	v_add3_u32 v85, v88, v85, v126
	v_bfe_i32 v88, v87, 16, 8
	v_bfe_i32 v87, v167, 0, 8
	s_delay_alu instid0(VALU_DEP_3) | instskip(NEXT) | instid1(VALU_DEP_3)
	v_add3_u32 v85, v130, v107, v85
	v_mul_i32_i24_e32 v88, v88, v100
	v_add_nc_u32_e32 v100, v118, v116
	s_delay_alu instid0(VALU_DEP_3) | instskip(NEXT) | instid1(VALU_DEP_3)
	v_add3_u32 v83, v85, v83, v99
	v_add3_u32 v88, v88, v94, v106
	v_mul_i32_i24_e32 v94, v111, v136
	v_ashrrev_i32_e32 v85, 24, v123
	s_delay_alu instid0(VALU_DEP_2) | instskip(SKIP_2) | instid1(VALU_DEP_2)
	v_add3_u32 v89, v98, v89, v94
	v_lshrrev_b16 v94, 8, v119
	v_add_nc_u32_e32 v98, v117, v115
	v_bfe_i32 v94, v94, 0, 8
	s_delay_alu instid0(VALU_DEP_1) | instskip(NEXT) | instid1(VALU_DEP_1)
	v_mul_i32_i24_e32 v94, v94, v151
	v_add3_u32 v94, v100, v98, v94
	v_add3_u32 v98, v89, v112, v90
	v_mul_i32_i24_e32 v89, v114, v146
	s_delay_alu instid0(VALU_DEP_1)
	v_add3_u32 v90, v94, v113, v89
	v_add3_u32 v94, v81, v84, v82
	v_ashrrev_i32_e32 v81, 24, v86
	v_ashrrev_i32_e32 v84, 24, v167
	;; [unrolled: 1-line block ×3, first 2 shown]
	v_bfe_i32 v89, v124, 0, 8
	s_delay_alu instid0(VALU_DEP_4) | instskip(NEXT) | instid1(VALU_DEP_1)
	v_mul_i32_i24_e32 v81, v81, v125
	v_add3_u32 v99, v83, v88, v81
	v_bfe_i32 v83, v167, 16, 8
	v_bfe_i32 v88, v123, 0, 8
	v_lshrrev_b32_e32 v81, 1, v108
	s_delay_alu instid0(VALU_DEP_3) | instskip(SKIP_3) | instid1(VALU_DEP_1)
	v_mul_lo_u32 v83, v142, v83
	ds_load_b64 v[81:82], v81 offset:36944
	v_mad_co_u64_u32 v[83:84], null, v127, v84, v[83:84]
	v_bfe_i32 v84, v123, 16, 8
	v_mul_lo_u32 v84, v143, v84
	s_delay_alu instid0(VALU_DEP_3) | instskip(NEXT) | instid1(VALU_DEP_2)
	v_cvt_f32_i32_e32 v83, v83
	v_mad_co_u64_u32 v[84:85], null, v128, v85, v[84:85]
	v_bfe_i32 v85, v124, 16, 8
	s_delay_alu instid0(VALU_DEP_1) | instskip(NEXT) | instid1(VALU_DEP_3)
	v_mul_lo_u32 v85, v144, v85
	v_cvt_f32_i32_e32 v84, v84
	s_delay_alu instid0(VALU_DEP_2) | instskip(SKIP_1) | instid1(VALU_DEP_1)
	v_mad_co_u64_u32 v[85:86], null, v129, v86, v[85:86]
	v_bfe_i32 v86, v167, 8, 8
	v_mul_lo_u32 v86, v95, v86
	s_wait_dscnt 0x1
	v_bfe_i32 v95, v110, 0, 8
	s_delay_alu instid0(VALU_DEP_4) | instskip(NEXT) | instid1(VALU_DEP_3)
	v_cvt_f32_i32_e32 v85, v85
	v_mad_co_u64_u32 v[86:87], null, v91, v87, v[86:87]
	v_bfe_i32 v87, v123, 8, 8
	v_bfe_i32 v91, v110, 8, 8
	s_delay_alu instid0(VALU_DEP_2) | instskip(NEXT) | instid1(VALU_DEP_4)
	v_mul_lo_u32 v87, v96, v87
	v_cvt_f32_i32_e32 v86, v86
	s_wait_dscnt 0x0
	s_delay_alu instid0(VALU_DEP_1) | instskip(NEXT) | instid1(VALU_DEP_3)
	v_fma_f32 v86, v81, v86, 0
	v_mad_co_u64_u32 v[87:88], null, v92, v88, v[87:88]
	v_bfe_i32 v88, v124, 8, 8
	v_bfe_i32 v92, v110, 16, 8
	s_delay_alu instid0(VALU_DEP_4) | instskip(NEXT) | instid1(VALU_DEP_3)
	v_fmac_f32_e32 v86, v82, v83
	v_mul_lo_u32 v88, v97, v88
	s_delay_alu instid0(VALU_DEP_3) | instskip(SKIP_1) | instid1(VALU_DEP_4)
	v_mul_lo_u32 v90, v90, v92
	v_cvt_f32_i32_e32 v87, v87
	v_fmac_f32_e32 v7, v77, v86
	s_delay_alu instid0(VALU_DEP_2) | instskip(SKIP_3) | instid1(VALU_DEP_4)
	v_fma_f32 v87, v81, v87, 0
	v_mad_co_u64_u32 v[88:89], null, v93, v89, v[88:89]
	v_mul_lo_u32 v89, v94, v91
	v_ashrrev_i32_e32 v93, 24, v110
	v_fmac_f32_e32 v87, v82, v84
	s_delay_alu instid0(VALU_DEP_4) | instskip(NEXT) | instid1(VALU_DEP_2)
	v_cvt_f32_i32_e32 v88, v88
	v_fmac_f32_e32 v47, v78, v87
	v_mad_co_u64_u32 v[91:92], null, v99, v95, v[89:90]
	s_delay_alu instid0(VALU_DEP_3) | instskip(NEXT) | instid1(VALU_DEP_2)
	v_fma_f32 v88, v81, v88, 0
	v_mad_co_u64_u32 v[89:90], null, v98, v93, v[90:91]
	v_cvt_f32_i32_e32 v90, v91
	s_delay_alu instid0(VALU_DEP_3) | instskip(NEXT) | instid1(VALU_DEP_2)
	v_fmac_f32_e32 v88, v82, v85
	v_fma_f32 v81, v81, v90, 0
	s_delay_alu instid0(VALU_DEP_4) | instskip(NEXT) | instid1(VALU_DEP_3)
	v_cvt_f32_i32_e32 v89, v89
	v_fmac_f32_e32 v41, v79, v88
	s_delay_alu instid0(VALU_DEP_2) | instskip(NEXT) | instid1(VALU_DEP_1)
	v_fmac_f32_e32 v81, v82, v89
	v_fmac_f32_e32 v2, v80, v81
	s_cbranch_scc1 .LBB195_19
; %bb.20:                               ;   in Loop: Header=BB195_5 Depth=1
	s_wait_loadcnt 0x0
	s_barrier_signal -1
	s_barrier_wait -1
	global_inv scope:SCOPE_SE
	s_branch .LBB195_4
.LBB195_21:
	s_mul_i32 s0, s7, s4
	s_wait_loadcnt 0x0
	s_wait_alu 0xfffe
	v_cmp_gt_i32_e32 vcc_lo, s0, v5
	s_and_saveexec_b32 s0, vcc_lo
	s_cbranch_execz .LBB195_30
; %bb.22:
	v_mul_lo_u32 v0, v5, s6
	v_add_nc_u32_e32 v1, s18, v6
	s_mov_b32 s0, exec_lo
	s_delay_alu instid0(VALU_DEP_1)
	v_cmpx_gt_u32_e64 s6, v1
	s_cbranch_execz .LBB195_24
; %bb.23:
	s_delay_alu instid0(VALU_DEP_3) | instskip(NEXT) | instid1(VALU_DEP_1)
	v_dual_mov_b32 v4, 0 :: v_dual_add_nc_u32 v3, v0, v1
	v_lshlrev_b64_e32 v[3:4], 2, v[3:4]
	s_delay_alu instid0(VALU_DEP_1) | instskip(SKIP_1) | instid1(VALU_DEP_2)
	v_add_co_u32 v3, vcc_lo, s8, v3
	s_wait_alu 0xfffd
	v_add_co_ci_u32_e64 v4, null, s9, v4, vcc_lo
	global_store_b32 v[3:4], v7, off
.LBB195_24:
	s_wait_alu 0xfffe
	s_or_b32 exec_lo, exec_lo, s0
	v_add_nc_u32_e32 v3, 32, v1
	s_mov_b32 s0, exec_lo
	s_delay_alu instid0(VALU_DEP_1)
	v_cmpx_gt_u32_e64 s6, v3
	s_cbranch_execz .LBB195_26
; %bb.25:
	v_dual_mov_b32 v4, 0 :: v_dual_add_nc_u32 v3, v0, v3
	s_delay_alu instid0(VALU_DEP_1) | instskip(NEXT) | instid1(VALU_DEP_1)
	v_lshlrev_b64_e32 v[3:4], 2, v[3:4]
	v_add_co_u32 v3, vcc_lo, s8, v3
	s_wait_alu 0xfffd
	s_delay_alu instid0(VALU_DEP_2)
	v_add_co_ci_u32_e64 v4, null, s9, v4, vcc_lo
	global_store_b32 v[3:4], v47, off
.LBB195_26:
	s_wait_alu 0xfffe
	s_or_b32 exec_lo, exec_lo, s0
	v_add_nc_u32_e32 v3, 64, v1
	s_mov_b32 s0, exec_lo
	s_delay_alu instid0(VALU_DEP_1)
	v_cmpx_gt_u32_e64 s6, v3
	s_cbranch_execz .LBB195_28
; %bb.27:
	v_dual_mov_b32 v4, 0 :: v_dual_add_nc_u32 v3, v0, v3
	s_delay_alu instid0(VALU_DEP_1) | instskip(NEXT) | instid1(VALU_DEP_1)
	v_lshlrev_b64_e32 v[3:4], 2, v[3:4]
	v_add_co_u32 v3, vcc_lo, s8, v3
	s_wait_alu 0xfffd
	s_delay_alu instid0(VALU_DEP_2)
	v_add_co_ci_u32_e64 v4, null, s9, v4, vcc_lo
	global_store_b32 v[3:4], v41, off
.LBB195_28:
	s_wait_alu 0xfffe
	s_or_b32 exec_lo, exec_lo, s0
	v_add_nc_u32_e32 v1, 0x60, v1
	s_delay_alu instid0(VALU_DEP_1)
	v_cmp_gt_u32_e32 vcc_lo, s6, v1
	s_and_b32 exec_lo, exec_lo, vcc_lo
	s_cbranch_execz .LBB195_30
; %bb.29:
	v_dual_mov_b32 v1, 0 :: v_dual_add_nc_u32 v0, v0, v1
	s_delay_alu instid0(VALU_DEP_1) | instskip(NEXT) | instid1(VALU_DEP_1)
	v_lshlrev_b64_e32 v[0:1], 2, v[0:1]
	v_add_co_u32 v0, vcc_lo, s8, v0
	s_wait_alu 0xfffd
	s_delay_alu instid0(VALU_DEP_2)
	v_add_co_ci_u32_e64 v1, null, s9, v1, vcc_lo
	global_store_b32 v[0:1], v2, off
.LBB195_30:
	s_nop 0
	s_sendmsg sendmsg(MSG_DEALLOC_VGPRS)
	s_endpgm
	.section	.rodata,"a",@progbits
	.p2align	6, 0x0
	.amdhsa_kernel _ZL8moe_q6_KIfLb0EEvPKvS1_PT_PKiS5_S5_iiiiiii
		.amdhsa_group_segment_fixed_size 37072
		.amdhsa_private_segment_fixed_size 0
		.amdhsa_kernarg_size 76
		.amdhsa_user_sgpr_count 2
		.amdhsa_user_sgpr_dispatch_ptr 0
		.amdhsa_user_sgpr_queue_ptr 0
		.amdhsa_user_sgpr_kernarg_segment_ptr 1
		.amdhsa_user_sgpr_dispatch_id 0
		.amdhsa_user_sgpr_private_segment_size 0
		.amdhsa_wavefront_size32 1
		.amdhsa_uses_dynamic_stack 0
		.amdhsa_enable_private_segment 0
		.amdhsa_system_sgpr_workgroup_id_x 1
		.amdhsa_system_sgpr_workgroup_id_y 1
		.amdhsa_system_sgpr_workgroup_id_z 0
		.amdhsa_system_sgpr_workgroup_info 0
		.amdhsa_system_vgpr_workitem_id 1
		.amdhsa_next_free_vgpr 217
		.amdhsa_next_free_sgpr 23
		.amdhsa_reserve_vcc 1
		.amdhsa_float_round_mode_32 0
		.amdhsa_float_round_mode_16_64 0
		.amdhsa_float_denorm_mode_32 3
		.amdhsa_float_denorm_mode_16_64 3
		.amdhsa_fp16_overflow 0
		.amdhsa_workgroup_processor_mode 1
		.amdhsa_memory_ordered 1
		.amdhsa_forward_progress 1
		.amdhsa_inst_pref_size 125
		.amdhsa_round_robin_scheduling 0
		.amdhsa_exception_fp_ieee_invalid_op 0
		.amdhsa_exception_fp_denorm_src 0
		.amdhsa_exception_fp_ieee_div_zero 0
		.amdhsa_exception_fp_ieee_overflow 0
		.amdhsa_exception_fp_ieee_underflow 0
		.amdhsa_exception_fp_ieee_inexact 0
		.amdhsa_exception_int_div_zero 0
	.end_amdhsa_kernel
	.section	.text._ZL8moe_q6_KIfLb0EEvPKvS1_PT_PKiS5_S5_iiiiiii,"axG",@progbits,_ZL8moe_q6_KIfLb0EEvPKvS1_PT_PKiS5_S5_iiiiiii,comdat
.Lfunc_end195:
	.size	_ZL8moe_q6_KIfLb0EEvPKvS1_PT_PKiS5_S5_iiiiiii, .Lfunc_end195-_ZL8moe_q6_KIfLb0EEvPKvS1_PT_PKiS5_S5_iiiiiii
                                        ; -- End function
	.set _ZL8moe_q6_KIfLb0EEvPKvS1_PT_PKiS5_S5_iiiiiii.num_vgpr, 177
	.set _ZL8moe_q6_KIfLb0EEvPKvS1_PT_PKiS5_S5_iiiiiii.num_agpr, 0
	.set _ZL8moe_q6_KIfLb0EEvPKvS1_PT_PKiS5_S5_iiiiiii.numbered_sgpr, 23
	.set _ZL8moe_q6_KIfLb0EEvPKvS1_PT_PKiS5_S5_iiiiiii.num_named_barrier, 0
	.set _ZL8moe_q6_KIfLb0EEvPKvS1_PT_PKiS5_S5_iiiiiii.private_seg_size, 0
	.set _ZL8moe_q6_KIfLb0EEvPKvS1_PT_PKiS5_S5_iiiiiii.uses_vcc, 1
	.set _ZL8moe_q6_KIfLb0EEvPKvS1_PT_PKiS5_S5_iiiiiii.uses_flat_scratch, 0
	.set _ZL8moe_q6_KIfLb0EEvPKvS1_PT_PKiS5_S5_iiiiiii.has_dyn_sized_stack, 0
	.set _ZL8moe_q6_KIfLb0EEvPKvS1_PT_PKiS5_S5_iiiiiii.has_recursion, 0
	.set _ZL8moe_q6_KIfLb0EEvPKvS1_PT_PKiS5_S5_iiiiiii.has_indirect_call, 0
	.section	.AMDGPU.csdata,"",@progbits
; Kernel info:
; codeLenInByte = 15924
; TotalNumSgprs: 25
; NumVgprs: 177
; ScratchSize: 0
; MemoryBound: 0
; FloatMode: 240
; IeeeMode: 1
; LDSByteSize: 37072 bytes/workgroup (compile time only)
; SGPRBlocks: 0
; VGPRBlocks: 27
; NumSGPRsForWavesPerEU: 25
; NumVGPRsForWavesPerEU: 217
; Occupancy: 6
; WaveLimiterHint : 1
; COMPUTE_PGM_RSRC2:SCRATCH_EN: 0
; COMPUTE_PGM_RSRC2:USER_SGPR: 2
; COMPUTE_PGM_RSRC2:TRAP_HANDLER: 0
; COMPUTE_PGM_RSRC2:TGID_X_EN: 1
; COMPUTE_PGM_RSRC2:TGID_Y_EN: 1
; COMPUTE_PGM_RSRC2:TGID_Z_EN: 0
; COMPUTE_PGM_RSRC2:TIDIG_COMP_CNT: 1
	.section	.text._ZL8moe_q6_KIfLb1EEvPKvS1_PT_PKiS5_S5_iiiiiii,"axG",@progbits,_ZL8moe_q6_KIfLb1EEvPKvS1_PT_PKiS5_S5_iiiiiii,comdat
	.globl	_ZL8moe_q6_KIfLb1EEvPKvS1_PT_PKiS5_S5_iiiiiii ; -- Begin function _ZL8moe_q6_KIfLb1EEvPKvS1_PT_PKiS5_S5_iiiiiii
	.p2align	8
	.type	_ZL8moe_q6_KIfLb1EEvPKvS1_PT_PKiS5_S5_iiiiiii,@function
_ZL8moe_q6_KIfLb1EEvPKvS1_PT_PKiS5_S5_iiiiiii: ; @_ZL8moe_q6_KIfLb1EEvPKvS1_PT_PKiS5_S5_iiiiiii
; %bb.0:
	s_load_b128 s[4:7], s[0:1], 0x18
	s_mov_b32 s2, ttmp7
	s_mov_b32 s3, 0
	s_delay_alu instid0(SALU_CYCLE_1)
	s_lshl_b64 s[2:3], s[2:3], 2
	s_wait_kmcnt 0x0
	s_add_nc_u64 s[2:3], s[6:7], s[2:3]
	s_load_b32 s14, s[2:3], 0x0
	s_wait_kmcnt 0x0
	s_cmp_gt_u32 s14, 0xff
	s_cbranch_scc1 .LBB196_30
; %bb.1:
	s_load_b64 s[2:3], s[0:1], 0x28
	s_wait_kmcnt 0x0
	s_load_b32 s3, s[2:3], 0x0
	s_lshl_b32 s2, ttmp7, 3
	s_wait_kmcnt 0x0
	s_cmp_gt_u32 s2, s3
	s_cbranch_scc1 .LBB196_30
; %bb.2:
	v_bfe_u32 v19, v0, 10, 10
	v_mov_b32_e32 v16, 0
	s_lshl_b32 s11, ttmp9, 7
	s_delay_alu instid0(VALU_DEP_2) | instskip(NEXT) | instid1(VALU_DEP_2)
	v_add_nc_u32_e32 v15, s2, v19
	v_dual_mov_b32 v24, v16 :: v_dual_and_b32 v23, 0x3ff, v0
	v_mov_b32_e32 v49, v16
	v_mov_b32_e32 v53, v16
	s_delay_alu instid0(VALU_DEP_4) | instskip(NEXT) | instid1(VALU_DEP_1)
	v_lshlrev_b64_e32 v[1:2], 2, v[15:16]
	v_add_co_u32 v1, vcc_lo, s4, v1
	s_delay_alu instid0(VALU_DEP_1)
	v_add_co_ci_u32_e64 v2, null, s5, v2, vcc_lo
	global_load_b32 v22, v[1:2], off
	s_clause 0x2
	s_load_b128 s[4:7], s[0:1], 0x30
	s_load_b64 s[12:13], s[0:1], 0x10
	s_load_b96 s[8:10], s[0:1], 0x40
	s_wait_kmcnt 0x0
	s_cmp_lt_i32 s5, 0x100
	s_cbranch_scc1 .LBB196_21
; %bb.3:
	v_dual_mov_b32 v24, 0 :: v_dual_and_b32 v1, 31, v0
	s_load_b128 s[0:3], s[0:1], 0x0
	s_ashr_i32 s15, s5, 31
	s_mul_i32 s14, s14, s4
	s_delay_alu instid0(VALU_DEP_1)
	v_lshlrev_b32_e32 v3, 1, v1
	v_add_nc_u16 v4, v1, -16
	v_cmp_gt_u32_e32 vcc_lo, 16, v1
	s_lshr_b32 s4, s15, 24
	s_ashr_i32 s16, s8, 31
	v_add_nc_u32_e32 v5, 0xe0, v3
	v_lshrrev_b32_e32 v2, 1, v0
	s_wait_alu 0xfffd
	v_cndmask_b32_e32 v4, v4, v1, vcc_lo
	v_and_b32_e32 v6, 7, v0
	s_wait_alu 0xfffe
	s_add_co_i32 s4, s5, s4
	v_cndmask_b32_e32 v5, v5, v3, vcc_lo
	s_lshr_b32 s16, s16, 27
	s_wait_alu 0xfffe
	s_ashr_i32 s4, s4, 8
	s_add_co_i32 s8, s8, s16
	s_wait_alu 0xfffe
	s_mul_i32 s16, s4, s11
	v_and_b32_e32 v5, 0xfe, v5
	v_and_or_b32 v2, v2, 8, v6
	s_ashr_i32 s15, s14, 31
	s_ashr_i32 s17, s16, 31
	v_lshlrev_b32_e32 v26, 2, v1
	v_sub_nc_u32_e32 v1, v3, v5
	v_add_nc_u32_e32 v5, 8, v19
	s_mul_u64 s[16:17], s[16:17], 0xd2
	s_wait_kmcnt 0x0
	s_add_nc_u64 s[0:1], s[0:1], s[14:15]
	s_not_b32 s18, s11
	s_add_nc_u64 s[14:15], s[0:1], s[16:17]
	s_add_co_i32 s0, s6, s18
	v_lshlrev_b32_e32 v27, 2, v2
	v_and_b32_e32 v2, 15, v0
	v_cmp_lt_u16_e32 vcc_lo, 7, v4
	v_min_i32_e32 v4, s0, v5
	v_add_nc_u32_e32 v5, 16, v19
	v_add_nc_u32_e32 v6, 24, v19
	;; [unrolled: 1-line block ×3, first 2 shown]
	v_min_i32_e32 v3, s0, v19
	v_add_lshl_u32 v17, v1, v2, 2
	v_add_nc_u32_e32 v8, 40, v19
	v_add_nc_u32_e32 v9, 48, v19
	v_min_i32_e32 v5, s0, v5
	v_add_nc_u32_e32 v10, 56, v19
	v_lshlrev_b32_e32 v39, 5, v19
	v_min_i32_e32 v6, s0, v6
	v_add_nc_u32_e32 v11, 64, v19
	v_min_i32_e32 v7, s0, v7
	v_add_nc_u32_e32 v12, 0x48, v19
	v_mad_co_u64_u32 v[1:2], null, 0x104, v3, v[17:18]
	v_min_i32_e32 v8, s0, v8
	v_add_nc_u32_e32 v13, 0x50, v19
	v_mul_lo_u32 v29, v3, s4
	v_mad_co_u64_u32 v[2:3], null, 0x104, v4, v[17:18]
	v_min_i32_e32 v9, s0, v9
	v_mul_lo_u32 v30, v4, s4
	v_mad_co_u64_u32 v[3:4], null, 0x104, v5, v[17:18]
	v_min_i32_e32 v10, s0, v10
	v_add_nc_u32_e32 v16, v39, v23
	v_mul_lo_u32 v31, v5, s4
	v_mad_co_u64_u32 v[4:5], null, 0x104, v6, v[17:18]
	v_min_i32_e32 v11, s0, v11
	v_mul_lo_u32 v32, v6, s4
	v_mad_co_u64_u32 v[5:6], null, 0x104, v7, v[17:18]
	v_min_i32_e32 v12, s0, v12
	;; [unrolled: 3-line block ×3, first 2 shown]
	v_add_nc_u32_e32 v14, 0x58, v19
	v_mul_lo_u32 v34, v8, s4
	v_mad_co_u64_u32 v[7:8], null, 0x104, v9, v[17:18]
	v_mul_lo_u32 v35, v9, s4
	v_mad_co_u64_u32 v[8:9], null, 0x104, v10, v[17:18]
	v_and_b32_e32 v16, 0x7f, v16
	v_mul_lo_u32 v36, v10, s4
	v_mad_co_u64_u32 v[9:10], null, 0x104, v11, v[17:18]
	v_mul_lo_u32 v37, v11, s4
	v_mad_co_u64_u32 v[10:11], null, 0x104, v12, v[17:18]
	v_mul_lo_u32 v38, v12, s4
	v_min_i32_e32 v14, s0, v14
	v_add_nc_u32_e32 v15, 0x60, v19
	v_mad_co_u64_u32 v[11:12], null, 0x104, v13, v[17:18]
	v_add_nc_u32_e32 v18, 0x68, v19
	v_min_i32_e32 v21, s0, v16
	v_bfe_u32 v16, v0, 2, 8
	v_mul_lo_u32 v40, v13, s4
	v_min_i32_e32 v15, s0, v15
	v_mad_co_u64_u32 v[12:13], null, 0x104, v14, v[17:18]
	v_min_i32_e32 v18, s0, v18
	v_add_nc_u32_e32 v20, 0x70, v19
	v_ashrrev_i32_e32 v45, 31, v21
	s_abs_i32 s1, s10
	v_lshl_add_u32 v16, v19, 3, v16
	s_wait_alu 0xfffe
	s_cvt_f32_u32 s6, s1
	v_mul_lo_u32 v41, v14, s4
	v_mad_co_u64_u32 v[13:14], null, 0x104, v15, v[17:18]
	v_mul_lo_u32 v42, v15, s4
	v_mul_lo_u32 v43, v18, s4
	v_min_i32_e32 v20, s0, v20
	v_mad_co_u64_u32 v[14:15], null, 0x104, v18, v[17:18]
	v_add_nc_u32_e32 v18, 0x78, v19
	v_lshrrev_b32_e32 v45, 27, v45
	v_and_b32_e32 v46, 0x7f, v16
	v_rcp_iflag_f32_e32 v50, s6
	v_mul_lo_u32 v44, v20, s4
	v_mad_co_u64_u32 v[15:16], null, 0x104, v20, v[17:18]
	v_min_i32_e32 v16, s0, v18
	v_add_nc_u32_e32 v18, v21, v45
	v_min_i32_e32 v20, s0, v46
	v_xor_b32_e32 v46, 64, v46
	s_sub_co_i32 s6, 0, s1
	v_mul_lo_u32 v45, v16, s4
	v_ashrrev_i32_e32 v47, 5, v18
	v_mad_co_u64_u32 v[17:18], null, 0x104, v16, v[17:18]
	v_min_i32_e32 v49, s0, v46
	v_readfirstlane_b32 s0, v50
	v_mul_lo_u32 v46, v21, s4
	v_lshlrev_b32_e32 v47, 2, v47
	v_lshlrev_b32_e32 v21, 2, v21
	v_ashrrev_i32_e32 v18, 31, v49
	s_mul_f32 s0, s0, 0x4f7ffffe
	v_ashrrev_i32_e32 v48, 31, v20
	v_bfe_u32 v25, v0, 5, 5
	v_add3_u32 v47, v47, v21, 0x8e40
	s_wait_loadcnt 0x0
	v_sub_nc_u32_e32 v21, 0, v22
	s_wait_alu 0xfffe
	s_cvt_u32_f32 s0, s0
	v_lshrrev_b32_e32 v18, 29, v18
	v_lshrrev_b32_e32 v16, 29, v48
	v_lshlrev_b32_e32 v48, 2, v0
	s_wait_alu 0xfffe
	s_mul_i32 s6, s6, s0
	v_max_i32_e32 v21, v22, v21
	s_wait_alu 0xfffe
	s_mul_hi_u32 s6, s0, s6
	v_add_nc_u32_e32 v18, v49, v18
	s_wait_alu 0xfffe
	s_add_co_i32 s0, s0, s6
	v_and_b32_e32 v48, 12, v48
	s_wait_alu 0xfffe
	v_mul_hi_u32 v53, v21, s0
	v_lshlrev_b32_e32 v51, 2, v23
	v_ashrrev_i32_e32 v18, 3, v18
	v_lshlrev_b32_e32 v59, 2, v25
	v_lshlrev_b32_e32 v56, 4, v19
	s_wait_alu 0xfffd
	v_cndmask_b32_e64 v28, 0, 2, vcc_lo
	v_add_nc_u32_e32 v63, 0x60, v23
	v_lshlrev_b32_e32 v18, 2, v18
	v_mul_lo_u32 v58, v53, s1
	v_xor_b32_e32 v61, s10, v22
	v_add_nc_u32_e32 v16, v20, v16
	v_lshrrev_b32_e32 v60, 3, v63
	v_add3_u32 v71, v18, v48, 0x8200
	v_lshl_or_b32 v18, v19, 7, v26
	v_ashrrev_i32_e32 v64, 31, v61
	v_ashrrev_i32_e32 v16, 3, v16
	v_sub_nc_u32_e32 v19, v21, v58
	v_add3_u32 v58, v59, v51, 0x8e40
	v_add_nc_u32_e32 v21, 1, v53
	v_add_nc_u32_e32 v55, 0x8a40, v18
	;; [unrolled: 1-line block ×3, first 2 shown]
	v_subrev_nc_u32_e32 v59, s1, v19
	v_cmp_le_u32_e32 vcc_lo, s1, v19
	s_ashr_i32 s8, s8, 5
	v_lshlrev_b32_e32 v16, 2, v16
	v_lshrrev_b32_e32 v57, 3, v18
	s_wait_alu 0xfffd
	v_dual_cndmask_b32 v21, v53, v21 :: v_dual_lshlrev_b32 v72, 2, v18
	v_cndmask_b32_e32 v19, v19, v59, vcc_lo
	v_add_nc_u32_e32 v53, 64, v23
	v_and_b32_e32 v18, 60, v57
	v_and_b32_e32 v69, 28, v51
	v_add_nc_u32_e32 v62, 1, v21
	v_cmp_le_u32_e32 vcc_lo, s1, v19
	v_lshrrev_b32_e32 v59, 3, v53
	v_add3_u32 v61, v51, v18, 0x8e40
	v_and_b32_e32 v18, 60, v60
	s_movk_i32 s1, 0x2080
	s_wait_alu 0xfffd
	v_cndmask_b32_e32 v19, v21, v62, vcc_lo
	v_and_b32_e32 v21, 60, v59
	v_mul_lo_u32 v50, v20, s4
	v_add3_u32 v16, v16, v48, 0x8200
	v_lshlrev_b32_e32 v20, 4, v20
	v_xor_b32_e32 v19, v19, v64
	v_add3_u32 v62, v51, v21, 0x8e40
	v_lshlrev_b32_e32 v21, 2, v63
	v_add3_u32 v63, v51, v18, 0x8e40
	v_mul_lo_u32 v52, v49, s4
	v_sub_nc_u32_e32 v18, v19, v64
	v_lshlrev_b32_e32 v49, 4, v49
	v_lshlrev_b32_e32 v53, 2, v53
	s_wait_alu 0xfffe
	v_mad_u32_u24 v65, 0x104, v23, s1
	s_movk_i32 s1, 0x4100
	v_mul_lo_u32 v66, v18, s8
	s_movk_i32 s6, 0x6180
	v_cmp_gt_u32_e64 s0, 4, v23
	s_wait_alu 0xfffe
	v_mad_u32_u24 v67, 0x104, v23, s1
	v_mad_u32_u24 v68, 0x104, v23, s6
	v_cmp_gt_i32_e64 s1, s7, v18
	v_add_co_u32 v18, s6, s2, v69
	v_add_nc_u32_e32 v54, 0x9050, v51
	v_bfe_u32 v0, v0, 3, 7
	v_mul_u32_u24_e32 v64, 0x104, v23
	s_wait_alu 0xf1ff
	v_add_co_ci_u32_e64 v19, null, s3, 0, s6
	v_ashrrev_i32_e32 v69, 31, v66
	v_add_nc_u32_e32 v70, v16, v20
	v_add_nc_u32_e32 v71, v71, v49
	v_lshlrev_b32_e32 v72, 2, v72
	v_lshlrev_b32_e32 v73, 2, v53
	v_dual_mov_b32 v53, 0 :: v_dual_lshlrev_b32 v74, 2, v21
	v_dual_mov_b32 v49, 0 :: v_dual_mov_b32 v16, 0
	s_mov_b32 s17, 0
	s_and_b32 s6, s0, s1
	s_mov_b32 s16, s17
	s_branch .LBB196_5
.LBB196_4:                              ;   in Loop: Header=BB196_5 Depth=1
	s_add_co_i32 s16, s16, 1
	s_delay_alu instid0(SALU_CYCLE_1)
	s_cmp_eq_u32 s16, s4
	s_cbranch_scc1 .LBB196_21
.LBB196_5:                              ; =>This Loop Header: Depth=1
                                        ;     Child Loop BB196_11 Depth 2
                                        ;     Child Loop BB196_19 Depth 2
	s_mul_u64 s[18:19], s[16:17], 0xd2
	s_wait_alu 0xfffe
	s_add_nc_u64 s[18:19], s[14:15], s[18:19]
	s_wait_alu 0xfffe
	v_mad_co_u64_u32 v[20:21], null, 0xd2, v25, s[18:19]
	s_delay_alu instid0(VALU_DEP_1) | instskip(SKIP_3) | instid1(VALU_DEP_4)
	v_mad_co_i64_i32 v[75:76], null, 0xd2, v29, v[20:21]
	v_mad_co_i64_i32 v[77:78], null, 0xd2, v30, v[20:21]
	;; [unrolled: 1-line block ×4, first 2 shown]
	v_add_co_u32 v81, vcc_lo, v75, v26
	s_wait_alu 0xfffd
	v_add_co_ci_u32_e64 v82, null, 0, v76, vcc_lo
	v_add_co_u32 v75, vcc_lo, v75, v27
	s_wait_alu 0xfffd
	v_add_co_ci_u32_e64 v76, null, 0, v76, vcc_lo
	;; [unrolled: 3-line block ×4, first 2 shown]
	v_add_co_u32 v85, vcc_lo, v79, v26
	v_mad_co_i64_i32 v[94:95], null, 0xd2, v33, v[20:21]
	s_wait_alu 0xfffd
	v_add_co_ci_u32_e64 v86, null, 0, v80, vcc_lo
	v_add_co_u32 v79, vcc_lo, v79, v27
	s_wait_alu 0xfffd
	v_add_co_ci_u32_e64 v80, null, 0, v80, vcc_lo
	v_add_co_u32 v96, vcc_lo, v87, v26
	;; [unrolled: 3-line block ×4, first 2 shown]
	s_wait_alu 0xfffd
	v_add_co_ci_u32_e64 v101, null, 0, v95, vcc_lo
	s_clause 0x8
	global_load_b32 v92, v[81:82], off
	global_load_b32 v93, v[75:76], off offset:128
	global_load_b32 v90, v[83:84], off
	global_load_b32 v91, v[77:78], off offset:128
	global_load_b32 v87, v[85:86], off
	global_load_b32 v88, v[79:80], off offset:128
	global_load_b32 v85, v[96:97], off
	global_load_b32 v86, v[98:99], off offset:128
	global_load_b32 v89, v[100:101], off
	v_mad_co_i64_i32 v[75:76], null, 0xd2, v34, v[20:21]
	v_mad_co_i64_i32 v[79:80], null, 0xd2, v35, v[20:21]
	v_add_co_u32 v77, vcc_lo, v94, v27
	s_wait_alu 0xfffd
	v_add_co_ci_u32_e64 v78, null, 0, v95, vcc_lo
	s_delay_alu instid0(VALU_DEP_4)
	v_add_co_u32 v81, vcc_lo, v75, v26
	s_wait_alu 0xfffd
	v_add_co_ci_u32_e64 v82, null, 0, v76, vcc_lo
	v_add_co_u32 v75, vcc_lo, v75, v27
	s_wait_alu 0xfffd
	v_add_co_ci_u32_e64 v76, null, 0, v76, vcc_lo
	;; [unrolled: 3-line block ×4, first 2 shown]
	s_clause 0x4
	global_load_b32 v114, v[77:78], off offset:128
	global_load_b32 v115, v[81:82], off
	global_load_b32 v116, v[75:76], off offset:128
	global_load_b32 v78, v[83:84], off
	global_load_b32 v117, v[79:80], off offset:128
	v_mad_co_i64_i32 v[75:76], null, 0xd2, v36, v[20:21]
	v_mad_co_i64_i32 v[79:80], null, 0xd2, v37, v[20:21]
	;; [unrolled: 1-line block ×4, first 2 shown]
	s_delay_alu instid0(VALU_DEP_4)
	v_add_co_u32 v100, vcc_lo, v75, v26
	s_wait_alu 0xfffd
	v_add_co_ci_u32_e64 v101, null, 0, v76, vcc_lo
	v_add_co_u32 v75, vcc_lo, v75, v27
	s_wait_alu 0xfffd
	v_add_co_ci_u32_e64 v76, null, 0, v76, vcc_lo
	s_clause 0x1
	global_load_b32 v118, v[100:101], off
	global_load_b32 v119, v[75:76], off offset:128
	v_add_co_u32 v102, vcc_lo, v79, v26
	s_wait_alu 0xfffd
	v_add_co_ci_u32_e64 v103, null, 0, v80, vcc_lo
	v_add_co_u32 v79, vcc_lo, v79, v27
	v_mad_co_i64_i32 v[94:95], null, 0xd2, v41, v[20:21]
	s_wait_alu 0xfffd
	v_add_co_ci_u32_e64 v80, null, 0, v80, vcc_lo
	v_add_co_u32 v104, vcc_lo, v81, v26
	s_wait_alu 0xfffd
	v_add_co_ci_u32_e64 v105, null, 0, v82, vcc_lo
	v_add_co_u32 v81, vcc_lo, v81, v27
	v_mad_co_i64_i32 v[96:97], null, 0xd2, v42, v[20:21]
	s_wait_alu 0xfffd
	v_add_co_ci_u32_e64 v82, null, 0, v82, vcc_lo
	;; [unrolled: 7-line block ×3, first 2 shown]
	v_add_co_u32 v75, vcc_lo, v94, v26
	s_wait_alu 0xfffd
	v_add_co_ci_u32_e64 v76, null, 0, v95, vcc_lo
	v_add_co_u32 v100, vcc_lo, v94, v27
	s_wait_alu 0xfffd
	v_add_co_ci_u32_e64 v101, null, 0, v95, vcc_lo
	;; [unrolled: 3-line block ×6, first 2 shown]
	s_clause 0xb
	global_load_b32 v99, v[102:103], off
	global_load_b32 v102, v[79:80], off offset:128
	global_load_b32 v84, v[104:105], off
	global_load_b32 v94, v[81:82], off offset:128
	;; [unrolled: 2-line block ×6, first 2 shown]
	s_wait_loadcnt 0x1b
	v_and_b32_e32 v95, 0xf0f0f0f, v92
	v_lshrrev_b32_e32 v92, 4, v92
	s_wait_loadcnt 0x1a
	v_ashrrev_i32_e32 v93, v28, v93
	s_wait_loadcnt 0x19
	v_and_b32_e32 v96, 0xf0f0f0f, v90
	v_lshrrev_b32_e32 v90, 4, v90
	s_wait_loadcnt 0x18
	v_ashrrev_i32_e32 v91, v28, v91
	;; [unrolled: 5-line block ×4, first 2 shown]
	s_wait_loadcnt 0x13
	v_and_b32_e32 v100, 0xf0f0f0f, v89
	v_lshrrev_b32_e32 v89, 4, v89
	v_and_b32_e32 v92, 0xf0f0f0f, v92
	v_lshlrev_b32_e32 v108, 4, v93
	v_and_b32_e32 v90, 0xf0f0f0f, v90
	v_lshlrev_b32_e32 v109, 4, v91
	v_and_b32_e32 v87, 0xf0f0f0f, v87
	v_lshlrev_b32_e32 v110, 4, v88
	v_and_b32_e32 v85, 0xf0f0f0f, v85
	v_lshlrev_b32_e32 v111, 4, v86
	v_and_b32_e32 v89, 0xf0f0f0f, v89
	v_and_or_b32 v95, 0x30303030, v108, v95
	v_and_or_b32 v92, 0x30303030, v93, v92
	;; [unrolled: 1-line block ×6, first 2 shown]
	s_wait_loadcnt 0x12
	v_ashrrev_i32_e32 v101, v28, v114
	s_wait_loadcnt 0x11
	v_lshrrev_b32_e32 v104, 4, v115
	s_wait_loadcnt 0x10
	v_ashrrev_i32_e32 v105, v28, v116
	v_and_b32_e32 v103, 0xf0f0f0f, v115
	v_and_or_b32 v88, 0x30303030, v111, v98
	v_lshlrev_b32_e32 v112, 4, v101
	v_and_b32_e32 v104, 0xf0f0f0f, v104
	v_lshlrev_b32_e32 v113, 4, v105
	v_and_or_b32 v85, 0x30303030, v86, v85
	v_and_or_b32 v89, 0x30303030, v101, v89
	;; [unrolled: 1-line block ×3, first 2 shown]
	v_lshrrev_b32_e32 v98, 16, v95
	v_and_b32_e32 v100, 0x3f00, v95
	v_lshlrev_b16 v95, 8, v95
	v_lshrrev_b32_e32 v101, 16, v92
	v_and_or_b32 v96, 0x30303030, v113, v103
	v_and_or_b32 v97, 0x30303030, v105, v104
	v_and_b32_e32 v103, 0x3f00, v92
	v_lshlrev_b16 v92, 8, v92
	v_lshrrev_b32_e32 v104, 16, v93
	v_lshrrev_b32_e32 v108, 16, v90
	v_and_b32_e32 v105, 0x3f00, v93
	v_lshlrev_b16 v93, 8, v93
	v_lshrrev_b32_e32 v110, 16, v91
	v_lshrrev_b32_e32 v112, 16, v87
	s_wait_loadcnt 0xe
	v_ashrrev_i32_e32 v107, v28, v117
	v_and_b32_e32 v109, 0x3f00, v90
	v_lshlrev_b16 v90, 8, v90
	v_lshrrev_b32_e32 v115, 16, v88
	v_lshrrev_b32_e32 v117, 16, v85
	v_and_b32_e32 v111, 0x3f00, v91
	v_lshlrev_b16 v91, 8, v91
	v_lshrrev_b32_e32 v121, 16, v86
	v_lshrrev_b32_e32 v123, 16, v89
	v_add_nc_u16 v95, 0xe000, v95
	v_and_b32_e32 v129, 0x3f00, v98
	v_lshlrev_b16 v98, 8, v98
	v_and_b32_e32 v130, 0x3f00, v101
	v_lshlrev_b16 v101, 8, v101
	v_add_nc_u16 v92, 0xe000, v92
	v_and_b32_e32 v131, 0x3f00, v104
	v_lshlrev_b16 v104, 8, v104
	v_and_b32_e32 v132, 0x3f00, v108
	v_lshlrev_b16 v108, 8, v108
	v_and_b32_e32 v113, 0x3f00, v87
	v_lshlrev_b16 v87, 8, v87
	v_add_nc_u16 v93, 0xe000, v93
	v_and_b32_e32 v133, 0x3f00, v110
	v_lshlrev_b16 v110, 8, v110
	v_and_b32_e32 v134, 0x3f00, v112
	v_lshlrev_b16 v112, 8, v112
	v_and_b32_e32 v116, 0x3f00, v88
	v_lshlrev_b16 v88, 8, v88
	v_and_b32_e32 v120, 0x3f00, v85
	v_lshlrev_b16 v85, 8, v85
	v_add_nc_u16 v90, 0xe000, v90
	v_and_b32_e32 v135, 0x3f00, v115
	v_lshlrev_b16 v115, 8, v115
	v_and_b32_e32 v136, 0x3f00, v117
	v_lshlrev_b16 v117, 8, v117
	v_and_b32_e32 v122, 0x3f00, v86
	v_lshlrev_b16 v86, 8, v86
	v_and_b32_e32 v124, 0x3f00, v89
	v_lshlrev_b16 v89, 8, v89
	v_add_nc_u16 v91, 0xe000, v91
	v_and_b32_e32 v137, 0x3f00, v121
	v_lshlrev_b16 v121, 8, v121
	v_and_b32_e32 v138, 0x3f00, v123
	v_lshlrev_b16 v123, 8, v123
	v_lshrrev_b16 v95, 8, v95
	v_add_nc_u16 v98, 0xe000, v98
	v_add_nc_u16 v101, 0xe000, v101
	v_lshrrev_b16 v92, 8, v92
	v_add_nc_u16 v104, 0xe000, v104
	v_add_nc_u16 v108, 0xe000, v108
	v_add_nc_u16 v87, 0xe000, v87
	v_lshrrev_b16 v93, 8, v93
	v_add_nc_u16 v110, 0xe000, v110
	v_add_nc_u16 v112, 0xe000, v112
	v_add_nc_u16 v88, 0xe000, v88
	v_add_nc_u16 v85, 0xe000, v85
	v_lshrrev_b16 v90, 8, v90
	v_add_nc_u16 v115, 0xe000, v115
	;; [unrolled: 5-line block ×3, first 2 shown]
	v_add_nc_u16 v123, 0xe000, v123
	v_or_b32_e32 v95, v100, v95
	v_lshrrev_b16 v98, 8, v98
	v_lshrrev_b16 v100, 8, v101
	v_or_b32_e32 v92, v103, v92
	v_lshrrev_b16 v101, 8, v104
	v_lshrrev_b16 v103, 8, v108
	v_lshrrev_b16 v87, 8, v87
	v_or_b32_e32 v93, v105, v93
	v_lshrrev_b16 v104, 8, v110
	v_lshrrev_b16 v105, 8, v112
	v_lshrrev_b16 v88, 8, v88
	v_lshrrev_b16 v85, 8, v85
	v_or_b32_e32 v90, v109, v90
	v_lshrrev_b16 v108, 8, v115
	;; [unrolled: 5-line block ×3, first 2 shown]
	v_lshrrev_b16 v111, 8, v123
	v_or_b32_e32 v98, v129, v98
	v_or_b32_e32 v100, v130, v100
	;; [unrolled: 1-line block ×11, first 2 shown]
	v_lshrrev_b32_e32 v127, 16, v97
	v_or_b32_e32 v86, v122, v86
	v_or_b32_e32 v89, v124, v89
	v_add_nc_u16 v95, 0xe000, v95
	v_add_nc_u16 v92, 0xe000, v92
	v_or_b32_e32 v110, v137, v110
	v_or_b32_e32 v111, v138, v111
	v_add_nc_u16 v98, 0xe000, v98
	v_add_nc_u16 v100, 0xe000, v100
	;; [unrolled: 1-line block ×14, first 2 shown]
	v_and_b32_e32 v140, 0x3f00, v127
	v_lshlrev_b16 v127, 8, v127
	v_add_nc_u16 v86, 0xe000, v86
	v_add_nc_u16 v89, 0xe000, v89
	v_and_b32_e32 v95, 0xffff, v95
	v_and_b32_e32 v92, 0xffff, v92
	v_add_nc_u16 v110, 0xe000, v110
	v_add_nc_u16 v111, 0xe000, v111
	v_lshlrev_b32_e32 v98, 16, v98
	v_lshlrev_b32_e32 v100, 16, v100
	v_and_b32_e32 v93, 0xffff, v93
	v_and_b32_e32 v90, 0xffff, v90
	v_lshlrev_b32_e32 v101, 16, v101
	v_lshlrev_b32_e32 v103, 16, v103
	v_and_b32_e32 v91, 0xffff, v91
	v_and_b32_e32 v87, 0xffff, v87
	v_lshlrev_b32_e32 v104, 16, v104
	v_lshlrev_b32_e32 v105, 16, v105
	v_and_b32_e32 v128, 0x3f00, v97
	v_lshlrev_b16 v97, 8, v97
	v_and_b32_e32 v88, 0xffff, v88
	v_and_b32_e32 v85, 0xffff, v85
	v_lshlrev_b32_e32 v108, 16, v108
	v_lshlrev_b32_e32 v109, 16, v109
	v_add_nc_u16 v127, 0xe000, v127
	v_and_b32_e32 v86, 0xffff, v86
	v_and_b32_e32 v89, 0xffff, v89
	v_lshlrev_b32_e32 v110, 16, v110
	v_lshlrev_b32_e32 v111, 16, v111
	v_or_b32_e32 v95, v95, v98
	v_or_b32_e32 v92, v92, v100
	v_or_b32_e32 v93, v93, v101
	v_or_b32_e32 v90, v90, v103
	v_or_b32_e32 v91, v91, v104
	v_or_b32_e32 v87, v87, v105
	v_add_nc_u16 v97, 0xe000, v97
	v_or_b32_e32 v88, v88, v108
	v_or_b32_e32 v85, v85, v109
	;; [unrolled: 1-line block ×4, first 2 shown]
	ds_store_2addr_b32 v1, v95, v92 offset1:16
	ds_store_2addr_b32 v2, v93, v90 offset1:16
	;; [unrolled: 1-line block ×4, first 2 shown]
	v_lshrrev_b16 v85, 8, v127
	v_lshrrev_b32_e32 v125, 16, v96
	v_lshrrev_b16 v97, 8, v97
	ds_store_2addr_b32 v5, v86, v89 offset1:16
	v_and_b32_e32 v106, 0xf0f0f0f, v78
	v_or_b32_e32 v88, v140, v85
	v_mad_co_i64_i32 v[85:86], null, 0xd2, v44, v[20:21]
	v_lshlrev_b32_e32 v114, 4, v107
	v_and_b32_e32 v126, 0x3f00, v96
	v_lshlrev_b16 v96, 8, v96
	v_and_b32_e32 v139, 0x3f00, v125
	v_lshlrev_b16 v125, 8, v125
	v_or_b32_e32 v87, v128, v97
	v_and_or_b32 v90, 0x30303030, v114, v106
	v_add_nc_u16 v96, 0xe000, v96
	v_add_nc_u16 v93, 0xe000, v88
	;; [unrolled: 1-line block ×4, first 2 shown]
	v_add_co_u32 v87, vcc_lo, v85, v26
	s_wait_alu 0xfffd
	v_add_co_ci_u32_e64 v88, null, 0, v86, vcc_lo
	v_add_co_u32 v85, vcc_lo, v85, v27
	s_wait_alu 0xfffd
	v_add_co_ci_u32_e64 v86, null, 0, v86, vcc_lo
	v_lshrrev_b16 v96, 8, v96
	v_lshrrev_b16 v112, 8, v125
	v_lshrrev_b32_e32 v78, 4, v78
	v_lshlrev_b16 v91, 8, v90
	s_clause 0x1
	global_load_b32 v97, v[87:88], off
	global_load_b32 v98, v[85:86], off offset:128
	v_or_b32_e32 v96, v126, v96
	v_or_b32_e32 v112, v139, v112
	v_and_b32_e32 v78, 0xf0f0f0f, v78
	v_add_nc_u16 v91, 0xe000, v91
	v_lshrrev_b32_e32 v95, 16, v90
	v_add_nc_u16 v96, 0xe000, v96
	v_add_nc_u16 v112, 0xe000, v112
	v_and_b32_e32 v90, 0x3f00, v90
	v_lshrrev_b16 v91, 8, v91
	v_and_or_b32 v78, 0x30303030, v107, v78
	v_and_b32_e32 v96, 0xffff, v96
	v_lshlrev_b32_e32 v112, 16, v112
	v_and_b32_e32 v85, 0xffff, v92
	v_lshlrev_b32_e32 v86, 16, v93
	v_or_b32_e32 v88, v90, v91
	v_lshlrev_b16 v90, 8, v78
	v_lshrrev_b32_e32 v92, 16, v78
	v_or_b32_e32 v89, v96, v112
	v_or_b32_e32 v85, v85, v86
	v_lshlrev_b16 v96, 8, v95
	v_add_nc_u16 v86, 0xe000, v90
	v_lshlrev_b16 v90, 8, v92
	v_and_b32_e32 v78, 0x3f00, v78
	ds_store_2addr_b32 v6, v89, v85 offset1:16
	v_mad_co_i64_i32 v[20:21], null, 0xd2, v45, v[20:21]
	v_lshrrev_b16 v86, 8, v86
	v_add_nc_u16 v85, 0xe000, v90
	v_add_nc_u16 v87, 0xe000, v96
	v_and_b32_e32 v91, 0x3f00, v95
	s_wait_loadcnt 0xe
	v_ashrrev_i32_e32 v89, v28, v119
	v_or_b32_e32 v78, v78, v86
	v_and_b32_e32 v86, 0x3f00, v92
	v_lshrrev_b16 v85, 8, v85
	v_lshrrev_b16 v87, 8, v87
	v_lshlrev_b32_e32 v92, 4, v89
	v_lshrrev_b32_e32 v93, 4, v118
	v_add_nc_u16 v78, 0xe000, v78
	v_or_b32_e32 v90, v86, v85
	v_add_co_u32 v85, vcc_lo, v20, v26
	s_wait_alu 0xfffd
	v_add_co_ci_u32_e64 v86, null, 0, v21, vcc_lo
	v_add_co_u32 v20, vcc_lo, v20, v27
	v_or_b32_e32 v87, v91, v87
	v_and_b32_e32 v91, 0xf0f0f0f, v118
	s_wait_alu 0xfffd
	v_add_co_ci_u32_e64 v21, null, 0, v21, vcc_lo
	v_add_nc_u16 v90, 0xe000, v90
	v_add_nc_u16 v88, 0xe000, v88
	v_and_or_b32 v91, 0x30303030, v92, v91
	s_clause 0x1
	global_load_b32 v92, v[85:86], off
	global_load_b32 v95, v[20:21], off offset:128
	v_and_b32_e32 v20, 0xf0f0f0f, v93
	v_add_nc_u16 v87, 0xe000, v87
	v_and_b32_e32 v21, 0xffff, v78
	v_lshlrev_b32_e32 v78, 16, v90
	v_lshrrev_b32_e32 v85, 16, v91
	v_and_or_b32 v20, 0x30303030, v89, v20
	v_and_b32_e32 v88, 0xffff, v88
	v_lshlrev_b32_e32 v87, 16, v87
	v_or_b32_e32 v21, v21, v78
	v_lshlrev_b16 v78, 8, v85
	v_lshrrev_b32_e32 v90, 16, v20
	v_lshlrev_b16 v86, 8, v91
	v_or_b32_e32 v87, v88, v87
	v_lshlrev_b16 v88, 8, v20
	v_and_b32_e32 v89, 0x3f00, v91
	v_add_nc_u16 v78, 0xe000, v78
	v_lshlrev_b16 v91, 8, v90
	v_add_nc_u16 v86, 0xe000, v86
	v_add_nc_u16 v88, 0xe000, v88
	v_and_b32_e32 v85, 0x3f00, v85
	v_lshrrev_b16 v78, 8, v78
	ds_store_2addr_b32 v7, v87, v21 offset1:16
	v_add_nc_u16 v21, 0xe000, v91
	v_lshrrev_b16 v86, 8, v86
	v_and_b32_e32 v20, 0x3f00, v20
	v_lshrrev_b16 v88, 8, v88
	v_or_b32_e32 v78, v85, v78
	v_and_b32_e32 v85, 0x3f00, v90
	v_lshrrev_b16 v21, 8, v21
	v_or_b32_e32 v86, v89, v86
	v_or_b32_e32 v20, v20, v88
	s_wait_loadcnt 0xe
	v_ashrrev_i32_e32 v89, v28, v102
	v_add_nc_u16 v78, 0xe000, v78
	v_or_b32_e32 v21, v85, v21
	v_add_nc_u16 v86, 0xe000, v86
	v_add_nc_u16 v20, 0xe000, v20
	v_and_b32_e32 v85, 0xf0f0f0f, v99
	v_lshlrev_b32_e32 v87, 4, v89
	v_add_nc_u16 v88, 0xe000, v21
	v_and_b32_e32 v90, 0xffff, v86
	v_and_b32_e32 v91, 0xffff, v20
	v_mad_co_i64_i32 v[20:21], null, 0xd2, v46, s[18:19]
	v_and_or_b32 v93, 0x30303030, v87, v85
	v_mad_co_i64_i32 v[85:86], null, 0xd2, v50, s[18:19]
	v_lshlrev_b32_e32 v96, 16, v88
	v_mad_co_i64_i32 v[87:88], null, 0xd2, v52, s[18:19]
	global_load_u16 v101, v[20:21], off offset:208
	v_lshrrev_b32_e32 v99, 4, v99
	v_lshlrev_b16 v100, 8, v93
	v_add_co_u32 v20, vcc_lo, v85, v48
	s_wait_alu 0xfffd
	v_add_co_ci_u32_e64 v21, null, 0, v86, vcc_lo
	v_add_co_u32 v85, vcc_lo, v87, v48
	s_wait_alu 0xfffd
	v_add_co_ci_u32_e64 v86, null, 0, v88, vcc_lo
	s_clause 0x1
	global_load_b32 v20, v[20:21], off offset:192
	global_load_b32 v21, v[85:86], off offset:192
	v_and_b32_e32 v87, 0xf0f0f0f, v99
	v_lshlrev_b32_e32 v78, 16, v78
	v_add_nc_u16 v99, 0xe000, v100
	v_lshrrev_b32_e32 v88, 16, v93
	v_and_b32_e32 v85, 0x3f00, v93
	v_and_or_b32 v86, 0x30303030, v89, v87
	v_or_b32_e32 v78, v90, v78
	v_lshrrev_b16 v87, 8, v99
	v_or_b32_e32 v89, v91, v96
	v_lshlrev_b16 v90, 8, v88
	v_lshrrev_b32_e32 v91, 16, v86
	v_and_b32_e32 v88, 0x3f00, v88
	v_or_b32_e32 v85, v85, v87
	v_lshlrev_b16 v87, 8, v86
	ds_store_2addr_b32 v8, v78, v89 offset1:16
	v_lshlrev_b16 v89, 8, v91
	v_add_nc_u16 v78, 0xe000, v90
	v_and_b32_e32 v86, 0x3f00, v86
	v_add_nc_u16 v87, 0xe000, v87
	v_and_b32_e32 v90, 0x3f00, v91
	v_add_nc_u16 v89, 0xe000, v89
	v_lshrrev_b16 v78, 8, v78
	s_wait_loadcnt 0xf
	v_ashrrev_i32_e32 v91, v28, v94
	v_lshrrev_b16 v87, 8, v87
	v_add_nc_u16 v85, 0xe000, v85
	v_lshrrev_b16 v89, 8, v89
	v_or_b32_e32 v78, v88, v78
	v_lshlrev_b32_e32 v88, 4, v91
	v_or_b32_e32 v86, v86, v87
	v_and_b32_e32 v87, 0xf0f0f0f, v84
	v_or_b32_e32 v89, v90, v89
	v_add_nc_u16 v78, 0xe000, v78
	v_lshrrev_b32_e32 v84, 4, v84
	v_add_nc_u16 v86, 0xe000, v86
	v_and_or_b32 v87, 0x30303030, v88, v87
	v_add_nc_u16 v88, 0xe000, v89
	v_and_b32_e32 v85, 0xffff, v85
	v_lshlrev_b32_e32 v78, 16, v78
	v_and_b32_e32 v86, 0xffff, v86
	v_lshlrev_b16 v89, 8, v87
	v_lshlrev_b32_e32 v88, 16, v88
	v_and_b32_e32 v84, 0xf0f0f0f, v84
	v_or_b32_e32 v78, v85, v78
	v_lshrrev_b32_e32 v85, 16, v87
	v_add_nc_u16 v89, 0xe000, v89
	v_or_b32_e32 v86, v86, v88
	v_and_or_b32 v84, 0x30303030, v91, v84
	v_and_b32_e32 v87, 0x3f00, v87
	v_lshlrev_b16 v88, 8, v85
	v_lshrrev_b16 v89, 8, v89
	ds_store_2addr_b32 v9, v78, v86 offset1:16
	v_lshrrev_b32_e32 v78, 16, v84
	v_lshlrev_b16 v86, 8, v84
	v_add_nc_u16 v88, 0xe000, v88
	v_or_b32_e32 v87, v87, v89
	v_and_b32_e32 v85, 0x3f00, v85
	v_lshlrev_b16 v89, 8, v78
	v_add_nc_u16 v86, 0xe000, v86
	v_lshrrev_b16 v88, 8, v88
	v_and_b32_e32 v84, 0x3f00, v84
	s_wait_loadcnt 0xd
	v_ashrrev_i32_e32 v83, v28, v83
	v_add_nc_u16 v89, 0xe000, v89
	v_lshrrev_b16 v86, 8, v86
	v_or_b32_e32 v85, v85, v88
	v_and_b32_e32 v78, 0x3f00, v78
	v_add_nc_u16 v87, 0xe000, v87
	v_lshrrev_b16 v88, 8, v89
	v_or_b32_e32 v84, v84, v86
	v_and_b32_e32 v86, 0xf0f0f0f, v82
	v_lshlrev_b32_e32 v89, 4, v83
	v_add_nc_u16 v85, 0xe000, v85
	v_or_b32_e32 v78, v78, v88
	v_lshrrev_b32_e32 v82, 4, v82
	v_and_b32_e32 v87, 0xffff, v87
	v_and_or_b32 v86, 0x30303030, v89, v86
	v_add_nc_u16 v84, 0xe000, v84
	v_lshlrev_b32_e32 v85, 16, v85
	v_add_nc_u16 v78, 0xe000, v78
	v_and_b32_e32 v82, 0xf0f0f0f, v82
	v_lshrrev_b32_e32 v88, 16, v86
	v_lshlrev_b16 v89, 8, v86
	v_and_b32_e32 v84, 0xffff, v84
	v_lshlrev_b32_e32 v78, 16, v78
	v_or_b32_e32 v85, v87, v85
	v_lshlrev_b16 v87, 8, v88
	v_add_nc_u16 v89, 0xe000, v89
	v_and_or_b32 v82, 0x30303030, v83, v82
	v_or_b32_e32 v78, v84, v78
	v_and_b32_e32 v83, 0x3f00, v86
	v_add_nc_u16 v84, 0xe000, v87
	v_lshrrev_b16 v86, 8, v89
	v_and_b32_e32 v87, 0x3f00, v88
	v_lshrrev_b32_e32 v88, 16, v82
	v_lshlrev_b16 v89, 8, v82
	v_lshrrev_b16 v84, 8, v84
	ds_store_2addr_b32 v10, v85, v78 offset1:16
	v_or_b32_e32 v78, v83, v86
	v_lshlrev_b16 v83, 8, v88
	v_add_nc_u16 v85, 0xe000, v89
	s_wait_loadcnt 0xb
	v_ashrrev_i32_e32 v81, v28, v81
	v_or_b32_e32 v84, v87, v84
	v_and_b32_e32 v82, 0x3f00, v82
	v_add_nc_u16 v83, 0xe000, v83
	v_lshrrev_b16 v85, 8, v85
	v_and_b32_e32 v86, 0x3f00, v88
	v_and_b32_e32 v87, 0xf0f0f0f, v80
	v_lshlrev_b32_e32 v88, 4, v81
	v_lshrrev_b16 v83, 8, v83
	v_or_b32_e32 v82, v82, v85
	v_lshrrev_b32_e32 v80, 4, v80
	v_add_nc_u16 v78, 0xe000, v78
	v_and_or_b32 v85, 0x30303030, v88, v87
	v_or_b32_e32 v83, v86, v83
	v_add_nc_u16 v84, 0xe000, v84
	v_add_nc_u16 v82, 0xe000, v82
	v_and_b32_e32 v80, 0xf0f0f0f, v80
	v_lshlrev_b16 v86, 8, v85
	v_add_nc_u16 v83, 0xe000, v83
	v_and_b32_e32 v78, 0xffff, v78
	v_lshlrev_b32_e32 v84, 16, v84
	v_and_b32_e32 v82, 0xffff, v82
	v_add_nc_u16 v86, 0xe000, v86
	v_lshrrev_b32_e32 v87, 16, v85
	v_lshlrev_b32_e32 v83, 16, v83
	v_and_b32_e32 v85, 0x3f00, v85
	v_and_or_b32 v80, 0x30303030, v81, v80
	v_lshrrev_b16 v86, 8, v86
	v_lshlrev_b16 v88, 8, v87
	v_or_b32_e32 v78, v78, v84
	v_or_b32_e32 v81, v82, v83
	v_and_b32_e32 v84, 0x3f00, v87
	v_or_b32_e32 v83, v85, v86
	v_lshrrev_b32_e32 v85, 16, v80
	v_add_nc_u16 v82, 0xe000, v88
	v_lshlrev_b16 v86, 8, v80
	ds_store_2addr_b32 v11, v78, v81 offset1:16
	v_add_nc_u16 v78, 0xe000, v83
	v_lshlrev_b16 v81, 8, v85
	v_lshrrev_b16 v82, 8, v82
	v_add_nc_u16 v83, 0xe000, v86
	s_wait_loadcnt 0x9
	v_ashrrev_i32_e32 v79, v28, v79
	v_and_b32_e32 v80, 0x3f00, v80
	v_add_nc_u16 v81, 0xe000, v81
	v_or_b32_e32 v82, v84, v82
	v_lshrrev_b16 v83, 8, v83
	v_and_b32_e32 v84, 0x3f00, v85
	v_and_b32_e32 v85, 0xf0f0f0f, v77
	v_lshlrev_b32_e32 v86, 4, v79
	v_lshrrev_b16 v81, 8, v81
	v_or_b32_e32 v80, v80, v83
	v_lshrrev_b32_e32 v77, 4, v77
	v_add_nc_u16 v82, 0xe000, v82
	v_and_or_b32 v83, 0x30303030, v86, v85
	v_or_b32_e32 v81, v84, v81
	v_add_nc_u16 v80, 0xe000, v80
	v_and_b32_e32 v77, 0xf0f0f0f, v77
	v_and_b32_e32 v78, 0xffff, v78
	v_lshlrev_b16 v84, 8, v83
	v_add_nc_u16 v81, 0xe000, v81
	v_lshrrev_b32_e32 v85, 16, v83
	v_lshlrev_b32_e32 v82, 16, v82
	v_and_b32_e32 v80, 0xffff, v80
	v_add_nc_u16 v84, 0xe000, v84
	v_lshlrev_b32_e32 v81, 16, v81
	v_lshlrev_b16 v86, 8, v85
	v_and_or_b32 v77, 0x30303030, v79, v77
	v_and_b32_e32 v83, 0x3f00, v83
	v_lshrrev_b16 v79, 8, v84
	v_or_b32_e32 v78, v78, v82
	v_add_nc_u16 v82, 0xe000, v86
	v_or_b32_e32 v80, v80, v81
	v_lshrrev_b32_e32 v81, 16, v77
	v_or_b32_e32 v79, v83, v79
	v_and_b32_e32 v83, 0x3f00, v85
	v_lshrrev_b16 v82, 8, v82
	v_lshlrev_b16 v84, 8, v77
	v_lshlrev_b16 v85, 8, v81
	s_wait_loadcnt 0x7
	v_ashrrev_i32_e32 v76, v28, v76
	v_and_b32_e32 v77, 0x3f00, v77
	v_or_b32_e32 v82, v83, v82
	v_add_nc_u16 v83, 0xe000, v84
	v_add_nc_u16 v84, 0xe000, v85
	v_and_b32_e32 v85, 0xf0f0f0f, v75
	v_lshlrev_b32_e32 v86, 4, v76
	v_add_nc_u16 v79, 0xe000, v79
	v_lshrrev_b16 v83, 8, v83
	v_and_b32_e32 v81, 0x3f00, v81
	v_lshrrev_b16 v84, 8, v84
	v_and_or_b32 v85, 0x30303030, v86, v85
	v_add_nc_u16 v82, 0xe000, v82
	v_or_b32_e32 v77, v77, v83
	v_and_b32_e32 v79, 0xffff, v79
	v_or_b32_e32 v81, v81, v84
	v_lshrrev_b32_e32 v83, 16, v85
	v_lshlrev_b32_e32 v82, 16, v82
	v_lshlrev_b16 v84, 8, v85
	v_add_nc_u16 v77, 0xe000, v77
	v_add_nc_u16 v81, 0xe000, v81
	v_lshlrev_b16 v86, 8, v83
	v_or_b32_e32 v79, v79, v82
	v_add_nc_u16 v82, 0xe000, v84
	v_lshrrev_b32_e32 v75, 4, v75
	v_and_b32_e32 v77, 0xffff, v77
	v_add_nc_u16 v84, 0xe000, v86
	v_lshlrev_b32_e32 v81, 16, v81
	v_and_b32_e32 v85, 0x3f00, v85
	v_lshrrev_b16 v82, 8, v82
	v_and_b32_e32 v83, 0x3f00, v83
	v_lshrrev_b16 v84, 8, v84
	v_and_b32_e32 v75, 0xf0f0f0f, v75
	v_or_b32_e32 v77, v77, v81
	ds_store_2addr_b32 v12, v78, v80 offset1:16
	v_or_b32_e32 v78, v85, v82
	v_or_b32_e32 v80, v83, v84
	v_and_or_b32 v75, 0x30303030, v76, v75
	s_wait_loadcnt 0x5
	v_ashrrev_i32_e32 v76, v28, v98
	ds_store_2addr_b32 v13, v79, v77 offset1:16
	v_add_nc_u16 v77, 0xe000, v78
	v_add_nc_u16 v78, 0xe000, v80
	v_lshlrev_b16 v79, 8, v75
	v_and_b32_e32 v80, 0xf0f0f0f, v97
	v_lshlrev_b32_e32 v81, 4, v76
	v_and_b32_e32 v77, 0xffff, v77
	v_lshrrev_b32_e32 v82, 16, v75
	v_add_nc_u16 v79, 0xe000, v79
	v_lshlrev_b32_e32 v78, 16, v78
	v_and_or_b32 v80, 0x30303030, v81, v80
	v_and_b32_e32 v75, 0x3f00, v75
	v_lshlrev_b16 v81, 8, v82
	v_lshrrev_b16 v79, 8, v79
	v_or_b32_e32 v77, v77, v78
	v_lshlrev_b16 v78, 8, v80
	v_lshrrev_b32_e32 v83, 4, v97
	v_add_nc_u16 v81, 0xe000, v81
	v_or_b32_e32 v75, v75, v79
	v_and_b32_e32 v79, 0x3f00, v82
	v_add_nc_u16 v78, 0xe000, v78
	v_and_b32_e32 v82, 0xf0f0f0f, v83
	v_lshrrev_b32_e32 v83, 16, v80
	v_lshrrev_b16 v81, 8, v81
	v_and_b32_e32 v80, 0x3f00, v80
	v_lshrrev_b16 v78, 8, v78
	v_and_or_b32 v76, 0x30303030, v76, v82
	v_lshlrev_b16 v82, 8, v83
	v_or_b32_e32 v79, v79, v81
	v_add_nc_u16 v75, 0xe000, v75
	v_or_b32_e32 v78, v80, v78
	v_lshlrev_b16 v80, 8, v76
	v_add_nc_u16 v81, 0xe000, v82
	v_and_b32_e32 v82, 0x3f00, v83
	v_and_b32_e32 v83, 0x3f00, v76
	v_lshrrev_b32_e32 v76, 16, v76
	v_add_nc_u16 v80, 0xe000, v80
	v_lshrrev_b16 v81, 8, v81
	v_add_nc_u16 v79, 0xe000, v79
	s_wait_loadcnt 0x4
	v_lshrrev_b32_e32 v84, 4, v92
	v_lshlrev_b16 v86, 8, v76
	v_lshrrev_b16 v80, 8, v80
	v_or_b32_e32 v81, v82, v81
	s_wait_loadcnt 0x3
	v_ashrrev_i32_e32 v82, v28, v95
	v_and_b32_e32 v84, 0xf0f0f0f, v84
	v_and_b32_e32 v76, 0x3f00, v76
	v_or_b32_e32 v80, v83, v80
	v_and_b32_e32 v83, 0xf0f0f0f, v92
	v_lshlrev_b32_e32 v85, 4, v82
	v_and_or_b32 v82, 0x30303030, v82, v84
	v_and_b32_e32 v75, 0xffff, v75
	v_add_nc_u16 v78, 0xe000, v78
	v_lshlrev_b32_e32 v79, 16, v79
	v_and_or_b32 v83, 0x30303030, v85, v83
	v_lshrrev_b32_e32 v87, 16, v82
	v_add_nc_u16 v85, 0xe000, v86
	v_lshlrev_b16 v89, 8, v82
	v_and_b32_e32 v82, 0x3f00, v82
	v_lshrrev_b32_e32 v84, 16, v83
	v_lshlrev_b16 v86, 8, v83
	v_lshlrev_b16 v90, 8, v87
	v_add_nc_u16 v89, 0xe000, v89
	v_lshrrev_b16 v85, 8, v85
	v_lshlrev_b16 v88, 8, v84
	v_add_nc_u16 v86, 0xe000, v86
	v_add_nc_u16 v90, 0xe000, v90
	v_and_b32_e32 v83, 0x3f00, v83
	v_and_b32_e32 v84, 0x3f00, v84
	v_add_nc_u16 v88, 0xe000, v88
	v_lshrrev_b16 v86, 8, v86
	v_lshrrev_b16 v89, 8, v89
	v_and_b32_e32 v87, 0x3f00, v87
	v_lshrrev_b16 v90, 8, v90
	v_lshrrev_b16 v88, 8, v88
	v_or_b32_e32 v76, v76, v85
	v_or_b32_e32 v83, v83, v86
	;; [unrolled: 1-line block ×5, first 2 shown]
	v_add_nc_u16 v81, 0xe000, v81
	v_add_nc_u16 v80, 0xe000, v80
	;; [unrolled: 1-line block ×7, first 2 shown]
	v_and_b32_e32 v78, 0xffff, v78
	v_lshlrev_b32_e32 v81, 16, v81
	v_and_b32_e32 v80, 0xffff, v80
	v_lshlrev_b32_e32 v76, 16, v76
	;; [unrolled: 2-line block ×4, first 2 shown]
	v_or_b32_e32 v75, v75, v79
	v_or_b32_e32 v78, v78, v81
	;; [unrolled: 1-line block ×5, first 2 shown]
	ds_store_2addr_b32 v14, v77, v75 offset1:16
	s_wait_loadcnt 0x2
	v_cvt_f32_f16_e32 v75, v101
	s_lshl_b32 s18, s16, 8
	ds_store_2addr_b32 v15, v78, v76 offset1:16
	s_wait_alu 0xfffe
	s_cmp_lt_i32 s18, s5
	ds_store_2addr_b32 v17, v79, v80 offset1:16
	ds_store_b32 v47, v75
	s_wait_loadcnt 0x1
	ds_store_b32 v70, v20
	s_wait_loadcnt 0x0
	ds_store_b32 v71, v21
	s_cbranch_scc0 .LBB196_4
; %bb.6:                                ;   in Loop: Header=BB196_5 Depth=1
	s_lshl_b32 s19, s16, 3
	s_wait_alu 0xfffe
	v_add_nc_u32_e32 v20, s19, v0
	s_delay_alu instid0(VALU_DEP_1)
	v_cmp_gt_i32_e32 vcc_lo, s8, v20
	s_and_b32 s21, s1, vcc_lo
	s_wait_alu 0xfffe
	s_and_saveexec_b32 s20, s21
	s_cbranch_execz .LBB196_8
; %bb.7:                                ;   in Loop: Header=BB196_5 Depth=1
	v_add_nc_u32_e32 v20, v66, v20
	s_delay_alu instid0(VALU_DEP_1)
	v_mad_co_i64_i32 v[20:21], null, v20, 36, v[18:19]
	global_load_b32 v20, v[20:21], off offset:4
	s_wait_loadcnt 0x0
	ds_store_b32 v55, v20
.LBB196_8:                              ;   in Loop: Header=BB196_5 Depth=1
	s_wait_alu 0xfffe
	s_or_b32 exec_lo, exec_lo, s20
	v_add_nc_u32_e32 v78, s19, v23
	s_delay_alu instid0(VALU_DEP_1)
	v_cmp_gt_i32_e32 vcc_lo, s8, v78
	s_and_b32 s21, s6, vcc_lo
	s_wait_alu 0xfffe
	s_and_saveexec_b32 s20, s21
	s_cbranch_execz .LBB196_10
; %bb.9:                                ;   in Loop: Header=BB196_5 Depth=1
	v_add_nc_u32_e32 v20, v66, v78
	s_delay_alu instid0(VALU_DEP_1)
	v_mad_co_i64_i32 v[20:21], null, v20, 36, s[2:3]
	global_load_b32 v20, v[20:21], off
	v_add_nc_u32_e32 v21, v54, v56
	s_wait_loadcnt 0x0
	v_cvt_f32_f16_e32 v20, v20
	ds_store_b32 v21, v20
.LBB196_10:                             ;   in Loop: Header=BB196_5 Depth=1
	s_wait_alu 0xfffe
	s_or_b32 exec_lo, exec_lo, s20
	s_wait_dscnt 0x0
	s_barrier_signal -1
	s_barrier_wait -1
	global_inv scope:SCOPE_SE
	ds_load_b32 v79, v58
	ds_load_b32 v80, v61 offset:128
	ds_load_b32 v81, v62 offset:256
	;; [unrolled: 1-line block ×3, first 2 shown]
	s_mov_b32 s21, 0
	s_mov_b32 s20, -1
.LBB196_11:                             ;   Parent Loop BB196_5 Depth=1
                                        ; =>  This Inner Loop Header: Depth=2
	s_wait_alu 0xfffe
	s_lshl_b32 s22, s21, 3
	v_lshlrev_b32_e32 v20, 2, v57
	s_wait_alu 0xfffe
	v_add_nc_u32_e32 v77, s22, v68
	v_lshl_or_b32 v83, s21, 1, v39
	s_lshr_b32 s21, s21, 1
	v_add_nc_u32_e32 v108, s22, v64
	s_wait_alu 0xfffe
	s_add_co_i32 s21, s21, 0x8200
	ds_load_b128 v[84:87], v77 offset:34
	ds_load_b64 v[92:93], v77 offset:50
	s_wait_alu 0xfffe
	v_add3_u32 v21, s21, v20, v72
	v_lshlrev_b32_e32 v121, 2, v83
	v_add_nc_u32_e32 v124, s22, v65
	v_add_nc_u32_e32 v125, s22, v67
	v_lshrrev_b32_e32 v83, 1, v83
	s_and_b32 vcc_lo, exec_lo, s20
	s_mov_b32 s20, 0
	s_wait_dscnt 0x1
	v_ashrrev_i32_e32 v109, 24, v87
	v_bfe_i32 v110, v87, 16, 8
	v_ashrrev_i32_e32 v111, 24, v85
	v_bfe_i32 v112, v85, 0, 8
	v_bfe_i32 v113, v86, 8, 8
	;; [unrolled: 1-line block ×5, first 2 shown]
	v_perm_b32 v117, v87, v84, 0xc0c0402
	v_perm_b32 v118, v86, v84, 0xc0c0600
	;; [unrolled: 1-line block ×4, first 2 shown]
	ds_load_2addr_b32 v[75:76], v108 offset0:12 offset1:13
	ds_load_b32 v122, v21
	ds_load_2addr_b32 v[94:95], v108 offset0:14 offset1:15
	ds_load_b128 v[84:87], v121 offset:35440
	ds_load_b128 v[88:91], v121 offset:35424
	s_wait_dscnt 0x1
	v_perm_b32 v21, v75, v86, 0x6040501
	v_perm_b32 v96, v84, v94, 0x6040501
	;; [unrolled: 1-line block ×3, first 2 shown]
	v_bfe_i32 v130, v85, 16, 8
	v_ashrrev_i32_e32 v134, 24, v85
	v_bfe_i32 v135, v84, 8, 8
	v_dot4_i32_iu8 v21, v96, v21, 0 neg_lo:[1,1,0]
	v_perm_b32 v96, v76, v84, 0x6040503
	v_perm_b32 v76, v94, v76, 0x7060403
	v_bfe_i32 v136, v84, 0, 8
	v_perm_b32 v137, v87, v84, 0xc0c0503
	v_perm_b32 v138, v87, v85, 0xc0c0701
	v_dot4_i32_iu8 v75, v96, v75, v21 neg_lo:[1,1,0]
	v_lshlrev_b32_e32 v21, 2, v59
	v_perm_b32 v139, v87, v85, 0xc0c0600
	v_perm_b32 v140, v87, v84, 0xc0c0402
	v_bfe_i32 v129, v86, 8, 8
	v_ashrrev_i32_e32 v131, 24, v86
	v_add3_u32 v96, s21, v21, v73
	v_bfe_i32 v132, v86, 16, 8
	v_bfe_i32 v133, v86, 0, 8
	s_wait_dscnt 0x0
	v_bfe_i32 v144, v90, 8, 8
	v_bfe_i32 v145, v89, 16, 8
	ds_load_b32 v123, v96
	ds_load_2addr_b32 v[96:97], v124 offset0:12 offset1:13
	ds_load_2addr_b32 v[98:99], v124 offset0:14 offset1:15
	;; [unrolled: 1-line block ×3, first 2 shown]
	v_ashrrev_i32_e32 v146, 24, v90
	v_bfe_i32 v147, v90, 16, 8
	v_bfe_i32 v148, v90, 0, 8
	v_ashrrev_i32_e32 v149, 24, v89
	v_bfe_i32 v150, v88, 8, 8
	v_bfe_i32 v151, v88, 0, 8
	v_perm_b32 v152, v91, v89, 0xc0c0600
	v_perm_b32 v153, v91, v88, 0xc0c0402
	;; [unrolled: 1-line block ×4, first 2 shown]
	s_wait_dscnt 0x2
	v_perm_b32 v102, v96, v86, 0x6040501
	s_wait_dscnt 0x1
	v_perm_b32 v103, v84, v98, 0x6040501
	v_perm_b32 v96, v85, v96, 0x6040503
	;; [unrolled: 1-line block ×3, first 2 shown]
	s_delay_alu instid0(VALU_DEP_3) | instskip(SKIP_2) | instid1(VALU_DEP_2)
	v_dot4_i32_iu8 v102, v103, v102, 0 neg_lo:[1,1,0]
	v_perm_b32 v103, v97, v84, 0x6040503
	v_perm_b32 v97, v86, v85, 0x7060403
	v_dot4_i32_iu8 v96, v103, v96, v102 neg_lo:[1,1,0]
	ds_load_2addr_b32 v[102:103], v125 offset0:12 offset1:13
	ds_load_2addr_b32 v[104:105], v125 offset0:14 offset1:15
	;; [unrolled: 1-line block ×3, first 2 shown]
	v_dot4_i32_iu8 v75, v97, v76, v75 neg_lo:[1,1,0]
	v_dot4_i32_iu8 v76, v97, v94, v96 neg_lo:[1,1,0]
	s_wait_dscnt 0x2
	v_perm_b32 v126, v102, v86, 0x6040501
	s_wait_dscnt 0x1
	v_perm_b32 v127, v84, v104, 0x6040501
	v_perm_b32 v102, v85, v102, 0x6040503
	s_delay_alu instid0(VALU_DEP_2) | instskip(SKIP_2) | instid1(VALU_DEP_2)
	v_dot4_i32_iu8 v126, v127, v126, 0 neg_lo:[1,1,0]
	v_perm_b32 v127, v103, v84, 0x6040503
	v_perm_b32 v103, v104, v103, 0x7060403
	v_dot4_i32_iu8 v102, v127, v102, v126 neg_lo:[1,1,0]
	v_dot4_i32_iu8 v126, v87, v95, v75 neg_lo:[1,1,0]
	;; [unrolled: 1-line block ×3, first 2 shown]
	v_perm_b32 v99, v88, v100, 0x6040501
	s_delay_alu instid0(VALU_DEP_4) | instskip(SKIP_2) | instid1(VALU_DEP_2)
	v_dot4_i32_iu8 v94, v97, v103, v102 neg_lo:[1,1,0]
	s_wait_dscnt 0x0
	v_perm_b32 v103, v88, v106, 0x6040501
	v_dot4_i32_iu8 v128, v87, v105, v94 neg_lo:[1,1,0]
	ds_load_2addr_b32 v[75:76], v108 offset0:8 offset1:9
	ds_load_2addr_b32 v[84:85], v108 offset0:10 offset1:11
	;; [unrolled: 1-line block ×3, first 2 shown]
	s_wait_dscnt 0x2
	v_perm_b32 v86, v75, v90, 0x6040501
	s_wait_dscnt 0x1
	v_perm_b32 v87, v88, v84, 0x6040501
	v_perm_b32 v75, v89, v75, 0x6040503
	s_delay_alu instid0(VALU_DEP_2) | instskip(SKIP_2) | instid1(VALU_DEP_2)
	v_dot4_i32_iu8 v86, v87, v86, 0 neg_lo:[1,1,0]
	v_perm_b32 v87, v76, v88, 0x6040503
	v_perm_b32 v76, v84, v76, 0x7060403
	v_dot4_i32_iu8 v75, v87, v75, v86 neg_lo:[1,1,0]
	ds_load_2addr_b32 v[86:87], v124 offset0:8 offset1:9
	ds_load_2addr_b32 v[96:97], v124 offset0:6 offset1:7
	s_wait_dscnt 0x1
	v_perm_b32 v98, v86, v90, 0x6040501
	v_perm_b32 v86, v89, v86, 0x6040503
	s_delay_alu instid0(VALU_DEP_2) | instskip(SKIP_2) | instid1(VALU_DEP_2)
	v_dot4_i32_iu8 v98, v99, v98, 0 neg_lo:[1,1,0]
	v_perm_b32 v99, v87, v88, 0x6040503
	v_perm_b32 v87, v100, v87, 0x7060403
	v_dot4_i32_iu8 v86, v99, v86, v98 neg_lo:[1,1,0]
	ds_load_2addr_b32 v[98:99], v125 offset0:8 offset1:9
	s_wait_dscnt 0x0
	v_perm_b32 v102, v98, v90, 0x6040501
	v_perm_b32 v98, v89, v98, 0x6040503
	;; [unrolled: 1-line block ×3, first 2 shown]
	s_delay_alu instid0(VALU_DEP_3) | instskip(SKIP_2) | instid1(VALU_DEP_2)
	v_dot4_i32_iu8 v102, v103, v102, 0 neg_lo:[1,1,0]
	v_perm_b32 v103, v99, v88, 0x6040503
	v_perm_b32 v99, v90, v89, 0x7060403
	v_dot4_i32_iu8 v98, v103, v98, v102 neg_lo:[1,1,0]
	s_delay_alu instid0(VALU_DEP_2) | instskip(SKIP_1) | instid1(VALU_DEP_3)
	v_dot4_i32_iu8 v75, v99, v76, v75 neg_lo:[1,1,0]
	v_dot4_i32_iu8 v76, v99, v87, v86 neg_lo:[1,1,0]
	;; [unrolled: 1-line block ×3, first 2 shown]
	s_delay_alu instid0(VALU_DEP_3) | instskip(NEXT) | instid1(VALU_DEP_3)
	v_dot4_i32_iu8 v141, v91, v85, v75 neg_lo:[1,1,0]
	v_dot4_i32_iu8 v142, v91, v101, v76 neg_lo:[1,1,0]
	ds_load_2addr_b32 v[75:76], v108 offset0:4 offset1:5
	v_dot4_i32_iu8 v143, v91, v107, v84 neg_lo:[1,1,0]
	ds_load_b128 v[84:87], v121 offset:35408
	ds_load_b128 v[88:91], v121 offset:35392
	s_wait_dscnt 0x2
	v_perm_b32 v98, v75, v94, 0x6050401
	s_wait_dscnt 0x1
	v_perm_b32 v121, v84, v86, 0x6050401
	v_perm_b32 v99, v76, v84, 0x6040503
	;; [unrolled: 1-line block ×4, first 2 shown]
	v_bfe_i32 v166, v84, 8, 8
	v_dot4_i32_iu8 v98, v98, v121, 0 neg_lo:[1,1,0]
	v_bfe_i32 v167, v84, 0, 8
	v_bfe_i32 v157, v87, 16, 8
	v_ashrrev_i32_e32 v158, 24, v87
	v_ashrrev_i32_e32 v159, 24, v85
	v_dot4_i32_iu8 v75, v75, v99, v98 neg_lo:[1,1,0]
	ds_load_2addr_b32 v[98:99], v124 offset0:4 offset1:5
	ds_load_2addr_b32 v[100:101], v124 offset0:2 offset1:3
	v_bfe_i32 v160, v85, 0, 8
	v_bfe_i32 v161, v85, 16, 8
	;; [unrolled: 1-line block ×4, first 2 shown]
	v_ashrrev_i32_e32 v164, 24, v86
	v_bfe_i32 v165, v86, 16, 8
	s_wait_dscnt 0x2
	v_bfe_i32 v169, v89, 0, 8
	v_bfe_i32 v170, v89, 16, 8
	v_ashrrev_i32_e32 v173, 24, v90
	v_bfe_i32 v174, v90, 16, 8
	v_bfe_i32 v175, v88, 8, 8
	v_bfe_i32 v176, v88, 0, 8
	v_bfe_i32 v171, v91, 8, 8
	v_bfe_i32 v172, v91, 0, 8
	s_wait_dscnt 0x1
	v_perm_b32 v102, v98, v96, 0x6050401
	v_perm_b32 v103, v99, v84, 0x6040503
	;; [unrolled: 1-line block ×5, first 2 shown]
	v_dot4_i32_iu8 v102, v102, v121, 0 neg_lo:[1,1,0]
	s_delay_alu instid0(VALU_DEP_2) | instskip(NEXT) | instid1(VALU_DEP_2)
	v_dot4_i32_iu8 v75, v99, v76, v75 neg_lo:[1,1,0]
	v_dot4_i32_iu8 v98, v98, v103, v102 neg_lo:[1,1,0]
	ds_load_2addr_b32 v[102:103], v125 offset0:6 offset1:7
	ds_load_2addr_b32 v[104:105], v125 offset0:4 offset1:5
	;; [unrolled: 1-line block ×3, first 2 shown]
	v_dot4_i32_iu8 v76, v99, v94, v98 neg_lo:[1,1,0]
	v_dot4_i32_iu8 v98, v95, v87, v75 neg_lo:[1,1,0]
	v_lshlrev_b32_e32 v75, 2, v0
	s_wait_dscnt 0x1
	v_perm_b32 v156, v104, v102, 0x6050401
	v_perm_b32 v104, v85, v104, 0x6040503
	;; [unrolled: 1-line block ×3, first 2 shown]
	s_delay_alu instid0(VALU_DEP_3) | instskip(SKIP_2) | instid1(VALU_DEP_2)
	v_dot4_i32_iu8 v121, v156, v121, 0 neg_lo:[1,1,0]
	v_perm_b32 v156, v105, v84, 0x6040503
	v_bfe_i32 v105, v84, 16, 8
	v_dot4_i32_iu8 v104, v104, v156, v121 neg_lo:[1,1,0]
	v_ashrrev_i32_e32 v121, 24, v84
	v_bfe_i32 v156, v86, 0, 8
	s_delay_alu instid0(VALU_DEP_3) | instskip(SKIP_3) | instid1(VALU_DEP_4)
	v_dot4_i32_iu8 v94, v99, v96, v104 neg_lo:[1,1,0]
	v_dot4_i32_iu8 v99, v97, v87, v76 neg_lo:[1,1,0]
	v_lshlrev_b32_e32 v76, 2, v51
	v_bfe_i32 v104, v86, 8, 8
	v_dot4_i32_iu8 v102, v103, v87, v94 neg_lo:[1,1,0]
	v_lshrrev_b16 v103, 8, v85
	s_delay_alu instid0(VALU_DEP_4)
	v_add3_u32 v84, s21, v75, v76
	ds_load_b32 v168, v84
	ds_load_2addr_b32 v[84:85], v108 offset0:2 offset1:3
	ds_load_2addr_b32 v[86:87], v108 offset1:1
	v_perm_b32 v108, v88, v90, 0x6050401
	v_bfe_i32 v103, v103, 0, 8
	s_wait_dscnt 0x0
	v_perm_b32 v94, v86, v84, 0x6050401
	v_perm_b32 v95, v87, v88, 0x6040503
	;; [unrolled: 1-line block ×4, first 2 shown]
	s_delay_alu instid0(VALU_DEP_4) | instskip(NEXT) | instid1(VALU_DEP_1)
	v_dot4_i32_iu8 v94, v94, v108, 0 neg_lo:[1,1,0]
	v_dot4_i32_iu8 v86, v86, v95, v94 neg_lo:[1,1,0]
	ds_load_2addr_b32 v[94:95], v124 offset1:1
	s_wait_dscnt 0x0
	v_perm_b32 v96, v94, v100, 0x6050401
	v_perm_b32 v97, v95, v88, 0x6040503
	;; [unrolled: 1-line block ×4, first 2 shown]
	v_bfe_i32 v100, v90, 8, 8
	v_dot4_i32_iu8 v96, v96, v108, 0 neg_lo:[1,1,0]
	s_delay_alu instid0(VALU_DEP_1)
	v_dot4_i32_iu8 v94, v94, v97, v96 neg_lo:[1,1,0]
	ds_load_2addr_b32 v[96:97], v125 offset1:1
	v_ashrrev_i32_e32 v125, 24, v89
	s_wait_dscnt 0x0
	v_perm_b32 v124, v96, v106, 0x6050401
	v_perm_b32 v95, v106, v97, 0x7060403
	;; [unrolled: 1-line block ×3, first 2 shown]
	v_ashrrev_i32_e32 v106, 24, v88
	s_delay_alu instid0(VALU_DEP_4) | instskip(SKIP_2) | instid1(VALU_DEP_2)
	v_dot4_i32_iu8 v108, v124, v108, 0 neg_lo:[1,1,0]
	v_perm_b32 v124, v97, v88, 0x6040503
	v_perm_b32 v97, v90, v89, 0x7060403
	v_dot4_i32_iu8 v96, v96, v124, v108 neg_lo:[1,1,0]
	s_delay_alu instid0(VALU_DEP_2)
	v_dot4_i32_iu8 v84, v97, v84, v86 neg_lo:[1,1,0]
	v_dot4_i32_iu8 v86, v97, v87, v94 neg_lo:[1,1,0]
	v_bfe_i32 v108, v91, 16, 8
	v_ashrrev_i32_e32 v124, 24, v91
	v_dot4_i32_iu8 v87, v97, v95, v96 neg_lo:[1,1,0]
	v_dot4_i32_iu8 v94, v85, v91, v84 neg_lo:[1,1,0]
	v_bfe_i32 v84, v93, 16, 8
	v_dot4_i32_iu8 v95, v101, v91, v86 neg_lo:[1,1,0]
	v_lshrrev_b16 v97, 8, v89
	v_dot4_i32_iu8 v96, v107, v91, v87 neg_lo:[1,1,0]
	v_bfe_i32 v101, v88, 16, 8
	v_mul_i32_i24_e32 v84, v84, v133
	ds_load_b32 v133, v77 offset:60
	ds_load_u16 v177, v77 offset:58
	v_bfe_i32 v107, v90, 0, 8
	v_bfe_i32 v97, v97, 0, 8
	s_wait_dscnt 0x1
	v_perm_b32 v85, v133, v92, 0xc0c0501
	s_delay_alu instid0(VALU_DEP_1) | instskip(SKIP_3) | instid1(VALU_DEP_2)
	v_dot4_i32_iu8 v137, v85, v137, v84 neg_lo:[1,1,0]
	s_wait_dscnt 0x0
	v_bfe_i32 v84, v177, 0, 8
	v_perm_b32 v85, v133, v92, 0xc0c0602
	v_mul_i32_i24_e32 v84, v84, v132
	s_delay_alu instid0(VALU_DEP_1) | instskip(SKIP_3) | instid1(VALU_DEP_3)
	v_dot4_i32_iu8 v132, v85, v139, v84 neg_lo:[1,1,0]
	v_bfe_i32 v84, v93, 8, 8
	v_perm_b32 v85, v133, v92, 0xc0c0400
	v_perm_b32 v92, v133, v92, 0xc0c0703
	v_mul_i32_i24_e32 v84, v84, v134
	s_delay_alu instid0(VALU_DEP_1) | instskip(SKIP_2) | instid1(VALU_DEP_1)
	v_dot4_i32_iu8 v134, v85, v140, v84 neg_lo:[1,1,0]
	v_mul_i32_i24_e32 v84, v110, v136
	v_ashrrev_i32_e32 v85, 24, v93
	v_mad_i32_i24 v110, v85, v129, v84
	v_mul_i32_i24_e32 v84, v114, v147
	s_delay_alu instid0(VALU_DEP_1) | instskip(SKIP_1) | instid1(VALU_DEP_1)
	v_dot4_i32_iu8 v114, v117, v152, v84 neg_lo:[1,1,0]
	v_mul_i32_i24_e32 v84, v116, v149
	v_dot4_i32_iu8 v116, v118, v153, v84 neg_lo:[1,1,0]
	v_mul_i32_i24_e32 v84, v113, v146
	s_delay_alu instid0(VALU_DEP_1) | instskip(SKIP_1) | instid1(VALU_DEP_1)
	v_dot4_i32_iu8 v113, v119, v154, v84 neg_lo:[1,1,0]
	v_mul_i32_i24_e32 v84, v115, v148
	v_dot4_i32_iu8 v115, v120, v155, v84 neg_lo:[1,1,0]
	ds_load_u16 v117, v77 offset:32
	ds_load_2addr_b32 v[84:85], v77 offset0:6 offset1:7
	s_wait_dscnt 0x1
	v_bfe_i32 v86, v117, 0, 8
	s_delay_alu instid0(VALU_DEP_1) | instskip(NEXT) | instid1(VALU_DEP_1)
	v_mul_i32_i24_e32 v86, v86, v151
	v_mad_i32_i24 v111, v111, v144, v86
	s_wait_dscnt 0x0
	v_bfe_i32 v86, v85, 0, 8
	s_delay_alu instid0(VALU_DEP_1) | instskip(SKIP_4) | instid1(VALU_DEP_1)
	v_mul_i32_i24_e32 v90, v86, v163
	ds_load_2addr_b32 v[86:87], v77 offset0:4 offset1:5
	ds_load_2addr_b32 v[88:89], v77 offset0:2 offset1:3
	s_wait_dscnt 0x1
	v_bfe_i32 v91, v87, 16, 8
	v_mad_i32_i24 v118, v91, v161, v90
	v_bfe_i32 v90, v84, 16, 8
	v_bfe_i32 v91, v87, 0, 8
	s_delay_alu instid0(VALU_DEP_2) | instskip(NEXT) | instid1(VALU_DEP_1)
	v_mul_i32_i24_e32 v90, v90, v165
	v_mad_i32_i24 v119, v91, v160, v90
	v_bfe_i32 v90, v85, 8, 8
	v_ashrrev_i32_e32 v91, 24, v87
	v_lshrrev_b16 v87, 8, v87
	s_delay_alu instid0(VALU_DEP_3) | instskip(NEXT) | instid1(VALU_DEP_2)
	v_mul_i32_i24_e32 v90, v90, v162
	v_bfe_i32 v87, v87, 0, 8
	s_delay_alu instid0(VALU_DEP_2) | instskip(SKIP_2) | instid1(VALU_DEP_4)
	v_mad_i32_i24 v120, v91, v159, v90
	v_bfe_i32 v90, v86, 8, 8
	v_bfe_i32 v91, v84, 8, 8
	v_mul_i32_i24_e32 v87, v87, v103
	v_ashrrev_i32_e32 v103, 24, v86
	s_delay_alu instid0(VALU_DEP_4) | instskip(NEXT) | instid1(VALU_DEP_2)
	v_mul_i32_i24_e32 v90, v90, v166
	v_mul_i32_i24_e32 v103, v103, v121
	s_delay_alu instid0(VALU_DEP_2) | instskip(SKIP_4) | instid1(VALU_DEP_4)
	v_mad_i32_i24 v104, v91, v104, v90
	v_bfe_i32 v90, v85, 16, 8
	v_bfe_i32 v91, v84, 0, 8
	v_ashrrev_i32_e32 v84, 24, v84
	v_ashrrev_i32_e32 v85, 24, v85
	v_mul_i32_i24_e32 v90, v90, v157
	s_delay_alu instid0(VALU_DEP_3) | instskip(NEXT) | instid1(VALU_DEP_3)
	v_mul_i32_i24_e32 v84, v84, v164
	v_mul_i32_i24_e32 v85, v85, v158
	s_delay_alu instid0(VALU_DEP_3)
	v_mad_i32_i24 v129, v91, v156, v90
	ds_load_2addr_b32 v[90:91], v77 offset1:1
	s_wait_dscnt 0x1
	v_bfe_i32 v77, v89, 0, 8
	v_add3_u32 v84, v87, v84, v120
	v_bfe_i32 v87, v86, 16, 8
	v_bfe_i32 v86, v86, 0, 8
	s_delay_alu instid0(VALU_DEP_4) | instskip(NEXT) | instid1(VALU_DEP_4)
	v_mul_i32_i24_e32 v136, v77, v172
	v_add3_u32 v84, v119, v118, v84
	s_delay_alu instid0(VALU_DEP_4) | instskip(NEXT) | instid1(VALU_DEP_4)
	v_mul_i32_i24_e32 v87, v87, v105
	v_mul_i32_i24_e32 v86, v86, v167
	v_lshlrev_b32_e32 v77, 2, v60
	s_delay_alu instid0(VALU_DEP_3) | instskip(NEXT) | instid1(VALU_DEP_3)
	v_add3_u32 v87, v87, v103, v129
	v_add3_u32 v84, v84, v86, v104
	v_add_nc_u32_e32 v103, v116, v114
	s_delay_alu instid0(VALU_DEP_4)
	v_add3_u32 v139, s21, v77, v74
	s_mov_b32 s21, 8
	s_wait_dscnt 0x0
	v_bfe_i32 v140, v91, 16, 8
	v_bfe_i32 v144, v91, 0, 8
	v_ashrrev_i32_e32 v146, 24, v91
	v_lshrrev_b16 v91, 8, v91
	v_bfe_i32 v86, v90, 0, 8
	v_mad_i32_i24 v136, v140, v170, v136
	v_bfe_i32 v140, v88, 16, 8
	ds_load_b32 v139, v139
	v_bfe_i32 v91, v91, 0, 8
	v_mul_i32_i24_e32 v86, v86, v176
	v_mul_i32_i24_e32 v140, v140, v174
	s_delay_alu instid0(VALU_DEP_3) | instskip(SKIP_1) | instid1(VALU_DEP_3)
	v_mul_i32_i24_e32 v91, v91, v97
	v_ashrrev_i32_e32 v97, 24, v90
	v_mad_i32_i24 v140, v144, v169, v140
	v_bfe_i32 v144, v89, 8, 8
	s_delay_alu instid0(VALU_DEP_3) | instskip(NEXT) | instid1(VALU_DEP_2)
	v_mul_i32_i24_e32 v97, v97, v106
	v_mul_i32_i24_e32 v144, v144, v171
	s_delay_alu instid0(VALU_DEP_1) | instskip(SKIP_2) | instid1(VALU_DEP_2)
	v_mad_i32_i24 v125, v146, v125, v144
	v_bfe_i32 v144, v90, 8, 8
	v_bfe_i32 v146, v88, 8, 8
	v_mul_i32_i24_e32 v144, v144, v175
	s_delay_alu instid0(VALU_DEP_1) | instskip(SKIP_1) | instid1(VALU_DEP_1)
	v_mad_i32_i24 v100, v146, v100, v144
	v_bfe_i32 v144, v89, 16, 8
	v_mul_i32_i24_e32 v108, v144, v108
	v_bfe_i32 v144, v88, 0, 8
	v_ashrrev_i32_e32 v88, 24, v88
	s_delay_alu instid0(VALU_DEP_2) | instskip(NEXT) | instid1(VALU_DEP_2)
	v_mad_i32_i24 v107, v144, v107, v108
	v_mul_i32_i24_e32 v88, v88, v173
	v_lshrrev_b16 v108, 8, v177
	s_delay_alu instid0(VALU_DEP_2) | instskip(SKIP_1) | instid1(VALU_DEP_3)
	v_add3_u32 v88, v91, v88, v125
	v_bfe_i32 v91, v90, 16, 8
	v_bfe_i32 v108, v108, 0, 8
	;; [unrolled: 1-line block ×3, first 2 shown]
	s_delay_alu instid0(VALU_DEP_4) | instskip(NEXT) | instid1(VALU_DEP_4)
	v_add3_u32 v88, v140, v136, v88
	v_mul_i32_i24_e32 v91, v91, v101
	s_delay_alu instid0(VALU_DEP_4) | instskip(SKIP_1) | instid1(VALU_DEP_4)
	v_mul_i32_i24_e32 v108, v108, v131
	v_add_nc_u32_e32 v101, v115, v113
	v_add3_u32 v86, v88, v86, v100
	s_delay_alu instid0(VALU_DEP_4) | instskip(SKIP_3) | instid1(VALU_DEP_3)
	v_add3_u32 v91, v91, v97, v107
	v_lshrrev_b16 v97, 8, v117
	v_dot4_i32_iu8 v92, v92, v138, v108 neg_lo:[1,1,0]
	v_bfe_i32 v88, v93, 0, 8
	v_bfe_i32 v97, v97, 0, 8
	s_delay_alu instid0(VALU_DEP_3) | instskip(NEXT) | instid1(VALU_DEP_3)
	v_add_nc_u32_e32 v92, v137, v92
	v_mul_i32_i24_e32 v88, v88, v130
	s_delay_alu instid0(VALU_DEP_3) | instskip(NEXT) | instid1(VALU_DEP_1)
	v_mul_i32_i24_e32 v97, v97, v150
	v_add3_u32 v97, v103, v101, v97
	v_mul_i32_i24_e32 v101, v109, v135
	v_add_nc_u32_e32 v103, v134, v132
	s_delay_alu instid0(VALU_DEP_1) | instskip(SKIP_1) | instid1(VALU_DEP_2)
	v_add3_u32 v92, v103, v92, v101
	v_mul_i32_i24_e32 v101, v112, v145
	v_add3_u32 v93, v92, v110, v88
	v_add3_u32 v92, v84, v87, v85
	v_ashrrev_i32_e32 v84, 24, v89
	v_bfe_i32 v85, v168, 16, 8
	v_ashrrev_i32_e32 v87, 24, v122
	v_ashrrev_i32_e32 v88, 24, v123
	v_bfe_i32 v89, v168, 0, 8
	v_mul_i32_i24_e32 v84, v84, v124
	v_mul_lo_u32 v85, v141, v85
	v_add3_u32 v97, v97, v111, v101
	s_delay_alu instid0(VALU_DEP_3)
	v_add3_u32 v100, v86, v91, v84
	v_ashrrev_i32_e32 v86, 24, v168
	v_bfe_i32 v91, v123, 0, 8
	ds_load_b64 v[83:84], v83 offset:36944
	v_mad_co_u64_u32 v[85:86], null, v126, v86, v[85:86]
	v_bfe_i32 v86, v122, 16, 8
	s_delay_alu instid0(VALU_DEP_1) | instskip(NEXT) | instid1(VALU_DEP_3)
	v_mul_lo_u32 v86, v142, v86
	v_cvt_f32_i32_e32 v85, v85
	s_delay_alu instid0(VALU_DEP_2) | instskip(SKIP_1) | instid1(VALU_DEP_1)
	v_mad_co_u64_u32 v[86:87], null, v127, v87, v[86:87]
	v_bfe_i32 v87, v123, 16, 8
	v_mul_lo_u32 v87, v143, v87
	s_delay_alu instid0(VALU_DEP_3) | instskip(NEXT) | instid1(VALU_DEP_2)
	v_cvt_f32_i32_e32 v86, v86
	v_mad_co_u64_u32 v[87:88], null, v128, v88, v[87:88]
	v_bfe_i32 v88, v168, 8, 8
	s_delay_alu instid0(VALU_DEP_1) | instskip(NEXT) | instid1(VALU_DEP_3)
	v_mul_lo_u32 v88, v98, v88
	v_cvt_f32_i32_e32 v87, v87
	s_delay_alu instid0(VALU_DEP_2) | instskip(SKIP_3) | instid1(VALU_DEP_2)
	v_mad_co_u64_u32 v[88:89], null, v94, v89, v[88:89]
	v_bfe_i32 v89, v122, 8, 8
	s_wait_dscnt 0x1
	v_ashrrev_i32_e32 v94, 24, v139
	v_mul_lo_u32 v89, v99, v89
	s_delay_alu instid0(VALU_DEP_4) | instskip(SKIP_1) | instid1(VALU_DEP_1)
	v_cvt_f32_i32_e32 v88, v88
	s_wait_dscnt 0x0
	v_fma_f32 v88, v83, v88, 0
	s_delay_alu instid0(VALU_DEP_3) | instskip(SKIP_1) | instid1(VALU_DEP_3)
	v_mad_co_u64_u32 v[89:90], null, v95, v90, v[89:90]
	v_bfe_i32 v90, v123, 8, 8
	v_fmac_f32_e32 v88, v84, v85
	s_delay_alu instid0(VALU_DEP_2) | instskip(NEXT) | instid1(VALU_DEP_4)
	v_mul_lo_u32 v90, v102, v90
	v_cvt_f32_i32_e32 v89, v89
	s_delay_alu instid0(VALU_DEP_3) | instskip(NEXT) | instid1(VALU_DEP_2)
	v_fmac_f32_e32 v24, v79, v88
	v_fma_f32 v89, v83, v89, 0
	s_delay_alu instid0(VALU_DEP_4) | instskip(SKIP_1) | instid1(VALU_DEP_3)
	v_mad_co_u64_u32 v[90:91], null, v96, v91, v[90:91]
	v_bfe_i32 v91, v139, 8, 8
	v_fmac_f32_e32 v89, v84, v86
	s_delay_alu instid0(VALU_DEP_2) | instskip(SKIP_2) | instid1(VALU_DEP_4)
	v_mul_lo_u32 v91, v92, v91
	v_bfe_i32 v92, v139, 0, 8
	v_cvt_f32_i32_e32 v90, v90
	v_fmac_f32_e32 v53, v80, v89
	s_delay_alu instid0(VALU_DEP_2) | instskip(NEXT) | instid1(VALU_DEP_4)
	v_fma_f32 v90, v83, v90, 0
	v_mad_co_u64_u32 v[91:92], null, v100, v92, v[91:92]
	v_bfe_i32 v92, v139, 16, 8
	s_delay_alu instid0(VALU_DEP_3) | instskip(NEXT) | instid1(VALU_DEP_2)
	v_fmac_f32_e32 v90, v84, v87
	v_mul_lo_u32 v92, v97, v92
	s_delay_alu instid0(VALU_DEP_4) | instskip(NEXT) | instid1(VALU_DEP_3)
	v_cvt_f32_i32_e32 v91, v91
	v_fmac_f32_e32 v49, v81, v90
	s_delay_alu instid0(VALU_DEP_2) | instskip(NEXT) | instid1(VALU_DEP_4)
	v_fma_f32 v83, v83, v91, 0
	v_mad_co_u64_u32 v[92:93], null, v93, v94, v[92:93]
	s_delay_alu instid0(VALU_DEP_1) | instskip(NEXT) | instid1(VALU_DEP_1)
	v_cvt_f32_i32_e32 v92, v92
	v_fmac_f32_e32 v83, v84, v92
	s_delay_alu instid0(VALU_DEP_1)
	v_fmac_f32_e32 v16, v82, v83
	s_wait_alu 0xfffe
	s_cbranch_vccnz .LBB196_11
; %bb.12:                               ;   in Loop: Header=BB196_5 Depth=1
	s_bitset1_b32 s18, 7
	s_wait_loadcnt 0x0
	s_wait_alu 0xfffe
	s_cmp_ge_i32 s18, s5
	s_barrier_signal -1
	s_barrier_wait -1
	global_inv scope:SCOPE_SE
	s_cbranch_scc1 .LBB196_4
; %bb.13:                               ;   in Loop: Header=BB196_5 Depth=1
	v_add_nc_u32_e32 v79, s19, v57
	s_delay_alu instid0(VALU_DEP_1)
	v_cmp_gt_i32_e32 vcc_lo, s8, v79
	s_and_b32 s19, s1, vcc_lo
	s_wait_alu 0xfffe
	s_and_saveexec_b32 s18, s19
	s_cbranch_execz .LBB196_15
; %bb.14:                               ;   in Loop: Header=BB196_5 Depth=1
	v_add_nc_u32_e32 v79, v66, v79
	s_delay_alu instid0(VALU_DEP_1)
	v_mad_co_i64_i32 v[79:80], null, v79, 36, v[18:19]
	global_load_b32 v79, v[79:80], off offset:4
	s_wait_loadcnt 0x0
	ds_store_b32 v55, v79
.LBB196_15:                             ;   in Loop: Header=BB196_5 Depth=1
	s_wait_alu 0xfffe
	s_or_b32 exec_lo, exec_lo, s18
	s_and_saveexec_b32 s18, s0
	s_cbranch_execz .LBB196_18
; %bb.16:                               ;   in Loop: Header=BB196_5 Depth=1
	v_or_b32_e32 v79, 4, v78
	s_delay_alu instid0(VALU_DEP_1)
	v_cmp_gt_i32_e32 vcc_lo, s8, v79
	s_and_b32 s19, s1, vcc_lo
	s_wait_alu 0xfffe
	s_and_b32 exec_lo, exec_lo, s19
	s_cbranch_execz .LBB196_18
; %bb.17:                               ;   in Loop: Header=BB196_5 Depth=1
	v_ashrrev_i32_e32 v79, 31, v78
	v_add_co_u32 v78, vcc_lo, v66, v78
	s_wait_alu 0xfffd
	s_delay_alu instid0(VALU_DEP_2) | instskip(NEXT) | instid1(VALU_DEP_2)
	v_add_co_ci_u32_e64 v80, null, v69, v79, vcc_lo
	v_mad_co_u64_u32 v[78:79], null, v78, 36, s[2:3]
	s_delay_alu instid0(VALU_DEP_1)
	v_mad_i32_i24 v79, v80, 36, v79
	global_load_b32 v78, v[78:79], off offset:144
	v_add_nc_u32_e32 v79, v54, v56
	s_wait_loadcnt 0x0
	v_cvt_f32_f16_e32 v78, v78
	ds_store_b32 v79, v78
.LBB196_18:                             ;   in Loop: Header=BB196_5 Depth=1
	s_wait_alu 0xfffe
	s_or_b32 exec_lo, exec_lo, s18
	s_wait_loadcnt_dscnt 0x0
	s_barrier_signal -1
	s_barrier_wait -1
	global_inv scope:SCOPE_SE
	ds_load_b32 v78, v58
	ds_load_b32 v79, v61 offset:128
	ds_load_b32 v80, v62 offset:256
	ds_load_b32 v81, v63 offset:384
	s_mov_b32 s18, 16
.LBB196_19:                             ;   Parent Loop BB196_5 Depth=1
                                        ; =>  This Inner Loop Header: Depth=2
	s_wait_alu 0xfffe
	s_lshl_b32 s19, s18, 3
	s_lshl_b32 s20, s18, 1
	s_wait_alu 0xfffe
	v_add_nc_u32_e32 v108, s19, v68
	s_lshr_b32 s21, s18, 1
	v_and_or_b32 v109, s20, 16, v39
	s_wait_alu 0xfffe
	s_add_co_i32 s20, s21, 0x8200
	v_add_nc_u32_e32 v110, s19, v64
	ds_load_b128 v[82:85], v108 offset:34
	ds_load_b64 v[90:91], v108 offset:50
	s_wait_alu 0xfffe
	v_add3_u32 v86, s20, v20, v72
	v_lshlrev_b32_e32 v111, 2, v109
	v_add_nc_u32_e32 v126, s19, v65
	v_add_nc_u32_e32 v127, s19, v67
	s_add_co_i32 s19, s18, 8
	s_cmp_lt_u32 s18, 24
	s_wait_alu 0xfffe
	s_mov_b32 s18, s19
	s_wait_dscnt 0x1
	v_ashrrev_i32_e32 v112, 24, v85
	v_bfe_i32 v113, v85, 16, 8
	v_ashrrev_i32_e32 v114, 24, v83
	v_bfe_i32 v115, v83, 0, 8
	v_bfe_i32 v116, v84, 8, 8
	;; [unrolled: 1-line block ×5, first 2 shown]
	v_perm_b32 v120, v85, v82, 0xc0c0402
	v_perm_b32 v121, v84, v82, 0xc0c0600
	;; [unrolled: 1-line block ×4, first 2 shown]
	ds_load_2addr_b32 v[92:93], v110 offset0:12 offset1:13
	ds_load_b32 v124, v86
	ds_load_2addr_b32 v[94:95], v110 offset0:14 offset1:15
	ds_load_b128 v[82:85], v111 offset:35440
	ds_load_b128 v[86:89], v111 offset:35424
	s_wait_dscnt 0x1
	v_perm_b32 v96, v92, v84, 0x6040501
	v_perm_b32 v97, v82, v94, 0x6040501
	;; [unrolled: 1-line block ×3, first 2 shown]
	v_bfe_i32 v131, v84, 8, 8
	v_bfe_i32 v132, v83, 16, 8
	v_ashrrev_i32_e32 v133, 24, v84
	v_dot4_i32_iu8 v96, v97, v96, 0 neg_lo:[1,1,0]
	v_perm_b32 v97, v93, v82, 0x6040503
	v_perm_b32 v93, v94, v93, 0x7060403
	v_bfe_i32 v134, v84, 16, 8
	v_bfe_i32 v135, v84, 0, 8
	v_ashrrev_i32_e32 v136, 24, v83
	v_dot4_i32_iu8 v92, v97, v92, v96 neg_lo:[1,1,0]
	v_add3_u32 v96, s20, v21, v73
	v_bfe_i32 v137, v82, 8, 8
	v_bfe_i32 v138, v82, 0, 8
	v_perm_b32 v139, v85, v83, 0xc0c0600
	v_perm_b32 v140, v85, v82, 0xc0c0402
	ds_load_b32 v125, v96
	ds_load_2addr_b32 v[96:97], v126 offset0:12 offset1:13
	ds_load_2addr_b32 v[98:99], v126 offset0:14 offset1:15
	;; [unrolled: 1-line block ×3, first 2 shown]
	v_perm_b32 v141, v85, v83, 0xc0c0701
	v_perm_b32 v142, v85, v82, 0xc0c0503
	s_wait_dscnt 0x4
	v_bfe_i32 v146, v88, 8, 8
	v_bfe_i32 v147, v87, 16, 8
	v_ashrrev_i32_e32 v148, 24, v88
	v_bfe_i32 v149, v88, 16, 8
	v_bfe_i32 v150, v88, 0, 8
	v_ashrrev_i32_e32 v151, 24, v87
	v_bfe_i32 v152, v86, 8, 8
	v_bfe_i32 v153, v86, 0, 8
	v_perm_b32 v154, v89, v87, 0xc0c0600
	v_perm_b32 v155, v89, v86, 0xc0c0402
	;; [unrolled: 1-line block ×4, first 2 shown]
	s_wait_dscnt 0x2
	v_perm_b32 v102, v96, v84, 0x6040501
	s_wait_dscnt 0x1
	v_perm_b32 v103, v82, v98, 0x6040501
	v_perm_b32 v96, v83, v96, 0x6040503
	;; [unrolled: 1-line block ×3, first 2 shown]
	s_delay_alu instid0(VALU_DEP_3) | instskip(SKIP_2) | instid1(VALU_DEP_2)
	v_dot4_i32_iu8 v102, v103, v102, 0 neg_lo:[1,1,0]
	v_perm_b32 v103, v97, v82, 0x6040503
	v_perm_b32 v97, v84, v83, 0x7060403
	v_dot4_i32_iu8 v96, v103, v96, v102 neg_lo:[1,1,0]
	ds_load_2addr_b32 v[102:103], v127 offset0:12 offset1:13
	ds_load_2addr_b32 v[104:105], v127 offset0:14 offset1:15
	;; [unrolled: 1-line block ×3, first 2 shown]
	v_dot4_i32_iu8 v92, v97, v93, v92 neg_lo:[1,1,0]
	v_dot4_i32_iu8 v93, v97, v94, v96 neg_lo:[1,1,0]
	s_wait_dscnt 0x2
	v_perm_b32 v128, v102, v84, 0x6040501
	s_wait_dscnt 0x1
	v_perm_b32 v129, v82, v104, 0x6040501
	v_perm_b32 v102, v83, v102, 0x6040503
	s_delay_alu instid0(VALU_DEP_2) | instskip(SKIP_2) | instid1(VALU_DEP_2)
	v_dot4_i32_iu8 v128, v129, v128, 0 neg_lo:[1,1,0]
	v_perm_b32 v129, v103, v82, 0x6040503
	v_perm_b32 v103, v104, v103, 0x7060403
	v_dot4_i32_iu8 v102, v129, v102, v128 neg_lo:[1,1,0]
	v_dot4_i32_iu8 v128, v85, v95, v92 neg_lo:[1,1,0]
	;; [unrolled: 1-line block ×3, first 2 shown]
	v_perm_b32 v99, v86, v100, 0x6040501
	s_delay_alu instid0(VALU_DEP_4) | instskip(SKIP_2) | instid1(VALU_DEP_2)
	v_dot4_i32_iu8 v94, v97, v103, v102 neg_lo:[1,1,0]
	s_wait_dscnt 0x0
	v_perm_b32 v103, v86, v106, 0x6040501
	v_dot4_i32_iu8 v130, v85, v105, v94 neg_lo:[1,1,0]
	ds_load_2addr_b32 v[82:83], v110 offset0:8 offset1:9
	ds_load_2addr_b32 v[84:85], v110 offset0:10 offset1:11
	;; [unrolled: 1-line block ×3, first 2 shown]
	s_wait_dscnt 0x2
	v_perm_b32 v94, v82, v88, 0x6040501
	s_wait_dscnt 0x1
	v_perm_b32 v95, v86, v84, 0x6040501
	v_perm_b32 v82, v87, v82, 0x6040503
	s_delay_alu instid0(VALU_DEP_2) | instskip(SKIP_2) | instid1(VALU_DEP_2)
	v_dot4_i32_iu8 v94, v95, v94, 0 neg_lo:[1,1,0]
	v_perm_b32 v95, v83, v86, 0x6040503
	v_perm_b32 v83, v84, v83, 0x7060403
	v_dot4_i32_iu8 v82, v95, v82, v94 neg_lo:[1,1,0]
	ds_load_2addr_b32 v[94:95], v126 offset0:8 offset1:9
	ds_load_2addr_b32 v[96:97], v126 offset0:6 offset1:7
	s_wait_dscnt 0x1
	v_perm_b32 v98, v94, v88, 0x6040501
	v_perm_b32 v94, v87, v94, 0x6040503
	s_delay_alu instid0(VALU_DEP_2) | instskip(SKIP_2) | instid1(VALU_DEP_2)
	v_dot4_i32_iu8 v98, v99, v98, 0 neg_lo:[1,1,0]
	v_perm_b32 v99, v95, v86, 0x6040503
	v_perm_b32 v95, v100, v95, 0x7060403
	v_dot4_i32_iu8 v94, v99, v94, v98 neg_lo:[1,1,0]
	ds_load_2addr_b32 v[98:99], v127 offset0:8 offset1:9
	s_wait_dscnt 0x0
	v_perm_b32 v102, v98, v88, 0x6040501
	v_perm_b32 v98, v87, v98, 0x6040503
	;; [unrolled: 1-line block ×3, first 2 shown]
	s_delay_alu instid0(VALU_DEP_3) | instskip(SKIP_2) | instid1(VALU_DEP_2)
	v_dot4_i32_iu8 v102, v103, v102, 0 neg_lo:[1,1,0]
	v_perm_b32 v103, v99, v86, 0x6040503
	v_perm_b32 v99, v88, v87, 0x7060403
	v_dot4_i32_iu8 v98, v103, v98, v102 neg_lo:[1,1,0]
	s_delay_alu instid0(VALU_DEP_2)
	v_dot4_i32_iu8 v82, v99, v83, v82 neg_lo:[1,1,0]
	v_dot4_i32_iu8 v83, v99, v95, v94 neg_lo:[1,1,0]
	ds_load_2addr_b32 v[94:95], v110 offset0:4 offset1:5
	v_dot4_i32_iu8 v84, v99, v84, v98 neg_lo:[1,1,0]
	v_dot4_i32_iu8 v143, v89, v85, v82 neg_lo:[1,1,0]
	;; [unrolled: 1-line block ×3, first 2 shown]
	s_delay_alu instid0(VALU_DEP_3)
	v_dot4_i32_iu8 v145, v89, v107, v84 neg_lo:[1,1,0]
	ds_load_b128 v[82:85], v111 offset:35408
	ds_load_b128 v[86:89], v111 offset:35392
	s_wait_dscnt 0x2
	v_perm_b32 v98, v94, v92, 0x6050401
	v_perm_b32 v92, v92, v95, 0x7060403
	s_wait_dscnt 0x1
	v_perm_b32 v111, v82, v84, 0x6050401
	v_perm_b32 v99, v95, v82, 0x6040503
	;; [unrolled: 1-line block ×3, first 2 shown]
	v_bfe_i32 v166, v82, 8, 8
	v_bfe_i32 v167, v82, 0, 8
	v_dot4_i32_iu8 v98, v98, v111, 0 neg_lo:[1,1,0]
	v_ashrrev_i32_e32 v159, 24, v83
	v_bfe_i32 v160, v83, 0, 8
	v_bfe_i32 v161, v83, 16, 8
	v_bfe_i32 v162, v85, 8, 8
	v_dot4_i32_iu8 v94, v94, v99, v98 neg_lo:[1,1,0]
	ds_load_2addr_b32 v[98:99], v126 offset0:4 offset1:5
	ds_load_2addr_b32 v[100:101], v126 offset0:2 offset1:3
	v_bfe_i32 v163, v85, 0, 8
	v_ashrrev_i32_e32 v164, 24, v84
	v_bfe_i32 v165, v84, 16, 8
	s_wait_dscnt 0x2
	v_bfe_i32 v169, v87, 0, 8
	v_bfe_i32 v170, v87, 16, 8
	v_ashrrev_i32_e32 v173, 24, v88
	v_bfe_i32 v174, v88, 16, 8
	v_bfe_i32 v175, v86, 8, 8
	;; [unrolled: 1-line block ×5, first 2 shown]
	s_wait_dscnt 0x1
	v_perm_b32 v102, v98, v96, 0x6050401
	v_perm_b32 v103, v99, v82, 0x6040503
	;; [unrolled: 1-line block ×5, first 2 shown]
	v_dot4_i32_iu8 v102, v102, v111, 0 neg_lo:[1,1,0]
	s_delay_alu instid0(VALU_DEP_2) | instskip(NEXT) | instid1(VALU_DEP_2)
	v_dot4_i32_iu8 v92, v99, v92, v94 neg_lo:[1,1,0]
	v_dot4_i32_iu8 v98, v98, v103, v102 neg_lo:[1,1,0]
	ds_load_2addr_b32 v[102:103], v127 offset0:6 offset1:7
	ds_load_2addr_b32 v[104:105], v127 offset0:4 offset1:5
	;; [unrolled: 1-line block ×3, first 2 shown]
	v_dot4_i32_iu8 v94, v99, v95, v98 neg_lo:[1,1,0]
	s_delay_alu instid0(VALU_DEP_1)
	v_dot4_i32_iu8 v97, v97, v85, v94 neg_lo:[1,1,0]
	s_wait_dscnt 0x1
	v_perm_b32 v158, v104, v102, 0x6050401
	v_perm_b32 v104, v83, v104, 0x6040503
	;; [unrolled: 1-line block ×3, first 2 shown]
	v_bfe_i32 v102, v84, 8, 8
	s_delay_alu instid0(VALU_DEP_4) | instskip(SKIP_2) | instid1(VALU_DEP_2)
	v_dot4_i32_iu8 v111, v158, v111, 0 neg_lo:[1,1,0]
	v_perm_b32 v158, v105, v82, 0x6040503
	v_bfe_i32 v105, v84, 0, 8
	v_dot4_i32_iu8 v104, v104, v158, v111 neg_lo:[1,1,0]
	v_bfe_i32 v111, v85, 16, 8
	v_ashrrev_i32_e32 v158, 24, v85
	s_delay_alu instid0(VALU_DEP_3) | instskip(SKIP_3) | instid1(VALU_DEP_4)
	v_dot4_i32_iu8 v95, v99, v96, v104 neg_lo:[1,1,0]
	v_ashrrev_i32_e32 v104, 24, v82
	v_dot4_i32_iu8 v96, v93, v85, v92 neg_lo:[1,1,0]
	v_lshrrev_b16 v99, 8, v83
	v_dot4_i32_iu8 v98, v103, v85, v95 neg_lo:[1,1,0]
	v_bfe_i32 v103, v82, 16, 8
	v_add3_u32 v82, s20, v75, v76
	ds_load_b32 v168, v82
	ds_load_2addr_b32 v[82:83], v110 offset0:2 offset1:3
	ds_load_2addr_b32 v[84:85], v110 offset1:1
	v_perm_b32 v110, v86, v88, 0x6050401
	v_bfe_i32 v99, v99, 0, 8
	s_wait_dscnt 0x0
	v_perm_b32 v92, v84, v82, 0x6050401
	v_perm_b32 v93, v85, v86, 0x6040503
	;; [unrolled: 1-line block ×4, first 2 shown]
	s_delay_alu instid0(VALU_DEP_4) | instskip(NEXT) | instid1(VALU_DEP_1)
	v_dot4_i32_iu8 v92, v92, v110, 0 neg_lo:[1,1,0]
	v_dot4_i32_iu8 v84, v84, v93, v92 neg_lo:[1,1,0]
	ds_load_2addr_b32 v[92:93], v126 offset1:1
	s_wait_dscnt 0x0
	v_perm_b32 v94, v92, v100, 0x6050401
	v_perm_b32 v95, v93, v86, 0x6040503
	;; [unrolled: 1-line block ×4, first 2 shown]
	v_bfe_i32 v100, v88, 8, 8
	v_dot4_i32_iu8 v94, v94, v110, 0 neg_lo:[1,1,0]
	s_delay_alu instid0(VALU_DEP_1)
	v_dot4_i32_iu8 v92, v92, v95, v94 neg_lo:[1,1,0]
	ds_load_2addr_b32 v[94:95], v127 offset1:1
	v_ashrrev_i32_e32 v127, 24, v87
	s_wait_dscnt 0x0
	v_perm_b32 v126, v94, v106, 0x6050401
	v_perm_b32 v93, v106, v95, 0x7060403
	v_perm_b32 v94, v87, v94, 0x6040503
	v_ashrrev_i32_e32 v106, 24, v86
	s_delay_alu instid0(VALU_DEP_4) | instskip(SKIP_2) | instid1(VALU_DEP_2)
	v_dot4_i32_iu8 v110, v126, v110, 0 neg_lo:[1,1,0]
	v_perm_b32 v126, v95, v86, 0x6040503
	v_perm_b32 v95, v88, v87, 0x7060403
	v_dot4_i32_iu8 v94, v94, v126, v110 neg_lo:[1,1,0]
	s_delay_alu instid0(VALU_DEP_2)
	v_dot4_i32_iu8 v82, v95, v82, v84 neg_lo:[1,1,0]
	v_dot4_i32_iu8 v84, v95, v85, v92 neg_lo:[1,1,0]
	v_bfe_i32 v110, v89, 16, 8
	v_ashrrev_i32_e32 v126, 24, v89
	v_dot4_i32_iu8 v85, v95, v93, v94 neg_lo:[1,1,0]
	v_dot4_i32_iu8 v92, v83, v89, v82 neg_lo:[1,1,0]
	ds_load_u16 v82, v108 offset:58
	ds_load_b32 v83, v108 offset:60
	v_dot4_i32_iu8 v93, v101, v89, v84 neg_lo:[1,1,0]
	v_lshrrev_b16 v95, 8, v87
	v_dot4_i32_iu8 v94, v107, v89, v85 neg_lo:[1,1,0]
	v_bfe_i32 v101, v86, 16, 8
	v_bfe_i32 v107, v88, 0, 8
	s_delay_alu instid0(VALU_DEP_4)
	v_bfe_i32 v95, v95, 0, 8
	s_wait_dscnt 0x1
	v_bfe_i32 v84, v82, 0, 8
	s_wait_dscnt 0x0
	v_perm_b32 v85, v83, v90, 0xc0c0602
	v_lshrrev_b16 v82, 8, v82
	s_delay_alu instid0(VALU_DEP_3) | instskip(NEXT) | instid1(VALU_DEP_2)
	v_mul_i32_i24_e32 v84, v84, v134
	v_bfe_i32 v82, v82, 0, 8
	s_delay_alu instid0(VALU_DEP_2) | instskip(SKIP_2) | instid1(VALU_DEP_4)
	v_dot4_i32_iu8 v134, v85, v139, v84 neg_lo:[1,1,0]
	v_bfe_i32 v84, v91, 8, 8
	v_perm_b32 v85, v83, v90, 0xc0c0400
	v_mul_i32_i24_e32 v82, v82, v133
	s_delay_alu instid0(VALU_DEP_3) | instskip(NEXT) | instid1(VALU_DEP_1)
	v_mul_i32_i24_e32 v84, v84, v136
	v_dot4_i32_iu8 v136, v85, v140, v84 neg_lo:[1,1,0]
	v_perm_b32 v84, v83, v90, 0xc0c0703
	v_perm_b32 v83, v83, v90, 0xc0c0501
	s_delay_alu instid0(VALU_DEP_2) | instskip(SKIP_1) | instid1(VALU_DEP_1)
	v_dot4_i32_iu8 v133, v84, v141, v82 neg_lo:[1,1,0]
	v_bfe_i32 v82, v91, 16, 8
	v_mul_i32_i24_e32 v82, v82, v135
	s_delay_alu instid0(VALU_DEP_1) | instskip(SKIP_3) | instid1(VALU_DEP_4)
	v_dot4_i32_iu8 v90, v83, v142, v82 neg_lo:[1,1,0]
	v_mul_i32_i24_e32 v82, v113, v138
	v_ashrrev_i32_e32 v83, 24, v91
	v_bfe_i32 v91, v91, 0, 8
	v_add_nc_u32_e32 v90, v90, v133
	s_delay_alu instid0(VALU_DEP_3) | instskip(SKIP_1) | instid1(VALU_DEP_4)
	v_mad_i32_i24 v113, v83, v131, v82
	v_mul_i32_i24_e32 v82, v117, v149
	v_mul_i32_i24_e32 v91, v91, v132
	s_delay_alu instid0(VALU_DEP_2) | instskip(SKIP_1) | instid1(VALU_DEP_1)
	v_dot4_i32_iu8 v117, v120, v154, v82 neg_lo:[1,1,0]
	v_mul_i32_i24_e32 v82, v119, v151
	v_dot4_i32_iu8 v119, v121, v155, v82 neg_lo:[1,1,0]
	v_mul_i32_i24_e32 v82, v116, v148
	s_delay_alu instid0(VALU_DEP_1) | instskip(SKIP_1) | instid1(VALU_DEP_1)
	v_dot4_i32_iu8 v116, v122, v156, v82 neg_lo:[1,1,0]
	v_mul_i32_i24_e32 v82, v118, v150
	v_dot4_i32_iu8 v118, v123, v157, v82 neg_lo:[1,1,0]
	ds_load_u16 v120, v108 offset:32
	ds_load_2addr_b32 v[82:83], v108 offset0:6 offset1:7
	s_wait_dscnt 0x1
	v_bfe_i32 v84, v120, 0, 8
	s_delay_alu instid0(VALU_DEP_1) | instskip(NEXT) | instid1(VALU_DEP_1)
	v_mul_i32_i24_e32 v84, v84, v153
	v_mad_i32_i24 v114, v114, v146, v84
	s_wait_dscnt 0x0
	v_bfe_i32 v84, v83, 0, 8
	s_delay_alu instid0(VALU_DEP_1) | instskip(SKIP_4) | instid1(VALU_DEP_1)
	v_mul_i32_i24_e32 v88, v84, v163
	ds_load_2addr_b32 v[84:85], v108 offset0:4 offset1:5
	ds_load_2addr_b32 v[86:87], v108 offset0:2 offset1:3
	s_wait_dscnt 0x1
	v_bfe_i32 v89, v85, 16, 8
	v_mad_i32_i24 v121, v89, v161, v88
	v_bfe_i32 v88, v82, 16, 8
	v_bfe_i32 v89, v85, 0, 8
	s_delay_alu instid0(VALU_DEP_2) | instskip(NEXT) | instid1(VALU_DEP_1)
	v_mul_i32_i24_e32 v88, v88, v165
	v_mad_i32_i24 v122, v89, v160, v88
	v_bfe_i32 v88, v83, 8, 8
	v_ashrrev_i32_e32 v89, 24, v85
	v_lshrrev_b16 v85, 8, v85
	s_delay_alu instid0(VALU_DEP_3) | instskip(NEXT) | instid1(VALU_DEP_2)
	v_mul_i32_i24_e32 v88, v88, v162
	v_bfe_i32 v85, v85, 0, 8
	s_delay_alu instid0(VALU_DEP_2) | instskip(SKIP_2) | instid1(VALU_DEP_4)
	v_mad_i32_i24 v123, v89, v159, v88
	v_bfe_i32 v88, v84, 8, 8
	v_bfe_i32 v89, v82, 8, 8
	v_mul_i32_i24_e32 v85, v85, v99
	v_ashrrev_i32_e32 v99, 24, v84
	s_delay_alu instid0(VALU_DEP_4) | instskip(NEXT) | instid1(VALU_DEP_2)
	v_mul_i32_i24_e32 v88, v88, v166
	v_mul_i32_i24_e32 v99, v99, v104
	s_delay_alu instid0(VALU_DEP_2) | instskip(SKIP_4) | instid1(VALU_DEP_4)
	v_mad_i32_i24 v102, v89, v102, v88
	v_bfe_i32 v88, v83, 16, 8
	v_bfe_i32 v89, v82, 0, 8
	v_ashrrev_i32_e32 v82, 24, v82
	v_ashrrev_i32_e32 v83, 24, v83
	v_mul_i32_i24_e32 v88, v88, v111
	v_add3_u32 v111, s20, v77, v74
	s_delay_alu instid0(VALU_DEP_4) | instskip(NEXT) | instid1(VALU_DEP_4)
	v_mul_i32_i24_e32 v82, v82, v164
	v_mul_i32_i24_e32 v83, v83, v158
	s_delay_alu instid0(VALU_DEP_4)
	v_mad_i32_i24 v105, v89, v105, v88
	ds_load_2addr_b32 v[88:89], v108 offset1:1
	s_wait_dscnt 0x1
	v_bfe_i32 v108, v87, 0, 8
	v_add3_u32 v82, v85, v82, v123
	v_bfe_i32 v85, v84, 16, 8
	v_bfe_i32 v84, v84, 0, 8
	ds_load_b32 v111, v111
	v_mul_i32_i24_e32 v108, v108, v172
	v_add3_u32 v82, v122, v121, v82
	v_mul_i32_i24_e32 v85, v85, v103
	v_mul_i32_i24_e32 v84, v84, v167
	s_delay_alu instid0(VALU_DEP_2) | instskip(SKIP_1) | instid1(VALU_DEP_3)
	v_add3_u32 v85, v85, v99, v105
	v_add_nc_u32_e32 v99, v136, v134
	v_add3_u32 v82, v82, v84, v102
	s_wait_dscnt 0x1
	v_bfe_i32 v131, v89, 16, 8
	v_bfe_i32 v135, v89, 0, 8
	v_ashrrev_i32_e32 v138, 24, v89
	v_lshrrev_b16 v89, 8, v89
	v_bfe_i32 v84, v88, 0, 8
	v_mad_i32_i24 v108, v131, v170, v108
	v_bfe_i32 v131, v86, 16, 8
	s_delay_alu instid0(VALU_DEP_4) | instskip(NEXT) | instid1(VALU_DEP_4)
	v_bfe_i32 v89, v89, 0, 8
	v_mul_i32_i24_e32 v84, v84, v176
	s_delay_alu instid0(VALU_DEP_3) | instskip(NEXT) | instid1(VALU_DEP_3)
	v_mul_i32_i24_e32 v131, v131, v174
	v_mul_i32_i24_e32 v89, v89, v95
	v_ashrrev_i32_e32 v95, 24, v88
	s_delay_alu instid0(VALU_DEP_3) | instskip(SKIP_1) | instid1(VALU_DEP_3)
	v_mad_i32_i24 v131, v135, v169, v131
	v_bfe_i32 v135, v87, 8, 8
	v_mul_i32_i24_e32 v95, v95, v106
	s_delay_alu instid0(VALU_DEP_2) | instskip(NEXT) | instid1(VALU_DEP_1)
	v_mul_i32_i24_e32 v135, v135, v171
	v_mad_i32_i24 v127, v138, v127, v135
	v_bfe_i32 v135, v88, 8, 8
	v_bfe_i32 v138, v86, 8, 8
	s_delay_alu instid0(VALU_DEP_2) | instskip(NEXT) | instid1(VALU_DEP_1)
	v_mul_i32_i24_e32 v135, v135, v175
	v_mad_i32_i24 v100, v138, v100, v135
	v_bfe_i32 v135, v87, 16, 8
	s_delay_alu instid0(VALU_DEP_1) | instskip(SKIP_2) | instid1(VALU_DEP_2)
	v_mul_i32_i24_e32 v110, v135, v110
	v_bfe_i32 v135, v86, 0, 8
	v_ashrrev_i32_e32 v86, 24, v86
	v_mad_i32_i24 v107, v135, v107, v110
	s_delay_alu instid0(VALU_DEP_2) | instskip(NEXT) | instid1(VALU_DEP_1)
	v_mul_i32_i24_e32 v86, v86, v173
	v_add3_u32 v86, v89, v86, v127
	v_bfe_i32 v89, v88, 16, 8
	v_bfe_i32 v88, v168, 0, 8
	s_delay_alu instid0(VALU_DEP_3) | instskip(NEXT) | instid1(VALU_DEP_3)
	v_add3_u32 v86, v131, v108, v86
	v_mul_i32_i24_e32 v89, v89, v101
	v_add_nc_u32_e32 v101, v119, v117
	s_delay_alu instid0(VALU_DEP_3) | instskip(NEXT) | instid1(VALU_DEP_3)
	v_add3_u32 v84, v86, v84, v100
	v_add3_u32 v89, v89, v95, v107
	v_mul_i32_i24_e32 v95, v112, v137
	v_ashrrev_i32_e32 v86, 24, v124
	s_delay_alu instid0(VALU_DEP_2) | instskip(SKIP_2) | instid1(VALU_DEP_2)
	v_add3_u32 v90, v99, v90, v95
	v_lshrrev_b16 v95, 8, v120
	v_add_nc_u32_e32 v99, v118, v116
	v_bfe_i32 v95, v95, 0, 8
	s_delay_alu instid0(VALU_DEP_1) | instskip(NEXT) | instid1(VALU_DEP_1)
	v_mul_i32_i24_e32 v95, v95, v152
	v_add3_u32 v95, v101, v99, v95
	v_add3_u32 v99, v90, v113, v91
	v_mul_i32_i24_e32 v90, v115, v147
	s_delay_alu instid0(VALU_DEP_1)
	v_add3_u32 v91, v95, v114, v90
	v_add3_u32 v95, v82, v85, v83
	v_ashrrev_i32_e32 v82, 24, v87
	v_ashrrev_i32_e32 v85, 24, v168
	;; [unrolled: 1-line block ×3, first 2 shown]
	v_bfe_i32 v90, v125, 0, 8
	s_delay_alu instid0(VALU_DEP_4) | instskip(NEXT) | instid1(VALU_DEP_1)
	v_mul_i32_i24_e32 v82, v82, v126
	v_add3_u32 v100, v84, v89, v82
	v_bfe_i32 v84, v168, 16, 8
	v_bfe_i32 v89, v124, 0, 8
	v_lshrrev_b32_e32 v82, 1, v109
	s_delay_alu instid0(VALU_DEP_3) | instskip(SKIP_3) | instid1(VALU_DEP_1)
	v_mul_lo_u32 v84, v143, v84
	ds_load_b64 v[82:83], v82 offset:36944
	v_mad_co_u64_u32 v[84:85], null, v128, v85, v[84:85]
	v_bfe_i32 v85, v124, 16, 8
	v_mul_lo_u32 v85, v144, v85
	s_delay_alu instid0(VALU_DEP_3) | instskip(NEXT) | instid1(VALU_DEP_2)
	v_cvt_f32_i32_e32 v84, v84
	v_mad_co_u64_u32 v[85:86], null, v129, v86, v[85:86]
	v_bfe_i32 v86, v125, 16, 8
	s_delay_alu instid0(VALU_DEP_1) | instskip(NEXT) | instid1(VALU_DEP_3)
	v_mul_lo_u32 v86, v145, v86
	v_cvt_f32_i32_e32 v85, v85
	s_delay_alu instid0(VALU_DEP_2) | instskip(SKIP_1) | instid1(VALU_DEP_1)
	v_mad_co_u64_u32 v[86:87], null, v130, v87, v[86:87]
	v_bfe_i32 v87, v168, 8, 8
	v_mul_lo_u32 v87, v96, v87
	s_wait_dscnt 0x1
	v_bfe_i32 v96, v111, 0, 8
	s_delay_alu instid0(VALU_DEP_4) | instskip(NEXT) | instid1(VALU_DEP_3)
	v_cvt_f32_i32_e32 v86, v86
	v_mad_co_u64_u32 v[87:88], null, v92, v88, v[87:88]
	v_bfe_i32 v88, v124, 8, 8
	v_bfe_i32 v92, v111, 8, 8
	s_delay_alu instid0(VALU_DEP_2) | instskip(NEXT) | instid1(VALU_DEP_4)
	v_mul_lo_u32 v88, v97, v88
	v_cvt_f32_i32_e32 v87, v87
	s_wait_dscnt 0x0
	s_delay_alu instid0(VALU_DEP_1) | instskip(NEXT) | instid1(VALU_DEP_3)
	v_fma_f32 v87, v82, v87, 0
	v_mad_co_u64_u32 v[88:89], null, v93, v89, v[88:89]
	v_bfe_i32 v89, v125, 8, 8
	v_bfe_i32 v93, v111, 16, 8
	s_delay_alu instid0(VALU_DEP_4) | instskip(NEXT) | instid1(VALU_DEP_3)
	v_fmac_f32_e32 v87, v83, v84
	v_mul_lo_u32 v89, v98, v89
	s_delay_alu instid0(VALU_DEP_3) | instskip(SKIP_1) | instid1(VALU_DEP_4)
	v_mul_lo_u32 v91, v91, v93
	v_cvt_f32_i32_e32 v88, v88
	v_fmac_f32_e32 v24, v78, v87
	s_delay_alu instid0(VALU_DEP_2) | instskip(SKIP_3) | instid1(VALU_DEP_4)
	v_fma_f32 v88, v82, v88, 0
	v_mad_co_u64_u32 v[89:90], null, v94, v90, v[89:90]
	v_mul_lo_u32 v90, v95, v92
	v_ashrrev_i32_e32 v94, 24, v111
	v_fmac_f32_e32 v88, v83, v85
	s_delay_alu instid0(VALU_DEP_4) | instskip(NEXT) | instid1(VALU_DEP_2)
	v_cvt_f32_i32_e32 v89, v89
	v_fmac_f32_e32 v53, v79, v88
	v_mad_co_u64_u32 v[92:93], null, v100, v96, v[90:91]
	s_delay_alu instid0(VALU_DEP_3) | instskip(NEXT) | instid1(VALU_DEP_2)
	v_fma_f32 v89, v82, v89, 0
	v_mad_co_u64_u32 v[90:91], null, v99, v94, v[91:92]
	v_cvt_f32_i32_e32 v91, v92
	s_delay_alu instid0(VALU_DEP_3) | instskip(NEXT) | instid1(VALU_DEP_2)
	v_fmac_f32_e32 v89, v83, v86
	v_fma_f32 v82, v82, v91, 0
	s_delay_alu instid0(VALU_DEP_4) | instskip(NEXT) | instid1(VALU_DEP_1)
	v_cvt_f32_i32_e32 v90, v90
	v_dual_fmac_f32 v49, v80, v89 :: v_dual_fmac_f32 v82, v83, v90
	s_delay_alu instid0(VALU_DEP_1)
	v_fmac_f32_e32 v16, v81, v82
	s_cbranch_scc1 .LBB196_19
; %bb.20:                               ;   in Loop: Header=BB196_5 Depth=1
	s_wait_loadcnt 0x0
	s_barrier_signal -1
	s_barrier_wait -1
	global_inv scope:SCOPE_SE
	s_branch .LBB196_4
.LBB196_21:
	s_mul_i32 s0, s10, s7
	s_wait_loadcnt 0x0
	s_wait_alu 0xfffe
	v_cmp_gt_i32_e32 vcc_lo, s0, v22
	s_and_saveexec_b32 s0, vcc_lo
	s_cbranch_execz .LBB196_30
; %bb.22:
	v_mul_lo_u32 v0, v22, s9
	v_add_nc_u32_e32 v1, s11, v23
	s_mov_b32 s0, exec_lo
	s_delay_alu instid0(VALU_DEP_1)
	v_cmpx_gt_u32_e64 s9, v1
	s_cbranch_execz .LBB196_24
; %bb.23:
	s_delay_alu instid0(VALU_DEP_3) | instskip(NEXT) | instid1(VALU_DEP_1)
	v_dual_mov_b32 v3, 0 :: v_dual_add_nc_u32 v2, v0, v1
	v_lshlrev_b64_e32 v[2:3], 2, v[2:3]
	s_delay_alu instid0(VALU_DEP_1) | instskip(SKIP_1) | instid1(VALU_DEP_2)
	v_add_co_u32 v2, vcc_lo, s12, v2
	s_wait_alu 0xfffd
	v_add_co_ci_u32_e64 v3, null, s13, v3, vcc_lo
	global_store_b32 v[2:3], v24, off
.LBB196_24:
	s_wait_alu 0xfffe
	s_or_b32 exec_lo, exec_lo, s0
	v_add_nc_u32_e32 v2, 32, v1
	s_mov_b32 s0, exec_lo
	s_delay_alu instid0(VALU_DEP_1)
	v_cmpx_gt_u32_e64 s9, v2
	s_cbranch_execz .LBB196_26
; %bb.25:
	v_dual_mov_b32 v3, 0 :: v_dual_add_nc_u32 v2, v0, v2
	s_delay_alu instid0(VALU_DEP_1) | instskip(NEXT) | instid1(VALU_DEP_1)
	v_lshlrev_b64_e32 v[2:3], 2, v[2:3]
	v_add_co_u32 v2, vcc_lo, s12, v2
	s_wait_alu 0xfffd
	s_delay_alu instid0(VALU_DEP_2)
	v_add_co_ci_u32_e64 v3, null, s13, v3, vcc_lo
	global_store_b32 v[2:3], v53, off
.LBB196_26:
	s_wait_alu 0xfffe
	s_or_b32 exec_lo, exec_lo, s0
	v_add_nc_u32_e32 v2, 64, v1
	s_mov_b32 s0, exec_lo
	s_delay_alu instid0(VALU_DEP_1)
	v_cmpx_gt_u32_e64 s9, v2
	s_cbranch_execz .LBB196_28
; %bb.27:
	v_dual_mov_b32 v3, 0 :: v_dual_add_nc_u32 v2, v0, v2
	s_delay_alu instid0(VALU_DEP_1) | instskip(NEXT) | instid1(VALU_DEP_1)
	v_lshlrev_b64_e32 v[2:3], 2, v[2:3]
	v_add_co_u32 v2, vcc_lo, s12, v2
	s_wait_alu 0xfffd
	s_delay_alu instid0(VALU_DEP_2)
	v_add_co_ci_u32_e64 v3, null, s13, v3, vcc_lo
	global_store_b32 v[2:3], v49, off
.LBB196_28:
	s_wait_alu 0xfffe
	s_or_b32 exec_lo, exec_lo, s0
	v_add_nc_u32_e32 v1, 0x60, v1
	s_delay_alu instid0(VALU_DEP_1)
	v_cmp_gt_u32_e32 vcc_lo, s9, v1
	s_and_b32 exec_lo, exec_lo, vcc_lo
	s_cbranch_execz .LBB196_30
; %bb.29:
	v_dual_mov_b32 v1, 0 :: v_dual_add_nc_u32 v0, v0, v1
	s_delay_alu instid0(VALU_DEP_1) | instskip(NEXT) | instid1(VALU_DEP_1)
	v_lshlrev_b64_e32 v[0:1], 2, v[0:1]
	v_add_co_u32 v0, vcc_lo, s12, v0
	s_wait_alu 0xfffd
	s_delay_alu instid0(VALU_DEP_2)
	v_add_co_ci_u32_e64 v1, null, s13, v1, vcc_lo
	global_store_b32 v[0:1], v16, off
.LBB196_30:
	s_nop 0
	s_sendmsg sendmsg(MSG_DEALLOC_VGPRS)
	s_endpgm
	.section	.rodata,"a",@progbits
	.p2align	6, 0x0
	.amdhsa_kernel _ZL8moe_q6_KIfLb1EEvPKvS1_PT_PKiS5_S5_iiiiiii
		.amdhsa_group_segment_fixed_size 37072
		.amdhsa_private_segment_fixed_size 0
		.amdhsa_kernarg_size 76
		.amdhsa_user_sgpr_count 2
		.amdhsa_user_sgpr_dispatch_ptr 0
		.amdhsa_user_sgpr_queue_ptr 0
		.amdhsa_user_sgpr_kernarg_segment_ptr 1
		.amdhsa_user_sgpr_dispatch_id 0
		.amdhsa_user_sgpr_private_segment_size 0
		.amdhsa_wavefront_size32 1
		.amdhsa_uses_dynamic_stack 0
		.amdhsa_enable_private_segment 0
		.amdhsa_system_sgpr_workgroup_id_x 1
		.amdhsa_system_sgpr_workgroup_id_y 1
		.amdhsa_system_sgpr_workgroup_id_z 0
		.amdhsa_system_sgpr_workgroup_info 0
		.amdhsa_system_vgpr_workitem_id 1
		.amdhsa_next_free_vgpr 217
		.amdhsa_next_free_sgpr 23
		.amdhsa_reserve_vcc 1
		.amdhsa_float_round_mode_32 0
		.amdhsa_float_round_mode_16_64 0
		.amdhsa_float_denorm_mode_32 3
		.amdhsa_float_denorm_mode_16_64 3
		.amdhsa_fp16_overflow 0
		.amdhsa_workgroup_processor_mode 1
		.amdhsa_memory_ordered 1
		.amdhsa_forward_progress 1
		.amdhsa_inst_pref_size 127
		.amdhsa_round_robin_scheduling 0
		.amdhsa_exception_fp_ieee_invalid_op 0
		.amdhsa_exception_fp_denorm_src 0
		.amdhsa_exception_fp_ieee_div_zero 0
		.amdhsa_exception_fp_ieee_overflow 0
		.amdhsa_exception_fp_ieee_underflow 0
		.amdhsa_exception_fp_ieee_inexact 0
		.amdhsa_exception_int_div_zero 0
	.end_amdhsa_kernel
	.section	.text._ZL8moe_q6_KIfLb1EEvPKvS1_PT_PKiS5_S5_iiiiiii,"axG",@progbits,_ZL8moe_q6_KIfLb1EEvPKvS1_PT_PKiS5_S5_iiiiiii,comdat
.Lfunc_end196:
	.size	_ZL8moe_q6_KIfLb1EEvPKvS1_PT_PKiS5_S5_iiiiiii, .Lfunc_end196-_ZL8moe_q6_KIfLb1EEvPKvS1_PT_PKiS5_S5_iiiiiii
                                        ; -- End function
	.set _ZL8moe_q6_KIfLb1EEvPKvS1_PT_PKiS5_S5_iiiiiii.num_vgpr, 178
	.set _ZL8moe_q6_KIfLb1EEvPKvS1_PT_PKiS5_S5_iiiiiii.num_agpr, 0
	.set _ZL8moe_q6_KIfLb1EEvPKvS1_PT_PKiS5_S5_iiiiiii.numbered_sgpr, 23
	.set _ZL8moe_q6_KIfLb1EEvPKvS1_PT_PKiS5_S5_iiiiiii.num_named_barrier, 0
	.set _ZL8moe_q6_KIfLb1EEvPKvS1_PT_PKiS5_S5_iiiiiii.private_seg_size, 0
	.set _ZL8moe_q6_KIfLb1EEvPKvS1_PT_PKiS5_S5_iiiiiii.uses_vcc, 1
	.set _ZL8moe_q6_KIfLb1EEvPKvS1_PT_PKiS5_S5_iiiiiii.uses_flat_scratch, 0
	.set _ZL8moe_q6_KIfLb1EEvPKvS1_PT_PKiS5_S5_iiiiiii.has_dyn_sized_stack, 0
	.set _ZL8moe_q6_KIfLb1EEvPKvS1_PT_PKiS5_S5_iiiiiii.has_recursion, 0
	.set _ZL8moe_q6_KIfLb1EEvPKvS1_PT_PKiS5_S5_iiiiiii.has_indirect_call, 0
	.section	.AMDGPU.csdata,"",@progbits
; Kernel info:
; codeLenInByte = 16236
; TotalNumSgprs: 25
; NumVgprs: 178
; ScratchSize: 0
; MemoryBound: 0
; FloatMode: 240
; IeeeMode: 1
; LDSByteSize: 37072 bytes/workgroup (compile time only)
; SGPRBlocks: 0
; VGPRBlocks: 27
; NumSGPRsForWavesPerEU: 25
; NumVGPRsForWavesPerEU: 217
; Occupancy: 6
; WaveLimiterHint : 1
; COMPUTE_PGM_RSRC2:SCRATCH_EN: 0
; COMPUTE_PGM_RSRC2:USER_SGPR: 2
; COMPUTE_PGM_RSRC2:TRAP_HANDLER: 0
; COMPUTE_PGM_RSRC2:TGID_X_EN: 1
; COMPUTE_PGM_RSRC2:TGID_Y_EN: 1
; COMPUTE_PGM_RSRC2:TGID_Z_EN: 0
; COMPUTE_PGM_RSRC2:TIDIG_COMP_CNT: 1
	.section	.text._ZL8moe_q4_0IN3c104HalfELb0EEvPKvS3_PT_PKiS7_S7_iiiiiii,"axG",@progbits,_ZL8moe_q4_0IN3c104HalfELb0EEvPKvS3_PT_PKiS7_S7_iiiiiii,comdat
	.globl	_ZL8moe_q4_0IN3c104HalfELb0EEvPKvS3_PT_PKiS7_S7_iiiiiii ; -- Begin function _ZL8moe_q4_0IN3c104HalfELb0EEvPKvS3_PT_PKiS7_S7_iiiiiii
	.p2align	8
	.type	_ZL8moe_q4_0IN3c104HalfELb0EEvPKvS3_PT_PKiS7_S7_iiiiiii,@function
_ZL8moe_q4_0IN3c104HalfELb0EEvPKvS3_PT_PKiS7_S7_iiiiiii: ; @_ZL8moe_q4_0IN3c104HalfELb0EEvPKvS3_PT_PKiS7_S7_iiiiiii
; %bb.0:
	s_load_b128 s[4:7], s[0:1], 0x18
	s_mov_b32 s2, ttmp7
	s_mov_b32 s3, 0
	s_delay_alu instid0(SALU_CYCLE_1)
	s_lshl_b64 s[2:3], s[2:3], 2
	s_wait_kmcnt 0x0
	s_add_nc_u64 s[2:3], s[6:7], s[2:3]
	s_load_b32 s12, s[2:3], 0x0
	s_wait_kmcnt 0x0
	s_cmp_gt_u32 s12, 0xff
	s_cbranch_scc1 .LBB197_30
; %bb.1:
	s_load_b64 s[2:3], s[0:1], 0x28
	s_wait_kmcnt 0x0
	s_load_b32 s3, s[2:3], 0x0
	s_lshl_b32 s2, ttmp7, 3
	s_wait_kmcnt 0x0
	s_cmp_gt_u32 s2, s3
	s_cbranch_scc1 .LBB197_30
; %bb.2:
	v_bfe_u32 v3, v0, 10, 10
	v_mov_b32_e32 v2, 0
	s_lshl_b32 s18, ttmp9, 7
	s_delay_alu instid0(VALU_DEP_2) | instskip(NEXT) | instid1(VALU_DEP_2)
	v_add_nc_u32_e32 v1, s2, v3
	v_dual_mov_b32 v47, v2 :: v_dual_and_b32 v16, 0x3ff, v0
	v_dual_mov_b32 v54, v2 :: v_dual_mov_b32 v17, v2
	s_delay_alu instid0(VALU_DEP_3) | instskip(NEXT) | instid1(VALU_DEP_1)
	v_lshlrev_b64_e32 v[4:5], 2, v[1:2]
	v_add_co_u32 v4, vcc_lo, s4, v4
	s_delay_alu instid0(VALU_DEP_1)
	v_add_co_ci_u32_e64 v5, null, s5, v5, vcc_lo
	global_load_b32 v15, v[4:5], off
	s_clause 0x2
	s_load_b64 s[10:11], s[0:1], 0x30
	s_load_b64 s[8:9], s[0:1], 0x10
	s_load_b128 s[4:7], s[0:1], 0x3c
	s_wait_kmcnt 0x0
	s_cmp_lt_i32 s11, 32
	s_cbranch_scc1 .LBB197_21
; %bb.3:
	s_abs_i32 s16, s7
	s_wait_loadcnt 0x0
	v_sub_nc_u32_e32 v2, 0, v15
	s_cvt_f32_u32 s17, s16
	s_sub_co_i32 s20, 0, s16
	v_bfe_u32 v21, v0, 3, 7
	s_ashr_i32 s2, s11, 31
	v_rcp_iflag_f32_e32 v6, s17
	v_max_i32_e32 v2, v15, v2
	s_wait_alu 0xfffe
	s_lshr_b32 s13, s2, 27
	v_lshl_add_u32 v4, v3, 2, v21
	s_add_co_i32 s14, s11, s13
	s_load_b128 s[0:3], s[0:1], 0x0
	s_ashr_i32 s19, s14, 5
	v_dual_mov_b32 v17, 0 :: v_dual_and_b32 v20, 7, v0
	v_mul_lo_u32 v43, s19, v4
	v_readfirstlane_b32 s17, v6
	v_and_b32_e32 v6, 0x1ffc, v4
	v_lshlrev_b32_e32 v7, 5, v4
	v_add_nc_u32_e32 v8, 32, v4
	v_add_nc_u32_e32 v9, 64, v4
	s_mul_f32 s17, s17, 0x4f7ffffe
	v_add_nc_u32_e32 v4, 0x60, v4
	v_xor_b32_e32 v47, s7, v15
	v_and_b32_e32 v11, 0x3ffc, v8
	s_wait_alu 0xfffe
	s_cvt_u32_f32 s17, s17
	v_and_b32_e32 v13, 0x3ffc, v9
	v_lshl_add_u32 v56, v3, 7, 0x5280
	v_ashrrev_i32_e32 v47, 31, v47
	s_wait_alu 0xfffe
	s_mul_i32 s20, s20, s17
	v_lshl_add_u32 v57, v3, 4, 0x5680
	s_mul_hi_u32 s20, s17, s20
	s_ashr_i32 s13, s5, 31
	s_add_co_i32 s17, s17, s20
	v_mul_lo_u32 v18, s19, v3
	s_wait_alu 0xfffe
	v_mul_hi_u32 v10, v2, s17
	s_mul_i32 s12, s12, s10
	s_lshr_b32 s15, s13, 27
	s_and_b32 s21, s14, 0xffffffe0
	s_mul_i32 s14, s19, s18
	s_ashr_i32 s13, s12, 31
	s_add_co_i32 s5, s5, s15
	s_ashr_i32 s15, s14, 31
	v_mul_lo_u32 v12, v10, s16
	s_lshl_b32 s10, s19, 3
	s_wait_alu 0xfffe
	s_ashr_i32 s5, s5, 5
	s_mul_u64 s[14:15], s[14:15], 18
	s_wait_kmcnt 0x0
	s_add_nc_u64 s[0:1], s[0:1], s[12:13]
	v_add_nc_u32_e32 v22, s10, v18
	s_add_nc_u64 s[12:13], s[0:1], s[14:15]
	v_bfe_u32 v19, v0, 2, 8
	v_sub_nc_u32_e32 v2, v2, v12
	v_add_nc_u32_e32 v12, 1, v10
	v_add_nc_u32_e32 v49, s21, v43
	v_lshlrev_b32_e32 v8, 5, v8
	v_lshlrev_b32_e32 v9, 5, v9
	v_subrev_nc_u32_e32 v14, s16, v2
	v_cmp_le_u32_e32 vcc_lo, s16, v2
	v_lshlrev_b32_e32 v1, 2, v16
	v_add_nc_u32_e32 v52, s21, v49
	v_mul_u32_u24_e32 v60, 0x84, v16
	v_mad_u32_u24 v68, 0x84, v16, 64
	s_wait_alu 0xfffd
	v_cndmask_b32_e32 v2, v2, v14, vcc_lo
	v_mad_u32_u24 v25, 0x84, v3, v1
	v_and_b32_e32 v24, 12, v1
	v_dual_cndmask_b32 v10, v10, v12 :: v_dual_and_b32 v3, 28, v1
	s_delay_alu instid0(VALU_DEP_4) | instskip(NEXT) | instid1(VALU_DEP_4)
	v_cmp_le_u32_e32 vcc_lo, s16, v2
	v_add_nc_u32_e32 v29, 0x14a0, v25
	v_and_b32_e32 v12, 0x3ffc, v4
	v_add_nc_u32_e32 v59, v57, v1
	v_add_nc_u32_e32 v14, 1, v10
	v_lshlrev_b32_e32 v5, 2, v20
	v_add_nc_u32_e32 v1, 32, v16
	v_lshlrev_b32_e32 v4, 5, v4
	v_add_nc_u32_e32 v30, 0x18c0, v25
	s_wait_alu 0xfffd
	v_cndmask_b32_e32 v2, v10, v14, vcc_lo
	v_add3_u32 v6, v6, v5, 0x4200
	v_add3_u32 v11, v11, v5, 0x4200
	;; [unrolled: 1-line block ×4, first 2 shown]
	v_and_b32_e32 v12, 31, v0
	v_xor_b32_e32 v2, v2, v47
	v_add_nc_u32_e32 v10, 64, v16
	v_and_b32_e32 v14, 0x1fc, v1
	v_cmp_gt_u32_e32 vcc_lo, 4, v16
	v_lshl_or_b32 v58, v12, 2, v56
	v_sub_nc_u32_e32 v2, v2, v47
	v_add_nc_u32_e32 v12, 0x60, v16
	v_and_b32_e32 v10, 0x1fc, v10
	v_and_b32_e32 v47, 0xfc, v0
	v_add_co_u32 v0, s1, s2, v3
	v_cmp_gt_i32_e64 s0, s4, v2
	s_wait_alu 0xfffe
	v_mul_lo_u32 v62, v2, s5
	v_lshlrev_b32_e32 v2, 5, v16
	v_and_b32_e32 v12, 0x1fc, v12
	v_dual_mov_b32 v54, 0 :: v_dual_add_nc_u32 v31, 0x1ce0, v25
	v_add_nc_u32_e32 v32, 0x2100, v25
	s_delay_alu instid0(VALU_DEP_4) | instskip(NEXT) | instid1(VALU_DEP_4)
	v_add_nc_u32_e32 v10, v2, v10
	v_add_nc_u32_e32 v3, v2, v12
	;; [unrolled: 1-line block ×3, first 2 shown]
	v_dual_mov_b32 v47, 0 :: v_dual_add_nc_u32 v2, v2, v47
	v_add_nc_u32_e32 v23, s10, v22
	v_add_nc_u32_e32 v34, 0x2520, v25
	;; [unrolled: 1-line block ×3, first 2 shown]
	s_delay_alu instid0(VALU_DEP_4)
	v_add_nc_u32_e32 v67, 0x4200, v2
	v_add_nc_u32_e32 v72, 0x4210, v2
	;; [unrolled: 1-line block ×3, first 2 shown]
	v_mov_b32_e32 v2, 0
	v_add_nc_u32_e32 v36, 0x2d60, v25
	v_add_nc_u32_e32 v38, 0x3180, v25
	;; [unrolled: 1-line block ×7, first 2 shown]
	v_lshrrev_b32_e32 v61, 3, v1
	v_add_nc_u32_e32 v28, s10, v27
	v_add_co_ci_u32_e64 v1, null, s3, 0, s1
	v_ashrrev_i32_e32 v63, 31, v62
	v_add_nc_u32_e32 v64, 0x4e00, v3
	s_delay_alu instid0(VALU_DEP_4)
	v_add_nc_u32_e32 v33, s10, v28
	v_add_nc_u32_e32 v65, 0x4a00, v10
	;; [unrolled: 1-line block ×12, first 2 shown]
	s_mov_b32 s15, 0
	s_delay_alu instid0(SALU_CYCLE_1) | instskip(NEXT) | instid1(VALU_DEP_2)
	s_mov_b32 s14, s15
	v_add_nc_u32_e32 v44, s10, v41
	s_delay_alu instid0(VALU_DEP_1) | instskip(NEXT) | instid1(VALU_DEP_1)
	v_add_nc_u32_e32 v45, s10, v44
	v_add_nc_u32_e32 v46, s10, v45
	s_delay_alu instid0(VALU_DEP_1) | instskip(NEXT) | instid1(VALU_DEP_1)
	v_add_nc_u32_e32 v48, s10, v46
	;; [unrolled: 3-line block ×3, first 2 shown]
	v_add_nc_u32_e32 v53, s10, v51
	s_and_b32 s10, vcc_lo, s0
	s_branch .LBB197_5
.LBB197_4:                              ;   in Loop: Header=BB197_5 Depth=1
	s_add_co_i32 s14, s14, 8
	s_wait_alu 0xfffe
	s_cmp_ge_i32 s14, s19
	s_cbranch_scc1 .LBB197_21
.LBB197_5:                              ; =>This Loop Header: Depth=1
                                        ;     Child Loop BB197_11 Depth 2
                                        ;     Child Loop BB197_19 Depth 2
	s_mul_u64 s[16:17], s[14:15], 18
	s_wait_alu 0xfffe
	s_add_nc_u64 s[16:17], s[12:13], s[16:17]
	s_wait_alu 0xfffe
	v_mad_co_u64_u32 v[3:4], null, v19, 18, s[16:17]
	s_delay_alu instid0(VALU_DEP_1) | instskip(SKIP_3) | instid1(VALU_DEP_4)
	v_mad_co_u64_u32 v[5:6], null, v18, 18, v[3:4]
	v_mad_co_u64_u32 v[7:8], null, v22, 18, v[3:4]
	;; [unrolled: 1-line block ×4, first 2 shown]
	v_add_co_u32 v5, s1, v5, v24
	v_mad_co_u64_u32 v[13:14], null, v27, 18, v[3:4]
	s_wait_alu 0xf1ff
	v_add_co_ci_u32_e64 v6, null, 0, v6, s1
	v_add_co_u32 v7, s1, v7, v24
	v_mad_co_u64_u32 v[77:78], null, v28, 18, v[3:4]
	s_wait_alu 0xf1ff
	v_add_co_ci_u32_e64 v8, null, 0, v8, s1
	v_add_co_u32 v9, s1, v9, v24
	v_mad_co_u64_u32 v[79:80], null, v33, 18, v[3:4]
	s_wait_alu 0xf1ff
	v_add_co_ci_u32_e64 v10, null, 0, v10, s1
	v_add_co_u32 v11, s1, v11, v24
	v_mad_co_u64_u32 v[81:82], null, v37, 18, v[3:4]
	s_wait_alu 0xf1ff
	v_add_co_ci_u32_e64 v12, null, 0, v12, s1
	v_add_co_u32 v13, s1, v13, v24
	s_wait_alu 0xf1ff
	v_add_co_ci_u32_e64 v14, null, 0, v14, s1
	v_add_co_u32 v77, s1, v77, v24
	s_wait_alu 0xf1ff
	v_add_co_ci_u32_e64 v78, null, 0, v78, s1
	;; [unrolled: 3-line block ×3, first 2 shown]
	v_add_co_u32 v81, s1, v81, v24
	v_mad_co_u64_u32 v[83:84], null, v41, 18, v[3:4]
	s_wait_alu 0xf1ff
	v_add_co_ci_u32_e64 v82, null, 0, v82, s1
	s_clause 0x7
	global_load_b32 v89, v[5:6], off offset:2
	global_load_b32 v90, v[7:8], off offset:2
	global_load_b32 v91, v[9:10], off offset:2
	global_load_b32 v92, v[11:12], off offset:2
	global_load_b32 v93, v[13:14], off offset:2
	global_load_b32 v94, v[77:78], off offset:2
	global_load_b32 v95, v[79:80], off offset:2
	global_load_b32 v96, v[81:82], off offset:2
	v_mad_co_u64_u32 v[5:6], null, v44, 18, v[3:4]
	v_mad_co_u64_u32 v[9:10], null, v45, 18, v[3:4]
	;; [unrolled: 1-line block ×4, first 2 shown]
	v_add_co_u32 v7, s1, v83, v24
	v_mad_co_u64_u32 v[13:14], null, v48, 18, v[3:4]
	s_wait_alu 0xf1ff
	v_add_co_ci_u32_e64 v8, null, 0, v84, s1
	v_add_co_u32 v5, s1, v5, v24
	v_mad_co_u64_u32 v[77:78], null, v50, 18, v[3:4]
	s_wait_alu 0xf1ff
	v_add_co_ci_u32_e64 v6, null, 0, v6, s1
	v_add_co_u32 v9, s1, v9, v24
	v_mad_co_u64_u32 v[81:82], null, v43, 18, v[79:80]
	v_mad_co_u64_u32 v[87:88], null, v51, 18, v[3:4]
	;; [unrolled: 1-line block ×3, first 2 shown]
	s_wait_alu 0xf1ff
	v_add_co_ci_u32_e64 v10, null, 0, v10, s1
	v_add_co_u32 v11, s1, v11, v24
	v_mad_co_u64_u32 v[85:86], null, v52, 18, v[79:80]
	v_mad_co_u64_u32 v[3:4], null, v53, 18, v[3:4]
	;; [unrolled: 1-line block ×3, first 2 shown]
	s_wait_alu 0xf1ff
	v_add_co_ci_u32_e64 v12, null, 0, v12, s1
	v_add_co_u32 v13, s1, v13, v24
	s_wait_alu 0xf1ff
	v_add_co_ci_u32_e64 v14, null, 0, v14, s1
	v_add_co_u32 v77, s1, v77, v24
	s_wait_alu 0xf1ff
	v_add_co_ci_u32_e64 v78, null, 0, v78, s1
	s_clause 0x3
	global_load_u16 v81, v[81:82], off
	global_load_u16 v82, v[83:84], off
	;; [unrolled: 1-line block ×4, first 2 shown]
	v_add_co_u32 v79, s1, v87, v24
	s_wait_alu 0xf1ff
	v_add_co_ci_u32_e64 v80, null, 0, v88, s1
	v_add_co_u32 v3, s1, v3, v24
	s_wait_alu 0xf1ff
	v_add_co_ci_u32_e64 v4, null, 0, v4, s1
	s_clause 0x7
	global_load_b32 v7, v[7:8], off offset:2
	global_load_b32 v5, v[5:6], off offset:2
	;; [unrolled: 1-line block ×8, first 2 shown]
	s_lshl_b32 s16, s14, 5
	v_add_nc_u32_e32 v4, 0x420, v25
	v_add_nc_u32_e32 v12, 0x840, v25
	;; [unrolled: 1-line block ×3, first 2 shown]
	s_wait_alu 0xfffe
	s_cmp_lt_i32 s16, s11
	v_add_nc_u32_e32 v14, 0x1080, v25
	s_wait_loadcnt 0xb
	v_cvt_f32_f16_e32 v77, v81
	s_wait_loadcnt 0xa
	v_cvt_f32_f16_e32 v78, v82
	;; [unrolled: 2-line block ×4, first 2 shown]
	ds_store_b32 v25, v89
	ds_store_b32 v4, v90
	;; [unrolled: 1-line block ×8, first 2 shown]
	s_wait_loadcnt 0x7
	ds_store_b32 v32, v7
	s_wait_loadcnt 0x6
	ds_store_b32 v34, v5
	;; [unrolled: 2-line block ×8, first 2 shown]
	ds_store_b32 v73, v77
	ds_store_b32 v74, v78
	;; [unrolled: 1-line block ×4, first 2 shown]
	s_cbranch_scc0 .LBB197_4
; %bb.6:                                ;   in Loop: Header=BB197_5 Depth=1
	v_add_nc_u32_e32 v3, s14, v21
	s_delay_alu instid0(VALU_DEP_1)
	v_cmp_gt_i32_e64 s1, s5, v3
	s_and_b32 s17, s0, s1
	s_wait_alu 0xfffe
	s_and_saveexec_b32 s1, s17
	s_cbranch_execz .LBB197_8
; %bb.7:                                ;   in Loop: Header=BB197_5 Depth=1
	v_add_nc_u32_e32 v3, v62, v3
	s_delay_alu instid0(VALU_DEP_1)
	v_mad_co_i64_i32 v[3:4], null, v3, 36, v[0:1]
	global_load_b32 v3, v[3:4], off offset:4
	s_wait_loadcnt 0x0
	ds_store_b32 v58, v3
.LBB197_8:                              ;   in Loop: Header=BB197_5 Depth=1
	s_wait_alu 0xfffe
	s_or_b32 exec_lo, exec_lo, s1
	v_add_nc_u32_e32 v77, s14, v16
	s_delay_alu instid0(VALU_DEP_1)
	v_cmp_gt_i32_e64 s1, s5, v77
	s_and_b32 s17, s10, s1
	s_wait_alu 0xfffe
	s_and_saveexec_b32 s1, s17
	s_cbranch_execz .LBB197_10
; %bb.9:                                ;   in Loop: Header=BB197_5 Depth=1
	v_add_nc_u32_e32 v3, v62, v77
	s_delay_alu instid0(VALU_DEP_1)
	v_mad_co_i64_i32 v[3:4], null, v3, 36, s[2:3]
	global_load_b32 v3, v[3:4], off
	s_wait_loadcnt 0x0
	ds_store_b32 v59, v3
.LBB197_10:                             ;   in Loop: Header=BB197_5 Depth=1
	s_wait_alu 0xfffe
	s_or_b32 exec_lo, exec_lo, s1
	v_dual_mov_b32 v78, v56 :: v_dual_mov_b32 v79, v57
	v_dual_mov_b32 v80, v67 :: v_dual_mov_b32 v81, v66
	v_dual_mov_b32 v82, v65 :: v_dual_mov_b32 v83, v64
	v_mov_b32_e32 v84, v60
	s_mov_b32 s1, -4
	s_wait_dscnt 0x0
	s_barrier_signal -1
	s_barrier_wait -1
	global_inv scope:SCOPE_SE
.LBB197_11:                             ;   Parent Loop BB197_5 Depth=1
                                        ; =>  This Inner Loop Header: Depth=2
	v_add_nc_u32_e32 v86, 0x1080, v84
	v_add_nc_u32_e32 v87, 0x1088, v84
	;; [unrolled: 1-line block ×5, first 2 shown]
	ds_load_2addr_b32 v[3:4], v78 offset0:4 offset1:7
	ds_load_2addr_b32 v[11:12], v84 offset1:1
	ds_load_2addr_b32 v[5:6], v78 offset1:3
	ds_load_2addr_b32 v[9:10], v78 offset0:1 offset1:2
	ds_load_2addr_b32 v[7:8], v78 offset0:5 offset1:6
	;; [unrolled: 1-line block ×3, first 2 shown]
	v_add_nc_u32_e32 v90, 0x3180, v84
	ds_load_b32 v85, v83
	ds_load_2addr_b32 v[91:92], v86 offset1:1
	ds_load_2addr_b32 v[86:87], v87 offset1:1
	;; [unrolled: 1-line block ×6, first 2 shown]
	v_add_nc_u32_e32 v84, 16, v84
	v_add_nc_u32_e32 v83, 4, v83
	;; [unrolled: 1-line block ×3, first 2 shown]
	s_wait_alu 0xfffe
	s_add_co_i32 s1, s1, 4
	s_wait_alu 0xfffe
	s_cmp_lt_u32 s1, 12
	s_wait_dscnt 0xc
	v_lshrrev_b16 v90, 8, v3
	v_ashrrev_i32_e32 v130, 24, v3
	v_bfe_i32 v131, v3, 16, 8
	v_bfe_i32 v3, v3, 0, 8
	s_wait_dscnt 0xb
	v_and_b32_e32 v100, 15, v11
	s_wait_dscnt 0xa
	v_lshrrev_b16 v127, 8, v5
	s_wait_dscnt 0x1
	v_bfe_u32 v200, v95, 4, 4
	v_ashrrev_i32_e32 v128, 24, v5
	v_bfe_i32 v129, v5, 16, 8
	v_bfe_i32 v5, v5, 0, 8
	v_and_b32_e32 v151, 15, v91
	v_and_b32_e32 v179, 15, v93
	v_mul_i32_i24_e32 v200, v200, v3
	v_and_b32_e32 v201, 15, v95
	v_mul_i32_i24_e32 v100, v5, v100
	v_mul_i32_i24_e32 v151, v5, v151
	v_bfe_u32 v102, v11, 16, 4
	v_bfe_u32 v153, v91, 16, 4
	v_mad_i32_i24 v200, v201, v5, v200
	v_mul_i32_i24_e32 v5, v5, v179
	v_bfe_u32 v179, v95, 20, 4
	v_bfe_u32 v181, v93, 16, 4
	;; [unrolled: 1-line block ×3, first 2 shown]
	v_mul_i32_i24_e32 v102, v129, v102
	v_mul_i32_i24_e32 v153, v129, v153
	;; [unrolled: 1-line block ×3, first 2 shown]
	v_bfe_u32 v101, v11, 8, 4
	v_bfe_u32 v103, v11, 24, 4
	;; [unrolled: 1-line block ×4, first 2 shown]
	v_mad_i32_i24 v179, v201, v129, v179
	v_mul_i32_i24_e32 v129, v129, v181
	v_lshrrev_b32_e32 v181, 28, v95
	v_bfe_u32 v180, v93, 8, 4
	v_bfe_u32 v182, v93, 24, 4
	v_bfe_i32 v127, v127, 0, 8
	v_bfe_u32 v201, v95, 24, 4
	v_mul_i32_i24_e32 v181, v181, v130
	v_bfe_u32 v104, v11, 4, 4
	v_bfe_u32 v105, v11, 12, 4
	;; [unrolled: 1-line block ×6, first 2 shown]
	v_mul_i32_i24_e32 v103, v128, v103
	v_mad_i32_i24 v100, v127, v101, v100
	v_mad_i32_i24 v151, v127, v152, v151
	v_mul_i32_i24_e32 v154, v128, v154
	v_mad_i32_i24 v181, v201, v128, v181
	v_mul_i32_i24_e32 v128, v128, v182
	v_mad_i32_i24 v5, v127, v180, v5
	v_bfe_i32 v90, v90, 0, 8
	v_bfe_u32 v99, v11, 20, 4
	v_lshrrev_b32_e32 v11, 28, v11
	v_bfe_u32 v150, v91, 20, 4
	v_lshrrev_b32_e32 v91, 28, v91
	;; [unrolled: 2-line block ×3, first 2 shown]
	v_add3_u32 v100, v100, v102, v103
	v_add3_u32 v151, v151, v153, v154
	v_mul_i32_i24_e32 v104, v3, v104
	v_add3_u32 v5, v5, v129, v128
	v_mul_i32_i24_e32 v105, v90, v105
	v_mul_i32_i24_e32 v155, v3, v155
	;; [unrolled: 1-line block ×5, first 2 shown]
	v_and_b32_e32 v107, 15, v12
	v_bfe_u32 v108, v12, 8, 4
	v_ashrrev_i32_e32 v132, 24, v9
	v_bfe_i32 v133, v9, 16, 8
	v_bfe_i32 v134, v9, 8, 8
	;; [unrolled: 1-line block ×3, first 2 shown]
	v_and_b32_e32 v158, 15, v92
	v_bfe_u32 v159, v92, 8, 4
	v_and_b32_e32 v186, 15, v94
	v_bfe_u32 v187, v94, 8, 4
	v_add3_u32 v100, v100, v105, v104
	v_mul_i32_i24_e32 v99, v131, v99
	v_mul_i32_i24_e32 v150, v131, v150
	;; [unrolled: 1-line block ×6, first 2 shown]
	v_add3_u32 v151, v151, v156, v155
	v_add3_u32 v3, v5, v184, v3
	v_bfe_u32 v109, v12, 16, 4
	v_bfe_u32 v110, v12, 24, 4
	;; [unrolled: 1-line block ×7, first 2 shown]
	v_mul_i32_i24_e32 v107, v9, v107
	v_mul_i32_i24_e32 v130, v9, v158
	;; [unrolled: 1-line block ×6, first 2 shown]
	v_add3_u32 v11, v100, v99, v11
	v_add3_u32 v91, v151, v150, v91
	;; [unrolled: 1-line block ×3, first 2 shown]
	v_bfe_u32 v111, v12, 4, 4
	v_bfe_u32 v112, v12, 12, 4
	v_ashrrev_i32_e32 v135, 24, v7
	v_bfe_i32 v136, v7, 16, 8
	v_bfe_i32 v137, v7, 8, 8
	;; [unrolled: 1-line block ×3, first 2 shown]
	v_bfe_u32 v162, v92, 4, 4
	v_bfe_u32 v163, v92, 12, 4
	;; [unrolled: 1-line block ×5, first 2 shown]
	v_mul_i32_i24_e32 v109, v133, v109
	v_mul_i32_i24_e32 v160, v133, v160
	;; [unrolled: 1-line block ×7, first 2 shown]
	v_add3_u32 v11, v11, v108, v107
	v_add3_u32 v91, v91, v159, v130
	;; [unrolled: 1-line block ×3, first 2 shown]
	v_bfe_u32 v106, v12, 20, 4
	v_lshrrev_b32_e32 v12, 28, v12
	v_bfe_u32 v157, v92, 20, 4
	v_lshrrev_b32_e32 v92, 28, v92
	;; [unrolled: 2-line block ×3, first 2 shown]
	v_and_b32_e32 v129, 0xf0f0f0f, v96
	v_lshrrev_b32_e32 v104, 4, v96
	v_lshrrev_b32_e32 v105, 28, v96
	v_and_b32_e32 v201, 15, v96
	v_bfe_u32 v202, v96, 20, 4
	v_bfe_u32 v96, v96, 4, 4
	v_mul_i32_i24_e32 v128, v132, v128
	v_mul_i32_i24_e32 v111, v7, v111
	;; [unrolled: 1-line block ×7, first 2 shown]
	v_add3_u32 v11, v11, v109, v110
	v_add3_u32 v91, v91, v160, v161
	;; [unrolled: 1-line block ×3, first 2 shown]
	v_and_b32_e32 v114, 15, v13
	v_bfe_u32 v115, v13, 8, 4
	v_ashrrev_i32_e32 v138, 24, v10
	v_bfe_i32 v139, v10, 16, 8
	v_bfe_i32 v140, v10, 8, 8
	;; [unrolled: 1-line block ×3, first 2 shown]
	v_and_b32_e32 v165, 15, v86
	v_bfe_u32 v166, v86, 8, 4
	v_and_b32_e32 v193, 15, v88
	v_bfe_u32 v194, v88, 8, 4
	v_and_b32_e32 v182, 0xf0f0f0f, v95
	v_lshrrev_b32_e32 v95, 4, v95
	v_mul_i32_i24_e32 v9, v9, v201
	v_mul_i32_i24_e32 v7, v7, v96
	;; [unrolled: 1-line block ×8, first 2 shown]
	v_add3_u32 v11, v11, v111, v112
	v_add3_u32 v91, v91, v132, v163
	;; [unrolled: 1-line block ×3, first 2 shown]
	v_bfe_u32 v116, v13, 16, 4
	v_bfe_u32 v117, v13, 24, 4
	v_bfe_u32 v167, v86, 16, 4
	v_bfe_u32 v168, v86, 24, 4
	v_bfe_u32 v195, v88, 16, 4
	v_bfe_u32 v196, v88, 24, 4
	v_mul_i32_i24_e32 v105, v135, v105
	v_mul_i32_i24_e32 v114, v10, v114
	;; [unrolled: 1-line block ×5, first 2 shown]
	v_lshrrev_b16 v95, 8, v95
	v_mul_i32_i24_e32 v166, v140, v166
	v_mul_i32_i24_e32 v194, v140, v194
	v_add3_u32 v7, v200, v9, v7
	v_add3_u32 v9, v11, v96, v12
	v_add3_u32 v11, v91, v106, v92
	v_add3_u32 v3, v3, v157, v94
	v_bfe_u32 v118, v13, 4, 4
	v_bfe_u32 v119, v13, 12, 4
	v_ashrrev_i32_e32 v141, 24, v8
	v_bfe_i32 v142, v8, 16, 8
	v_bfe_i32 v143, v8, 8, 8
	;; [unrolled: 1-line block ×3, first 2 shown]
	v_bfe_u32 v169, v86, 4, 4
	v_bfe_u32 v170, v86, 12, 4
	;; [unrolled: 1-line block ×4, first 2 shown]
	s_wait_dscnt 0x0
	v_bfe_u32 v203, v97, 24, 4
	v_and_b32_e32 v204, 0xf0f0f0f, v97
	v_lshrrev_b32_e32 v205, 4, v97
	v_lshrrev_b32_e32 v206, 28, v97
	v_bfe_u32 v207, v97, 16, 4
	v_and_b32_e32 v208, 15, v97
	v_bfe_u32 v209, v97, 20, 4
	v_bfe_u32 v97, v97, 4, 4
	v_mul_i32_i24_e32 v116, v139, v116
	v_mul_i32_i24_e32 v167, v139, v167
	;; [unrolled: 1-line block ×6, first 2 shown]
	v_lshrrev_b16 v182, 8, v182
	v_lshrrev_b16 v129, 8, v129
	;; [unrolled: 1-line block ×3, first 2 shown]
	v_and_b32_e32 v95, 15, v95
	v_add3_u32 v9, v9, v115, v114
	v_add3_u32 v11, v11, v166, v135
	;; [unrolled: 1-line block ×3, first 2 shown]
	v_bfe_u32 v113, v13, 20, 4
	v_lshrrev_b32_e32 v13, 28, v13
	v_bfe_i32 v148, v4, 16, 8
	v_bfe_u32 v164, v86, 20, 4
	v_lshrrev_b32_e32 v86, 28, v86
	v_bfe_u32 v192, v88, 20, 4
	v_lshrrev_b32_e32 v88, 28, v88
	v_bfe_u32 v199, v89, 20, 4
	v_and_b32_e32 v211, 0xf0f0f0f, v98
	v_lshrrev_b32_e32 v212, 4, v98
	v_mul_i32_i24_e32 v10, v10, v208
	v_mul_i32_i24_e32 v118, v8, v118
	v_mul_i32_i24_e32 v169, v8, v169
	v_mul_i32_i24_e32 v186, v8, v197
	v_mul_i32_i24_e32 v8, v8, v97
	v_mul_i32_i24_e32 v119, v143, v119
	v_lshrrev_b16 v195, 8, v204
	v_lshrrev_b16 v196, 8, v205
	v_mul_i32_i24_e32 v170, v143, v170
	v_mul_i32_i24_e32 v197, v143, v198
	v_and_b32_e32 v182, 0xffff, v182
	v_and_b32_e32 v104, 15, v104
	;; [unrolled: 1-line block ×4, first 2 shown]
	v_add3_u32 v9, v9, v116, v117
	v_add3_u32 v11, v11, v167, v168
	;; [unrolled: 1-line block ×3, first 2 shown]
	v_and_b32_e32 v121, 15, v14
	v_bfe_u32 v122, v14, 8, 4
	v_ashrrev_i32_e32 v144, 24, v6
	v_bfe_i32 v145, v6, 16, 8
	v_bfe_i32 v146, v6, 8, 8
	;; [unrolled: 1-line block ×3, first 2 shown]
	v_and_b32_e32 v172, 15, v87
	v_bfe_u32 v173, v87, 8, 4
	v_and_b32_e32 v101, 15, v89
	v_bfe_u32 v102, v89, 8, 4
	v_mul_i32_i24_e32 v97, v142, v113
	v_mul_i32_i24_e32 v113, v142, v164
	;; [unrolled: 1-line block ×6, first 2 shown]
	ds_load_b32 v188, v79
	ds_load_b32 v189, v80
	;; [unrolled: 1-line block ×3, first 2 shown]
	v_mul_i32_i24_e32 v190, v148, v199
	v_lshrrev_b16 v198, 8, v211
	v_lshrrev_b16 v199, 8, v212
	v_and_b32_e32 v196, 15, v196
	v_and_b32_e32 v195, 0xffff, v195
	v_mul_i32_i24_e32 v127, v182, v127
	v_mul_i32_i24_e32 v95, v134, v129
	v_and_b32_e32 v93, 0xffff, v104
	v_mul_i32_i24_e32 v5, v5, v90
	v_add3_u32 v7, v7, v10, v8
	v_add3_u32 v8, v9, v118, v119
	;; [unrolled: 1-line block ×4, first 2 shown]
	v_bfe_u32 v120, v14, 20, 4
	v_bfe_u32 v123, v14, 16, 4
	;; [unrolled: 1-line block ×5, first 2 shown]
	v_lshrrev_b32_e32 v14, 28, v14
	v_ashrrev_i32_e32 v147, 24, v4
	v_bfe_u32 v171, v87, 20, 4
	v_bfe_u32 v174, v87, 16, 4
	;; [unrolled: 1-line block ×5, first 2 shown]
	v_lshrrev_b32_e32 v87, 28, v87
	v_bfe_u32 v103, v89, 16, 4
	v_bfe_u32 v152, v89, 24, 4
	;; [unrolled: 1-line block ×4, first 2 shown]
	v_lshrrev_b32_e32 v89, 28, v89
	v_bfe_u32 v210, v98, 24, 4
	v_lshrrev_b32_e32 v213, 28, v98
	v_mul_i32_i24_e32 v136, v136, v202
	v_mul_i32_i24_e32 v138, v138, v203
	;; [unrolled: 1-line block ×9, first 2 shown]
	v_and_b32_e32 v199, 15, v199
	v_and_b32_e32 v198, 0xffff, v198
	v_mul_i32_i24_e32 v99, v140, v195
	v_and_b32_e32 v100, 0xffff, v196
	v_add3_u32 v105, v181, v128, v105
	v_mul_i32_i24_e32 v12, v137, v93
	v_add3_u32 v5, v127, v5, v95
	v_add3_u32 v8, v8, v97, v13
	;; [unrolled: 1-line block ×4, first 2 shown]
	v_bfe_i32 v149, v4, 8, 8
	v_bfe_i32 v4, v4, 0, 8
	v_bfe_u32 v214, v98, 16, 4
	v_and_b32_e32 v215, 15, v98
	v_bfe_u32 v216, v98, 20, 4
	v_bfe_u32 v98, v98, 4, 4
	v_mul_i32_i24_e32 v139, v139, v207
	v_mul_i32_i24_e32 v142, v142, v209
	;; [unrolled: 1-line block ×14, first 2 shown]
	v_and_b32_e32 v107, 0xffff, v199
	v_add3_u32 v108, v179, v133, v136
	v_mul_i32_i24_e32 v90, v143, v100
	v_add3_u32 v92, v105, v138, v141
	v_add3_u32 v5, v5, v12, v99
	;; [unrolled: 1-line block ×5, first 2 shown]
	v_mul_i32_i24_e32 v6, v6, v215
	v_mul_i32_i24_e32 v145, v145, v214
	;; [unrolled: 1-line block ×13, first 2 shown]
	v_add3_u32 v10, v108, v139, v142
	v_add3_u32 v11, v92, v144, v147
	;; [unrolled: 1-line block ×6, first 2 shown]
	ds_load_b32 v98, v81
	s_wait_dscnt 0x3
	v_lshrrev_b32_e32 v193, 16, v188
	v_add3_u32 v10, v10, v145, v148
	v_add3_u32 v4, v7, v6, v4
	;; [unrolled: 1-line block ×6, first 2 shown]
	v_cvt_f32_f16_e64 v8, v193
	v_add3_u32 v4, v4, v10, v5
	v_add3_u32 v5, v6, v120, v14
	;; [unrolled: 1-line block ×4, first 2 shown]
	v_mul_f32_e32 v7, 0xc1000000, v8
	v_cvt_f32_i32_e32 v4, v4
	v_cvt_f32_i32_e32 v5, v5
	;; [unrolled: 1-line block ×4, first 2 shown]
	v_add_nc_u32_e32 v82, 4, v82
	v_fma_mix_f32 v4, v188, v4, v7 op_sel_hi:[1,0,0]
	v_fma_mix_f32 v5, v188, v5, v7 op_sel_hi:[1,0,0]
	;; [unrolled: 1-line block ×4, first 2 shown]
	v_add_nc_u32_e32 v81, 4, v81
	v_add_nc_u32_e32 v80, 4, v80
	v_dual_fmac_f32 v2, v85, v4 :: v_dual_add_nc_u32 v79, 4, v79
	s_wait_dscnt 0x0
	v_dual_fmac_f32 v17, v189, v5 :: v_dual_fmac_f32 v54, v98, v6
	v_fmac_f32_e32 v47, v192, v3
	s_cbranch_scc1 .LBB197_11
; %bb.12:                               ;   in Loop: Header=BB197_5 Depth=1
	s_bitset1_b32 s16, 7
	s_wait_loadcnt 0x0
	s_wait_alu 0xfffe
	s_cmp_ge_i32 s16, s11
	s_barrier_signal -1
	s_barrier_wait -1
	global_inv scope:SCOPE_SE
	s_cbranch_scc1 .LBB197_4
; %bb.13:                               ;   in Loop: Header=BB197_5 Depth=1
	v_add_nc_u32_e32 v3, s14, v61
	s_delay_alu instid0(VALU_DEP_1)
	v_cmp_gt_i32_e64 s1, s5, v3
	s_and_b32 s16, s0, s1
	s_wait_alu 0xfffe
	s_and_saveexec_b32 s1, s16
	s_cbranch_execz .LBB197_15
; %bb.14:                               ;   in Loop: Header=BB197_5 Depth=1
	v_add_nc_u32_e32 v3, v62, v3
	s_delay_alu instid0(VALU_DEP_1)
	v_mad_co_i64_i32 v[3:4], null, v3, 36, v[0:1]
	global_load_b32 v3, v[3:4], off offset:4
	s_wait_loadcnt 0x0
	ds_store_b32 v58, v3
.LBB197_15:                             ;   in Loop: Header=BB197_5 Depth=1
	s_wait_alu 0xfffe
	s_or_b32 exec_lo, exec_lo, s1
	s_and_saveexec_b32 s16, vcc_lo
	s_cbranch_execz .LBB197_18
; %bb.16:                               ;   in Loop: Header=BB197_5 Depth=1
	v_or_b32_e32 v3, 4, v77
	s_delay_alu instid0(VALU_DEP_1)
	v_cmp_gt_i32_e64 s1, s5, v3
	s_and_b32 s1, s0, s1
	s_wait_alu 0xfffe
	s_and_b32 exec_lo, exec_lo, s1
	s_cbranch_execz .LBB197_18
; %bb.17:                               ;   in Loop: Header=BB197_5 Depth=1
	v_ashrrev_i32_e32 v3, 31, v77
	v_add_co_u32 v4, s1, v62, v77
	s_wait_alu 0xf1ff
	s_delay_alu instid0(VALU_DEP_2) | instskip(NEXT) | instid1(VALU_DEP_2)
	v_add_co_ci_u32_e64 v5, null, v63, v3, s1
	v_mad_co_u64_u32 v[3:4], null, v4, 36, s[2:3]
	s_delay_alu instid0(VALU_DEP_1)
	v_mad_i32_i24 v4, v5, 36, v4
	global_load_b32 v3, v[3:4], off offset:144
	s_wait_loadcnt 0x0
	ds_store_b32 v59, v3
.LBB197_18:                             ;   in Loop: Header=BB197_5 Depth=1
	s_wait_alu 0xfffe
	s_or_b32 exec_lo, exec_lo, s16
	v_dual_mov_b32 v3, v57 :: v_dual_mov_b32 v4, v56
	v_dual_mov_b32 v5, v72 :: v_dual_mov_b32 v6, v71
	;; [unrolled: 1-line block ×3, first 2 shown]
	v_mov_b32_e32 v9, v68
	s_mov_b32 s1, 12
	s_wait_loadcnt_dscnt 0x0
	s_barrier_signal -1
	s_barrier_wait -1
	global_inv scope:SCOPE_SE
.LBB197_19:                             ;   Parent Loop BB197_5 Depth=1
                                        ; =>  This Inner Loop Header: Depth=2
	ds_load_2addr_b32 v[77:78], v4 offset1:3
	ds_load_2addr_b32 v[79:80], v4 offset0:4 offset1:7
	ds_load_2addr_b32 v[81:82], v4 offset0:1 offset1:2
	ds_load_b32 v10, v3
	ds_load_2addr_b32 v[83:84], v9 offset1:1
	ds_load_2addr_b32 v[85:86], v9 offset0:2 offset1:3
	ds_load_2addr_b32 v[87:88], v4 offset0:5 offset1:6
	ds_load_b32 v11, v5
	ds_load_b32 v12, v6
	;; [unrolled: 1-line block ×4, first 2 shown]
	v_add_nc_u32_e32 v89, 0x1080, v9
	v_add_nc_u32_e32 v91, 0x1088, v9
	;; [unrolled: 1-line block ×6, first 2 shown]
	ds_load_2addr_b32 v[89:90], v89 offset1:1
	ds_load_2addr_b32 v[91:92], v91 offset1:1
	;; [unrolled: 1-line block ×6, first 2 shown]
	v_add_nc_u32_e32 v9, 16, v9
	v_add_nc_u32_e32 v6, 4, v6
	;; [unrolled: 1-line block ×5, first 2 shown]
	s_wait_alu 0xfffe
	s_add_co_i32 s1, s1, 4
	s_wait_dscnt 0x10
	v_lshrrev_b16 v131, 8, v77
	v_ashrrev_i32_e32 v132, 24, v77
	v_bfe_i32 v133, v77, 16, 8
	v_bfe_i32 v77, v77, 0, 8
	s_wait_dscnt 0xc
	v_and_b32_e32 v104, 15, v83
	v_bfe_u32 v105, v83, 8, 4
	v_bfe_u32 v106, v83, 16, 4
	;; [unrolled: 1-line block ×3, first 2 shown]
	s_wait_dscnt 0x5
	v_and_b32_e32 v155, 15, v89
	v_bfe_u32 v157, v89, 16, 4
	v_bfe_u32 v158, v89, 24, 4
	s_wait_dscnt 0x3
	v_and_b32_e32 v183, 15, v93
	v_bfe_i32 v131, v131, 0, 8
	v_mul_i32_i24_e32 v104, v77, v104
	v_lshrrev_b16 v101, 8, v79
	v_bfe_u32 v108, v83, 4, 4
	v_ashrrev_i32_e32 v134, 24, v79
	v_bfe_i32 v135, v79, 16, 8
	v_bfe_i32 v79, v79, 0, 8
	v_bfe_u32 v156, v89, 8, 4
	v_bfe_u32 v159, v89, 4, 4
	v_bfe_u32 v184, v93, 8, 4
	v_bfe_u32 v185, v93, 16, 4
	v_bfe_u32 v186, v93, 24, 4
	v_bfe_u32 v187, v93, 4, 4
	s_wait_dscnt 0x1
	v_bfe_u32 v210, v97, 24, 4
	v_and_b32_e32 v211, 0xf0f0f0f, v97
	v_lshrrev_b32_e32 v212, 4, v97
	v_lshrrev_b32_e32 v213, 28, v97
	v_mul_i32_i24_e32 v106, v133, v106
	v_mul_i32_i24_e32 v107, v132, v107
	v_bfe_u32 v214, v97, 16, 4
	v_and_b32_e32 v215, 15, v97
	v_bfe_u32 v216, v97, 20, 4
	v_bfe_u32 v97, v97, 4, 4
	v_mad_i32_i24 v104, v131, v105, v104
	v_mul_i32_i24_e32 v105, v77, v155
	v_mul_i32_i24_e32 v155, v133, v157
	v_mul_i32_i24_e32 v157, v132, v158
	v_mul_i32_i24_e32 v158, v77, v183
	v_bfe_u32 v109, v83, 12, 4
	v_bfe_u32 v160, v89, 12, 4
	v_bfe_u32 v188, v93, 12, 4
	v_bfe_i32 v101, v101, 0, 8
	v_mul_i32_i24_e32 v108, v79, v108
	v_mul_i32_i24_e32 v183, v133, v185
	;; [unrolled: 1-line block ×7, first 2 shown]
	v_add3_u32 v104, v104, v106, v107
	v_mad_i32_i24 v105, v131, v156, v105
	v_mad_i32_i24 v106, v131, v184, v158
	v_bfe_u32 v103, v83, 20, 4
	v_lshrrev_b32_e32 v83, 28, v83
	v_bfe_u32 v154, v89, 20, 4
	v_lshrrev_b32_e32 v89, 28, v89
	;; [unrolled: 2-line block ×3, first 2 shown]
	v_mul_i32_i24_e32 v109, v101, v109
	v_mul_i32_i24_e32 v160, v101, v160
	;; [unrolled: 1-line block ×3, first 2 shown]
	v_mad_i32_i24 v77, v215, v77, v79
	v_mad_i32_i24 v79, v214, v133, v97
	v_add3_u32 v97, v105, v155, v157
	v_add3_u32 v105, v106, v183, v185
	v_and_b32_e32 v111, 15, v84
	v_bfe_u32 v112, v84, 8, 4
	v_ashrrev_i32_e32 v136, 24, v81
	v_bfe_i32 v137, v81, 16, 8
	v_bfe_i32 v138, v81, 8, 8
	;; [unrolled: 1-line block ×3, first 2 shown]
	v_and_b32_e32 v162, 15, v90
	v_bfe_u32 v163, v90, 8, 4
	v_and_b32_e32 v190, 15, v94
	v_bfe_u32 v191, v94, 8, 4
	v_mul_i32_i24_e32 v103, v135, v103
	v_mul_i32_i24_e32 v83, v134, v83
	;; [unrolled: 1-line block ×6, first 2 shown]
	v_add3_u32 v104, v104, v109, v108
	v_add3_u32 v97, v97, v160, v159
	;; [unrolled: 1-line block ×3, first 2 shown]
	v_bfe_u32 v113, v84, 16, 4
	v_bfe_u32 v114, v84, 24, 4
	;; [unrolled: 1-line block ×6, first 2 shown]
	v_mul_i32_i24_e32 v111, v81, v111
	v_mul_i32_i24_e32 v112, v138, v112
	;; [unrolled: 1-line block ×6, first 2 shown]
	v_add3_u32 v83, v104, v103, v83
	v_add3_u32 v89, v97, v154, v89
	;; [unrolled: 1-line block ×3, first 2 shown]
	v_bfe_u32 v115, v84, 4, 4
	v_bfe_u32 v116, v84, 12, 4
	v_ashrrev_i32_e32 v139, 24, v87
	v_bfe_i32 v140, v87, 16, 8
	v_bfe_i32 v141, v87, 8, 8
	;; [unrolled: 1-line block ×3, first 2 shown]
	v_bfe_u32 v166, v90, 4, 4
	v_bfe_u32 v167, v90, 12, 4
	;; [unrolled: 1-line block ×4, first 2 shown]
	v_mul_i32_i24_e32 v113, v137, v113
	v_mul_i32_i24_e32 v114, v136, v114
	v_mul_i32_i24_e32 v164, v137, v164
	v_mul_i32_i24_e32 v165, v136, v165
	v_mul_i32_i24_e32 v192, v137, v192
	v_mul_i32_i24_e32 v193, v136, v193
	v_add3_u32 v83, v83, v112, v111
	v_add3_u32 v89, v89, v163, v162
	;; [unrolled: 1-line block ×3, first 2 shown]
	v_bfe_u32 v110, v84, 20, 4
	v_lshrrev_b32_e32 v84, 28, v84
	v_bfe_u32 v161, v90, 20, 4
	v_lshrrev_b32_e32 v90, 28, v90
	;; [unrolled: 2-line block ×3, first 2 shown]
	v_bfe_u32 v217, v98, 24, 4
	v_and_b32_e32 v218, 0xf0f0f0f, v98
	v_lshrrev_b32_e32 v219, 4, v98
	v_lshrrev_b32_e32 v220, 28, v98
	v_bfe_u32 v221, v98, 16, 4
	v_and_b32_e32 v222, 15, v98
	v_mul_i32_i24_e32 v115, v87, v115
	v_mul_i32_i24_e32 v116, v141, v116
	v_bfe_u32 v223, v98, 20, 4
	v_bfe_u32 v98, v98, 4, 4
	v_mul_i32_i24_e32 v166, v87, v166
	v_mul_i32_i24_e32 v167, v141, v167
	v_mul_i32_i24_e32 v194, v87, v194
	v_mul_i32_i24_e32 v195, v141, v195
	v_add3_u32 v83, v83, v113, v114
	v_add3_u32 v89, v89, v164, v165
	;; [unrolled: 1-line block ×3, first 2 shown]
	v_and_b32_e32 v118, 15, v85
	v_bfe_u32 v119, v85, 8, 4
	v_ashrrev_i32_e32 v142, 24, v82
	v_bfe_i32 v143, v82, 16, 8
	v_bfe_i32 v144, v82, 8, 8
	;; [unrolled: 1-line block ×3, first 2 shown]
	v_and_b32_e32 v169, 15, v91
	v_bfe_u32 v170, v91, 8, 4
	v_and_b32_e32 v197, 15, v95
	v_bfe_u32 v198, v95, 8, 4
	v_mul_i32_i24_e32 v110, v140, v110
	v_mul_i32_i24_e32 v84, v139, v84
	;; [unrolled: 1-line block ×8, first 2 shown]
	v_add3_u32 v83, v83, v115, v116
	v_add3_u32 v89, v89, v166, v167
	;; [unrolled: 1-line block ×3, first 2 shown]
	v_bfe_u32 v120, v85, 16, 4
	v_bfe_u32 v121, v85, 24, 4
	;; [unrolled: 1-line block ×4, first 2 shown]
	v_ashrrev_i32_e32 v151, 24, v80
	v_bfe_i32 v152, v80, 16, 8
	v_bfe_i32 v153, v80, 8, 8
	;; [unrolled: 1-line block ×3, first 2 shown]
	v_bfe_u32 v171, v91, 16, 4
	v_bfe_u32 v172, v91, 24, 4
	v_bfe_u32 v175, v92, 20, 4
	v_bfe_u32 v180, v92, 4, 4
	v_bfe_u32 v199, v95, 16, 4
	v_bfe_u32 v200, v95, 24, 4
	v_bfe_u32 v203, v96, 20, 4
	v_bfe_u32 v208, v96, 4, 4
	v_mul_i32_i24_e32 v118, v82, v118
	v_mul_i32_i24_e32 v119, v144, v119
	s_wait_dscnt 0x0
	v_bfe_u32 v231, v100, 24, 4
	v_and_b32_e32 v232, 0xf0f0f0f, v100
	v_lshrrev_b32_e32 v233, 4, v100
	v_lshrrev_b32_e32 v234, 28, v100
	v_bfe_u32 v235, v100, 16, 4
	v_and_b32_e32 v236, 15, v100
	v_bfe_u32 v237, v100, 20, 4
	v_bfe_u32 v100, v100, 4, 4
	v_lshrrev_b16 v212, 8, v212
	v_mul_i32_i24_e32 v169, v82, v169
	v_mul_i32_i24_e32 v170, v144, v170
	;; [unrolled: 1-line block ×4, first 2 shown]
	v_add3_u32 v77, v77, v81, v87
	v_add3_u32 v81, v83, v110, v84
	;; [unrolled: 1-line block ×4, first 2 shown]
	v_bfe_u32 v122, v85, 4, 4
	v_bfe_u32 v123, v85, 12, 4
	v_ashrrev_i32_e32 v145, 24, v88
	v_bfe_i32 v146, v88, 16, 8
	v_bfe_i32 v147, v88, 8, 8
	;; [unrolled: 1-line block ×3, first 2 shown]
	v_bfe_u32 v173, v91, 4, 4
	v_bfe_u32 v174, v91, 12, 4
	;; [unrolled: 1-line block ×5, first 2 shown]
	v_and_b32_e32 v225, 0xf0f0f0f, v99
	v_lshrrev_b32_e32 v226, 4, v99
	v_lshrrev_b32_e32 v227, 28, v99
	v_mul_i32_i24_e32 v120, v143, v120
	v_mul_i32_i24_e32 v121, v142, v121
	v_bfe_u32 v228, v99, 16, 4
	v_and_b32_e32 v229, 15, v99
	v_bfe_u32 v230, v99, 20, 4
	v_bfe_u32 v99, v99, 4, 4
	v_mul_i32_i24_e32 v129, v80, v129
	v_mul_i32_i24_e32 v124, v152, v124
	v_lshrrev_b16 v211, 8, v211
	v_lshrrev_b16 v135, 8, v218
	;; [unrolled: 1-line block ×3, first 2 shown]
	v_mul_i32_i24_e32 v171, v143, v171
	v_mul_i32_i24_e32 v172, v142, v172
	;; [unrolled: 1-line block ×10, first 2 shown]
	v_and_b32_e32 v152, 15, v212
	v_add3_u32 v81, v81, v119, v118
	v_add3_u32 v83, v83, v170, v169
	;; [unrolled: 1-line block ×3, first 2 shown]
	v_bfe_u32 v117, v85, 20, 4
	v_lshrrev_b32_e32 v85, 28, v85
	v_bfe_u32 v168, v91, 20, 4
	v_lshrrev_b32_e32 v91, 28, v91
	;; [unrolled: 2-line block ×3, first 2 shown]
	v_mul_i32_i24_e32 v122, v88, v122
	v_mul_i32_i24_e32 v123, v147, v123
	v_mul_i32_i24_e32 v134, v213, v134
	v_mul_i32_i24_e32 v98, v140, v223
	v_lshrrev_b16 v140, 8, v225
	v_lshrrev_b16 v213, 8, v226
	v_mul_i32_i24_e32 v82, v82, v229
	v_mul_i32_i24_e32 v173, v88, v173
	;; [unrolled: 1-line block ×6, first 2 shown]
	v_and_b32_e32 v107, 0xffff, v211
	v_and_b32_e32 v156, 15, v188
	;; [unrolled: 1-line block ×4, first 2 shown]
	v_add3_u32 v81, v81, v120, v121
	v_add3_u32 v83, v83, v171, v172
	;; [unrolled: 1-line block ×3, first 2 shown]
	v_and_b32_e32 v125, 15, v86
	v_bfe_u32 v126, v86, 8, 4
	v_ashrrev_i32_e32 v148, 24, v78
	v_bfe_i32 v149, v78, 16, 8
	v_bfe_i32 v150, v78, 8, 8
	;; [unrolled: 1-line block ×3, first 2 shown]
	v_and_b32_e32 v176, 15, v92
	v_bfe_u32 v177, v92, 8, 4
	v_and_b32_e32 v204, 15, v96
	v_bfe_u32 v205, v96, 8, 4
	v_mul_i32_i24_e32 v117, v146, v117
	v_mul_i32_i24_e32 v85, v145, v85
	;; [unrolled: 1-line block ×9, first 2 shown]
	v_lshrrev_b16 v146, 8, v232
	v_lshrrev_b16 v216, 8, v233
	v_and_b32_e32 v158, 15, v213
	v_and_b32_e32 v140, 0xffff, v140
	v_mad_i32_i24 v106, v210, v132, v134
	v_mul_i32_i24_e32 v107, v107, v131
	v_mul_i32_i24_e32 v109, v138, v135
	v_and_b32_e32 v97, 0xffff, v156
	v_mul_i32_i24_e32 v87, v108, v101
	v_add3_u32 v77, v77, v82, v88
	v_add3_u32 v81, v81, v122, v123
	;; [unrolled: 1-line block ×4, first 2 shown]
	v_bfe_u32 v127, v86, 16, 4
	v_bfe_u32 v128, v86, 24, 4
	v_bfe_u32 v130, v86, 12, 4
	v_lshrrev_b32_e32 v86, 28, v86
	v_bfe_u32 v178, v92, 16, 4
	v_bfe_u32 v179, v92, 24, 4
	v_bfe_u32 v181, v92, 12, 4
	v_lshrrev_b32_e32 v92, 28, v92
	;; [unrolled: 4-line block ×3, first 2 shown]
	v_mul_i32_i24_e32 v125, v78, v125
	v_mul_i32_i24_e32 v126, v150, v126
	v_mul_i32_i24_e32 v137, v137, v221
	v_mul_i32_i24_e32 v142, v142, v224
	v_mul_i32_i24_e32 v145, v145, v227
	v_mul_i32_i24_e32 v176, v78, v176
	v_mul_i32_i24_e32 v177, v150, v177
	v_mul_i32_i24_e32 v204, v78, v204
	v_mul_i32_i24_e32 v205, v150, v205
	v_and_b32_e32 v184, 15, v216
	v_and_b32_e32 v146, 0xffff, v146
	v_mul_i32_i24_e32 v103, v144, v140
	v_and_b32_e32 v104, 0xffff, v158
	v_add3_u32 v106, v106, v136, v139
	v_mul_i32_i24_e32 v89, v141, v97
	v_add3_u32 v84, v107, v87, v109
	v_add3_u32 v81, v81, v117, v85
	;; [unrolled: 1-line block ×4, first 2 shown]
	v_mul_i32_i24_e32 v127, v149, v127
	v_mul_i32_i24_e32 v128, v148, v128
	;; [unrolled: 1-line block ×13, first 2 shown]
	v_and_b32_e32 v111, 0xffff, v184
	v_add3_u32 v79, v79, v137, v98
	v_mul_i32_i24_e32 v90, v147, v104
	v_add3_u32 v94, v106, v142, v145
	v_add3_u32 v84, v84, v89, v103
	;; [unrolled: 1-line block ×5, first 2 shown]
	v_mul_i32_i24_e32 v130, v153, v130
	v_mul_i32_i24_e32 v78, v78, v236
	;; [unrolled: 1-line block ×6, first 2 shown]
	v_add3_u32 v79, v79, v143, v99
	v_add3_u32 v85, v94, v148, v151
	;; [unrolled: 1-line block ×6, first 2 shown]
	v_lshrrev_b32_e32 v102, 16, v10
	v_add3_u32 v79, v79, v149, v100
	v_add3_u32 v77, v77, v78, v80
	;; [unrolled: 1-line block ×6, first 2 shown]
	v_cvt_f32_f16_e32 v83, v102
	v_add3_u32 v77, v77, v79, v78
	v_add3_u32 v78, v80, v124, v86
	;; [unrolled: 1-line block ×4, first 2 shown]
	v_dual_mul_f32 v81, 0xc1000000, v83 :: v_dual_add_nc_u32 v8, 4, v8
	v_cvt_f32_i32_e32 v77, v77
	v_cvt_f32_i32_e32 v78, v78
	;; [unrolled: 1-line block ×4, first 2 shown]
	s_wait_alu 0xfffe
	s_cmp_lt_u32 s1, 28
	v_fma_mix_f32 v77, v10, v77, v81 op_sel_hi:[1,0,0]
	v_fma_mix_f32 v78, v10, v78, v81 op_sel_hi:[1,0,0]
	;; [unrolled: 1-line block ×4, first 2 shown]
	s_delay_alu instid0(VALU_DEP_4) | instskip(NEXT) | instid1(VALU_DEP_3)
	v_dual_fmac_f32 v2, v14, v77 :: v_dual_add_nc_u32 v7, 4, v7
	v_dual_fmac_f32 v17, v11, v78 :: v_dual_fmac_f32 v54, v12, v79
	s_delay_alu instid0(VALU_DEP_3)
	v_fmac_f32_e32 v47, v13, v10
	s_cbranch_scc1 .LBB197_19
; %bb.20:                               ;   in Loop: Header=BB197_5 Depth=1
	s_wait_loadcnt 0x0
	s_barrier_signal -1
	s_barrier_wait -1
	global_inv scope:SCOPE_SE
	s_branch .LBB197_4
.LBB197_21:
	s_mul_i32 s0, s7, s4
	s_wait_loadcnt 0x0
	s_wait_alu 0xfffe
	v_cmp_gt_i32_e32 vcc_lo, s0, v15
	s_and_saveexec_b32 s0, vcc_lo
	s_cbranch_execz .LBB197_30
; %bb.22:
	v_mul_lo_u32 v0, v15, s6
	v_add_nc_u32_e32 v1, s18, v16
	s_mov_b32 s0, exec_lo
	s_delay_alu instid0(VALU_DEP_1)
	v_cmpx_gt_u32_e64 s6, v1
	s_cbranch_execz .LBB197_24
; %bb.23:
	s_delay_alu instid0(VALU_DEP_3) | instskip(SKIP_1) | instid1(VALU_DEP_2)
	v_dual_mov_b32 v4, 0 :: v_dual_add_nc_u32 v3, v0, v1
	v_cvt_f16_f32_e32 v5, v17
	v_lshlrev_b64_e32 v[3:4], 1, v[3:4]
	s_delay_alu instid0(VALU_DEP_1) | instskip(SKIP_1) | instid1(VALU_DEP_2)
	v_add_co_u32 v3, vcc_lo, s8, v3
	s_wait_alu 0xfffd
	v_add_co_ci_u32_e64 v4, null, s9, v4, vcc_lo
	global_store_b16 v[3:4], v5, off
.LBB197_24:
	s_wait_alu 0xfffe
	s_or_b32 exec_lo, exec_lo, s0
	v_add_nc_u32_e32 v3, 32, v1
	s_mov_b32 s0, exec_lo
	s_delay_alu instid0(VALU_DEP_1)
	v_cmpx_gt_u32_e64 s6, v3
	s_cbranch_execz .LBB197_26
; %bb.25:
	v_dual_mov_b32 v4, 0 :: v_dual_add_nc_u32 v3, v0, v3
	v_cvt_f16_f32_e32 v5, v54
	s_delay_alu instid0(VALU_DEP_2) | instskip(NEXT) | instid1(VALU_DEP_1)
	v_lshlrev_b64_e32 v[3:4], 1, v[3:4]
	v_add_co_u32 v3, vcc_lo, s8, v3
	s_wait_alu 0xfffd
	s_delay_alu instid0(VALU_DEP_2)
	v_add_co_ci_u32_e64 v4, null, s9, v4, vcc_lo
	global_store_b16 v[3:4], v5, off
.LBB197_26:
	s_wait_alu 0xfffe
	s_or_b32 exec_lo, exec_lo, s0
	v_add_nc_u32_e32 v3, 64, v1
	s_mov_b32 s0, exec_lo
	s_delay_alu instid0(VALU_DEP_1)
	v_cmpx_gt_u32_e64 s6, v3
	s_cbranch_execz .LBB197_28
; %bb.27:
	v_dual_mov_b32 v4, 0 :: v_dual_add_nc_u32 v3, v0, v3
	v_cvt_f16_f32_e32 v5, v47
	s_delay_alu instid0(VALU_DEP_2) | instskip(NEXT) | instid1(VALU_DEP_1)
	v_lshlrev_b64_e32 v[3:4], 1, v[3:4]
	v_add_co_u32 v3, vcc_lo, s8, v3
	s_wait_alu 0xfffd
	s_delay_alu instid0(VALU_DEP_2)
	v_add_co_ci_u32_e64 v4, null, s9, v4, vcc_lo
	global_store_b16 v[3:4], v5, off
.LBB197_28:
	s_wait_alu 0xfffe
	s_or_b32 exec_lo, exec_lo, s0
	v_add_nc_u32_e32 v1, 0x60, v1
	s_delay_alu instid0(VALU_DEP_1)
	v_cmp_gt_u32_e32 vcc_lo, s6, v1
	s_and_b32 exec_lo, exec_lo, vcc_lo
	s_cbranch_execz .LBB197_30
; %bb.29:
	v_dual_mov_b32 v1, 0 :: v_dual_add_nc_u32 v0, v0, v1
	v_cvt_f16_f32_e32 v2, v2
	s_delay_alu instid0(VALU_DEP_2) | instskip(NEXT) | instid1(VALU_DEP_1)
	v_lshlrev_b64_e32 v[0:1], 1, v[0:1]
	v_add_co_u32 v0, vcc_lo, s8, v0
	s_wait_alu 0xfffd
	s_delay_alu instid0(VALU_DEP_2)
	v_add_co_ci_u32_e64 v1, null, s9, v1, vcc_lo
	global_store_b16 v[0:1], v2, off
.LBB197_30:
	s_nop 0
	s_sendmsg sendmsg(MSG_DEALLOC_VGPRS)
	s_endpgm
	.section	.rodata,"a",@progbits
	.p2align	6, 0x0
	.amdhsa_kernel _ZL8moe_q4_0IN3c104HalfELb0EEvPKvS3_PT_PKiS7_S7_iiiiiii
		.amdhsa_group_segment_fixed_size 22272
		.amdhsa_private_segment_fixed_size 0
		.amdhsa_kernarg_size 76
		.amdhsa_user_sgpr_count 2
		.amdhsa_user_sgpr_dispatch_ptr 0
		.amdhsa_user_sgpr_queue_ptr 0
		.amdhsa_user_sgpr_kernarg_segment_ptr 1
		.amdhsa_user_sgpr_dispatch_id 0
		.amdhsa_user_sgpr_private_segment_size 0
		.amdhsa_wavefront_size32 1
		.amdhsa_uses_dynamic_stack 0
		.amdhsa_enable_private_segment 0
		.amdhsa_system_sgpr_workgroup_id_x 1
		.amdhsa_system_sgpr_workgroup_id_y 1
		.amdhsa_system_sgpr_workgroup_id_z 0
		.amdhsa_system_sgpr_workgroup_info 0
		.amdhsa_system_vgpr_workitem_id 1
		.amdhsa_next_free_vgpr 238
		.amdhsa_next_free_sgpr 22
		.amdhsa_reserve_vcc 1
		.amdhsa_float_round_mode_32 0
		.amdhsa_float_round_mode_16_64 0
		.amdhsa_float_denorm_mode_32 3
		.amdhsa_float_denorm_mode_16_64 3
		.amdhsa_fp16_overflow 0
		.amdhsa_workgroup_processor_mode 1
		.amdhsa_memory_ordered 1
		.amdhsa_forward_progress 1
		.amdhsa_inst_pref_size 66
		.amdhsa_round_robin_scheduling 0
		.amdhsa_exception_fp_ieee_invalid_op 0
		.amdhsa_exception_fp_denorm_src 0
		.amdhsa_exception_fp_ieee_div_zero 0
		.amdhsa_exception_fp_ieee_overflow 0
		.amdhsa_exception_fp_ieee_underflow 0
		.amdhsa_exception_fp_ieee_inexact 0
		.amdhsa_exception_int_div_zero 0
	.end_amdhsa_kernel
	.section	.text._ZL8moe_q4_0IN3c104HalfELb0EEvPKvS3_PT_PKiS7_S7_iiiiiii,"axG",@progbits,_ZL8moe_q4_0IN3c104HalfELb0EEvPKvS3_PT_PKiS7_S7_iiiiiii,comdat
.Lfunc_end197:
	.size	_ZL8moe_q4_0IN3c104HalfELb0EEvPKvS3_PT_PKiS7_S7_iiiiiii, .Lfunc_end197-_ZL8moe_q4_0IN3c104HalfELb0EEvPKvS3_PT_PKiS7_S7_iiiiiii
                                        ; -- End function
	.set _ZL8moe_q4_0IN3c104HalfELb0EEvPKvS3_PT_PKiS7_S7_iiiiiii.num_vgpr, 238
	.set _ZL8moe_q4_0IN3c104HalfELb0EEvPKvS3_PT_PKiS7_S7_iiiiiii.num_agpr, 0
	.set _ZL8moe_q4_0IN3c104HalfELb0EEvPKvS3_PT_PKiS7_S7_iiiiiii.numbered_sgpr, 22
	.set _ZL8moe_q4_0IN3c104HalfELb0EEvPKvS3_PT_PKiS7_S7_iiiiiii.num_named_barrier, 0
	.set _ZL8moe_q4_0IN3c104HalfELb0EEvPKvS3_PT_PKiS7_S7_iiiiiii.private_seg_size, 0
	.set _ZL8moe_q4_0IN3c104HalfELb0EEvPKvS3_PT_PKiS7_S7_iiiiiii.uses_vcc, 1
	.set _ZL8moe_q4_0IN3c104HalfELb0EEvPKvS3_PT_PKiS7_S7_iiiiiii.uses_flat_scratch, 0
	.set _ZL8moe_q4_0IN3c104HalfELb0EEvPKvS3_PT_PKiS7_S7_iiiiiii.has_dyn_sized_stack, 0
	.set _ZL8moe_q4_0IN3c104HalfELb0EEvPKvS3_PT_PKiS7_S7_iiiiiii.has_recursion, 0
	.set _ZL8moe_q4_0IN3c104HalfELb0EEvPKvS3_PT_PKiS7_S7_iiiiiii.has_indirect_call, 0
	.section	.AMDGPU.csdata,"",@progbits
; Kernel info:
; codeLenInByte = 8332
; TotalNumSgprs: 24
; NumVgprs: 238
; ScratchSize: 0
; MemoryBound: 0
; FloatMode: 240
; IeeeMode: 1
; LDSByteSize: 22272 bytes/workgroup (compile time only)
; SGPRBlocks: 0
; VGPRBlocks: 29
; NumSGPRsForWavesPerEU: 24
; NumVGPRsForWavesPerEU: 238
; Occupancy: 6
; WaveLimiterHint : 1
; COMPUTE_PGM_RSRC2:SCRATCH_EN: 0
; COMPUTE_PGM_RSRC2:USER_SGPR: 2
; COMPUTE_PGM_RSRC2:TRAP_HANDLER: 0
; COMPUTE_PGM_RSRC2:TGID_X_EN: 1
; COMPUTE_PGM_RSRC2:TGID_Y_EN: 1
; COMPUTE_PGM_RSRC2:TGID_Z_EN: 0
; COMPUTE_PGM_RSRC2:TIDIG_COMP_CNT: 1
	.section	.text._ZL8moe_q4_0IN3c104HalfELb1EEvPKvS3_PT_PKiS7_S7_iiiiiii,"axG",@progbits,_ZL8moe_q4_0IN3c104HalfELb1EEvPKvS3_PT_PKiS7_S7_iiiiiii,comdat
	.globl	_ZL8moe_q4_0IN3c104HalfELb1EEvPKvS3_PT_PKiS7_S7_iiiiiii ; -- Begin function _ZL8moe_q4_0IN3c104HalfELb1EEvPKvS3_PT_PKiS7_S7_iiiiiii
	.p2align	8
	.type	_ZL8moe_q4_0IN3c104HalfELb1EEvPKvS3_PT_PKiS7_S7_iiiiiii,@function
_ZL8moe_q4_0IN3c104HalfELb1EEvPKvS3_PT_PKiS7_S7_iiiiiii: ; @_ZL8moe_q4_0IN3c104HalfELb1EEvPKvS3_PT_PKiS7_S7_iiiiiii
; %bb.0:
	s_load_b128 s[4:7], s[0:1], 0x18
	s_mov_b32 s2, ttmp7
	s_mov_b32 s3, 0
	s_delay_alu instid0(SALU_CYCLE_1)
	s_lshl_b64 s[2:3], s[2:3], 2
	s_wait_kmcnt 0x0
	s_add_nc_u64 s[2:3], s[6:7], s[2:3]
	s_load_b32 s14, s[2:3], 0x0
	s_wait_kmcnt 0x0
	s_cmp_gt_u32 s14, 0xff
	s_cbranch_scc1 .LBB198_30
; %bb.1:
	s_load_b64 s[2:3], s[0:1], 0x28
	s_wait_kmcnt 0x0
	s_load_b32 s3, s[2:3], 0x0
	s_lshl_b32 s2, ttmp7, 3
	s_wait_kmcnt 0x0
	s_cmp_gt_u32 s2, s3
	s_cbranch_scc1 .LBB198_30
; %bb.2:
	v_bfe_u32 v19, v0, 10, 10
	v_mov_b32_e32 v15, 0
	s_lshl_b32 s11, ttmp9, 7
	s_delay_alu instid0(VALU_DEP_2) | instskip(NEXT) | instid1(VALU_DEP_2)
	v_add_nc_u32_e32 v14, s2, v19
	v_dual_mov_b32 v56, v15 :: v_dual_and_b32 v33, 0x3ff, v0
	v_dual_mov_b32 v59, v15 :: v_dual_mov_b32 v34, v15
	s_delay_alu instid0(VALU_DEP_3) | instskip(NEXT) | instid1(VALU_DEP_1)
	v_lshlrev_b64_e32 v[1:2], 2, v[14:15]
	v_add_co_u32 v1, vcc_lo, s4, v1
	s_delay_alu instid0(VALU_DEP_1)
	v_add_co_ci_u32_e64 v2, null, s5, v2, vcc_lo
	global_load_b32 v32, v[1:2], off
	s_clause 0x2
	s_load_b128 s[4:7], s[0:1], 0x30
	s_load_b64 s[12:13], s[0:1], 0x10
	s_load_b96 s[8:10], s[0:1], 0x40
	s_wait_kmcnt 0x0
	s_cmp_lt_i32 s5, 32
	s_cbranch_scc1 .LBB198_21
; %bb.3:
	s_load_b128 s[0:3], s[0:1], 0x0
	s_ashr_i32 s15, s5, 31
	s_mul_i32 s14, s14, s4
	s_lshr_b32 s4, s15, 27
	s_ashr_i32 s15, s14, 31
	s_wait_alu 0xfffe
	s_add_co_i32 s4, s5, s4
	s_ashr_i32 s16, s8, 31
	s_wait_alu 0xfffe
	s_ashr_i32 s4, s4, 5
	s_not_b32 s17, s11
	s_wait_alu 0xfffe
	s_mul_i32 s18, s4, s11
	s_lshr_b32 s20, s16, 27
	s_ashr_i32 s19, s18, 31
	s_wait_loadcnt 0x0
	v_sub_nc_u32_e32 v26, 0, v32
	s_mul_u64 s[18:19], s[18:19], 18
	s_add_co_i32 s16, s6, s17
	s_add_co_i32 s6, s8, s20
	v_dual_mov_b32 v34, 0 :: v_dual_add_nc_u32 v1, 8, v19
	v_max_i32_e32 v26, v32, v26
	v_add_nc_u32_e32 v6, 24, v19
	s_wait_kmcnt 0x0
	s_add_nc_u64 s[0:1], s[0:1], s[14:15]
	v_dual_mov_b32 v59, 0 :: v_dual_lshlrev_b32 v20, 2, v33
	s_add_nc_u64 s[14:15], s[0:1], s[18:19]
	s_abs_i32 s0, s10
	v_min_i32_e32 v2, s16, v19
	s_cvt_f32_u32 s1, s0
	s_sub_co_i32 s8, 0, s0
	v_add_nc_u32_e32 v8, 40, v19
	v_min_i32_e32 v4, s16, v1
	v_rcp_iflag_f32_e32 v23, s1
	v_add_nc_u32_e32 v10, 56, v19
	v_min_i32_e32 v6, s16, v6
	v_dual_mov_b32 v56, 0 :: v_dual_add_nc_u32 v11, 64, v19
	v_add_nc_u32_e32 v12, 0x48, v19
	v_mul_lo_u32 v37, v2, s4
	v_mad_co_u64_u32 v[1:2], null, 0x84, v2, v[20:21]
	v_min_i32_e32 v8, s16, v8
	s_delay_alu instid0(TRANS32_DEP_1)
	v_readfirstlane_b32 s1, v23
	v_add_nc_u32_e32 v13, 0x50, v19
	v_add_nc_u32_e32 v14, 0x58, v19
	v_mul_lo_u32 v38, v4, s4
	v_min_i32_e32 v10, s16, v10
	s_mul_f32 s1, s1, 0x4f7ffffe
	v_min_i32_e32 v11, s16, v11
	v_mul_lo_u32 v40, v6, s4
	v_min_i32_e32 v12, s16, v12
	s_wait_alu 0xfffe
	s_cvt_u32_f32 s1, s1
	v_min_i32_e32 v13, s16, v13
	v_mul_lo_u32 v42, v8, s4
	v_min_i32_e32 v14, s16, v14
	s_wait_alu 0xfffe
	s_mul_i32 s8, s8, s1
	v_add_nc_u32_e32 v15, 0x60, v19
	s_mul_hi_u32 s8, s1, s8
	v_bfe_u32 v49, v0, 3, 7
	s_add_co_i32 s1, s1, s8
	v_add_nc_u32_e32 v16, 0x68, v19
	s_wait_alu 0xfffe
	v_mul_hi_u32 v28, v26, s1
	v_add_nc_u32_e32 v17, 0x70, v19
	v_mul_lo_u32 v44, v10, s4
	v_add_nc_u32_e32 v18, 0x78, v19
	v_mul_lo_u32 v45, v11, s4
	v_mul_lo_u32 v46, v12, s4
	;; [unrolled: 1-line block ×3, first 2 shown]
	v_min_i32_e32 v15, s16, v15
	v_mul_lo_u32 v29, v28, s0
	v_min_i32_e32 v16, s16, v16
	v_min_i32_e32 v17, s16, v17
	;; [unrolled: 1-line block ×3, first 2 shown]
	v_mul_lo_u32 v48, v14, s4
	v_mul_lo_u32 v50, v15, s4
	;; [unrolled: 1-line block ×4, first 2 shown]
	v_sub_nc_u32_e32 v26, v26, v29
	v_add_nc_u32_e32 v29, 1, v28
	v_mul_lo_u32 v53, v18, s4
	v_and_b32_e32 v54, 7, v0
	v_lshl_add_u32 v61, v19, 7, 0x5280
	v_cmp_le_u32_e32 vcc_lo, s0, v26
	v_add_nc_u32_e32 v3, 16, v19
	v_add_nc_u32_e32 v7, 32, v19
	v_lshlrev_b32_e32 v24, 2, v54
	v_lshl_add_u32 v62, v19, 4, 0x5680
	s_wait_alu 0xfffd
	v_dual_cndmask_b32 v28, v28, v29 :: v_dual_add_nc_u32 v9, 48, v19
	v_min_i32_e32 v5, s16, v3
	v_min_i32_e32 v7, s16, v7
	v_mad_co_u64_u32 v[2:3], null, 0x84, v4, v[20:21]
	s_delay_alu instid0(VALU_DEP_4) | instskip(NEXT) | instid1(VALU_DEP_4)
	v_min_i32_e32 v9, s16, v9
	v_mad_co_u64_u32 v[3:4], null, 0x84, v5, v[20:21]
	v_mul_lo_u32 v39, v5, s4
	v_mad_co_u64_u32 v[4:5], null, 0x84, v6, v[20:21]
	v_mad_co_u64_u32 v[5:6], null, 0x84, v7, v[20:21]
	v_mul_lo_u32 v41, v7, s4
	v_mad_co_u64_u32 v[6:7], null, 0x84, v8, v[20:21]
	v_mad_co_u64_u32 v[7:8], null, 0x84, v9, v[20:21]
	v_mul_lo_u32 v43, v9, s4
	v_mad_co_u64_u32 v[8:9], null, 0x84, v10, v[20:21]
	v_mad_co_u64_u32 v[9:10], null, 0x84, v11, v[20:21]
	v_mad_co_u64_u32 v[10:11], null, 0x84, v12, v[20:21]
	;; [unrolled: 1-line block ×4, first 2 shown]
	v_lshl_add_u32 v21, v19, 2, v49
	v_xor_b32_e32 v29, s10, v32
	v_and_b32_e32 v36, 12, v20
	v_and_b32_e32 v19, 28, v20
	v_add_nc_u32_e32 v64, v62, v20
	v_mad_co_u64_u32 v[13:14], null, 0x84, v15, v[20:21]
	v_mad_co_u64_u32 v[14:15], null, 0x84, v16, v[20:21]
	;; [unrolled: 1-line block ×4, first 2 shown]
	v_add_nc_u32_e32 v18, 32, v21
	v_min_i32_e32 v22, s16, v21
	v_add_nc_u32_e32 v23, 64, v21
	v_add_nc_u32_e32 v21, 0x60, v21
	v_ashrrev_i32_e32 v29, 31, v29
	v_min_i32_e32 v18, s16, v18
	v_ashrrev_i32_e32 v15, 31, v22
	v_min_i32_e32 v23, s16, v23
	v_min_i32_e32 v21, s16, v21
	s_ashr_i32 s6, s6, 5
	v_ashrrev_i32_e32 v25, 31, v18
	v_mul_lo_u32 v57, v18, s4
	v_ashrrev_i32_e32 v27, 31, v23
	v_ashrrev_i32_e32 v30, 31, v21
	v_lshlrev_b32_e32 v31, 5, v18
	v_lshrrev_b32_e32 v25, 30, v25
	v_lshrrev_b32_e32 v15, 30, v15
	;; [unrolled: 1-line block ×3, first 2 shown]
	v_bfe_u32 v35, v0, 2, 8
	v_mul_lo_u32 v55, v22, s4
	v_add_nc_u32_e32 v25, v18, v25
	v_lshrrev_b32_e32 v18, 30, v30
	v_subrev_nc_u32_e32 v30, s0, v26
	v_add_nc_u32_e32 v15, v22, v15
	v_add_nc_u32_e32 v27, v23, v27
	v_and_b32_e32 v25, -4, v25
	v_add_nc_u32_e32 v18, v21, v18
	v_cndmask_b32_e32 v26, v26, v30, vcc_lo
	v_add_nc_u32_e32 v30, 1, v28
	v_and_b32_e32 v15, -4, v15
	v_and_b32_e32 v27, -4, v27
	v_and_b32_e32 v18, -4, v18
	v_cmp_le_u32_e32 vcc_lo, s0, v26
	v_add3_u32 v25, v25, v24, 0x4200
	v_add3_u32 v15, v15, v24, 0x4200
	;; [unrolled: 1-line block ×4, first 2 shown]
	s_wait_alu 0xfffd
	v_cndmask_b32_e32 v26, v28, v30, vcc_lo
	v_and_b32_e32 v18, 31, v0
	v_add_nc_u32_e32 v28, 0x60, v33
	v_and_b32_e32 v0, 0xfc, v0
	v_lshlrev_b32_e32 v22, 5, v22
	v_xor_b32_e32 v26, v26, v29
	v_lshl_or_b32 v63, v18, 2, v61
	v_add_nc_u32_e32 v18, 32, v33
	v_and_b32_e32 v28, 0x1fc, v28
	v_mul_lo_u32 v58, v23, s4
	v_sub_nc_u32_e32 v20, v26, v29
	v_add_nc_u32_e32 v26, 64, v33
	v_and_b32_e32 v29, 0x1fc, v18
	v_lshlrev_b32_e32 v23, 5, v23
	v_mul_lo_u32 v60, v21, s4
	v_cmp_gt_i32_e64 s0, s7, v20
	v_mul_lo_u32 v67, v20, s6
	v_lshlrev_b32_e32 v20, 5, v33
	v_and_b32_e32 v26, 0x1fc, v26
	v_lshlrev_b32_e32 v21, 5, v21
	v_cmp_gt_u32_e32 vcc_lo, 4, v33
	v_lshrrev_b32_e32 v66, 3, v18
	v_add_nc_u32_e32 v28, v20, v28
	v_add_nc_u32_e32 v26, v20, v26
	;; [unrolled: 1-line block ×4, first 2 shown]
	v_add_co_u32 v18, s1, s2, v19
	v_mul_u32_u24_e32 v65, 0x84, v33
	s_wait_alu 0xf1ff
	v_add_co_ci_u32_e64 v19, null, s3, 0, s1
	v_ashrrev_i32_e32 v0, 31, v67
	v_add_nc_u32_e32 v68, 0x4e00, v28
	v_add_nc_u32_e32 v69, 0x4a00, v26
	;; [unrolled: 1-line block ×4, first 2 shown]
	v_mad_u32_u24 v72, 0x84, v33, 64
	v_add_nc_u32_e32 v73, 0x4e10, v28
	v_add_nc_u32_e32 v74, 0x4a10, v26
	;; [unrolled: 1-line block ×7, first 2 shown]
	v_dual_mov_b32 v15, 0 :: v_dual_add_nc_u32 v80, v24, v21
	s_mov_b32 s17, 0
	s_and_b32 s8, vcc_lo, s0
	s_wait_alu 0xfffe
	s_mov_b32 s16, s17
	s_branch .LBB198_5
.LBB198_4:                              ;   in Loop: Header=BB198_5 Depth=1
	s_add_co_i32 s16, s16, 8
	s_wait_alu 0xfffe
	s_cmp_ge_i32 s16, s4
	s_cbranch_scc1 .LBB198_21
.LBB198_5:                              ; =>This Loop Header: Depth=1
                                        ;     Child Loop BB198_11 Depth 2
                                        ;     Child Loop BB198_19 Depth 2
	s_wait_alu 0xfffe
	s_mul_u64 s[18:19], s[16:17], 18
	s_wait_alu 0xfffe
	s_add_nc_u64 s[18:19], s[14:15], s[18:19]
	s_wait_alu 0xfffe
	v_mad_co_u64_u32 v[20:21], null, v35, 18, s[18:19]
	s_delay_alu instid0(VALU_DEP_1) | instskip(SKIP_3) | instid1(VALU_DEP_4)
	v_mad_co_i64_i32 v[22:23], null, v37, 18, v[20:21]
	v_mad_co_i64_i32 v[24:25], null, v38, 18, v[20:21]
	;; [unrolled: 1-line block ×4, first 2 shown]
	v_add_co_u32 v22, s1, v22, v36
	v_mad_co_i64_i32 v[30:31], null, v41, 18, v[20:21]
	s_wait_alu 0xf1ff
	v_add_co_ci_u32_e64 v23, null, 0, v23, s1
	v_add_co_u32 v24, s1, v24, v36
	v_mad_co_i64_i32 v[81:82], null, v42, 18, v[20:21]
	s_wait_alu 0xf1ff
	v_add_co_ci_u32_e64 v25, null, 0, v25, s1
	;; [unrolled: 4-line block ×4, first 2 shown]
	v_add_co_u32 v30, s1, v30, v36
	s_wait_alu 0xf1ff
	v_add_co_ci_u32_e64 v31, null, 0, v31, s1
	v_add_co_u32 v81, s1, v81, v36
	s_wait_alu 0xf1ff
	v_add_co_ci_u32_e64 v82, null, 0, v82, s1
	;; [unrolled: 3-line block ×3, first 2 shown]
	v_add_co_u32 v85, s1, v85, v36
	v_mad_co_i64_i32 v[87:88], null, v45, 18, v[20:21]
	s_wait_alu 0xf1ff
	v_add_co_ci_u32_e64 v86, null, 0, v86, s1
	s_clause 0x7
	global_load_b32 v93, v[22:23], off offset:2
	global_load_b32 v94, v[24:25], off offset:2
	;; [unrolled: 1-line block ×8, first 2 shown]
	v_mad_co_i64_i32 v[22:23], null, v46, 18, v[20:21]
	v_mad_co_u64_u32 v[81:82], null, v54, 18, s[18:19]
	v_mad_co_i64_i32 v[26:27], null, v47, 18, v[20:21]
	v_mad_co_i64_i32 v[28:29], null, v48, 18, v[20:21]
	v_add_co_u32 v24, s1, v87, v36
	v_mad_co_i64_i32 v[30:31], null, v50, 18, v[20:21]
	s_wait_alu 0xf1ff
	v_add_co_ci_u32_e64 v25, null, 0, v88, s1
	v_add_co_u32 v22, s1, v22, v36
	v_mad_co_i64_i32 v[83:84], null, v51, 18, v[20:21]
	v_mad_co_i64_i32 v[85:86], null, v55, 18, v[81:82]
	;; [unrolled: 1-line block ×3, first 2 shown]
	s_wait_alu 0xf1ff
	v_add_co_ci_u32_e64 v23, null, 0, v23, s1
	v_add_co_u32 v26, s1, v26, v36
	v_mad_co_i64_i32 v[89:90], null, v58, 18, v[81:82]
	v_mad_co_i64_i32 v[91:92], null, v52, 18, v[20:21]
	v_mad_co_i64_i32 v[81:82], null, v60, 18, v[81:82]
	s_wait_alu 0xf1ff
	v_add_co_ci_u32_e64 v27, null, 0, v27, s1
	v_add_co_u32 v28, s1, v28, v36
	v_mad_co_i64_i32 v[20:21], null, v53, 18, v[20:21]
	s_wait_alu 0xf1ff
	v_add_co_ci_u32_e64 v29, null, 0, v29, s1
	v_add_co_u32 v30, s1, v30, v36
	s_wait_alu 0xf1ff
	v_add_co_ci_u32_e64 v31, null, 0, v31, s1
	s_clause 0x3
	global_load_u16 v85, v[85:86], off
	global_load_u16 v86, v[87:88], off
	;; [unrolled: 1-line block ×4, first 2 shown]
	v_add_co_u32 v81, s1, v83, v36
	s_wait_alu 0xf1ff
	v_add_co_ci_u32_e64 v82, null, 0, v84, s1
	v_add_co_u32 v83, s1, v91, v36
	s_wait_alu 0xf1ff
	v_add_co_ci_u32_e64 v84, null, 0, v92, s1
	;; [unrolled: 3-line block ×3, first 2 shown]
	s_clause 0x7
	global_load_b32 v24, v[24:25], off offset:2
	global_load_b32 v22, v[22:23], off offset:2
	;; [unrolled: 1-line block ×8, first 2 shown]
	s_lshl_b32 s18, s16, 5
	s_wait_alu 0xfffe
	s_cmp_lt_i32 s18, s5
	s_wait_loadcnt 0xb
	v_cvt_f32_f16_e32 v21, v85
	s_wait_loadcnt 0xa
	v_cvt_f32_f16_e32 v29, v86
	s_wait_loadcnt 0x9
	v_cvt_f32_f16_e32 v30, v87
	s_wait_loadcnt 0x8
	v_cvt_f32_f16_e32 v31, v88
	ds_store_b32 v1, v93
	ds_store_b32 v77, v21
	;; [unrolled: 1-line block ×11, first 2 shown]
	s_wait_loadcnt 0x7
	ds_store_b32 v9, v24
	s_wait_loadcnt 0x6
	ds_store_b32 v10, v22
	;; [unrolled: 2-line block ×8, first 2 shown]
	ds_store_b32 v80, v31
	s_cbranch_scc0 .LBB198_4
; %bb.6:                                ;   in Loop: Header=BB198_5 Depth=1
	v_add_nc_u32_e32 v20, s16, v49
	s_delay_alu instid0(VALU_DEP_1)
	v_cmp_gt_i32_e64 s1, s6, v20
	s_and_b32 s19, s0, s1
	s_wait_alu 0xfffe
	s_and_saveexec_b32 s1, s19
	s_cbranch_execz .LBB198_8
; %bb.7:                                ;   in Loop: Header=BB198_5 Depth=1
	v_add_nc_u32_e32 v20, v67, v20
	s_delay_alu instid0(VALU_DEP_1)
	v_mad_co_i64_i32 v[20:21], null, v20, 36, v[18:19]
	global_load_b32 v20, v[20:21], off offset:4
	s_wait_loadcnt 0x0
	ds_store_b32 v63, v20
.LBB198_8:                              ;   in Loop: Header=BB198_5 Depth=1
	s_wait_alu 0xfffe
	s_or_b32 exec_lo, exec_lo, s1
	v_add_nc_u32_e32 v81, s16, v33
	s_delay_alu instid0(VALU_DEP_1)
	v_cmp_gt_i32_e64 s1, s6, v81
	s_and_b32 s19, s8, s1
	s_wait_alu 0xfffe
	s_and_saveexec_b32 s1, s19
	s_cbranch_execz .LBB198_10
; %bb.9:                                ;   in Loop: Header=BB198_5 Depth=1
	v_add_nc_u32_e32 v20, v67, v81
	s_delay_alu instid0(VALU_DEP_1)
	v_mad_co_i64_i32 v[20:21], null, v20, 36, s[2:3]
	global_load_b32 v20, v[20:21], off
	s_wait_loadcnt 0x0
	ds_store_b32 v64, v20
.LBB198_10:                             ;   in Loop: Header=BB198_5 Depth=1
	s_wait_alu 0xfffe
	s_or_b32 exec_lo, exec_lo, s1
	v_dual_mov_b32 v82, v61 :: v_dual_mov_b32 v83, v62
	v_dual_mov_b32 v84, v71 :: v_dual_mov_b32 v85, v70
	;; [unrolled: 1-line block ×3, first 2 shown]
	v_mov_b32_e32 v88, v65
	s_mov_b32 s1, -4
	s_wait_dscnt 0x0
	s_barrier_signal -1
	s_barrier_wait -1
	global_inv scope:SCOPE_SE
.LBB198_11:                             ;   Parent Loop BB198_5 Depth=1
                                        ; =>  This Inner Loop Header: Depth=2
	ds_load_2addr_b32 v[20:21], v82 offset0:4 offset1:7
	ds_load_2addr_b32 v[28:29], v88 offset1:1
	ds_load_2addr_b32 v[22:23], v82 offset1:3
	ds_load_2addr_b32 v[26:27], v82 offset0:1 offset1:2
	ds_load_2addr_b32 v[24:25], v82 offset0:5 offset1:6
	;; [unrolled: 1-line block ×3, first 2 shown]
	ds_load_b32 v89, v87
	ds_load_b32 v103, v83
	;; [unrolled: 1-line block ×5, first 2 shown]
	v_add_nc_u32_e32 v90, 0x1080, v88
	v_add_nc_u32_e32 v91, 0x1088, v88
	;; [unrolled: 1-line block ×6, first 2 shown]
	ds_load_2addr_b32 v[95:96], v90 offset1:1
	ds_load_2addr_b32 v[90:91], v91 offset1:1
	;; [unrolled: 1-line block ×6, first 2 shown]
	v_add_nc_u32_e32 v88, 16, v88
	v_add_nc_u32_e32 v86, 4, v86
	;; [unrolled: 1-line block ×5, first 2 shown]
	s_wait_alu 0xfffe
	s_add_co_i32 s1, s1, 4
	s_wait_dscnt 0x10
	v_lshrrev_b16 v94, 8, v20
	s_wait_dscnt 0xf
	v_and_b32_e32 v108, 15, v28
	s_wait_dscnt 0xe
	v_lshrrev_b16 v135, 8, v22
	v_ashrrev_i32_e32 v136, 24, v22
	v_bfe_i32 v137, v22, 16, 8
	v_bfe_i32 v22, v22, 0, 8
	v_bfe_u32 v109, v28, 8, 4
	v_bfe_u32 v110, v28, 16, 4
	v_bfe_u32 v111, v28, 24, 4
	v_ashrrev_i32_e32 v138, 24, v20
	v_bfe_i32 v139, v20, 16, 8
	v_bfe_i32 v20, v20, 0, 8
	s_wait_dscnt 0x5
	v_and_b32_e32 v160, 15, v95
	v_bfe_u32 v162, v95, 16, 4
	v_bfe_u32 v163, v95, 24, 4
	s_wait_dscnt 0x3
	v_and_b32_e32 v188, 15, v97
	v_bfe_i32 v135, v135, 0, 8
	v_mul_i32_i24_e32 v108, v22, v108
	s_wait_dscnt 0x1
	v_bfe_u32 v215, v99, 4, 4
	v_bfe_u32 v217, v99, 20, 4
	v_lshrrev_b32_e32 v219, 28, v99
	v_bfe_u32 v161, v95, 8, 4
	v_bfe_u32 v189, v97, 8, 4
	v_bfe_u32 v190, v97, 16, 4
	v_bfe_u32 v191, v97, 24, 4
	v_mul_i32_i24_e32 v110, v137, v110
	v_mul_i32_i24_e32 v111, v136, v111
	v_bfe_u32 v220, v99, 24, 4
	v_mad_i32_i24 v108, v135, v109, v108
	v_mul_i32_i24_e32 v109, v22, v160
	v_mul_i32_i24_e32 v160, v137, v162
	;; [unrolled: 1-line block ×7, first 2 shown]
	v_bfe_u32 v112, v28, 4, 4
	v_bfe_u32 v113, v28, 12, 4
	;; [unrolled: 1-line block ×6, first 2 shown]
	v_bfe_i32 v94, v94, 0, 8
	v_mul_i32_i24_e32 v190, v137, v190
	v_mul_i32_i24_e32 v191, v136, v191
	v_add3_u32 v108, v108, v110, v111
	v_mad_i32_i24 v109, v135, v161, v109
	v_mad_i32_i24 v111, v220, v136, v217
	;; [unrolled: 1-line block ×3, first 2 shown]
	v_bfe_u32 v107, v28, 20, 4
	v_lshrrev_b32_e32 v28, 28, v28
	v_bfe_u32 v159, v95, 20, 4
	v_lshrrev_b32_e32 v95, 28, v95
	;; [unrolled: 2-line block ×3, first 2 shown]
	v_mul_i32_i24_e32 v112, v20, v112
	v_mul_i32_i24_e32 v113, v94, v113
	;; [unrolled: 1-line block ×6, first 2 shown]
	v_add3_u32 v109, v109, v160, v162
	v_add3_u32 v136, v136, v190, v191
	v_and_b32_e32 v115, 15, v29
	v_bfe_u32 v116, v29, 8, 4
	v_ashrrev_i32_e32 v140, 24, v26
	v_bfe_i32 v141, v26, 16, 8
	v_bfe_i32 v142, v26, 8, 8
	;; [unrolled: 1-line block ×3, first 2 shown]
	v_and_b32_e32 v167, 15, v96
	v_bfe_u32 v168, v96, 8, 4
	v_and_b32_e32 v195, 15, v98
	v_bfe_u32 v196, v98, 8, 4
	v_mul_i32_i24_e32 v107, v139, v107
	v_mul_i32_i24_e32 v28, v138, v28
	;; [unrolled: 1-line block ×6, first 2 shown]
	v_add3_u32 v108, v108, v113, v112
	v_add3_u32 v109, v109, v165, v164
	;; [unrolled: 1-line block ×3, first 2 shown]
	v_bfe_u32 v117, v29, 16, 4
	v_bfe_u32 v118, v29, 24, 4
	;; [unrolled: 1-line block ×6, first 2 shown]
	v_mul_i32_i24_e32 v115, v26, v115
	v_mul_i32_i24_e32 v116, v142, v116
	;; [unrolled: 1-line block ×6, first 2 shown]
	v_add3_u32 v28, v108, v107, v28
	v_add3_u32 v95, v109, v159, v95
	;; [unrolled: 1-line block ×3, first 2 shown]
	v_bfe_u32 v119, v29, 4, 4
	v_bfe_u32 v120, v29, 12, 4
	v_ashrrev_i32_e32 v143, 24, v24
	v_bfe_i32 v144, v24, 16, 8
	v_bfe_i32 v145, v24, 8, 8
	;; [unrolled: 1-line block ×3, first 2 shown]
	v_bfe_u32 v171, v96, 4, 4
	v_bfe_u32 v172, v96, 12, 4
	;; [unrolled: 1-line block ×4, first 2 shown]
	v_mul_i32_i24_e32 v117, v141, v117
	v_mul_i32_i24_e32 v118, v140, v118
	;; [unrolled: 1-line block ×6, first 2 shown]
	v_add3_u32 v28, v28, v116, v115
	v_add3_u32 v95, v95, v168, v138
	;; [unrolled: 1-line block ×3, first 2 shown]
	v_bfe_u32 v114, v29, 20, 4
	v_lshrrev_b32_e32 v29, 28, v29
	v_bfe_u32 v166, v96, 20, 4
	v_lshrrev_b32_e32 v96, 28, v96
	;; [unrolled: 2-line block ×3, first 2 shown]
	v_and_b32_e32 v216, 15, v99
	v_bfe_u32 v222, v100, 24, 4
	v_and_b32_e32 v223, 0xf0f0f0f, v100
	v_lshrrev_b32_e32 v224, 4, v100
	v_lshrrev_b32_e32 v225, 28, v100
	v_bfe_u32 v226, v100, 16, 4
	v_and_b32_e32 v227, 15, v100
	v_bfe_u32 v228, v100, 20, 4
	v_bfe_u32 v100, v100, 4, 4
	v_mul_i32_i24_e32 v119, v24, v119
	v_mul_i32_i24_e32 v120, v145, v120
	;; [unrolled: 1-line block ×6, first 2 shown]
	v_add3_u32 v28, v28, v117, v118
	v_add3_u32 v95, v95, v169, v170
	;; [unrolled: 1-line block ×3, first 2 shown]
	v_and_b32_e32 v122, 15, v30
	v_bfe_u32 v123, v30, 8, 4
	v_ashrrev_i32_e32 v146, 24, v27
	v_bfe_i32 v147, v27, 16, 8
	v_bfe_i32 v148, v27, 8, 8
	;; [unrolled: 1-line block ×3, first 2 shown]
	v_and_b32_e32 v174, 15, v90
	v_bfe_u32 v175, v90, 8, 4
	v_and_b32_e32 v202, 15, v92
	v_bfe_u32 v203, v92, 8, 4
	v_bfe_u32 v218, v99, 16, 4
	v_and_b32_e32 v221, 0xf0f0f0f, v99
	v_lshrrev_b32_e32 v99, 4, v99
	v_mul_i32_i24_e32 v114, v144, v114
	v_mul_i32_i24_e32 v29, v143, v29
	;; [unrolled: 1-line block ×8, first 2 shown]
	v_mad_i32_i24 v22, v216, v22, v163
	v_add3_u32 v28, v28, v119, v120
	v_add3_u32 v95, v95, v171, v172
	;; [unrolled: 1-line block ×3, first 2 shown]
	v_bfe_u32 v124, v30, 16, 4
	v_bfe_u32 v125, v30, 24, 4
	;; [unrolled: 1-line block ×4, first 2 shown]
	v_ashrrev_i32_e32 v149, 24, v25
	v_bfe_i32 v150, v25, 16, 8
	v_bfe_i32 v151, v25, 8, 8
	v_bfe_i32 v25, v25, 0, 8
	v_ashrrev_i32_e32 v152, 24, v23
	v_bfe_i32 v153, v23, 16, 8
	v_bfe_i32 v154, v23, 8, 8
	v_bfe_i32 v23, v23, 0, 8
	;; [unrolled: 4-line block ×3, first 2 shown]
	v_bfe_u32 v173, v90, 20, 4
	v_bfe_u32 v176, v90, 16, 4
	;; [unrolled: 1-line block ×11, first 2 shown]
	v_and_b32_e32 v209, 15, v93
	v_bfe_u32 v213, v93, 4, 4
	s_wait_dscnt 0x0
	v_bfe_u32 v229, v101, 24, 4
	v_and_b32_e32 v230, 0xf0f0f0f, v101
	v_lshrrev_b32_e32 v231, 4, v101
	v_lshrrev_b32_e32 v232, 28, v101
	v_bfe_u32 v233, v101, 16, 4
	v_and_b32_e32 v234, 15, v101
	v_bfe_u32 v235, v101, 20, 4
	v_bfe_u32 v101, v101, 4, 4
	;; [unrolled: 1-line block ×3, first 2 shown]
	v_and_b32_e32 v237, 0xf0f0f0f, v102
	v_lshrrev_b32_e32 v238, 4, v102
	v_lshrrev_b32_e32 v239, 28, v102
	v_bfe_u32 v240, v102, 16, 4
	v_and_b32_e32 v241, 15, v102
	v_bfe_u32 v242, v102, 20, 4
	v_bfe_u32 v102, v102, 4, 4
	v_mul_i32_i24_e32 v122, v27, v122
	v_mul_i32_i24_e32 v123, v148, v123
	;; [unrolled: 1-line block ×4, first 2 shown]
	v_lshrrev_b16 v99, 8, v99
	v_mul_i32_i24_e32 v175, v148, v175
	v_mul_i32_i24_e32 v203, v148, v203
	v_add3_u32 v22, v22, v26, v24
	v_add3_u32 v24, v28, v114, v29
	;; [unrolled: 1-line block ×4, first 2 shown]
	v_bfe_u32 v127, v30, 12, 4
	v_bfe_u32 v179, v90, 12, 4
	v_bfe_u32 v207, v92, 12, 4
	v_bfe_u32 v211, v93, 16, 4
	v_bfe_u32 v212, v93, 24, 4
	v_mul_i32_i24_e32 v124, v147, v124
	v_mul_i32_i24_e32 v125, v146, v125
	;; [unrolled: 1-line block ×19, first 2 shown]
	v_lshrrev_b16 v206, 8, v221
	v_lshrrev_b16 v208, 8, v223
	;; [unrolled: 1-line block ×3, first 2 shown]
	v_and_b32_e32 v99, 15, v99
	v_add3_u32 v24, v24, v123, v122
	v_add3_u32 v26, v26, v175, v174
	;; [unrolled: 1-line block ×3, first 2 shown]
	v_bfe_u32 v121, v30, 20, 4
	v_lshrrev_b32_e32 v30, 28, v30
	v_lshrrev_b32_e32 v90, 28, v90
	;; [unrolled: 1-line block ×3, first 2 shown]
	v_mul_i32_i24_e32 v127, v151, v127
	v_mul_i32_i24_e32 v27, v27, v234
	;; [unrolled: 1-line block ×4, first 2 shown]
	v_lshrrev_b16 v211, 8, v230
	v_lshrrev_b16 v212, 8, v231
	v_mul_i32_i24_e32 v179, v151, v179
	v_mul_i32_i24_e32 v207, v151, v207
	v_mad_i32_i24 v110, v218, v137, v215
	v_and_b32_e32 v137, 0xffff, v206
	v_and_b32_e32 v161, 15, v209
	;; [unrolled: 1-line block ×4, first 2 shown]
	v_add3_u32 v24, v24, v124, v125
	v_add3_u32 v26, v26, v176, v177
	;; [unrolled: 1-line block ×3, first 2 shown]
	v_and_b32_e32 v129, 15, v31
	v_bfe_u32 v130, v31, 8, 4
	v_and_b32_e32 v181, 15, v91
	v_bfe_u32 v182, v91, 8, 4
	v_bfe_u32 v210, v93, 8, 4
	v_mul_i32_i24_e32 v121, v150, v121
	v_mul_i32_i24_e32 v30, v149, v30
	;; [unrolled: 1-line block ×6, first 2 shown]
	v_lshrrev_b16 v213, 8, v237
	v_lshrrev_b16 v219, 8, v238
	v_and_b32_e32 v188, 15, v212
	v_and_b32_e32 v189, 0xffff, v211
	v_mul_i32_i24_e32 v112, v137, v135
	v_mul_i32_i24_e32 v113, v142, v163
	v_and_b32_e32 v97, 0xffff, v161
	v_mul_i32_i24_e32 v28, v99, v94
	v_add3_u32 v22, v22, v27, v25
	v_add3_u32 v24, v24, v126, v127
	;; [unrolled: 1-line block ×4, first 2 shown]
	v_bfe_u32 v128, v31, 20, 4
	v_bfe_u32 v131, v31, 16, 4
	;; [unrolled: 1-line block ×4, first 2 shown]
	v_lshrrev_b32_e32 v31, 28, v31
	v_bfe_u32 v183, v91, 16, 4
	v_bfe_u32 v184, v91, 24, 4
	;; [unrolled: 1-line block ×3, first 2 shown]
	v_lshrrev_b32_e32 v91, 28, v91
	v_bfe_u32 v214, v93, 12, 4
	v_lshrrev_b32_e32 v93, 28, v93
	v_mul_i32_i24_e32 v129, v23, v129
	v_mul_i32_i24_e32 v130, v154, v130
	;; [unrolled: 1-line block ×9, first 2 shown]
	v_and_b32_e32 v206, 15, v219
	v_and_b32_e32 v160, 0xffff, v213
	v_mul_i32_i24_e32 v107, v148, v189
	v_and_b32_e32 v108, 0xffff, v188
	v_add3_u32 v111, v111, v140, v143
	v_mul_i32_i24_e32 v29, v145, v97
	v_add3_u32 v27, v112, v28, v113
	v_add3_u32 v24, v24, v121, v30
	;; [unrolled: 1-line block ×4, first 2 shown]
	v_mul_i32_i24_e32 v131, v153, v131
	v_mul_i32_i24_e32 v132, v152, v132
	;; [unrolled: 1-line block ×12, first 2 shown]
	v_and_b32_e32 v115, 0xffff, v206
	v_add3_u32 v110, v110, v141, v144
	v_mul_i32_i24_e32 v94, v151, v108
	v_add3_u32 v96, v111, v146, v149
	v_add3_u32 v27, v27, v29, v107
	;; [unrolled: 1-line block ×5, first 2 shown]
	v_mul_i32_i24_e32 v128, v156, v128
	v_mul_i32_i24_e32 v134, v157, v134
	;; [unrolled: 1-line block ×8, first 2 shown]
	v_add3_u32 v26, v110, v147, v150
	v_add3_u32 v28, v96, v152, v155
	;; [unrolled: 1-line block ×6, first 2 shown]
	v_lshrrev_b32_e32 v158, 16, v103
	v_add3_u32 v26, v26, v153, v156
	v_add3_u32 v21, v22, v23, v21
	;; [unrolled: 1-line block ×6, first 2 shown]
	v_cvt_f32_f16_e64 v25, v158
	v_add3_u32 v21, v21, v26, v22
	v_add3_u32 v22, v23, v128, v31
	;; [unrolled: 1-line block ×4, first 2 shown]
	v_dual_mul_f32 v24, 0xc1000000, v25 :: v_dual_add_nc_u32 v87, 4, v87
	v_cvt_f32_i32_e32 v21, v21
	v_cvt_f32_i32_e32 v22, v22
	v_cvt_f32_i32_e32 v23, v23
	v_cvt_f32_i32_e32 v20, v20
	s_wait_alu 0xfffe
	s_cmp_lt_u32 s1, 12
	v_fma_mix_f32 v21, v103, v21, v24 op_sel_hi:[1,0,0]
	v_fma_mix_f32 v22, v103, v22, v24 op_sel_hi:[1,0,0]
	;; [unrolled: 1-line block ×4, first 2 shown]
	v_add_nc_u32_e32 v85, 4, v85
	s_delay_alu instid0(VALU_DEP_4) | instskip(NEXT) | instid1(VALU_DEP_3)
	v_dual_fmac_f32 v15, v89, v21 :: v_dual_fmac_f32 v34, v104, v22
	v_dual_fmac_f32 v59, v105, v23 :: v_dual_fmac_f32 v56, v106, v20
	s_cbranch_scc1 .LBB198_11
; %bb.12:                               ;   in Loop: Header=BB198_5 Depth=1
	s_bitset1_b32 s18, 7
	s_wait_loadcnt 0x0
	s_wait_alu 0xfffe
	s_cmp_ge_i32 s18, s5
	s_barrier_signal -1
	s_barrier_wait -1
	global_inv scope:SCOPE_SE
	s_cbranch_scc1 .LBB198_4
; %bb.13:                               ;   in Loop: Header=BB198_5 Depth=1
	v_add_nc_u32_e32 v20, s16, v66
	s_delay_alu instid0(VALU_DEP_1)
	v_cmp_gt_i32_e64 s1, s6, v20
	s_and_b32 s18, s0, s1
	s_wait_alu 0xfffe
	s_and_saveexec_b32 s1, s18
	s_cbranch_execz .LBB198_15
; %bb.14:                               ;   in Loop: Header=BB198_5 Depth=1
	v_add_nc_u32_e32 v20, v67, v20
	s_delay_alu instid0(VALU_DEP_1)
	v_mad_co_i64_i32 v[20:21], null, v20, 36, v[18:19]
	global_load_b32 v20, v[20:21], off offset:4
	s_wait_loadcnt 0x0
	ds_store_b32 v63, v20
.LBB198_15:                             ;   in Loop: Header=BB198_5 Depth=1
	s_wait_alu 0xfffe
	s_or_b32 exec_lo, exec_lo, s1
	s_and_saveexec_b32 s18, vcc_lo
	s_cbranch_execz .LBB198_18
; %bb.16:                               ;   in Loop: Header=BB198_5 Depth=1
	v_or_b32_e32 v20, 4, v81
	s_delay_alu instid0(VALU_DEP_1)
	v_cmp_gt_i32_e64 s1, s6, v20
	s_and_b32 s1, s0, s1
	s_wait_alu 0xfffe
	s_and_b32 exec_lo, exec_lo, s1
	s_cbranch_execz .LBB198_18
; %bb.17:                               ;   in Loop: Header=BB198_5 Depth=1
	v_ashrrev_i32_e32 v20, 31, v81
	v_add_co_u32 v21, s1, v67, v81
	s_wait_alu 0xf1ff
	s_delay_alu instid0(VALU_DEP_2) | instskip(NEXT) | instid1(VALU_DEP_2)
	v_add_co_ci_u32_e64 v22, null, v0, v20, s1
	v_mad_co_u64_u32 v[20:21], null, v21, 36, s[2:3]
	s_delay_alu instid0(VALU_DEP_1)
	v_mad_i32_i24 v21, v22, 36, v21
	global_load_b32 v20, v[20:21], off offset:144
	s_wait_loadcnt 0x0
	ds_store_b32 v64, v20
.LBB198_18:                             ;   in Loop: Header=BB198_5 Depth=1
	s_wait_alu 0xfffe
	s_or_b32 exec_lo, exec_lo, s18
	v_dual_mov_b32 v20, v62 :: v_dual_mov_b32 v21, v61
	v_dual_mov_b32 v22, v76 :: v_dual_mov_b32 v23, v75
	;; [unrolled: 1-line block ×3, first 2 shown]
	v_mov_b32_e32 v26, v72
	s_mov_b32 s1, 12
	s_wait_loadcnt_dscnt 0x0
	s_barrier_signal -1
	s_barrier_wait -1
	global_inv scope:SCOPE_SE
.LBB198_19:                             ;   Parent Loop BB198_5 Depth=1
                                        ; =>  This Inner Loop Header: Depth=2
	ds_load_2addr_b32 v[81:82], v21 offset1:3
	ds_load_2addr_b32 v[83:84], v21 offset0:4 offset1:7
	ds_load_2addr_b32 v[85:86], v21 offset0:1 offset1:2
	ds_load_b32 v27, v20
	ds_load_2addr_b32 v[87:88], v26 offset1:1
	ds_load_2addr_b32 v[89:90], v26 offset0:2 offset1:3
	ds_load_2addr_b32 v[91:92], v21 offset0:5 offset1:6
	ds_load_b32 v28, v22
	ds_load_b32 v29, v23
	;; [unrolled: 1-line block ×4, first 2 shown]
	v_add_nc_u32_e32 v93, 0x1080, v26
	v_add_nc_u32_e32 v95, 0x1088, v26
	;; [unrolled: 1-line block ×6, first 2 shown]
	ds_load_2addr_b32 v[93:94], v93 offset1:1
	ds_load_2addr_b32 v[95:96], v95 offset1:1
	;; [unrolled: 1-line block ×6, first 2 shown]
	v_add_nc_u32_e32 v23, 4, v23
	v_add_nc_u32_e32 v21, 32, v21
	;; [unrolled: 1-line block ×3, first 2 shown]
	s_wait_alu 0xfffe
	s_add_co_i32 s1, s1, 4
	s_wait_alu 0xfffe
	s_cmp_lt_u32 s1, 28
	s_wait_dscnt 0x10
	v_lshrrev_b16 v135, 8, v81
	v_ashrrev_i32_e32 v136, 24, v81
	v_bfe_i32 v137, v81, 16, 8
	v_bfe_i32 v81, v81, 0, 8
	s_wait_dscnt 0xc
	v_and_b32_e32 v108, 15, v87
	v_bfe_u32 v109, v87, 8, 4
	v_bfe_u32 v110, v87, 16, 4
	;; [unrolled: 1-line block ×3, first 2 shown]
	s_wait_dscnt 0x5
	v_and_b32_e32 v159, 15, v93
	v_bfe_u32 v161, v93, 16, 4
	v_bfe_u32 v162, v93, 24, 4
	s_wait_dscnt 0x3
	v_and_b32_e32 v187, 15, v97
	v_bfe_i32 v135, v135, 0, 8
	v_mul_i32_i24_e32 v108, v81, v108
	v_lshrrev_b16 v105, 8, v83
	v_bfe_u32 v112, v87, 4, 4
	v_ashrrev_i32_e32 v138, 24, v83
	v_bfe_i32 v139, v83, 16, 8
	v_bfe_i32 v83, v83, 0, 8
	v_bfe_u32 v160, v93, 8, 4
	v_bfe_u32 v163, v93, 4, 4
	;; [unrolled: 1-line block ×6, first 2 shown]
	s_wait_dscnt 0x1
	v_bfe_u32 v214, v101, 24, 4
	v_and_b32_e32 v215, 0xf0f0f0f, v101
	v_lshrrev_b32_e32 v216, 4, v101
	v_lshrrev_b32_e32 v217, 28, v101
	v_mul_i32_i24_e32 v110, v137, v110
	v_mul_i32_i24_e32 v111, v136, v111
	v_bfe_u32 v218, v101, 16, 4
	v_and_b32_e32 v219, 15, v101
	v_bfe_u32 v220, v101, 20, 4
	v_bfe_u32 v101, v101, 4, 4
	v_mad_i32_i24 v108, v135, v109, v108
	v_mul_i32_i24_e32 v109, v81, v159
	v_mul_i32_i24_e32 v159, v137, v161
	;; [unrolled: 1-line block ×4, first 2 shown]
	v_bfe_u32 v113, v87, 12, 4
	v_bfe_u32 v164, v93, 12, 4
	;; [unrolled: 1-line block ×3, first 2 shown]
	v_bfe_i32 v105, v105, 0, 8
	v_mul_i32_i24_e32 v112, v83, v112
	v_mul_i32_i24_e32 v187, v137, v189
	;; [unrolled: 1-line block ×7, first 2 shown]
	v_add3_u32 v108, v108, v110, v111
	v_mad_i32_i24 v109, v135, v160, v109
	v_mad_i32_i24 v110, v135, v188, v162
	v_bfe_u32 v107, v87, 20, 4
	v_lshrrev_b32_e32 v87, 28, v87
	v_bfe_u32 v158, v93, 20, 4
	v_lshrrev_b32_e32 v93, 28, v93
	;; [unrolled: 2-line block ×3, first 2 shown]
	v_mul_i32_i24_e32 v113, v105, v113
	v_mul_i32_i24_e32 v164, v105, v164
	;; [unrolled: 1-line block ×3, first 2 shown]
	v_mad_i32_i24 v81, v219, v81, v83
	v_mad_i32_i24 v83, v218, v137, v101
	v_add3_u32 v101, v109, v159, v161
	v_add3_u32 v109, v110, v187, v189
	v_and_b32_e32 v115, 15, v88
	v_bfe_u32 v116, v88, 8, 4
	v_ashrrev_i32_e32 v140, 24, v85
	v_bfe_i32 v141, v85, 16, 8
	v_bfe_i32 v142, v85, 8, 8
	;; [unrolled: 1-line block ×3, first 2 shown]
	v_and_b32_e32 v166, 15, v94
	v_bfe_u32 v167, v94, 8, 4
	v_and_b32_e32 v194, 15, v98
	v_bfe_u32 v195, v98, 8, 4
	v_mul_i32_i24_e32 v107, v139, v107
	v_mul_i32_i24_e32 v87, v138, v87
	;; [unrolled: 1-line block ×6, first 2 shown]
	v_add3_u32 v108, v108, v113, v112
	v_add3_u32 v101, v101, v164, v163
	;; [unrolled: 1-line block ×3, first 2 shown]
	v_bfe_u32 v117, v88, 16, 4
	v_bfe_u32 v118, v88, 24, 4
	;; [unrolled: 1-line block ×6, first 2 shown]
	v_mul_i32_i24_e32 v115, v85, v115
	v_mul_i32_i24_e32 v116, v142, v116
	;; [unrolled: 1-line block ×6, first 2 shown]
	v_add3_u32 v87, v108, v107, v87
	v_add3_u32 v93, v101, v158, v93
	;; [unrolled: 1-line block ×3, first 2 shown]
	v_bfe_u32 v119, v88, 4, 4
	v_bfe_u32 v120, v88, 12, 4
	v_ashrrev_i32_e32 v143, 24, v91
	v_bfe_i32 v144, v91, 16, 8
	v_bfe_i32 v145, v91, 8, 8
	;; [unrolled: 1-line block ×3, first 2 shown]
	v_bfe_u32 v170, v94, 4, 4
	v_bfe_u32 v171, v94, 12, 4
	;; [unrolled: 1-line block ×4, first 2 shown]
	v_mul_i32_i24_e32 v117, v141, v117
	v_mul_i32_i24_e32 v118, v140, v118
	;; [unrolled: 1-line block ×6, first 2 shown]
	v_add3_u32 v87, v87, v116, v115
	v_add3_u32 v93, v93, v167, v166
	;; [unrolled: 1-line block ×3, first 2 shown]
	v_bfe_u32 v114, v88, 20, 4
	v_lshrrev_b32_e32 v88, 28, v88
	v_bfe_u32 v165, v94, 20, 4
	v_lshrrev_b32_e32 v94, 28, v94
	;; [unrolled: 2-line block ×3, first 2 shown]
	v_bfe_u32 v221, v102, 24, 4
	v_and_b32_e32 v222, 0xf0f0f0f, v102
	v_lshrrev_b32_e32 v223, 4, v102
	v_lshrrev_b32_e32 v224, 28, v102
	v_bfe_u32 v225, v102, 16, 4
	v_and_b32_e32 v226, 15, v102
	v_mul_i32_i24_e32 v119, v91, v119
	v_mul_i32_i24_e32 v120, v145, v120
	v_bfe_u32 v227, v102, 20, 4
	v_bfe_u32 v102, v102, 4, 4
	v_mul_i32_i24_e32 v170, v91, v170
	v_mul_i32_i24_e32 v171, v145, v171
	;; [unrolled: 1-line block ×4, first 2 shown]
	v_add3_u32 v87, v87, v117, v118
	v_add3_u32 v93, v93, v168, v169
	;; [unrolled: 1-line block ×3, first 2 shown]
	v_and_b32_e32 v122, 15, v89
	v_bfe_u32 v123, v89, 8, 4
	v_ashrrev_i32_e32 v146, 24, v86
	v_bfe_i32 v147, v86, 16, 8
	v_bfe_i32 v148, v86, 8, 8
	;; [unrolled: 1-line block ×3, first 2 shown]
	v_and_b32_e32 v173, 15, v95
	v_bfe_u32 v174, v95, 8, 4
	v_and_b32_e32 v201, 15, v99
	v_bfe_u32 v202, v99, 8, 4
	v_mul_i32_i24_e32 v114, v144, v114
	v_mul_i32_i24_e32 v88, v143, v88
	v_mul_i32_i24_e32 v85, v85, v226
	v_mul_i32_i24_e32 v165, v144, v165
	v_mul_i32_i24_e32 v94, v143, v94
	v_mul_i32_i24_e32 v193, v144, v193
	v_mul_i32_i24_e32 v98, v143, v98
	v_mul_i32_i24_e32 v91, v91, v102
	v_add3_u32 v87, v87, v119, v120
	v_add3_u32 v93, v93, v170, v171
	;; [unrolled: 1-line block ×3, first 2 shown]
	v_bfe_u32 v124, v89, 16, 4
	v_bfe_u32 v125, v89, 24, 4
	;; [unrolled: 1-line block ×4, first 2 shown]
	v_ashrrev_i32_e32 v155, 24, v84
	v_bfe_i32 v156, v84, 16, 8
	v_bfe_i32 v157, v84, 8, 8
	;; [unrolled: 1-line block ×3, first 2 shown]
	v_bfe_u32 v175, v95, 16, 4
	v_bfe_u32 v176, v95, 24, 4
	;; [unrolled: 1-line block ×8, first 2 shown]
	v_mul_i32_i24_e32 v122, v86, v122
	v_mul_i32_i24_e32 v123, v148, v123
	s_wait_dscnt 0x0
	v_bfe_u32 v235, v104, 24, 4
	v_and_b32_e32 v236, 0xf0f0f0f, v104
	v_lshrrev_b32_e32 v237, 4, v104
	v_lshrrev_b32_e32 v238, 28, v104
	v_bfe_u32 v239, v104, 16, 4
	v_and_b32_e32 v240, 15, v104
	v_bfe_u32 v241, v104, 20, 4
	v_bfe_u32 v104, v104, 4, 4
	v_lshrrev_b16 v216, 8, v216
	v_mul_i32_i24_e32 v173, v86, v173
	v_mul_i32_i24_e32 v174, v148, v174
	;; [unrolled: 1-line block ×4, first 2 shown]
	v_add3_u32 v81, v81, v85, v91
	v_add3_u32 v85, v87, v114, v88
	;; [unrolled: 1-line block ×4, first 2 shown]
	v_bfe_u32 v126, v89, 4, 4
	v_bfe_u32 v127, v89, 12, 4
	v_ashrrev_i32_e32 v149, 24, v92
	v_bfe_i32 v150, v92, 16, 8
	v_bfe_i32 v151, v92, 8, 8
	;; [unrolled: 1-line block ×3, first 2 shown]
	v_bfe_u32 v177, v95, 4, 4
	v_bfe_u32 v178, v95, 12, 4
	;; [unrolled: 1-line block ×5, first 2 shown]
	v_and_b32_e32 v229, 0xf0f0f0f, v103
	v_lshrrev_b32_e32 v230, 4, v103
	v_lshrrev_b32_e32 v231, 28, v103
	v_mul_i32_i24_e32 v124, v147, v124
	v_mul_i32_i24_e32 v125, v146, v125
	v_bfe_u32 v232, v103, 16, 4
	v_and_b32_e32 v233, 15, v103
	v_bfe_u32 v234, v103, 20, 4
	v_bfe_u32 v103, v103, 4, 4
	v_mul_i32_i24_e32 v133, v84, v133
	v_mul_i32_i24_e32 v128, v156, v128
	v_lshrrev_b16 v215, 8, v215
	v_lshrrev_b16 v139, 8, v222
	;; [unrolled: 1-line block ×3, first 2 shown]
	v_mul_i32_i24_e32 v175, v147, v175
	v_mul_i32_i24_e32 v176, v146, v176
	;; [unrolled: 1-line block ×10, first 2 shown]
	v_and_b32_e32 v156, 15, v216
	v_add3_u32 v85, v85, v123, v122
	v_add3_u32 v87, v87, v174, v173
	;; [unrolled: 1-line block ×3, first 2 shown]
	v_bfe_u32 v121, v89, 20, 4
	v_lshrrev_b32_e32 v89, 28, v89
	v_bfe_u32 v172, v95, 20, 4
	v_lshrrev_b32_e32 v95, 28, v95
	;; [unrolled: 2-line block ×3, first 2 shown]
	v_mul_i32_i24_e32 v126, v92, v126
	v_mul_i32_i24_e32 v127, v151, v127
	;; [unrolled: 1-line block ×4, first 2 shown]
	v_lshrrev_b16 v144, 8, v229
	v_lshrrev_b16 v217, 8, v230
	v_mul_i32_i24_e32 v86, v86, v233
	v_mul_i32_i24_e32 v177, v92, v177
	;; [unrolled: 1-line block ×6, first 2 shown]
	v_and_b32_e32 v111, 0xffff, v215
	v_and_b32_e32 v160, 15, v192
	;; [unrolled: 1-line block ×4, first 2 shown]
	v_add3_u32 v85, v85, v124, v125
	v_add3_u32 v87, v87, v175, v176
	;; [unrolled: 1-line block ×3, first 2 shown]
	v_and_b32_e32 v129, 15, v90
	v_bfe_u32 v130, v90, 8, 4
	v_ashrrev_i32_e32 v152, 24, v82
	v_bfe_i32 v153, v82, 16, 8
	v_bfe_i32 v154, v82, 8, 8
	v_bfe_i32 v82, v82, 0, 8
	v_and_b32_e32 v180, 15, v96
	v_bfe_u32 v181, v96, 8, 4
	v_and_b32_e32 v208, 15, v100
	v_bfe_u32 v209, v100, 8, 4
	v_mul_i32_i24_e32 v121, v150, v121
	v_mul_i32_i24_e32 v89, v149, v89
	v_mul_i32_i24_e32 v140, v140, v221
	v_mul_i32_i24_e32 v143, v143, v224
	v_mul_i32_i24_e32 v172, v150, v172
	v_mul_i32_i24_e32 v95, v149, v95
	v_mul_i32_i24_e32 v200, v150, v200
	v_mul_i32_i24_e32 v99, v149, v99
	v_mul_i32_i24_e32 v103, v150, v234
	v_lshrrev_b16 v150, 8, v236
	v_lshrrev_b16 v220, 8, v237
	v_and_b32_e32 v162, 15, v217
	v_and_b32_e32 v144, 0xffff, v144
	v_mad_i32_i24 v110, v214, v136, v138
	v_mul_i32_i24_e32 v111, v111, v135
	v_mul_i32_i24_e32 v113, v142, v139
	v_and_b32_e32 v101, 0xffff, v160
	v_mul_i32_i24_e32 v91, v112, v105
	v_add3_u32 v81, v81, v86, v92
	v_add3_u32 v85, v85, v126, v127
	;; [unrolled: 1-line block ×4, first 2 shown]
	v_bfe_u32 v131, v90, 16, 4
	v_bfe_u32 v132, v90, 24, 4
	v_bfe_u32 v134, v90, 12, 4
	v_lshrrev_b32_e32 v90, 28, v90
	v_bfe_u32 v182, v96, 16, 4
	v_bfe_u32 v183, v96, 24, 4
	v_bfe_u32 v185, v96, 12, 4
	v_lshrrev_b32_e32 v96, 28, v96
	v_bfe_u32 v210, v100, 16, 4
	v_bfe_u32 v211, v100, 24, 4
	v_bfe_u32 v213, v100, 12, 4
	v_lshrrev_b32_e32 v100, 28, v100
	v_mul_i32_i24_e32 v129, v82, v129
	v_mul_i32_i24_e32 v130, v154, v130
	;; [unrolled: 1-line block ×9, first 2 shown]
	v_and_b32_e32 v188, 15, v220
	v_and_b32_e32 v150, 0xffff, v150
	v_mul_i32_i24_e32 v107, v148, v144
	v_and_b32_e32 v108, 0xffff, v162
	v_add3_u32 v110, v110, v140, v143
	v_mul_i32_i24_e32 v93, v145, v101
	v_add3_u32 v88, v111, v91, v113
	v_add3_u32 v85, v85, v121, v89
	;; [unrolled: 1-line block ×4, first 2 shown]
	v_mul_i32_i24_e32 v131, v153, v131
	v_mul_i32_i24_e32 v132, v152, v132
	;; [unrolled: 1-line block ×13, first 2 shown]
	v_and_b32_e32 v115, 0xffff, v188
	v_add3_u32 v83, v83, v141, v102
	v_mul_i32_i24_e32 v94, v151, v108
	v_add3_u32 v98, v110, v146, v149
	v_add3_u32 v88, v88, v93, v107
	;; [unrolled: 1-line block ×5, first 2 shown]
	v_mul_i32_i24_e32 v134, v157, v134
	v_mul_i32_i24_e32 v82, v82, v240
	;; [unrolled: 1-line block ×6, first 2 shown]
	v_add3_u32 v83, v83, v147, v103
	v_add3_u32 v89, v98, v152, v155
	;; [unrolled: 1-line block ×6, first 2 shown]
	v_lshrrev_b32_e32 v106, 16, v27
	v_add3_u32 v83, v83, v153, v104
	v_add3_u32 v81, v81, v82, v84
	;; [unrolled: 1-line block ×6, first 2 shown]
	v_cvt_f32_f16_e32 v87, v106
	v_add3_u32 v81, v81, v83, v82
	v_add3_u32 v82, v84, v128, v90
	;; [unrolled: 1-line block ×4, first 2 shown]
	v_dual_mul_f32 v85, 0xc1000000, v87 :: v_dual_add_nc_u32 v26, 16, v26
	v_cvt_f32_i32_e32 v81, v81
	v_cvt_f32_i32_e32 v82, v82
	;; [unrolled: 1-line block ×4, first 2 shown]
	s_delay_alu instid0(VALU_DEP_4) | instskip(NEXT) | instid1(VALU_DEP_4)
	v_fma_mix_f32 v81, v27, v81, v85 op_sel_hi:[1,0,0]
	v_fma_mix_f32 v82, v27, v82, v85 op_sel_hi:[1,0,0]
	s_delay_alu instid0(VALU_DEP_4) | instskip(NEXT) | instid1(VALU_DEP_4)
	v_fma_mix_f32 v83, v27, v83, v85 op_sel_hi:[1,0,0]
	v_fma_mix_f32 v27, v27, v84, v85 op_sel_hi:[1,0,0]
	v_add_nc_u32_e32 v25, 4, v25
	v_dual_fmac_f32 v15, v31, v81 :: v_dual_add_nc_u32 v24, 4, v24
	s_delay_alu instid0(VALU_DEP_4)
	v_dual_fmac_f32 v59, v29, v83 :: v_dual_add_nc_u32 v22, 4, v22
	v_fmac_f32_e32 v34, v28, v82
	v_fmac_f32_e32 v56, v30, v27
	s_cbranch_scc1 .LBB198_19
; %bb.20:                               ;   in Loop: Header=BB198_5 Depth=1
	s_wait_loadcnt 0x0
	s_barrier_signal -1
	s_barrier_wait -1
	global_inv scope:SCOPE_SE
	s_branch .LBB198_4
.LBB198_21:
	s_mul_i32 s0, s10, s7
	s_wait_loadcnt 0x0
	s_wait_alu 0xfffe
	v_cmp_gt_i32_e32 vcc_lo, s0, v32
	s_and_saveexec_b32 s0, vcc_lo
	s_cbranch_execz .LBB198_30
; %bb.22:
	v_mul_lo_u32 v0, v32, s9
	v_add_nc_u32_e32 v1, s11, v33
	s_mov_b32 s0, exec_lo
	s_delay_alu instid0(VALU_DEP_1)
	v_cmpx_gt_u32_e64 s9, v1
	s_cbranch_execz .LBB198_24
; %bb.23:
	s_delay_alu instid0(VALU_DEP_3) | instskip(SKIP_1) | instid1(VALU_DEP_2)
	v_dual_mov_b32 v3, 0 :: v_dual_add_nc_u32 v2, v0, v1
	v_cvt_f16_f32_e32 v4, v34
	v_lshlrev_b64_e32 v[2:3], 1, v[2:3]
	s_delay_alu instid0(VALU_DEP_1) | instskip(SKIP_1) | instid1(VALU_DEP_2)
	v_add_co_u32 v2, vcc_lo, s12, v2
	s_wait_alu 0xfffd
	v_add_co_ci_u32_e64 v3, null, s13, v3, vcc_lo
	global_store_b16 v[2:3], v4, off
.LBB198_24:
	s_wait_alu 0xfffe
	s_or_b32 exec_lo, exec_lo, s0
	v_add_nc_u32_e32 v2, 32, v1
	s_mov_b32 s0, exec_lo
	s_delay_alu instid0(VALU_DEP_1)
	v_cmpx_gt_u32_e64 s9, v2
	s_cbranch_execz .LBB198_26
; %bb.25:
	v_dual_mov_b32 v3, 0 :: v_dual_add_nc_u32 v2, v0, v2
	v_cvt_f16_f32_e32 v4, v59
	s_delay_alu instid0(VALU_DEP_2) | instskip(NEXT) | instid1(VALU_DEP_1)
	v_lshlrev_b64_e32 v[2:3], 1, v[2:3]
	v_add_co_u32 v2, vcc_lo, s12, v2
	s_wait_alu 0xfffd
	s_delay_alu instid0(VALU_DEP_2)
	v_add_co_ci_u32_e64 v3, null, s13, v3, vcc_lo
	global_store_b16 v[2:3], v4, off
.LBB198_26:
	s_wait_alu 0xfffe
	s_or_b32 exec_lo, exec_lo, s0
	v_add_nc_u32_e32 v2, 64, v1
	s_mov_b32 s0, exec_lo
	s_delay_alu instid0(VALU_DEP_1)
	v_cmpx_gt_u32_e64 s9, v2
	s_cbranch_execz .LBB198_28
; %bb.27:
	v_dual_mov_b32 v3, 0 :: v_dual_add_nc_u32 v2, v0, v2
	v_cvt_f16_f32_e32 v4, v56
	s_delay_alu instid0(VALU_DEP_2) | instskip(NEXT) | instid1(VALU_DEP_1)
	v_lshlrev_b64_e32 v[2:3], 1, v[2:3]
	v_add_co_u32 v2, vcc_lo, s12, v2
	s_wait_alu 0xfffd
	s_delay_alu instid0(VALU_DEP_2)
	v_add_co_ci_u32_e64 v3, null, s13, v3, vcc_lo
	global_store_b16 v[2:3], v4, off
.LBB198_28:
	s_wait_alu 0xfffe
	s_or_b32 exec_lo, exec_lo, s0
	v_add_nc_u32_e32 v1, 0x60, v1
	s_delay_alu instid0(VALU_DEP_1)
	v_cmp_gt_u32_e32 vcc_lo, s9, v1
	s_and_b32 exec_lo, exec_lo, vcc_lo
	s_cbranch_execz .LBB198_30
; %bb.29:
	v_dual_mov_b32 v1, 0 :: v_dual_add_nc_u32 v0, v0, v1
	v_cvt_f16_f32_e32 v2, v15
	s_delay_alu instid0(VALU_DEP_2) | instskip(NEXT) | instid1(VALU_DEP_1)
	v_lshlrev_b64_e32 v[0:1], 1, v[0:1]
	v_add_co_u32 v0, vcc_lo, s12, v0
	s_wait_alu 0xfffd
	s_delay_alu instid0(VALU_DEP_2)
	v_add_co_ci_u32_e64 v1, null, s13, v1, vcc_lo
	global_store_b16 v[0:1], v2, off
.LBB198_30:
	s_nop 0
	s_sendmsg sendmsg(MSG_DEALLOC_VGPRS)
	s_endpgm
	.section	.rodata,"a",@progbits
	.p2align	6, 0x0
	.amdhsa_kernel _ZL8moe_q4_0IN3c104HalfELb1EEvPKvS3_PT_PKiS7_S7_iiiiiii
		.amdhsa_group_segment_fixed_size 22272
		.amdhsa_private_segment_fixed_size 0
		.amdhsa_kernarg_size 76
		.amdhsa_user_sgpr_count 2
		.amdhsa_user_sgpr_dispatch_ptr 0
		.amdhsa_user_sgpr_queue_ptr 0
		.amdhsa_user_sgpr_kernarg_segment_ptr 1
		.amdhsa_user_sgpr_dispatch_id 0
		.amdhsa_user_sgpr_private_segment_size 0
		.amdhsa_wavefront_size32 1
		.amdhsa_uses_dynamic_stack 0
		.amdhsa_enable_private_segment 0
		.amdhsa_system_sgpr_workgroup_id_x 1
		.amdhsa_system_sgpr_workgroup_id_y 1
		.amdhsa_system_sgpr_workgroup_id_z 0
		.amdhsa_system_sgpr_workgroup_info 0
		.amdhsa_system_vgpr_workitem_id 1
		.amdhsa_next_free_vgpr 243
		.amdhsa_next_free_sgpr 21
		.amdhsa_reserve_vcc 1
		.amdhsa_float_round_mode_32 0
		.amdhsa_float_round_mode_16_64 0
		.amdhsa_float_denorm_mode_32 3
		.amdhsa_float_denorm_mode_16_64 3
		.amdhsa_fp16_overflow 0
		.amdhsa_workgroup_processor_mode 1
		.amdhsa_memory_ordered 1
		.amdhsa_forward_progress 1
		.amdhsa_inst_pref_size 68
		.amdhsa_round_robin_scheduling 0
		.amdhsa_exception_fp_ieee_invalid_op 0
		.amdhsa_exception_fp_denorm_src 0
		.amdhsa_exception_fp_ieee_div_zero 0
		.amdhsa_exception_fp_ieee_overflow 0
		.amdhsa_exception_fp_ieee_underflow 0
		.amdhsa_exception_fp_ieee_inexact 0
		.amdhsa_exception_int_div_zero 0
	.end_amdhsa_kernel
	.section	.text._ZL8moe_q4_0IN3c104HalfELb1EEvPKvS3_PT_PKiS7_S7_iiiiiii,"axG",@progbits,_ZL8moe_q4_0IN3c104HalfELb1EEvPKvS3_PT_PKiS7_S7_iiiiiii,comdat
.Lfunc_end198:
	.size	_ZL8moe_q4_0IN3c104HalfELb1EEvPKvS3_PT_PKiS7_S7_iiiiiii, .Lfunc_end198-_ZL8moe_q4_0IN3c104HalfELb1EEvPKvS3_PT_PKiS7_S7_iiiiiii
                                        ; -- End function
	.set _ZL8moe_q4_0IN3c104HalfELb1EEvPKvS3_PT_PKiS7_S7_iiiiiii.num_vgpr, 243
	.set _ZL8moe_q4_0IN3c104HalfELb1EEvPKvS3_PT_PKiS7_S7_iiiiiii.num_agpr, 0
	.set _ZL8moe_q4_0IN3c104HalfELb1EEvPKvS3_PT_PKiS7_S7_iiiiiii.numbered_sgpr, 21
	.set _ZL8moe_q4_0IN3c104HalfELb1EEvPKvS3_PT_PKiS7_S7_iiiiiii.num_named_barrier, 0
	.set _ZL8moe_q4_0IN3c104HalfELb1EEvPKvS3_PT_PKiS7_S7_iiiiiii.private_seg_size, 0
	.set _ZL8moe_q4_0IN3c104HalfELb1EEvPKvS3_PT_PKiS7_S7_iiiiiii.uses_vcc, 1
	.set _ZL8moe_q4_0IN3c104HalfELb1EEvPKvS3_PT_PKiS7_S7_iiiiiii.uses_flat_scratch, 0
	.set _ZL8moe_q4_0IN3c104HalfELb1EEvPKvS3_PT_PKiS7_S7_iiiiiii.has_dyn_sized_stack, 0
	.set _ZL8moe_q4_0IN3c104HalfELb1EEvPKvS3_PT_PKiS7_S7_iiiiiii.has_recursion, 0
	.set _ZL8moe_q4_0IN3c104HalfELb1EEvPKvS3_PT_PKiS7_S7_iiiiiii.has_indirect_call, 0
	.section	.AMDGPU.csdata,"",@progbits
; Kernel info:
; codeLenInByte = 8656
; TotalNumSgprs: 23
; NumVgprs: 243
; ScratchSize: 0
; MemoryBound: 0
; FloatMode: 240
; IeeeMode: 1
; LDSByteSize: 22272 bytes/workgroup (compile time only)
; SGPRBlocks: 0
; VGPRBlocks: 30
; NumSGPRsForWavesPerEU: 23
; NumVGPRsForWavesPerEU: 243
; Occupancy: 5
; WaveLimiterHint : 1
; COMPUTE_PGM_RSRC2:SCRATCH_EN: 0
; COMPUTE_PGM_RSRC2:USER_SGPR: 2
; COMPUTE_PGM_RSRC2:TRAP_HANDLER: 0
; COMPUTE_PGM_RSRC2:TGID_X_EN: 1
; COMPUTE_PGM_RSRC2:TGID_Y_EN: 1
; COMPUTE_PGM_RSRC2:TGID_Z_EN: 0
; COMPUTE_PGM_RSRC2:TIDIG_COMP_CNT: 1
	.section	.text._ZL8moe_q4_1IN3c104HalfELb0EEvPKvS3_PT_PKiS7_S7_iiiiiii,"axG",@progbits,_ZL8moe_q4_1IN3c104HalfELb0EEvPKvS3_PT_PKiS7_S7_iiiiiii,comdat
	.globl	_ZL8moe_q4_1IN3c104HalfELb0EEvPKvS3_PT_PKiS7_S7_iiiiiii ; -- Begin function _ZL8moe_q4_1IN3c104HalfELb0EEvPKvS3_PT_PKiS7_S7_iiiiiii
	.p2align	8
	.type	_ZL8moe_q4_1IN3c104HalfELb0EEvPKvS3_PT_PKiS7_S7_iiiiiii,@function
_ZL8moe_q4_1IN3c104HalfELb0EEvPKvS3_PT_PKiS7_S7_iiiiiii: ; @_ZL8moe_q4_1IN3c104HalfELb0EEvPKvS3_PT_PKiS7_S7_iiiiiii
; %bb.0:
	s_load_b128 s[4:7], s[0:1], 0x18
	s_mov_b32 s2, ttmp7
	s_mov_b32 s3, 0
	s_delay_alu instid0(SALU_CYCLE_1)
	s_lshl_b64 s[2:3], s[2:3], 2
	s_wait_kmcnt 0x0
	s_add_nc_u64 s[2:3], s[6:7], s[2:3]
	s_load_b32 s12, s[2:3], 0x0
	s_wait_kmcnt 0x0
	s_cmp_gt_u32 s12, 0xff
	s_cbranch_scc1 .LBB199_30
; %bb.1:
	s_load_b64 s[2:3], s[0:1], 0x28
	s_wait_kmcnt 0x0
	s_load_b32 s3, s[2:3], 0x0
	s_lshl_b32 s2, ttmp7, 3
	s_wait_kmcnt 0x0
	s_cmp_gt_u32 s2, s3
	s_cbranch_scc1 .LBB199_30
; %bb.2:
	v_bfe_u32 v3, v0, 10, 10
	v_mov_b32_e32 v2, 0
	s_lshl_b32 s18, ttmp9, 7
	s_delay_alu instid0(VALU_DEP_2) | instskip(NEXT) | instid1(VALU_DEP_2)
	v_add_nc_u32_e32 v1, s2, v3
	v_dual_mov_b32 v55, v2 :: v_dual_and_b32 v16, 0x3ff, v0
	v_dual_mov_b32 v48, v2 :: v_dual_mov_b32 v17, v2
	s_delay_alu instid0(VALU_DEP_3) | instskip(NEXT) | instid1(VALU_DEP_1)
	v_lshlrev_b64_e32 v[4:5], 2, v[1:2]
	v_add_co_u32 v4, vcc_lo, s4, v4
	s_delay_alu instid0(VALU_DEP_1)
	v_add_co_ci_u32_e64 v5, null, s5, v5, vcc_lo
	global_load_b32 v15, v[4:5], off
	s_clause 0x2
	s_load_b64 s[10:11], s[0:1], 0x30
	s_load_b64 s[8:9], s[0:1], 0x10
	s_load_b128 s[4:7], s[0:1], 0x3c
	s_wait_kmcnt 0x0
	s_cmp_lt_i32 s11, 32
	s_cbranch_scc1 .LBB199_21
; %bb.3:
	s_abs_i32 s17, s7
	s_wait_loadcnt 0x0
	v_sub_nc_u32_e32 v2, 0, v15
	s_cvt_f32_u32 s19, s17
	s_sub_co_i32 s20, 0, s17
	s_ashr_i32 s13, s11, 31
	s_mul_i32 s12, s12, s10
	v_rcp_iflag_f32_e32 v6, s19
	v_max_i32_e32 v2, v15, v2
	s_lshr_b32 s13, s13, 27
	v_bfe_u32 v21, v0, 3, 7
	s_add_co_i32 s15, s11, s13
	s_load_b128 s[0:3], s[0:1], 0x0
	s_ashr_i32 s10, s15, 5
	v_dual_mov_b32 v17, 0 :: v_dual_and_b32 v20, 7, v0
	v_mul_lo_u32 v19, s10, v3
	s_delay_alu instid0(TRANS32_DEP_1)
	v_readfirstlane_b32 s19, v6
	s_lshl_b32 s16, s10, 3
	v_lshl_add_u32 v4, v3, 2, v21
	v_mov_b32_e32 v55, 0
	v_xor_b32_e32 v48, s7, v15
	s_mul_f32 s19, s19, 0x4f7ffffe
	s_ashr_i32 s14, s5, 31
	v_add_nc_u32_e32 v22, s16, v19
	v_mul_lo_u32 v44, s10, v4
	s_wait_alu 0xfffe
	s_cvt_u32_f32 s19, s19
	v_and_b32_e32 v6, 0x1ffc, v4
	v_lshlrev_b32_e32 v7, 5, v4
	v_add_nc_u32_e32 v8, 32, v4
	s_wait_alu 0xfffe
	s_mul_i32 s20, s20, s19
	v_add_nc_u32_e32 v9, 64, v4
	s_mul_hi_u32 s20, s19, s20
	v_add_nc_u32_e32 v4, 0x60, v4
	s_add_co_i32 s19, s19, s20
	v_and_b32_e32 v11, 0x3ffc, v8
	s_wait_alu 0xfffe
	v_mul_hi_u32 v10, v2, s19
	v_and_b32_e32 v13, 0x3ffc, v9
	v_ashrrev_i32_e32 v48, 31, v48
	v_lshl_add_u32 v57, v3, 7, 0x5280
	v_lshl_add_u32 v58, v3, 4, 0x5680
	s_lshr_b32 s14, s14, 27
	s_ashr_i32 s13, s12, 31
	s_add_co_i32 s5, s5, s14
	v_mul_lo_u32 v12, v10, s17
	s_mul_i32 s14, s10, s18
	s_and_b32 s21, s15, 0xffffffe0
	s_ashr_i32 s15, s14, 31
	s_wait_alu 0xfffe
	s_ashr_i32 s5, s5, 5
	s_mul_u64 s[14:15], s[14:15], 20
	s_wait_kmcnt 0x0
	s_add_nc_u64 s[0:1], s[0:1], s[12:13]
	v_bfe_u32 v18, v0, 2, 8
	v_sub_nc_u32_e32 v2, v2, v12
	v_add_nc_u32_e32 v12, 1, v10
	s_add_nc_u64 s[12:13], s[0:1], s[14:15]
	v_add_nc_u32_e32 v50, s21, v44
	v_lshlrev_b32_e32 v8, 5, v8
	v_subrev_nc_u32_e32 v14, s17, v2
	v_cmp_le_u32_e32 vcc_lo, s17, v2
	v_lshlrev_b32_e32 v1, 2, v16
	v_add_nc_u32_e32 v23, s16, v22
	v_lshlrev_b32_e32 v9, 5, v9
	s_wait_alu 0xfffd
	v_dual_cndmask_b32 v10, v10, v12 :: v_dual_add_nc_u32 v53, s21, v50
	v_cndmask_b32_e32 v2, v2, v14, vcc_lo
	v_and_b32_e32 v12, 0x3ffc, v4
	v_and_b32_e32 v24, 12, v1
	v_mad_u32_u24 v25, 0x84, v3, v1
	v_add_nc_u32_e32 v14, 1, v10
	v_cmp_le_u32_e32 vcc_lo, s17, v2
	v_lshlrev_b32_e32 v5, 2, v20
	v_add_nc_u32_e32 v26, s16, v23
	v_and_b32_e32 v3, 28, v1
	v_add_nc_u32_e32 v60, v58, v1
	s_wait_alu 0xfffd
	v_cndmask_b32_e32 v2, v10, v14, vcc_lo
	v_add3_u32 v6, v6, v5, 0x4200
	v_add3_u32 v11, v11, v5, 0x4200
	;; [unrolled: 1-line block ×4, first 2 shown]
	v_and_b32_e32 v12, 31, v0
	v_xor_b32_e32 v2, v2, v48
	v_add_nc_u32_e32 v1, 32, v16
	v_add_nc_u32_e32 v10, 64, v16
	;; [unrolled: 1-line block ×3, first 2 shown]
	v_lshl_or_b32 v59, v12, 2, v57
	v_sub_nc_u32_e32 v2, v2, v48
	v_add_nc_u32_e32 v12, 0x60, v16
	v_and_b32_e32 v10, 0x1fc, v10
	v_and_b32_e32 v14, 0x1fc, v1
	;; [unrolled: 1-line block ×3, first 2 shown]
	v_cmp_gt_i32_e64 s0, s4, v2
	s_wait_alu 0xfffe
	v_mul_lo_u32 v63, v2, s5
	v_lshlrev_b32_e32 v2, 5, v16
	v_and_b32_e32 v12, 0x1fc, v12
	v_add_co_u32 v0, s1, s2, v3
	v_lshlrev_b32_e32 v4, 5, v4
	s_delay_alu instid0(VALU_DEP_4) | instskip(NEXT) | instid1(VALU_DEP_4)
	v_add_nc_u32_e32 v10, v2, v10
	v_add_nc_u32_e32 v3, v2, v12
	;; [unrolled: 1-line block ×4, first 2 shown]
	v_dual_mov_b32 v48, 0 :: v_dual_add_nc_u32 v29, s16, v27
	v_cmp_gt_u32_e32 vcc_lo, 4, v16
	v_add_nc_u32_e32 v28, 0x1080, v25
	s_delay_alu instid0(VALU_DEP_4)
	v_add_nc_u32_e32 v68, 0x4200, v2
	v_dual_mov_b32 v2, 0 :: v_dual_add_nc_u32 v73, 0x4210, v2
	v_add_nc_u32_e32 v34, s16, v29
	v_add_nc_u32_e32 v30, 0x14a0, v25
	;; [unrolled: 1-line block ×16, first 2 shown]
	v_mul_u32_u24_e32 v61, 0x84, v16
	v_lshrrev_b32_e32 v62, 3, v1
	v_add_co_ci_u32_e64 v1, null, s3, 0, s1
	s_delay_alu instid0(VALU_DEP_4)
	v_add_nc_u32_e32 v46, s16, v45
	v_ashrrev_i32_e32 v64, 31, v63
	v_add_nc_u32_e32 v65, 0x4e00, v3
	v_add_nc_u32_e32 v66, 0x4a00, v10
	;; [unrolled: 1-line block ×4, first 2 shown]
	v_mad_u32_u24 v69, 0x84, v16, 64
	v_add_nc_u32_e32 v70, 0x4e10, v3
	v_add_nc_u32_e32 v71, 0x4a10, v10
	;; [unrolled: 1-line block ×9, first 2 shown]
	s_mov_b32 s15, 0
	s_and_b32 s19, vcc_lo, s0
	s_mov_b32 s14, s15
	s_delay_alu instid0(VALU_DEP_1) | instskip(NEXT) | instid1(VALU_DEP_1)
	v_add_nc_u32_e32 v52, s16, v51
	v_add_nc_u32_e32 v54, s16, v52
	s_branch .LBB199_5
.LBB199_4:                              ;   in Loop: Header=BB199_5 Depth=1
	s_add_co_i32 s14, s14, 8
	s_wait_alu 0xfffe
	s_cmp_ge_i32 s14, s10
	s_cbranch_scc1 .LBB199_21
.LBB199_5:                              ; =>This Loop Header: Depth=1
                                        ;     Child Loop BB199_11 Depth 2
                                        ;     Child Loop BB199_19 Depth 2
	s_mul_u64 s[16:17], s[14:15], 20
	s_wait_alu 0xfffe
	s_add_nc_u64 s[16:17], s[12:13], s[16:17]
	s_wait_alu 0xfffe
	v_mad_co_u64_u32 v[3:4], null, v18, 20, s[16:17]
	s_delay_alu instid0(VALU_DEP_1) | instskip(SKIP_3) | instid1(VALU_DEP_4)
	v_mad_co_u64_u32 v[5:6], null, v19, 20, v[3:4]
	v_mad_co_u64_u32 v[7:8], null, v22, 20, v[3:4]
	;; [unrolled: 1-line block ×4, first 2 shown]
	v_add_co_u32 v5, s1, v5, v24
	v_mad_co_u64_u32 v[13:14], null, v27, 20, v[3:4]
	s_wait_alu 0xf1ff
	v_add_co_ci_u32_e64 v6, null, 0, v6, s1
	v_add_co_u32 v7, s1, v7, v24
	v_mad_co_u64_u32 v[78:79], null, v29, 20, v[3:4]
	s_wait_alu 0xf1ff
	v_add_co_ci_u32_e64 v8, null, 0, v8, s1
	;; [unrolled: 4-line block ×4, first 2 shown]
	v_add_co_u32 v13, s1, v13, v24
	s_wait_alu 0xf1ff
	v_add_co_ci_u32_e64 v14, null, 0, v14, s1
	v_add_co_u32 v78, s1, v78, v24
	s_wait_alu 0xf1ff
	v_add_co_ci_u32_e64 v79, null, 0, v79, s1
	;; [unrolled: 3-line block ×3, first 2 shown]
	v_add_co_u32 v82, s1, v82, v24
	v_mad_co_u64_u32 v[84:85], null, v42, 20, v[3:4]
	s_wait_alu 0xf1ff
	v_add_co_ci_u32_e64 v83, null, 0, v83, s1
	s_clause 0x7
	global_load_b32 v90, v[5:6], off offset:4
	global_load_b32 v91, v[7:8], off offset:4
	;; [unrolled: 1-line block ×8, first 2 shown]
	v_mad_co_u64_u32 v[5:6], null, v45, 20, v[3:4]
	v_mad_co_u64_u32 v[9:10], null, v46, 20, v[3:4]
	v_mad_co_u64_u32 v[11:12], null, v47, 20, v[3:4]
	v_add_co_u32 v7, s1, v84, v24
	v_mad_co_u64_u32 v[13:14], null, v49, 20, v[3:4]
	s_wait_alu 0xf1ff
	v_add_co_ci_u32_e64 v8, null, 0, v85, s1
	v_add_co_u32 v5, s1, v5, v24
	v_mad_co_u64_u32 v[78:79], null, v51, 20, v[3:4]
	s_wait_alu 0xf1ff
	v_add_co_ci_u32_e64 v6, null, 0, v6, s1
	;; [unrolled: 4-line block ×5, first 2 shown]
	v_add_co_u32 v78, s1, v78, v24
	s_wait_alu 0xf1ff
	v_add_co_ci_u32_e64 v79, null, 0, v79, s1
	v_add_co_u32 v80, s1, v80, v24
	s_wait_alu 0xf1ff
	v_add_co_ci_u32_e64 v81, null, 0, v81, s1
	;; [unrolled: 3-line block ×3, first 2 shown]
	v_mad_co_u64_u32 v[84:85], null, v44, 20, v[82:83]
	v_mad_co_u64_u32 v[86:87], null, v50, 20, v[82:83]
	;; [unrolled: 1-line block ×4, first 2 shown]
	s_clause 0xb
	global_load_b32 v7, v[7:8], off offset:4
	global_load_b32 v5, v[5:6], off offset:4
	;; [unrolled: 1-line block ×8, first 2 shown]
	global_load_b32 v4, v[84:85], off
	global_load_b32 v12, v[86:87], off
	;; [unrolled: 1-line block ×4, first 2 shown]
	s_lshl_b32 s16, s14, 5
	v_add_nc_u32_e32 v78, 0x420, v25
	v_add_nc_u32_e32 v79, 0x840, v25
	;; [unrolled: 1-line block ×3, first 2 shown]
	s_wait_alu 0xfffe
	s_cmp_lt_i32 s16, s11
	s_wait_loadcnt 0x13
	ds_store_b32 v25, v90
	s_wait_loadcnt 0x12
	ds_store_b32 v78, v91
	;; [unrolled: 2-line block ×20, first 2 shown]
	s_cbranch_scc0 .LBB199_4
; %bb.6:                                ;   in Loop: Header=BB199_5 Depth=1
	v_add_nc_u32_e32 v3, s14, v21
	s_delay_alu instid0(VALU_DEP_1)
	v_cmp_gt_i32_e64 s1, s5, v3
	s_and_b32 s17, s0, s1
	s_wait_alu 0xfffe
	s_and_saveexec_b32 s1, s17
	s_cbranch_execz .LBB199_8
; %bb.7:                                ;   in Loop: Header=BB199_5 Depth=1
	v_add_nc_u32_e32 v3, v63, v3
	s_delay_alu instid0(VALU_DEP_1)
	v_mad_co_i64_i32 v[3:4], null, v3, 36, v[0:1]
	global_load_b32 v3, v[3:4], off offset:4
	s_wait_loadcnt 0x0
	ds_store_b32 v59, v3
.LBB199_8:                              ;   in Loop: Header=BB199_5 Depth=1
	s_wait_alu 0xfffe
	s_or_b32 exec_lo, exec_lo, s1
	v_add_nc_u32_e32 v78, s14, v16
	s_delay_alu instid0(VALU_DEP_1)
	v_cmp_gt_i32_e64 s1, s5, v78
	s_and_b32 s17, s19, s1
	s_wait_alu 0xfffe
	s_and_saveexec_b32 s1, s17
	s_cbranch_execz .LBB199_10
; %bb.9:                                ;   in Loop: Header=BB199_5 Depth=1
	v_add_nc_u32_e32 v3, v63, v78
	s_delay_alu instid0(VALU_DEP_1)
	v_mad_co_i64_i32 v[3:4], null, v3, 36, s[2:3]
	global_load_b32 v3, v[3:4], off
	s_wait_loadcnt 0x0
	ds_store_b32 v60, v3
.LBB199_10:                             ;   in Loop: Header=BB199_5 Depth=1
	s_wait_alu 0xfffe
	s_or_b32 exec_lo, exec_lo, s1
	v_dual_mov_b32 v79, v57 :: v_dual_mov_b32 v80, v58
	v_dual_mov_b32 v81, v68 :: v_dual_mov_b32 v82, v67
	;; [unrolled: 1-line block ×3, first 2 shown]
	v_mov_b32_e32 v85, v61
	s_mov_b32 s1, -4
	s_wait_dscnt 0x0
	s_barrier_signal -1
	s_barrier_wait -1
	global_inv scope:SCOPE_SE
.LBB199_11:                             ;   Parent Loop BB199_5 Depth=1
                                        ; =>  This Inner Loop Header: Depth=2
	v_add_nc_u32_e32 v87, 0x1080, v85
	v_add_nc_u32_e32 v88, 0x1088, v85
	;; [unrolled: 1-line block ×5, first 2 shown]
	ds_load_2addr_b32 v[3:4], v79 offset0:4 offset1:7
	ds_load_2addr_b32 v[11:12], v85 offset1:1
	ds_load_2addr_b32 v[5:6], v79 offset1:3
	ds_load_2addr_b32 v[9:10], v79 offset0:1 offset1:2
	ds_load_2addr_b32 v[7:8], v79 offset0:5 offset1:6
	;; [unrolled: 1-line block ×3, first 2 shown]
	v_add_nc_u32_e32 v91, 0x3180, v85
	ds_load_b32 v86, v84
	ds_load_2addr_b32 v[92:93], v87 offset1:1
	ds_load_2addr_b32 v[87:88], v88 offset1:1
	;; [unrolled: 1-line block ×6, first 2 shown]
	v_add_nc_u32_e32 v85, 16, v85
	v_add_nc_u32_e32 v84, 4, v84
	;; [unrolled: 1-line block ×3, first 2 shown]
	s_wait_alu 0xfffe
	s_add_co_i32 s1, s1, 4
	s_wait_alu 0xfffe
	s_cmp_lt_u32 s1, 12
	s_wait_dscnt 0xc
	v_lshrrev_b16 v91, 8, v3
	v_ashrrev_i32_e32 v131, 24, v3
	v_bfe_i32 v132, v3, 16, 8
	v_bfe_i32 v3, v3, 0, 8
	s_wait_dscnt 0xb
	v_and_b32_e32 v101, 15, v11
	s_wait_dscnt 0xa
	v_lshrrev_b16 v128, 8, v5
	s_wait_dscnt 0x1
	v_bfe_u32 v201, v96, 4, 4
	v_ashrrev_i32_e32 v129, 24, v5
	v_bfe_i32 v130, v5, 16, 8
	v_bfe_i32 v5, v5, 0, 8
	v_and_b32_e32 v152, 15, v92
	v_and_b32_e32 v180, 15, v94
	v_mul_i32_i24_e32 v201, v201, v3
	v_and_b32_e32 v202, 15, v96
	v_mul_i32_i24_e32 v101, v5, v101
	v_mul_i32_i24_e32 v152, v5, v152
	v_bfe_u32 v103, v11, 16, 4
	v_bfe_u32 v154, v92, 16, 4
	v_mad_i32_i24 v201, v202, v5, v201
	v_mul_i32_i24_e32 v5, v5, v180
	v_bfe_u32 v180, v96, 20, 4
	v_bfe_u32 v182, v94, 16, 4
	;; [unrolled: 1-line block ×3, first 2 shown]
	v_mul_i32_i24_e32 v103, v130, v103
	v_mul_i32_i24_e32 v154, v130, v154
	;; [unrolled: 1-line block ×3, first 2 shown]
	v_bfe_u32 v102, v11, 8, 4
	v_bfe_u32 v104, v11, 24, 4
	;; [unrolled: 1-line block ×4, first 2 shown]
	v_mad_i32_i24 v180, v202, v130, v180
	v_mul_i32_i24_e32 v130, v130, v182
	v_lshrrev_b32_e32 v182, 28, v96
	v_bfe_u32 v181, v94, 8, 4
	v_bfe_u32 v183, v94, 24, 4
	v_bfe_i32 v128, v128, 0, 8
	v_bfe_u32 v202, v96, 24, 4
	v_mul_i32_i24_e32 v182, v182, v131
	v_bfe_u32 v105, v11, 4, 4
	v_bfe_u32 v106, v11, 12, 4
	v_bfe_u32 v156, v92, 4, 4
	v_bfe_u32 v157, v92, 12, 4
	v_bfe_u32 v184, v94, 4, 4
	v_bfe_u32 v185, v94, 12, 4
	v_mul_i32_i24_e32 v104, v129, v104
	v_mad_i32_i24 v101, v128, v102, v101
	v_mad_i32_i24 v152, v128, v153, v152
	v_mul_i32_i24_e32 v155, v129, v155
	v_mad_i32_i24 v182, v202, v129, v182
	v_mul_i32_i24_e32 v129, v129, v183
	v_mad_i32_i24 v5, v128, v181, v5
	v_bfe_i32 v91, v91, 0, 8
	v_bfe_u32 v100, v11, 20, 4
	v_lshrrev_b32_e32 v11, 28, v11
	v_bfe_u32 v151, v92, 20, 4
	v_lshrrev_b32_e32 v92, 28, v92
	;; [unrolled: 2-line block ×3, first 2 shown]
	v_add3_u32 v101, v101, v103, v104
	v_add3_u32 v152, v152, v154, v155
	;; [unrolled: 1-line block ×3, first 2 shown]
	v_mul_i32_i24_e32 v105, v3, v105
	v_mul_i32_i24_e32 v156, v3, v156
	;; [unrolled: 1-line block ×6, first 2 shown]
	v_and_b32_e32 v108, 15, v12
	v_bfe_u32 v109, v12, 8, 4
	v_ashrrev_i32_e32 v133, 24, v9
	v_bfe_i32 v134, v9, 16, 8
	v_bfe_i32 v135, v9, 8, 8
	;; [unrolled: 1-line block ×3, first 2 shown]
	v_and_b32_e32 v159, 15, v93
	v_bfe_u32 v160, v93, 8, 4
	v_and_b32_e32 v187, 15, v95
	v_bfe_u32 v188, v95, 8, 4
	v_mul_i32_i24_e32 v100, v132, v100
	v_mul_i32_i24_e32 v151, v132, v151
	;; [unrolled: 1-line block ×6, first 2 shown]
	v_add3_u32 v101, v101, v106, v105
	v_add3_u32 v105, v152, v157, v156
	;; [unrolled: 1-line block ×3, first 2 shown]
	v_bfe_u32 v110, v12, 16, 4
	v_bfe_u32 v111, v12, 24, 4
	;; [unrolled: 1-line block ×6, first 2 shown]
	v_mul_i32_i24_e32 v108, v9, v108
	v_mul_i32_i24_e32 v131, v9, v159
	;; [unrolled: 1-line block ×6, first 2 shown]
	v_add3_u32 v11, v101, v100, v11
	v_add3_u32 v92, v105, v151, v92
	;; [unrolled: 1-line block ×3, first 2 shown]
	v_bfe_u32 v112, v12, 4, 4
	v_bfe_u32 v113, v12, 12, 4
	v_ashrrev_i32_e32 v136, 24, v7
	v_bfe_i32 v137, v7, 16, 8
	v_bfe_i32 v138, v7, 8, 8
	;; [unrolled: 1-line block ×3, first 2 shown]
	v_bfe_u32 v163, v93, 4, 4
	v_bfe_u32 v164, v93, 12, 4
	;; [unrolled: 1-line block ×5, first 2 shown]
	v_mul_i32_i24_e32 v110, v134, v110
	v_mul_i32_i24_e32 v161, v134, v161
	;; [unrolled: 1-line block ×6, first 2 shown]
	v_add3_u32 v11, v11, v109, v108
	v_add3_u32 v92, v92, v160, v131
	;; [unrolled: 1-line block ×3, first 2 shown]
	v_bfe_u32 v107, v12, 20, 4
	v_lshrrev_b32_e32 v12, 28, v12
	v_bfe_u32 v158, v93, 20, 4
	v_lshrrev_b32_e32 v93, 28, v93
	v_bfe_u32 v186, v95, 20, 4
	v_lshrrev_b32_e32 v95, 28, v95
	v_and_b32_e32 v130, 0xf0f0f0f, v97
	v_lshrrev_b32_e32 v181, 4, v97
	v_lshrrev_b32_e32 v202, 28, v97
	v_bfe_u32 v203, v97, 16, 4
	v_and_b32_e32 v204, 15, v97
	v_bfe_u32 v205, v97, 20, 4
	v_bfe_u32 v97, v97, 4, 4
	v_mul_i32_i24_e32 v129, v133, v129
	v_mul_i32_i24_e32 v112, v7, v112
	;; [unrolled: 1-line block ×7, first 2 shown]
	v_add3_u32 v11, v11, v110, v111
	v_add3_u32 v92, v92, v161, v162
	;; [unrolled: 1-line block ×3, first 2 shown]
	v_and_b32_e32 v115, 15, v13
	v_bfe_u32 v116, v13, 8, 4
	v_ashrrev_i32_e32 v139, 24, v10
	v_bfe_i32 v140, v10, 16, 8
	v_bfe_i32 v141, v10, 8, 8
	;; [unrolled: 1-line block ×3, first 2 shown]
	v_and_b32_e32 v166, 15, v87
	v_bfe_u32 v167, v87, 8, 4
	v_and_b32_e32 v194, 15, v89
	v_bfe_u32 v195, v89, 8, 4
	v_and_b32_e32 v183, 0xf0f0f0f, v96
	v_lshrrev_b32_e32 v96, 4, v96
	v_mul_i32_i24_e32 v9, v9, v204
	v_mul_i32_i24_e32 v7, v7, v97
	;; [unrolled: 1-line block ×8, first 2 shown]
	v_add3_u32 v11, v11, v112, v113
	v_add3_u32 v92, v92, v133, v164
	;; [unrolled: 1-line block ×3, first 2 shown]
	v_bfe_u32 v117, v13, 16, 4
	v_bfe_u32 v118, v13, 24, 4
	;; [unrolled: 1-line block ×6, first 2 shown]
	v_mul_i32_i24_e32 v115, v10, v115
	v_mul_i32_i24_e32 v166, v10, v166
	;; [unrolled: 1-line block ×4, first 2 shown]
	v_lshrrev_b16 v96, 8, v96
	v_mul_i32_i24_e32 v167, v141, v167
	v_mul_i32_i24_e32 v195, v141, v195
	v_add3_u32 v7, v201, v9, v7
	v_add3_u32 v9, v11, v97, v12
	;; [unrolled: 1-line block ×4, first 2 shown]
	v_bfe_u32 v119, v13, 4, 4
	v_bfe_u32 v120, v13, 12, 4
	v_ashrrev_i32_e32 v142, 24, v8
	v_bfe_i32 v143, v8, 16, 8
	v_bfe_i32 v144, v8, 8, 8
	;; [unrolled: 1-line block ×3, first 2 shown]
	v_bfe_u32 v170, v87, 4, 4
	v_bfe_u32 v171, v87, 12, 4
	;; [unrolled: 1-line block ×4, first 2 shown]
	s_wait_dscnt 0x0
	v_bfe_u32 v206, v98, 24, 4
	v_and_b32_e32 v207, 0xf0f0f0f, v98
	v_lshrrev_b32_e32 v208, 4, v98
	v_lshrrev_b32_e32 v209, 28, v98
	v_bfe_u32 v210, v98, 16, 4
	v_and_b32_e32 v211, 15, v98
	v_bfe_u32 v212, v98, 20, 4
	v_bfe_u32 v98, v98, 4, 4
	v_mul_i32_i24_e32 v117, v140, v117
	v_mul_i32_i24_e32 v168, v140, v168
	;; [unrolled: 1-line block ×6, first 2 shown]
	v_lshrrev_b16 v183, 8, v183
	v_lshrrev_b16 v130, 8, v130
	;; [unrolled: 1-line block ×3, first 2 shown]
	v_and_b32_e32 v96, 15, v96
	v_add3_u32 v9, v9, v116, v115
	v_add3_u32 v11, v11, v167, v166
	;; [unrolled: 1-line block ×3, first 2 shown]
	v_bfe_u32 v114, v13, 20, 4
	v_lshrrev_b32_e32 v13, 28, v13
	v_bfe_i32 v149, v4, 16, 8
	v_bfe_u32 v165, v87, 20, 4
	v_lshrrev_b32_e32 v87, 28, v87
	v_bfe_u32 v193, v89, 20, 4
	v_lshrrev_b32_e32 v89, 28, v89
	v_bfe_u32 v200, v90, 20, 4
	v_and_b32_e32 v214, 0xf0f0f0f, v99
	v_lshrrev_b32_e32 v215, 4, v99
	v_mul_i32_i24_e32 v10, v10, v211
	v_mul_i32_i24_e32 v119, v8, v119
	;; [unrolled: 1-line block ×5, first 2 shown]
	v_and_b32_e32 v183, 0xffff, v183
	v_mul_i32_i24_e32 v120, v144, v120
	v_lshrrev_b16 v196, 8, v207
	v_lshrrev_b16 v197, 8, v208
	v_mul_i32_i24_e32 v171, v144, v171
	v_mul_i32_i24_e32 v198, v144, v199
	v_and_b32_e32 v181, 15, v181
	v_and_b32_e32 v130, 0xffff, v130
	;; [unrolled: 1-line block ×3, first 2 shown]
	v_add3_u32 v9, v9, v117, v118
	v_add3_u32 v11, v11, v168, v169
	;; [unrolled: 1-line block ×3, first 2 shown]
	v_and_b32_e32 v122, 15, v14
	v_bfe_u32 v123, v14, 8, 4
	v_ashrrev_i32_e32 v145, 24, v6
	v_bfe_i32 v146, v6, 16, 8
	v_bfe_i32 v147, v6, 8, 8
	;; [unrolled: 1-line block ×3, first 2 shown]
	v_and_b32_e32 v173, 15, v88
	v_bfe_u32 v174, v88, 8, 4
	v_and_b32_e32 v102, 15, v90
	v_bfe_u32 v103, v90, 8, 4
	v_mul_i32_i24_e32 v136, v136, v202
	v_mul_i32_i24_e32 v98, v143, v114
	;; [unrolled: 1-line block ×9, first 2 shown]
	v_lshrrev_b16 v199, 8, v214
	v_lshrrev_b16 v200, 8, v215
	v_and_b32_e32 v197, 15, v197
	v_and_b32_e32 v196, 0xffff, v196
	v_mul_i32_i24_e32 v96, v135, v130
	v_and_b32_e32 v94, 0xffff, v181
	v_mul_i32_i24_e32 v5, v5, v91
	v_add3_u32 v7, v7, v10, v8
	v_add3_u32 v8, v9, v119, v120
	;; [unrolled: 1-line block ×4, first 2 shown]
	v_bfe_u32 v121, v14, 20, 4
	v_bfe_u32 v124, v14, 16, 4
	;; [unrolled: 1-line block ×5, first 2 shown]
	v_lshrrev_b32_e32 v14, 28, v14
	v_ashrrev_i32_e32 v148, 24, v4
	v_bfe_i32 v150, v4, 8, 8
	v_bfe_i32 v4, v4, 0, 8
	v_bfe_u32 v172, v88, 20, 4
	v_bfe_u32 v175, v88, 16, 4
	;; [unrolled: 1-line block ×5, first 2 shown]
	v_lshrrev_b32_e32 v88, 28, v88
	v_bfe_u32 v104, v90, 16, 4
	v_bfe_u32 v153, v90, 24, 4
	;; [unrolled: 1-line block ×4, first 2 shown]
	v_lshrrev_b32_e32 v90, 28, v90
	v_bfe_u32 v213, v99, 24, 4
	v_lshrrev_b32_e32 v216, 28, v99
	v_bfe_u32 v217, v99, 16, 4
	v_and_b32_e32 v218, 15, v99
	v_bfe_u32 v219, v99, 20, 4
	v_bfe_u32 v99, v99, 4, 4
	v_mul_i32_i24_e32 v134, v134, v203
	v_mul_i32_i24_e32 v137, v137, v205
	;; [unrolled: 1-line block ×10, first 2 shown]
	v_and_b32_e32 v200, 15, v200
	v_and_b32_e32 v199, 0xffff, v199
	v_mul_i32_i24_e32 v100, v141, v196
	v_and_b32_e32 v101, 0xffff, v197
	v_add3_u32 v108, v182, v129, v136
	v_mul_i32_i24_e32 v12, v138, v94
	v_add3_u32 v5, v128, v5, v96
	v_add3_u32 v8, v8, v98, v13
	;; [unrolled: 1-line block ×4, first 2 shown]
	v_mul_i32_i24_e32 v140, v140, v210
	v_mul_i32_i24_e32 v143, v143, v212
	;; [unrolled: 1-line block ×13, first 2 shown]
	ds_load_b32 v99, v80
	ds_load_b32 v193, v81
	;; [unrolled: 1-line block ×4, first 2 shown]
	v_mul_i32_i24_e32 v14, v148, v14
	v_mul_i32_i24_e32 v88, v148, v88
	;; [unrolled: 1-line block ×5, first 2 shown]
	v_and_b32_e32 v106, 0xffff, v200
	v_add3_u32 v109, v180, v134, v137
	v_mul_i32_i24_e32 v91, v144, v101
	v_add3_u32 v93, v108, v139, v142
	v_add3_u32 v5, v5, v12, v100
	;; [unrolled: 1-line block ×5, first 2 shown]
	v_mul_i32_i24_e32 v6, v6, v218
	v_mul_i32_i24_e32 v146, v146, v217
	;; [unrolled: 1-line block ×9, first 2 shown]
	v_add3_u32 v10, v109, v140, v143
	v_add3_u32 v11, v93, v145, v148
	;; [unrolled: 1-line block ×12, first 2 shown]
	s_wait_dscnt 0x2
	v_pk_mul_f16 v193, v99, v193
	v_add3_u32 v4, v4, v10, v5
	v_add3_u32 v5, v6, v121, v14
	;; [unrolled: 1-line block ×4, first 2 shown]
	s_wait_dscnt 0x1
	v_pk_mul_f16 v194, v99, v194
	s_wait_dscnt 0x0
	v_pk_mul_f16 v8, v99, v183
	v_pk_mul_f16 v7, v99, v86
	v_cvt_f32_i32_e32 v4, v4
	v_cvt_f32_i32_e32 v5, v5
	;; [unrolled: 1-line block ×4, first 2 shown]
	v_add_nc_u32_e32 v83, 4, v83
	v_fma_mix_f32 v4, v7, v4, v7 op_sel:[0,0,1] op_sel_hi:[1,0,1]
	v_fma_mix_f32 v5, v193, v5, v193 op_sel:[0,0,1] op_sel_hi:[1,0,1]
	;; [unrolled: 1-line block ×4, first 2 shown]
	v_add_nc_u32_e32 v82, 4, v82
	v_add_nc_u32_e32 v81, 4, v81
	;; [unrolled: 1-line block ×3, first 2 shown]
	v_dual_add_f32 v2, v2, v4 :: v_dual_add_f32 v17, v17, v5
	v_dual_add_f32 v55, v55, v6 :: v_dual_add_f32 v48, v48, v3
	s_cbranch_scc1 .LBB199_11
; %bb.12:                               ;   in Loop: Header=BB199_5 Depth=1
	s_bitset1_b32 s16, 7
	s_wait_loadcnt 0x0
	s_wait_alu 0xfffe
	s_cmp_ge_i32 s16, s11
	s_barrier_signal -1
	s_barrier_wait -1
	global_inv scope:SCOPE_SE
	s_cbranch_scc1 .LBB199_4
; %bb.13:                               ;   in Loop: Header=BB199_5 Depth=1
	v_add_nc_u32_e32 v3, s14, v62
	s_delay_alu instid0(VALU_DEP_1)
	v_cmp_gt_i32_e64 s1, s5, v3
	s_and_b32 s16, s0, s1
	s_wait_alu 0xfffe
	s_and_saveexec_b32 s1, s16
	s_cbranch_execz .LBB199_15
; %bb.14:                               ;   in Loop: Header=BB199_5 Depth=1
	v_add_nc_u32_e32 v3, v63, v3
	s_delay_alu instid0(VALU_DEP_1)
	v_mad_co_i64_i32 v[3:4], null, v3, 36, v[0:1]
	global_load_b32 v3, v[3:4], off offset:4
	s_wait_loadcnt 0x0
	ds_store_b32 v59, v3
.LBB199_15:                             ;   in Loop: Header=BB199_5 Depth=1
	s_wait_alu 0xfffe
	s_or_b32 exec_lo, exec_lo, s1
	s_and_saveexec_b32 s16, vcc_lo
	s_cbranch_execz .LBB199_18
; %bb.16:                               ;   in Loop: Header=BB199_5 Depth=1
	v_or_b32_e32 v3, 4, v78
	s_delay_alu instid0(VALU_DEP_1)
	v_cmp_gt_i32_e64 s1, s5, v3
	s_and_b32 s1, s0, s1
	s_wait_alu 0xfffe
	s_and_b32 exec_lo, exec_lo, s1
	s_cbranch_execz .LBB199_18
; %bb.17:                               ;   in Loop: Header=BB199_5 Depth=1
	v_ashrrev_i32_e32 v3, 31, v78
	v_add_co_u32 v4, s1, v63, v78
	s_wait_alu 0xf1ff
	s_delay_alu instid0(VALU_DEP_2) | instskip(NEXT) | instid1(VALU_DEP_2)
	v_add_co_ci_u32_e64 v5, null, v64, v3, s1
	v_mad_co_u64_u32 v[3:4], null, v4, 36, s[2:3]
	s_delay_alu instid0(VALU_DEP_1)
	v_mad_i32_i24 v4, v5, 36, v4
	global_load_b32 v3, v[3:4], off offset:144
	s_wait_loadcnt 0x0
	ds_store_b32 v60, v3
.LBB199_18:                             ;   in Loop: Header=BB199_5 Depth=1
	s_wait_alu 0xfffe
	s_or_b32 exec_lo, exec_lo, s16
	v_dual_mov_b32 v3, v58 :: v_dual_mov_b32 v4, v57
	v_dual_mov_b32 v5, v73 :: v_dual_mov_b32 v6, v72
	;; [unrolled: 1-line block ×3, first 2 shown]
	v_mov_b32_e32 v9, v69
	s_mov_b32 s1, 12
	s_wait_loadcnt_dscnt 0x0
	s_barrier_signal -1
	s_barrier_wait -1
	global_inv scope:SCOPE_SE
.LBB199_19:                             ;   Parent Loop BB199_5 Depth=1
                                        ; =>  This Inner Loop Header: Depth=2
	ds_load_2addr_b32 v[13:14], v4 offset1:3
	ds_load_2addr_b32 v[78:79], v4 offset0:4 offset1:7
	ds_load_2addr_b32 v[80:81], v4 offset0:1 offset1:2
	ds_load_b32 v10, v3
	ds_load_2addr_b32 v[82:83], v9 offset1:1
	ds_load_2addr_b32 v[84:85], v9 offset0:2 offset1:3
	v_add_nc_u32_e32 v88, 0x1080, v9
	v_add_nc_u32_e32 v90, 0x1088, v9
	;; [unrolled: 1-line block ×6, first 2 shown]
	ds_load_2addr_b32 v[86:87], v4 offset0:5 offset1:6
	ds_load_b32 v100, v5
	ds_load_b32 v101, v6
	;; [unrolled: 1-line block ×4, first 2 shown]
	ds_load_2addr_b32 v[88:89], v88 offset1:1
	ds_load_2addr_b32 v[90:91], v90 offset1:1
	;; [unrolled: 1-line block ×6, first 2 shown]
	v_add_nc_u32_e32 v6, 4, v6
	v_add_nc_u32_e32 v5, 4, v5
	;; [unrolled: 1-line block ×4, first 2 shown]
	s_wait_alu 0xfffe
	s_add_co_i32 s1, s1, 4
	s_wait_alu 0xfffe
	s_cmp_lt_u32 s1, 28
	s_wait_dscnt 0x10
	v_lshrrev_b16 v131, 8, v13
	v_ashrrev_i32_e32 v132, 24, v13
	v_bfe_i32 v133, v13, 16, 8
	s_wait_dscnt 0xc
	v_and_b32_e32 v104, 15, v82
	v_bfe_i32 v13, v13, 0, 8
	v_bfe_u32 v105, v82, 8, 4
	v_bfe_u32 v106, v82, 16, 4
	;; [unrolled: 1-line block ×3, first 2 shown]
	s_wait_dscnt 0x5
	v_and_b32_e32 v155, 15, v88
	v_bfe_u32 v157, v88, 16, 4
	v_bfe_u32 v158, v88, 24, 4
	s_wait_dscnt 0x3
	v_and_b32_e32 v183, 15, v92
	v_bfe_i32 v131, v131, 0, 8
	v_mul_i32_i24_e32 v104, v13, v104
	v_lshrrev_b16 v102, 8, v78
	v_bfe_u32 v108, v82, 4, 4
	v_ashrrev_i32_e32 v134, 24, v78
	v_bfe_i32 v135, v78, 16, 8
	v_bfe_i32 v78, v78, 0, 8
	v_bfe_u32 v156, v88, 8, 4
	v_bfe_u32 v159, v88, 4, 4
	;; [unrolled: 1-line block ×6, first 2 shown]
	s_wait_dscnt 0x1
	v_bfe_u32 v210, v96, 24, 4
	v_and_b32_e32 v211, 0xf0f0f0f, v96
	v_lshrrev_b32_e32 v212, 4, v96
	v_lshrrev_b32_e32 v213, 28, v96
	v_mul_i32_i24_e32 v106, v133, v106
	v_mul_i32_i24_e32 v107, v132, v107
	v_bfe_u32 v214, v96, 16, 4
	v_and_b32_e32 v215, 15, v96
	v_bfe_u32 v216, v96, 20, 4
	v_bfe_u32 v96, v96, 4, 4
	v_mad_i32_i24 v104, v131, v105, v104
	v_mul_i32_i24_e32 v105, v13, v155
	v_mul_i32_i24_e32 v155, v133, v157
	;; [unrolled: 1-line block ×4, first 2 shown]
	v_bfe_u32 v109, v82, 12, 4
	v_bfe_u32 v160, v88, 12, 4
	;; [unrolled: 1-line block ×3, first 2 shown]
	v_bfe_i32 v102, v102, 0, 8
	v_mul_i32_i24_e32 v108, v78, v108
	v_mul_i32_i24_e32 v183, v133, v185
	;; [unrolled: 1-line block ×7, first 2 shown]
	v_add3_u32 v104, v104, v106, v107
	v_mad_i32_i24 v105, v131, v156, v105
	v_mad_i32_i24 v106, v131, v184, v158
	v_bfe_u32 v103, v82, 20, 4
	v_lshrrev_b32_e32 v82, 28, v82
	v_bfe_u32 v154, v88, 20, 4
	v_lshrrev_b32_e32 v88, 28, v88
	;; [unrolled: 2-line block ×3, first 2 shown]
	v_mul_i32_i24_e32 v109, v102, v109
	v_mul_i32_i24_e32 v160, v102, v160
	;; [unrolled: 1-line block ×3, first 2 shown]
	v_mad_i32_i24 v13, v215, v13, v78
	v_mad_i32_i24 v78, v214, v133, v96
	v_add3_u32 v96, v105, v155, v157
	v_add3_u32 v105, v106, v183, v185
	v_and_b32_e32 v111, 15, v83
	v_bfe_u32 v112, v83, 8, 4
	v_ashrrev_i32_e32 v136, 24, v80
	v_bfe_i32 v137, v80, 16, 8
	v_bfe_i32 v138, v80, 8, 8
	;; [unrolled: 1-line block ×3, first 2 shown]
	v_and_b32_e32 v162, 15, v89
	v_bfe_u32 v163, v89, 8, 4
	v_and_b32_e32 v190, 15, v93
	v_bfe_u32 v191, v93, 8, 4
	v_mul_i32_i24_e32 v103, v135, v103
	v_mul_i32_i24_e32 v82, v134, v82
	;; [unrolled: 1-line block ×6, first 2 shown]
	v_add3_u32 v104, v104, v109, v108
	v_add3_u32 v96, v96, v160, v159
	;; [unrolled: 1-line block ×3, first 2 shown]
	v_bfe_u32 v113, v83, 16, 4
	v_bfe_u32 v114, v83, 24, 4
	v_bfe_u32 v164, v89, 16, 4
	v_bfe_u32 v165, v89, 24, 4
	v_bfe_u32 v192, v93, 16, 4
	v_bfe_u32 v193, v93, 24, 4
	v_mul_i32_i24_e32 v111, v80, v111
	v_mul_i32_i24_e32 v112, v138, v112
	;; [unrolled: 1-line block ×6, first 2 shown]
	v_add3_u32 v82, v104, v103, v82
	v_add3_u32 v88, v96, v154, v88
	;; [unrolled: 1-line block ×3, first 2 shown]
	v_bfe_u32 v115, v83, 4, 4
	v_bfe_u32 v116, v83, 12, 4
	v_ashrrev_i32_e32 v139, 24, v86
	v_bfe_i32 v140, v86, 16, 8
	v_bfe_i32 v141, v86, 8, 8
	;; [unrolled: 1-line block ×3, first 2 shown]
	v_bfe_u32 v166, v89, 4, 4
	v_bfe_u32 v167, v89, 12, 4
	;; [unrolled: 1-line block ×4, first 2 shown]
	v_mul_i32_i24_e32 v113, v137, v113
	v_mul_i32_i24_e32 v114, v136, v114
	;; [unrolled: 1-line block ×6, first 2 shown]
	v_add3_u32 v82, v82, v112, v111
	v_add3_u32 v88, v88, v163, v162
	;; [unrolled: 1-line block ×3, first 2 shown]
	v_bfe_u32 v110, v83, 20, 4
	v_lshrrev_b32_e32 v83, 28, v83
	v_bfe_u32 v161, v89, 20, 4
	v_lshrrev_b32_e32 v89, 28, v89
	;; [unrolled: 2-line block ×3, first 2 shown]
	v_bfe_u32 v217, v97, 24, 4
	v_and_b32_e32 v218, 0xf0f0f0f, v97
	v_lshrrev_b32_e32 v219, 4, v97
	v_lshrrev_b32_e32 v220, 28, v97
	v_bfe_u32 v221, v97, 16, 4
	v_and_b32_e32 v222, 15, v97
	v_mul_i32_i24_e32 v115, v86, v115
	v_mul_i32_i24_e32 v116, v141, v116
	v_bfe_u32 v223, v97, 20, 4
	v_bfe_u32 v97, v97, 4, 4
	v_mul_i32_i24_e32 v166, v86, v166
	v_mul_i32_i24_e32 v167, v141, v167
	;; [unrolled: 1-line block ×4, first 2 shown]
	v_add3_u32 v82, v82, v113, v114
	v_add3_u32 v88, v88, v164, v165
	;; [unrolled: 1-line block ×3, first 2 shown]
	v_and_b32_e32 v118, 15, v84
	v_bfe_u32 v119, v84, 8, 4
	v_ashrrev_i32_e32 v142, 24, v81
	v_bfe_i32 v143, v81, 16, 8
	v_bfe_i32 v144, v81, 8, 8
	;; [unrolled: 1-line block ×3, first 2 shown]
	v_and_b32_e32 v169, 15, v90
	v_bfe_u32 v170, v90, 8, 4
	v_and_b32_e32 v197, 15, v94
	v_bfe_u32 v198, v94, 8, 4
	v_mul_i32_i24_e32 v110, v140, v110
	v_mul_i32_i24_e32 v83, v139, v83
	;; [unrolled: 1-line block ×8, first 2 shown]
	v_add3_u32 v82, v82, v115, v116
	v_add3_u32 v88, v88, v166, v167
	;; [unrolled: 1-line block ×3, first 2 shown]
	v_bfe_u32 v120, v84, 16, 4
	v_bfe_u32 v121, v84, 24, 4
	;; [unrolled: 1-line block ×4, first 2 shown]
	v_ashrrev_i32_e32 v151, 24, v79
	v_bfe_i32 v152, v79, 16, 8
	v_bfe_i32 v153, v79, 8, 8
	;; [unrolled: 1-line block ×3, first 2 shown]
	v_bfe_u32 v171, v90, 16, 4
	v_bfe_u32 v172, v90, 24, 4
	;; [unrolled: 1-line block ×8, first 2 shown]
	v_mul_i32_i24_e32 v118, v81, v118
	v_mul_i32_i24_e32 v119, v144, v119
	s_wait_dscnt 0x0
	v_bfe_u32 v231, v99, 24, 4
	v_and_b32_e32 v232, 0xf0f0f0f, v99
	v_lshrrev_b32_e32 v233, 4, v99
	v_lshrrev_b32_e32 v234, 28, v99
	v_bfe_u32 v235, v99, 16, 4
	v_and_b32_e32 v236, 15, v99
	v_bfe_u32 v237, v99, 20, 4
	v_bfe_u32 v99, v99, 4, 4
	v_lshrrev_b16 v212, 8, v212
	v_mul_i32_i24_e32 v169, v81, v169
	v_mul_i32_i24_e32 v170, v144, v170
	;; [unrolled: 1-line block ×4, first 2 shown]
	v_add3_u32 v13, v13, v80, v86
	v_add3_u32 v80, v82, v110, v83
	;; [unrolled: 1-line block ×4, first 2 shown]
	v_bfe_u32 v122, v84, 4, 4
	v_bfe_u32 v123, v84, 12, 4
	v_ashrrev_i32_e32 v145, 24, v87
	v_bfe_i32 v146, v87, 16, 8
	v_bfe_i32 v147, v87, 8, 8
	;; [unrolled: 1-line block ×3, first 2 shown]
	v_bfe_u32 v173, v90, 4, 4
	v_bfe_u32 v174, v90, 12, 4
	v_bfe_u32 v201, v94, 4, 4
	v_bfe_u32 v202, v94, 12, 4
	v_bfe_u32 v224, v98, 24, 4
	v_and_b32_e32 v225, 0xf0f0f0f, v98
	v_lshrrev_b32_e32 v226, 4, v98
	v_lshrrev_b32_e32 v227, 28, v98
	v_mul_i32_i24_e32 v120, v143, v120
	v_mul_i32_i24_e32 v121, v142, v121
	v_bfe_u32 v228, v98, 16, 4
	v_and_b32_e32 v229, 15, v98
	v_bfe_u32 v230, v98, 20, 4
	v_bfe_u32 v98, v98, 4, 4
	v_mul_i32_i24_e32 v129, v79, v129
	v_mul_i32_i24_e32 v124, v152, v124
	v_lshrrev_b16 v211, 8, v211
	v_lshrrev_b16 v135, 8, v218
	;; [unrolled: 1-line block ×3, first 2 shown]
	v_mul_i32_i24_e32 v171, v143, v171
	v_mul_i32_i24_e32 v172, v142, v172
	;; [unrolled: 1-line block ×10, first 2 shown]
	v_and_b32_e32 v152, 15, v212
	v_add3_u32 v80, v80, v119, v118
	v_add3_u32 v82, v82, v170, v169
	;; [unrolled: 1-line block ×3, first 2 shown]
	v_bfe_u32 v117, v84, 20, 4
	v_lshrrev_b32_e32 v84, 28, v84
	v_bfe_u32 v168, v90, 20, 4
	v_lshrrev_b32_e32 v90, 28, v90
	;; [unrolled: 2-line block ×3, first 2 shown]
	v_mul_i32_i24_e32 v122, v87, v122
	v_mul_i32_i24_e32 v123, v147, v123
	;; [unrolled: 1-line block ×4, first 2 shown]
	v_lshrrev_b16 v140, 8, v225
	v_lshrrev_b16 v213, 8, v226
	v_mul_i32_i24_e32 v81, v81, v229
	v_mul_i32_i24_e32 v173, v87, v173
	;; [unrolled: 1-line block ×6, first 2 shown]
	v_and_b32_e32 v107, 0xffff, v211
	v_and_b32_e32 v156, 15, v188
	;; [unrolled: 1-line block ×4, first 2 shown]
	v_add3_u32 v80, v80, v120, v121
	v_add3_u32 v82, v82, v171, v172
	;; [unrolled: 1-line block ×3, first 2 shown]
	v_and_b32_e32 v125, 15, v85
	v_bfe_u32 v126, v85, 8, 4
	v_ashrrev_i32_e32 v148, 24, v14
	v_bfe_i32 v149, v14, 16, 8
	v_bfe_i32 v150, v14, 8, 8
	;; [unrolled: 1-line block ×3, first 2 shown]
	v_and_b32_e32 v176, 15, v91
	v_bfe_u32 v177, v91, 8, 4
	v_and_b32_e32 v204, 15, v95
	v_bfe_u32 v205, v95, 8, 4
	v_mul_i32_i24_e32 v117, v146, v117
	v_mul_i32_i24_e32 v84, v145, v84
	;; [unrolled: 1-line block ×9, first 2 shown]
	v_lshrrev_b16 v146, 8, v232
	v_lshrrev_b16 v216, 8, v233
	v_and_b32_e32 v158, 15, v213
	v_and_b32_e32 v140, 0xffff, v140
	v_mad_i32_i24 v106, v210, v132, v134
	v_mul_i32_i24_e32 v107, v107, v131
	v_mul_i32_i24_e32 v109, v138, v135
	v_and_b32_e32 v96, 0xffff, v156
	v_mul_i32_i24_e32 v86, v108, v102
	v_add3_u32 v13, v13, v81, v87
	v_add3_u32 v80, v80, v122, v123
	;; [unrolled: 1-line block ×4, first 2 shown]
	v_bfe_u32 v127, v85, 16, 4
	v_bfe_u32 v128, v85, 24, 4
	v_bfe_u32 v130, v85, 12, 4
	v_lshrrev_b32_e32 v85, 28, v85
	v_bfe_u32 v178, v91, 16, 4
	v_bfe_u32 v179, v91, 24, 4
	v_bfe_u32 v181, v91, 12, 4
	v_lshrrev_b32_e32 v91, 28, v91
	;; [unrolled: 4-line block ×3, first 2 shown]
	v_mul_i32_i24_e32 v125, v14, v125
	v_mul_i32_i24_e32 v126, v150, v126
	;; [unrolled: 1-line block ×9, first 2 shown]
	v_and_b32_e32 v184, 15, v216
	v_and_b32_e32 v146, 0xffff, v146
	v_mul_i32_i24_e32 v103, v144, v140
	v_and_b32_e32 v104, 0xffff, v158
	v_add3_u32 v106, v106, v136, v139
	v_mul_i32_i24_e32 v88, v141, v96
	v_add3_u32 v83, v107, v86, v109
	v_add3_u32 v80, v80, v117, v84
	;; [unrolled: 1-line block ×4, first 2 shown]
	v_mul_i32_i24_e32 v127, v149, v127
	v_mul_i32_i24_e32 v128, v148, v128
	;; [unrolled: 1-line block ×13, first 2 shown]
	v_and_b32_e32 v111, 0xffff, v184
	v_add3_u32 v78, v78, v137, v97
	v_mul_i32_i24_e32 v89, v147, v104
	v_add3_u32 v93, v106, v142, v145
	v_add3_u32 v83, v83, v88, v103
	;; [unrolled: 1-line block ×5, first 2 shown]
	v_mul_i32_i24_e32 v130, v153, v130
	v_mul_i32_i24_e32 v14, v14, v236
	;; [unrolled: 1-line block ×6, first 2 shown]
	v_add3_u32 v78, v78, v143, v98
	v_add3_u32 v84, v93, v148, v151
	;; [unrolled: 1-line block ×12, first 2 shown]
	v_pk_mul_f16 v100, v10, v100
	v_add3_u32 v13, v13, v78, v14
	v_add3_u32 v14, v79, v124, v85
	;; [unrolled: 1-line block ×4, first 2 shown]
	v_pk_mul_f16 v101, v10, v101
	v_pk_mul_f16 v12, v10, v12
	;; [unrolled: 1-line block ×3, first 2 shown]
	v_cvt_f32_i32_e32 v11, v13
	v_cvt_f32_i32_e32 v13, v14
	v_cvt_f32_i32_e32 v14, v78
	v_cvt_f32_i32_e32 v78, v79
	s_delay_alu instid0(VALU_DEP_4) | instskip(NEXT) | instid1(VALU_DEP_4)
	v_fma_mix_f32 v10, v10, v11, v10 op_sel:[0,0,1] op_sel_hi:[1,0,1]
	v_fma_mix_f32 v11, v100, v13, v100 op_sel:[0,0,1] op_sel_hi:[1,0,1]
	s_delay_alu instid0(VALU_DEP_4) | instskip(NEXT) | instid1(VALU_DEP_4)
	v_fma_mix_f32 v13, v101, v14, v101 op_sel:[0,0,1] op_sel_hi:[1,0,1]
	v_fma_mix_f32 v12, v12, v78, v12 op_sel:[0,0,1] op_sel_hi:[1,0,1]
	s_delay_alu instid0(VALU_DEP_4) | instskip(NEXT) | instid1(VALU_DEP_3)
	v_dual_add_f32 v2, v2, v10 :: v_dual_add_nc_u32 v9, 16, v9
	v_dual_add_f32 v55, v55, v13 :: v_dual_add_nc_u32 v8, 4, v8
	s_delay_alu instid0(VALU_DEP_3)
	v_dual_add_f32 v48, v48, v12 :: v_dual_add_nc_u32 v7, 4, v7
	v_add_f32_e32 v17, v17, v11
	s_cbranch_scc1 .LBB199_19
; %bb.20:                               ;   in Loop: Header=BB199_5 Depth=1
	s_wait_loadcnt 0x0
	s_barrier_signal -1
	s_barrier_wait -1
	global_inv scope:SCOPE_SE
	s_branch .LBB199_4
.LBB199_21:
	s_mul_i32 s0, s7, s4
	s_wait_loadcnt 0x0
	s_wait_alu 0xfffe
	v_cmp_gt_i32_e32 vcc_lo, s0, v15
	s_and_saveexec_b32 s0, vcc_lo
	s_cbranch_execz .LBB199_30
; %bb.22:
	v_mul_lo_u32 v0, v15, s6
	v_add_nc_u32_e32 v1, s18, v16
	s_mov_b32 s0, exec_lo
	s_delay_alu instid0(VALU_DEP_1)
	v_cmpx_gt_u32_e64 s6, v1
	s_cbranch_execz .LBB199_24
; %bb.23:
	s_delay_alu instid0(VALU_DEP_3) | instskip(SKIP_1) | instid1(VALU_DEP_2)
	v_dual_mov_b32 v4, 0 :: v_dual_add_nc_u32 v3, v0, v1
	v_cvt_f16_f32_e32 v5, v17
	v_lshlrev_b64_e32 v[3:4], 1, v[3:4]
	s_delay_alu instid0(VALU_DEP_1) | instskip(SKIP_1) | instid1(VALU_DEP_2)
	v_add_co_u32 v3, vcc_lo, s8, v3
	s_wait_alu 0xfffd
	v_add_co_ci_u32_e64 v4, null, s9, v4, vcc_lo
	global_store_b16 v[3:4], v5, off
.LBB199_24:
	s_wait_alu 0xfffe
	s_or_b32 exec_lo, exec_lo, s0
	v_add_nc_u32_e32 v3, 32, v1
	s_mov_b32 s0, exec_lo
	s_delay_alu instid0(VALU_DEP_1)
	v_cmpx_gt_u32_e64 s6, v3
	s_cbranch_execz .LBB199_26
; %bb.25:
	v_dual_mov_b32 v4, 0 :: v_dual_add_nc_u32 v3, v0, v3
	v_cvt_f16_f32_e32 v5, v55
	s_delay_alu instid0(VALU_DEP_2) | instskip(NEXT) | instid1(VALU_DEP_1)
	v_lshlrev_b64_e32 v[3:4], 1, v[3:4]
	v_add_co_u32 v3, vcc_lo, s8, v3
	s_wait_alu 0xfffd
	s_delay_alu instid0(VALU_DEP_2)
	v_add_co_ci_u32_e64 v4, null, s9, v4, vcc_lo
	global_store_b16 v[3:4], v5, off
.LBB199_26:
	s_wait_alu 0xfffe
	s_or_b32 exec_lo, exec_lo, s0
	v_add_nc_u32_e32 v3, 64, v1
	s_mov_b32 s0, exec_lo
	s_delay_alu instid0(VALU_DEP_1)
	v_cmpx_gt_u32_e64 s6, v3
	s_cbranch_execz .LBB199_28
; %bb.27:
	v_dual_mov_b32 v4, 0 :: v_dual_add_nc_u32 v3, v0, v3
	v_cvt_f16_f32_e32 v5, v48
	s_delay_alu instid0(VALU_DEP_2) | instskip(NEXT) | instid1(VALU_DEP_1)
	v_lshlrev_b64_e32 v[3:4], 1, v[3:4]
	v_add_co_u32 v3, vcc_lo, s8, v3
	s_wait_alu 0xfffd
	s_delay_alu instid0(VALU_DEP_2)
	v_add_co_ci_u32_e64 v4, null, s9, v4, vcc_lo
	global_store_b16 v[3:4], v5, off
.LBB199_28:
	s_wait_alu 0xfffe
	s_or_b32 exec_lo, exec_lo, s0
	v_add_nc_u32_e32 v1, 0x60, v1
	s_delay_alu instid0(VALU_DEP_1)
	v_cmp_gt_u32_e32 vcc_lo, s6, v1
	s_and_b32 exec_lo, exec_lo, vcc_lo
	s_cbranch_execz .LBB199_30
; %bb.29:
	v_dual_mov_b32 v1, 0 :: v_dual_add_nc_u32 v0, v0, v1
	v_cvt_f16_f32_e32 v2, v2
	s_delay_alu instid0(VALU_DEP_2) | instskip(NEXT) | instid1(VALU_DEP_1)
	v_lshlrev_b64_e32 v[0:1], 1, v[0:1]
	v_add_co_u32 v0, vcc_lo, s8, v0
	s_wait_alu 0xfffd
	s_delay_alu instid0(VALU_DEP_2)
	v_add_co_ci_u32_e64 v1, null, s9, v1, vcc_lo
	global_store_b16 v[0:1], v2, off
.LBB199_30:
	s_nop 0
	s_sendmsg sendmsg(MSG_DEALLOC_VGPRS)
	s_endpgm
	.section	.rodata,"a",@progbits
	.p2align	6, 0x0
	.amdhsa_kernel _ZL8moe_q4_1IN3c104HalfELb0EEvPKvS3_PT_PKiS7_S7_iiiiiii
		.amdhsa_group_segment_fixed_size 22272
		.amdhsa_private_segment_fixed_size 0
		.amdhsa_kernarg_size 76
		.amdhsa_user_sgpr_count 2
		.amdhsa_user_sgpr_dispatch_ptr 0
		.amdhsa_user_sgpr_queue_ptr 0
		.amdhsa_user_sgpr_kernarg_segment_ptr 1
		.amdhsa_user_sgpr_dispatch_id 0
		.amdhsa_user_sgpr_private_segment_size 0
		.amdhsa_wavefront_size32 1
		.amdhsa_uses_dynamic_stack 0
		.amdhsa_enable_private_segment 0
		.amdhsa_system_sgpr_workgroup_id_x 1
		.amdhsa_system_sgpr_workgroup_id_y 1
		.amdhsa_system_sgpr_workgroup_id_z 0
		.amdhsa_system_sgpr_workgroup_info 0
		.amdhsa_system_vgpr_workitem_id 1
		.amdhsa_next_free_vgpr 238
		.amdhsa_next_free_sgpr 22
		.amdhsa_reserve_vcc 1
		.amdhsa_float_round_mode_32 0
		.amdhsa_float_round_mode_16_64 0
		.amdhsa_float_denorm_mode_32 3
		.amdhsa_float_denorm_mode_16_64 3
		.amdhsa_fp16_overflow 0
		.amdhsa_workgroup_processor_mode 1
		.amdhsa_memory_ordered 1
		.amdhsa_forward_progress 1
		.amdhsa_inst_pref_size 66
		.amdhsa_round_robin_scheduling 0
		.amdhsa_exception_fp_ieee_invalid_op 0
		.amdhsa_exception_fp_denorm_src 0
		.amdhsa_exception_fp_ieee_div_zero 0
		.amdhsa_exception_fp_ieee_overflow 0
		.amdhsa_exception_fp_ieee_underflow 0
		.amdhsa_exception_fp_ieee_inexact 0
		.amdhsa_exception_int_div_zero 0
	.end_amdhsa_kernel
	.section	.text._ZL8moe_q4_1IN3c104HalfELb0EEvPKvS3_PT_PKiS7_S7_iiiiiii,"axG",@progbits,_ZL8moe_q4_1IN3c104HalfELb0EEvPKvS3_PT_PKiS7_S7_iiiiiii,comdat
.Lfunc_end199:
	.size	_ZL8moe_q4_1IN3c104HalfELb0EEvPKvS3_PT_PKiS7_S7_iiiiiii, .Lfunc_end199-_ZL8moe_q4_1IN3c104HalfELb0EEvPKvS3_PT_PKiS7_S7_iiiiiii
                                        ; -- End function
	.set _ZL8moe_q4_1IN3c104HalfELb0EEvPKvS3_PT_PKiS7_S7_iiiiiii.num_vgpr, 238
	.set _ZL8moe_q4_1IN3c104HalfELb0EEvPKvS3_PT_PKiS7_S7_iiiiiii.num_agpr, 0
	.set _ZL8moe_q4_1IN3c104HalfELb0EEvPKvS3_PT_PKiS7_S7_iiiiiii.numbered_sgpr, 22
	.set _ZL8moe_q4_1IN3c104HalfELb0EEvPKvS3_PT_PKiS7_S7_iiiiiii.num_named_barrier, 0
	.set _ZL8moe_q4_1IN3c104HalfELb0EEvPKvS3_PT_PKiS7_S7_iiiiiii.private_seg_size, 0
	.set _ZL8moe_q4_1IN3c104HalfELb0EEvPKvS3_PT_PKiS7_S7_iiiiiii.uses_vcc, 1
	.set _ZL8moe_q4_1IN3c104HalfELb0EEvPKvS3_PT_PKiS7_S7_iiiiiii.uses_flat_scratch, 0
	.set _ZL8moe_q4_1IN3c104HalfELb0EEvPKvS3_PT_PKiS7_S7_iiiiiii.has_dyn_sized_stack, 0
	.set _ZL8moe_q4_1IN3c104HalfELb0EEvPKvS3_PT_PKiS7_S7_iiiiiii.has_recursion, 0
	.set _ZL8moe_q4_1IN3c104HalfELb0EEvPKvS3_PT_PKiS7_S7_iiiiiii.has_indirect_call, 0
	.section	.AMDGPU.csdata,"",@progbits
; Kernel info:
; codeLenInByte = 8368
; TotalNumSgprs: 24
; NumVgprs: 238
; ScratchSize: 0
; MemoryBound: 0
; FloatMode: 240
; IeeeMode: 1
; LDSByteSize: 22272 bytes/workgroup (compile time only)
; SGPRBlocks: 0
; VGPRBlocks: 29
; NumSGPRsForWavesPerEU: 24
; NumVGPRsForWavesPerEU: 238
; Occupancy: 6
; WaveLimiterHint : 1
; COMPUTE_PGM_RSRC2:SCRATCH_EN: 0
; COMPUTE_PGM_RSRC2:USER_SGPR: 2
; COMPUTE_PGM_RSRC2:TRAP_HANDLER: 0
; COMPUTE_PGM_RSRC2:TGID_X_EN: 1
; COMPUTE_PGM_RSRC2:TGID_Y_EN: 1
; COMPUTE_PGM_RSRC2:TGID_Z_EN: 0
; COMPUTE_PGM_RSRC2:TIDIG_COMP_CNT: 1
	.section	.text._ZL8moe_q4_1IN3c104HalfELb1EEvPKvS3_PT_PKiS7_S7_iiiiiii,"axG",@progbits,_ZL8moe_q4_1IN3c104HalfELb1EEvPKvS3_PT_PKiS7_S7_iiiiiii,comdat
	.globl	_ZL8moe_q4_1IN3c104HalfELb1EEvPKvS3_PT_PKiS7_S7_iiiiiii ; -- Begin function _ZL8moe_q4_1IN3c104HalfELb1EEvPKvS3_PT_PKiS7_S7_iiiiiii
	.p2align	8
	.type	_ZL8moe_q4_1IN3c104HalfELb1EEvPKvS3_PT_PKiS7_S7_iiiiiii,@function
_ZL8moe_q4_1IN3c104HalfELb1EEvPKvS3_PT_PKiS7_S7_iiiiiii: ; @_ZL8moe_q4_1IN3c104HalfELb1EEvPKvS3_PT_PKiS7_S7_iiiiiii
; %bb.0:
	s_load_b128 s[4:7], s[0:1], 0x18
	s_mov_b32 s2, ttmp7
	s_mov_b32 s3, 0
	s_delay_alu instid0(SALU_CYCLE_1)
	s_lshl_b64 s[2:3], s[2:3], 2
	s_wait_kmcnt 0x0
	s_add_nc_u64 s[2:3], s[6:7], s[2:3]
	s_load_b32 s14, s[2:3], 0x0
	s_wait_kmcnt 0x0
	s_cmp_gt_u32 s14, 0xff
	s_cbranch_scc1 .LBB200_30
; %bb.1:
	s_load_b64 s[2:3], s[0:1], 0x28
	s_wait_kmcnt 0x0
	s_load_b32 s3, s[2:3], 0x0
	s_lshl_b32 s2, ttmp7, 3
	s_wait_kmcnt 0x0
	s_cmp_gt_u32 s2, s3
	s_cbranch_scc1 .LBB200_30
; %bb.2:
	v_bfe_u32 v18, v0, 10, 10
	v_mov_b32_e32 v17, 0
	s_lshl_b32 s11, ttmp9, 7
	s_delay_alu instid0(VALU_DEP_2) | instskip(NEXT) | instid1(VALU_DEP_2)
	v_add_nc_u32_e32 v16, s2, v18
	v_dual_mov_b32 v60, v17 :: v_dual_and_b32 v33, 0x3ff, v0
	v_dual_mov_b32 v57, v17 :: v_dual_mov_b32 v34, v17
	s_delay_alu instid0(VALU_DEP_3) | instskip(NEXT) | instid1(VALU_DEP_1)
	v_lshlrev_b64_e32 v[1:2], 2, v[16:17]
	v_add_co_u32 v1, vcc_lo, s4, v1
	s_delay_alu instid0(VALU_DEP_1)
	v_add_co_ci_u32_e64 v2, null, s5, v2, vcc_lo
	global_load_b32 v32, v[1:2], off
	s_clause 0x2
	s_load_b128 s[4:7], s[0:1], 0x30
	s_load_b64 s[12:13], s[0:1], 0x10
	s_load_b96 s[8:10], s[0:1], 0x40
	s_wait_kmcnt 0x0
	s_cmp_lt_i32 s5, 32
	s_cbranch_scc1 .LBB200_21
; %bb.3:
	s_load_b128 s[0:3], s[0:1], 0x0
	s_ashr_i32 s15, s5, 31
	s_mul_i32 s14, s14, s4
	s_lshr_b32 s4, s15, 27
	s_ashr_i32 s15, s14, 31
	s_wait_alu 0xfffe
	s_add_co_i32 s4, s5, s4
	s_ashr_i32 s16, s8, 31
	s_wait_alu 0xfffe
	s_ashr_i32 s4, s4, 5
	s_not_b32 s17, s11
	s_wait_alu 0xfffe
	s_mul_i32 s18, s4, s11
	s_lshr_b32 s20, s16, 27
	s_ashr_i32 s19, s18, 31
	s_wait_loadcnt 0x0
	v_sub_nc_u32_e32 v26, 0, v32
	s_mul_u64 s[18:19], s[18:19], 20
	s_add_co_i32 s16, s6, s17
	s_add_co_i32 s6, s8, s20
	v_add_nc_u32_e32 v6, 24, v18
	v_max_i32_e32 v26, v32, v26
	v_dual_mov_b32 v34, 0 :: v_dual_lshlrev_b32 v19, 2, v33
	s_wait_kmcnt 0x0
	s_add_nc_u64 s[0:1], s[0:1], s[14:15]
	v_min_i32_e32 v2, s16, v18
	s_add_nc_u64 s[14:15], s[0:1], s[18:19]
	s_abs_i32 s0, s10
	v_add_nc_u32_e32 v8, 40, v18
	s_cvt_f32_u32 s1, s0
	s_sub_co_i32 s8, 0, s0
	v_dual_mov_b32 v60, 0 :: v_dual_add_nc_u32 v9, 48, v18
	s_delay_alu instid0(SALU_CYCLE_1)
	v_rcp_iflag_f32_e32 v24, s1
	v_add_nc_u32_e32 v10, 56, v18
	v_min_i32_e32 v6, s16, v6
	v_add_nc_u32_e32 v11, 64, v18
	v_add_nc_u32_e32 v12, 0x48, v18
	v_mul_lo_u32 v37, v2, s4
	v_min_i32_e32 v8, s16, v8
	v_add_nc_u32_e32 v13, 0x50, v18
	v_min_i32_e32 v9, s16, v9
	v_add_nc_u32_e32 v14, 0x58, v18
	v_readfirstlane_b32 s1, v24
	v_min_i32_e32 v10, s16, v10
	v_min_i32_e32 v11, s16, v11
	v_mul_lo_u32 v40, v6, s4
	v_min_i32_e32 v12, s16, v12
	s_mul_f32 s1, s1, 0x4f7ffffe
	v_min_i32_e32 v13, s16, v13
	v_mul_lo_u32 v42, v8, s4
	v_min_i32_e32 v14, s16, v14
	s_wait_alu 0xfffe
	s_cvt_u32_f32 s1, s1
	v_bfe_u32 v49, v0, 3, 7
	v_mul_lo_u32 v43, v9, s4
	v_mul_lo_u32 v44, v10, s4
	s_wait_alu 0xfffe
	s_mul_i32 s8, s8, s1
	v_mul_lo_u32 v45, v11, s4
	s_mul_hi_u32 s8, s1, s8
	v_mul_lo_u32 v46, v12, s4
	s_add_co_i32 s1, s1, s8
	v_mul_lo_u32 v47, v13, s4
	s_wait_alu 0xfffe
	v_mul_hi_u32 v28, v26, s1
	v_add_nc_u32_e32 v15, 0x60, v18
	v_add_nc_u32_e32 v16, 0x68, v18
	;; [unrolled: 1-line block ×4, first 2 shown]
	v_mul_lo_u32 v48, v14, s4
	v_min_i32_e32 v15, s16, v15
	v_min_i32_e32 v16, s16, v16
	v_mul_lo_u32 v29, v28, s0
	v_min_i32_e32 v17, s16, v17
	v_min_i32_e32 v22, s16, v22
	v_mul_lo_u32 v50, v15, s4
	v_mul_lo_u32 v51, v16, s4
	v_and_b32_e32 v54, 7, v0
	v_mul_lo_u32 v52, v17, s4
	v_mul_lo_u32 v53, v22, s4
	v_sub_nc_u32_e32 v26, v26, v29
	v_add_nc_u32_e32 v29, 1, v28
	v_lshlrev_b32_e32 v24, 2, v54
	v_lshl_add_u32 v61, v18, 7, 0x5280
	v_lshl_add_u32 v62, v18, 4, 0x5680
	v_subrev_nc_u32_e32 v31, s0, v26
	v_cmp_le_u32_e32 vcc_lo, s0, v26
	v_add_nc_u32_e32 v1, 8, v18
	v_add_nc_u32_e32 v3, 16, v18
	v_and_b32_e32 v36, 12, v19
	v_add_nc_u32_e32 v64, v62, v19
	s_wait_alu 0xfffd
	v_cndmask_b32_e32 v28, v28, v29, vcc_lo
	v_cndmask_b32_e32 v26, v26, v31, vcc_lo
	v_min_i32_e32 v4, s16, v1
	v_min_i32_e32 v5, s16, v3
	v_mad_co_u64_u32 v[1:2], null, 0x84, v2, v[19:20]
	v_add_nc_u32_e32 v31, 1, v28
	v_cmp_le_u32_e32 vcc_lo, s0, v26
	v_add_nc_u32_e32 v7, 32, v18
	v_mad_co_u64_u32 v[2:3], null, 0x84, v4, v[19:20]
	v_mul_lo_u32 v38, v4, s4
	s_wait_alu 0xfffd
	v_cndmask_b32_e32 v26, v28, v31, vcc_lo
	v_min_i32_e32 v7, s16, v7
	v_mad_co_u64_u32 v[3:4], null, 0x84, v5, v[19:20]
	v_mul_lo_u32 v39, v5, s4
	v_mad_co_u64_u32 v[4:5], null, 0x84, v6, v[19:20]
	s_delay_alu instid0(VALU_DEP_4)
	v_mad_co_u64_u32 v[5:6], null, 0x84, v7, v[19:20]
	v_mul_lo_u32 v41, v7, s4
	v_mad_co_u64_u32 v[6:7], null, 0x84, v8, v[19:20]
	v_mad_co_u64_u32 v[7:8], null, 0x84, v9, v[19:20]
	v_mad_co_u64_u32 v[8:9], null, 0x84, v10, v[19:20]
	v_mad_co_u64_u32 v[9:10], null, 0x84, v11, v[19:20]
	v_mad_co_u64_u32 v[10:11], null, 0x84, v12, v[19:20]
	v_mad_co_u64_u32 v[11:12], null, 0x84, v13, v[19:20]
	v_mad_co_u64_u32 v[12:13], null, 0x84, v14, v[19:20]
	v_lshl_add_u32 v20, v18, 2, v49
	v_and_b32_e32 v28, 31, v0
	v_and_b32_e32 v31, 0xfc, v0
	s_ashr_i32 s6, s6, 5
	v_bfe_u32 v35, v0, 2, 8
	v_min_i32_e32 v21, s16, v20
	v_mad_co_u64_u32 v[13:14], null, 0x84, v15, v[19:20]
	v_mad_co_u64_u32 v[14:15], null, 0x84, v16, v[19:20]
	s_delay_alu instid0(VALU_DEP_3) | instskip(SKIP_3) | instid1(VALU_DEP_4)
	v_ashrrev_i32_e32 v23, 31, v21
	v_mad_co_u64_u32 v[15:16], null, 0x84, v17, v[19:20]
	v_add_nc_u32_e32 v25, 32, v20
	v_mad_co_u64_u32 v[16:17], null, 0x84, v22, v[19:20]
	v_lshrrev_b32_e32 v23, 30, v23
	v_lshl_or_b32 v63, v28, 2, v61
	s_delay_alu instid0(VALU_DEP_4)
	v_min_i32_e32 v17, s16, v25
	v_add_nc_u32_e32 v28, 32, v33
	v_mul_lo_u32 v55, v21, s4
	v_add_nc_u32_e32 v23, v21, v23
	v_lshlrev_b32_e32 v21, 5, v21
	v_ashrrev_i32_e32 v25, 31, v17
	v_lshrrev_b32_e32 v65, 3, v28
	v_and_b32_e32 v28, 0x1fc, v28
	v_and_b32_e32 v22, -4, v23
	v_add_nc_u32_e32 v23, 64, v20
	v_add_nc_u32_e32 v20, 0x60, v20
	v_lshrrev_b32_e32 v25, 30, v25
	v_mul_lo_u32 v56, v17, s4
	v_add3_u32 v22, v22, v24, 0x4200
	v_min_i32_e32 v23, s16, v23
	v_min_i32_e32 v20, s16, v20
	v_add_nc_u32_e32 v25, v17, v25
	v_lshlrev_b32_e32 v17, 5, v17
	v_cmp_gt_u32_e32 vcc_lo, 4, v33
	v_ashrrev_i32_e32 v27, 31, v23
	v_ashrrev_i32_e32 v30, 31, v20
	v_and_b32_e32 v25, -4, v25
	v_mul_lo_u32 v58, v23, s4
	v_mul_lo_u32 v59, v20, s4
	v_lshrrev_b32_e32 v27, 30, v27
	v_lshrrev_b32_e32 v30, 30, v30
	v_add3_u32 v25, v25, v24, 0x4200
	v_add_nc_u32_e32 v74, v22, v21
	s_mov_b32 s17, 0
	v_add_nc_u32_e32 v27, v23, v27
	v_add_nc_u32_e32 v30, v20, v30
	v_lshlrev_b32_e32 v23, 5, v23
	v_lshlrev_b32_e32 v20, 5, v20
	v_add_nc_u32_e32 v75, v25, v17
	v_and_b32_e32 v27, -4, v27
	v_and_b32_e32 v29, -4, v30
	v_xor_b32_e32 v30, s10, v32
	v_mov_b32_e32 v17, 0
	s_wait_alu 0xfffe
	s_mov_b32 s16, s17
	v_add3_u32 v27, v27, v24, 0x4200
	v_add3_u32 v24, v29, v24, 0x4200
	v_ashrrev_i32_e32 v29, 31, v30
	v_lshlrev_b32_e32 v30, 5, v33
	s_delay_alu instid0(VALU_DEP_4) | instskip(NEXT) | instid1(VALU_DEP_4)
	v_add_nc_u32_e32 v76, v27, v23
	v_add_nc_u32_e32 v77, v24, v20
	s_delay_alu instid0(VALU_DEP_4) | instskip(SKIP_3) | instid1(VALU_DEP_4)
	v_xor_b32_e32 v18, v26, v29
	v_and_b32_e32 v26, 28, v19
	v_add_nc_u32_e32 v19, 0x60, v33
	v_add_nc_u32_e32 v28, v30, v28
	v_sub_nc_u32_e32 v18, v18, v29
	v_add_nc_u32_e32 v29, 64, v33
	s_delay_alu instid0(VALU_DEP_4) | instskip(NEXT) | instid1(VALU_DEP_4)
	v_and_b32_e32 v19, 0x1fc, v19
	v_add_nc_u32_e32 v68, 0x4600, v28
	v_add_nc_u32_e32 v72, 0x4610, v28
	v_mul_lo_u32 v0, v18, s6
	v_and_b32_e32 v29, 0x1fc, v29
	v_add_nc_u32_e32 v57, v30, v19
	v_cmp_gt_i32_e64 s0, s7, v18
	v_add_co_u32 v18, s1, s2, v26
	s_delay_alu instid0(VALU_DEP_4)
	v_add_nc_u32_e32 v29, v30, v29
	v_add_nc_u32_e32 v30, v30, v31
	s_wait_alu 0xf1ff
	v_add_co_ci_u32_e64 v19, null, s3, 0, s1
	v_add_nc_u32_e32 v66, 0x4e00, v57
	v_add_nc_u32_e32 v67, 0x4a00, v29
	;; [unrolled: 1-line block ×6, first 2 shown]
	v_mov_b32_e32 v57, 0
	s_and_b32 s8, vcc_lo, s0
	s_branch .LBB200_5
.LBB200_4:                              ;   in Loop: Header=BB200_5 Depth=1
	s_add_co_i32 s16, s16, 8
	s_wait_alu 0xfffe
	s_cmp_ge_i32 s16, s4
	s_cbranch_scc1 .LBB200_21
.LBB200_5:                              ; =>This Loop Header: Depth=1
                                        ;     Child Loop BB200_11 Depth 2
                                        ;     Child Loop BB200_19 Depth 2
	s_wait_alu 0xfffe
	s_mul_u64 s[18:19], s[16:17], 20
	s_wait_alu 0xfffe
	s_add_nc_u64 s[18:19], s[14:15], s[18:19]
	s_wait_alu 0xfffe
	v_mad_co_u64_u32 v[20:21], null, v35, 20, s[18:19]
	s_delay_alu instid0(VALU_DEP_1) | instskip(SKIP_3) | instid1(VALU_DEP_4)
	v_mad_co_i64_i32 v[22:23], null, v37, 20, v[20:21]
	v_mad_co_i64_i32 v[24:25], null, v38, 20, v[20:21]
	;; [unrolled: 1-line block ×4, first 2 shown]
	v_add_co_u32 v22, s1, v22, v36
	v_mad_co_i64_i32 v[30:31], null, v41, 20, v[20:21]
	s_wait_alu 0xf1ff
	v_add_co_ci_u32_e64 v23, null, 0, v23, s1
	v_add_co_u32 v24, s1, v24, v36
	v_mad_co_i64_i32 v[78:79], null, v42, 20, v[20:21]
	s_wait_alu 0xf1ff
	v_add_co_ci_u32_e64 v25, null, 0, v25, s1
	;; [unrolled: 4-line block ×4, first 2 shown]
	v_add_co_u32 v30, s1, v30, v36
	s_wait_alu 0xf1ff
	v_add_co_ci_u32_e64 v31, null, 0, v31, s1
	v_add_co_u32 v78, s1, v78, v36
	s_wait_alu 0xf1ff
	v_add_co_ci_u32_e64 v79, null, 0, v79, s1
	;; [unrolled: 3-line block ×3, first 2 shown]
	v_add_co_u32 v82, s1, v82, v36
	v_mad_co_i64_i32 v[84:85], null, v45, 20, v[20:21]
	s_wait_alu 0xf1ff
	v_add_co_ci_u32_e64 v83, null, 0, v83, s1
	s_clause 0x7
	global_load_b32 v90, v[22:23], off offset:4
	global_load_b32 v91, v[24:25], off offset:4
	global_load_b32 v92, v[26:27], off offset:4
	global_load_b32 v93, v[28:29], off offset:4
	global_load_b32 v94, v[30:31], off offset:4
	global_load_b32 v95, v[78:79], off offset:4
	global_load_b32 v96, v[80:81], off offset:4
	global_load_b32 v97, v[82:83], off offset:4
	v_mad_co_i64_i32 v[22:23], null, v46, 20, v[20:21]
	v_mad_co_i64_i32 v[26:27], null, v47, 20, v[20:21]
	;; [unrolled: 1-line block ×3, first 2 shown]
	v_add_co_u32 v24, s1, v84, v36
	v_mad_co_i64_i32 v[30:31], null, v50, 20, v[20:21]
	s_wait_alu 0xf1ff
	v_add_co_ci_u32_e64 v25, null, 0, v85, s1
	v_add_co_u32 v22, s1, v22, v36
	v_mad_co_i64_i32 v[78:79], null, v51, 20, v[20:21]
	s_wait_alu 0xf1ff
	v_add_co_ci_u32_e64 v23, null, 0, v23, s1
	;; [unrolled: 4-line block ×4, first 2 shown]
	v_add_co_u32 v30, s1, v30, v36
	v_mad_co_u64_u32 v[82:83], null, v54, 20, s[18:19]
	s_wait_alu 0xf1ff
	v_add_co_ci_u32_e64 v31, null, 0, v31, s1
	v_add_co_u32 v78, s1, v78, v36
	s_wait_alu 0xf1ff
	v_add_co_ci_u32_e64 v79, null, 0, v79, s1
	v_add_co_u32 v80, s1, v80, v36
	;; [unrolled: 3-line block ×3, first 2 shown]
	s_wait_alu 0xf1ff
	v_add_co_ci_u32_e64 v21, null, 0, v21, s1
	v_mad_co_i64_i32 v[84:85], null, v55, 20, v[82:83]
	v_mad_co_i64_i32 v[86:87], null, v56, 20, v[82:83]
	;; [unrolled: 1-line block ×4, first 2 shown]
	s_clause 0xb
	global_load_b32 v24, v[24:25], off offset:4
	global_load_b32 v22, v[22:23], off offset:4
	;; [unrolled: 1-line block ×8, first 2 shown]
	global_load_b32 v21, v[84:85], off
	global_load_b32 v29, v[86:87], off
	;; [unrolled: 1-line block ×4, first 2 shown]
	s_lshl_b32 s18, s16, 5
	s_wait_loadcnt 0x13
	ds_store_b32 v1, v90
	s_wait_loadcnt 0x12
	ds_store_b32 v2, v91
	;; [unrolled: 2-line block ×20, first 2 shown]
	s_wait_alu 0xfffe
	s_cmp_lt_i32 s18, s5
	s_cbranch_scc0 .LBB200_4
; %bb.6:                                ;   in Loop: Header=BB200_5 Depth=1
	v_add_nc_u32_e32 v20, s16, v49
	s_delay_alu instid0(VALU_DEP_1)
	v_cmp_gt_i32_e64 s1, s6, v20
	s_and_b32 s19, s0, s1
	s_wait_alu 0xfffe
	s_and_saveexec_b32 s1, s19
	s_cbranch_execz .LBB200_8
; %bb.7:                                ;   in Loop: Header=BB200_5 Depth=1
	v_add_nc_u32_e32 v20, v0, v20
	s_delay_alu instid0(VALU_DEP_1)
	v_mad_co_i64_i32 v[20:21], null, v20, 36, v[18:19]
	global_load_b32 v20, v[20:21], off offset:4
	s_wait_loadcnt 0x0
	ds_store_b32 v63, v20
.LBB200_8:                              ;   in Loop: Header=BB200_5 Depth=1
	s_wait_alu 0xfffe
	s_or_b32 exec_lo, exec_lo, s1
	v_add_nc_u32_e32 v78, s16, v33
	s_delay_alu instid0(VALU_DEP_1)
	v_cmp_gt_i32_e64 s1, s6, v78
	s_and_b32 s19, s8, s1
	s_wait_alu 0xfffe
	s_and_saveexec_b32 s1, s19
	s_cbranch_execz .LBB200_10
; %bb.9:                                ;   in Loop: Header=BB200_5 Depth=1
	v_add_nc_u32_e32 v20, v0, v78
	s_delay_alu instid0(VALU_DEP_1)
	v_mad_co_i64_i32 v[20:21], null, v20, 36, s[2:3]
	global_load_b32 v20, v[20:21], off
	s_wait_loadcnt 0x0
	ds_store_b32 v64, v20
.LBB200_10:                             ;   in Loop: Header=BB200_5 Depth=1
	s_wait_alu 0xfffe
	s_or_b32 exec_lo, exec_lo, s1
	v_dual_mov_b32 v79, v61 :: v_dual_mov_b32 v80, v62
	v_mul_u32_u24_e32 v85, 0x84, v33
	v_dual_mov_b32 v81, v69 :: v_dual_mov_b32 v82, v68
	v_dual_mov_b32 v83, v67 :: v_dual_mov_b32 v84, v66
	s_mov_b32 s1, -4
	s_wait_dscnt 0x0
	s_barrier_signal -1
	s_barrier_wait -1
	global_inv scope:SCOPE_SE
.LBB200_11:                             ;   Parent Loop BB200_5 Depth=1
                                        ; =>  This Inner Loop Header: Depth=2
	v_add_nc_u32_e32 v87, 0x1080, v85
	v_add_nc_u32_e32 v88, 0x1088, v85
	;; [unrolled: 1-line block ×5, first 2 shown]
	ds_load_2addr_b32 v[20:21], v79 offset0:4 offset1:7
	ds_load_2addr_b32 v[28:29], v85 offset1:1
	ds_load_2addr_b32 v[22:23], v79 offset1:3
	ds_load_2addr_b32 v[26:27], v79 offset0:1 offset1:2
	ds_load_2addr_b32 v[24:25], v79 offset0:5 offset1:6
	;; [unrolled: 1-line block ×3, first 2 shown]
	v_add_nc_u32_e32 v91, 0x3180, v85
	ds_load_b32 v86, v84
	ds_load_2addr_b32 v[92:93], v87 offset1:1
	ds_load_2addr_b32 v[87:88], v88 offset1:1
	;; [unrolled: 1-line block ×6, first 2 shown]
	v_add_nc_u32_e32 v85, 16, v85
	v_add_nc_u32_e32 v84, 4, v84
	;; [unrolled: 1-line block ×3, first 2 shown]
	s_wait_alu 0xfffe
	s_add_co_i32 s1, s1, 4
	s_wait_alu 0xfffe
	s_cmp_lt_u32 s1, 12
	s_wait_dscnt 0xc
	v_lshrrev_b16 v91, 8, v20
	v_ashrrev_i32_e32 v131, 24, v20
	v_bfe_i32 v132, v20, 16, 8
	v_bfe_i32 v20, v20, 0, 8
	s_wait_dscnt 0xb
	v_and_b32_e32 v101, 15, v28
	s_wait_dscnt 0xa
	v_lshrrev_b16 v128, 8, v22
	s_wait_dscnt 0x1
	v_bfe_u32 v201, v96, 4, 4
	v_ashrrev_i32_e32 v129, 24, v22
	v_bfe_i32 v130, v22, 16, 8
	v_bfe_i32 v22, v22, 0, 8
	v_and_b32_e32 v152, 15, v92
	v_and_b32_e32 v180, 15, v94
	v_mul_i32_i24_e32 v201, v201, v20
	v_and_b32_e32 v202, 15, v96
	v_mul_i32_i24_e32 v101, v22, v101
	v_mul_i32_i24_e32 v152, v22, v152
	v_bfe_u32 v103, v28, 16, 4
	v_bfe_u32 v154, v92, 16, 4
	v_mad_i32_i24 v201, v202, v22, v201
	v_mul_i32_i24_e32 v22, v22, v180
	v_bfe_u32 v180, v96, 20, 4
	v_bfe_u32 v182, v94, 16, 4
	;; [unrolled: 1-line block ×3, first 2 shown]
	v_mul_i32_i24_e32 v103, v130, v103
	v_mul_i32_i24_e32 v154, v130, v154
	;; [unrolled: 1-line block ×3, first 2 shown]
	v_bfe_u32 v102, v28, 8, 4
	v_bfe_u32 v104, v28, 24, 4
	;; [unrolled: 1-line block ×4, first 2 shown]
	v_mad_i32_i24 v180, v202, v130, v180
	v_mul_i32_i24_e32 v130, v130, v182
	v_lshrrev_b32_e32 v182, 28, v96
	v_bfe_u32 v181, v94, 8, 4
	v_bfe_u32 v183, v94, 24, 4
	v_bfe_i32 v128, v128, 0, 8
	v_bfe_u32 v202, v96, 24, 4
	v_mul_i32_i24_e32 v182, v182, v131
	v_bfe_u32 v105, v28, 4, 4
	v_bfe_u32 v106, v28, 12, 4
	;; [unrolled: 1-line block ×6, first 2 shown]
	v_mul_i32_i24_e32 v104, v129, v104
	v_mad_i32_i24 v101, v128, v102, v101
	v_mad_i32_i24 v152, v128, v153, v152
	v_mul_i32_i24_e32 v155, v129, v155
	v_mad_i32_i24 v182, v202, v129, v182
	v_mul_i32_i24_e32 v129, v129, v183
	v_mad_i32_i24 v22, v128, v181, v22
	v_bfe_i32 v91, v91, 0, 8
	v_bfe_u32 v100, v28, 20, 4
	v_lshrrev_b32_e32 v28, 28, v28
	v_bfe_u32 v151, v92, 20, 4
	v_lshrrev_b32_e32 v92, 28, v92
	;; [unrolled: 2-line block ×3, first 2 shown]
	v_add3_u32 v101, v101, v103, v104
	v_add3_u32 v152, v152, v154, v155
	;; [unrolled: 1-line block ×3, first 2 shown]
	v_mul_i32_i24_e32 v105, v20, v105
	v_mul_i32_i24_e32 v156, v20, v156
	;; [unrolled: 1-line block ×6, first 2 shown]
	v_and_b32_e32 v108, 15, v29
	v_bfe_u32 v109, v29, 8, 4
	v_ashrrev_i32_e32 v133, 24, v26
	v_bfe_i32 v134, v26, 16, 8
	v_bfe_i32 v135, v26, 8, 8
	;; [unrolled: 1-line block ×3, first 2 shown]
	v_and_b32_e32 v159, 15, v93
	v_bfe_u32 v160, v93, 8, 4
	v_and_b32_e32 v187, 15, v95
	v_bfe_u32 v188, v95, 8, 4
	v_mul_i32_i24_e32 v100, v132, v100
	v_mul_i32_i24_e32 v151, v132, v151
	;; [unrolled: 1-line block ×6, first 2 shown]
	v_add3_u32 v101, v101, v106, v105
	v_add3_u32 v105, v152, v157, v156
	;; [unrolled: 1-line block ×3, first 2 shown]
	v_bfe_u32 v110, v29, 16, 4
	v_bfe_u32 v111, v29, 24, 4
	;; [unrolled: 1-line block ×6, first 2 shown]
	v_mul_i32_i24_e32 v108, v26, v108
	v_mul_i32_i24_e32 v131, v26, v159
	;; [unrolled: 1-line block ×6, first 2 shown]
	v_add3_u32 v28, v101, v100, v28
	v_add3_u32 v92, v105, v151, v92
	;; [unrolled: 1-line block ×3, first 2 shown]
	v_bfe_u32 v112, v29, 4, 4
	v_bfe_u32 v113, v29, 12, 4
	v_ashrrev_i32_e32 v136, 24, v24
	v_bfe_i32 v137, v24, 16, 8
	v_bfe_i32 v138, v24, 8, 8
	;; [unrolled: 1-line block ×3, first 2 shown]
	v_bfe_u32 v163, v93, 4, 4
	v_bfe_u32 v164, v93, 12, 4
	;; [unrolled: 1-line block ×5, first 2 shown]
	v_mul_i32_i24_e32 v110, v134, v110
	v_mul_i32_i24_e32 v161, v134, v161
	;; [unrolled: 1-line block ×6, first 2 shown]
	v_add3_u32 v28, v28, v109, v108
	v_add3_u32 v92, v92, v160, v131
	;; [unrolled: 1-line block ×3, first 2 shown]
	v_bfe_u32 v107, v29, 20, 4
	v_lshrrev_b32_e32 v29, 28, v29
	v_bfe_u32 v158, v93, 20, 4
	v_lshrrev_b32_e32 v93, 28, v93
	;; [unrolled: 2-line block ×3, first 2 shown]
	v_and_b32_e32 v130, 0xf0f0f0f, v97
	v_lshrrev_b32_e32 v181, 4, v97
	v_lshrrev_b32_e32 v202, 28, v97
	v_bfe_u32 v203, v97, 16, 4
	v_and_b32_e32 v204, 15, v97
	v_bfe_u32 v205, v97, 20, 4
	v_bfe_u32 v97, v97, 4, 4
	v_mul_i32_i24_e32 v129, v133, v129
	v_mul_i32_i24_e32 v112, v24, v112
	;; [unrolled: 1-line block ×7, first 2 shown]
	v_add3_u32 v28, v28, v110, v111
	v_add3_u32 v92, v92, v161, v162
	;; [unrolled: 1-line block ×3, first 2 shown]
	v_and_b32_e32 v115, 15, v30
	v_bfe_u32 v116, v30, 8, 4
	v_ashrrev_i32_e32 v139, 24, v27
	v_bfe_i32 v140, v27, 16, 8
	v_bfe_i32 v141, v27, 8, 8
	;; [unrolled: 1-line block ×3, first 2 shown]
	v_and_b32_e32 v166, 15, v87
	v_bfe_u32 v167, v87, 8, 4
	v_and_b32_e32 v194, 15, v89
	v_bfe_u32 v195, v89, 8, 4
	v_and_b32_e32 v183, 0xf0f0f0f, v96
	v_lshrrev_b32_e32 v96, 4, v96
	v_mul_i32_i24_e32 v26, v26, v204
	v_mul_i32_i24_e32 v24, v24, v97
	;; [unrolled: 1-line block ×8, first 2 shown]
	v_add3_u32 v28, v28, v112, v113
	v_add3_u32 v92, v92, v133, v164
	;; [unrolled: 1-line block ×3, first 2 shown]
	v_bfe_u32 v117, v30, 16, 4
	v_bfe_u32 v118, v30, 24, 4
	;; [unrolled: 1-line block ×6, first 2 shown]
	v_mul_i32_i24_e32 v115, v27, v115
	v_mul_i32_i24_e32 v166, v27, v166
	;; [unrolled: 1-line block ×4, first 2 shown]
	v_lshrrev_b16 v96, 8, v96
	v_mul_i32_i24_e32 v167, v141, v167
	v_mul_i32_i24_e32 v195, v141, v195
	v_add3_u32 v24, v201, v26, v24
	v_add3_u32 v26, v28, v97, v29
	;; [unrolled: 1-line block ×4, first 2 shown]
	v_bfe_u32 v119, v30, 4, 4
	v_bfe_u32 v120, v30, 12, 4
	v_ashrrev_i32_e32 v142, 24, v25
	v_bfe_i32 v143, v25, 16, 8
	v_bfe_i32 v144, v25, 8, 8
	;; [unrolled: 1-line block ×3, first 2 shown]
	v_bfe_u32 v170, v87, 4, 4
	v_bfe_u32 v171, v87, 12, 4
	;; [unrolled: 1-line block ×4, first 2 shown]
	s_wait_dscnt 0x0
	v_bfe_u32 v206, v98, 24, 4
	v_and_b32_e32 v207, 0xf0f0f0f, v98
	v_lshrrev_b32_e32 v208, 4, v98
	v_lshrrev_b32_e32 v209, 28, v98
	v_bfe_u32 v210, v98, 16, 4
	v_and_b32_e32 v211, 15, v98
	v_bfe_u32 v212, v98, 20, 4
	v_bfe_u32 v98, v98, 4, 4
	v_mul_i32_i24_e32 v117, v140, v117
	v_mul_i32_i24_e32 v168, v140, v168
	;; [unrolled: 1-line block ×6, first 2 shown]
	v_lshrrev_b16 v183, 8, v183
	v_lshrrev_b16 v130, 8, v130
	;; [unrolled: 1-line block ×3, first 2 shown]
	v_and_b32_e32 v96, 15, v96
	v_add3_u32 v26, v26, v116, v115
	v_add3_u32 v28, v28, v167, v166
	;; [unrolled: 1-line block ×3, first 2 shown]
	v_bfe_u32 v114, v30, 20, 4
	v_lshrrev_b32_e32 v30, 28, v30
	v_bfe_i32 v149, v21, 16, 8
	v_bfe_u32 v165, v87, 20, 4
	v_lshrrev_b32_e32 v87, 28, v87
	v_bfe_u32 v193, v89, 20, 4
	v_lshrrev_b32_e32 v89, 28, v89
	v_bfe_u32 v200, v90, 20, 4
	v_and_b32_e32 v214, 0xf0f0f0f, v99
	v_lshrrev_b32_e32 v215, 4, v99
	v_mul_i32_i24_e32 v27, v27, v211
	v_mul_i32_i24_e32 v119, v25, v119
	;; [unrolled: 1-line block ×5, first 2 shown]
	v_and_b32_e32 v183, 0xffff, v183
	v_mul_i32_i24_e32 v120, v144, v120
	v_lshrrev_b16 v196, 8, v207
	v_lshrrev_b16 v197, 8, v208
	v_mul_i32_i24_e32 v171, v144, v171
	v_mul_i32_i24_e32 v198, v144, v199
	v_and_b32_e32 v181, 15, v181
	v_and_b32_e32 v130, 0xffff, v130
	;; [unrolled: 1-line block ×3, first 2 shown]
	v_add3_u32 v26, v26, v117, v118
	v_add3_u32 v28, v28, v168, v169
	;; [unrolled: 1-line block ×3, first 2 shown]
	v_and_b32_e32 v122, 15, v31
	v_bfe_u32 v123, v31, 8, 4
	v_ashrrev_i32_e32 v145, 24, v23
	v_bfe_i32 v146, v23, 16, 8
	v_bfe_i32 v147, v23, 8, 8
	;; [unrolled: 1-line block ×3, first 2 shown]
	v_and_b32_e32 v173, 15, v88
	v_bfe_u32 v174, v88, 8, 4
	v_and_b32_e32 v102, 15, v90
	v_bfe_u32 v103, v90, 8, 4
	v_mul_i32_i24_e32 v136, v136, v202
	v_mul_i32_i24_e32 v98, v143, v114
	;; [unrolled: 1-line block ×9, first 2 shown]
	v_lshrrev_b16 v199, 8, v214
	v_lshrrev_b16 v200, 8, v215
	v_and_b32_e32 v197, 15, v197
	v_and_b32_e32 v196, 0xffff, v196
	v_mul_i32_i24_e32 v96, v135, v130
	v_and_b32_e32 v94, 0xffff, v181
	v_mul_i32_i24_e32 v22, v22, v91
	v_add3_u32 v24, v24, v27, v25
	v_add3_u32 v25, v26, v119, v120
	;; [unrolled: 1-line block ×4, first 2 shown]
	v_bfe_u32 v121, v31, 20, 4
	v_bfe_u32 v124, v31, 16, 4
	;; [unrolled: 1-line block ×5, first 2 shown]
	v_lshrrev_b32_e32 v31, 28, v31
	v_ashrrev_i32_e32 v148, 24, v21
	v_bfe_i32 v150, v21, 8, 8
	v_bfe_i32 v21, v21, 0, 8
	v_bfe_u32 v172, v88, 20, 4
	v_bfe_u32 v175, v88, 16, 4
	;; [unrolled: 1-line block ×5, first 2 shown]
	v_lshrrev_b32_e32 v88, 28, v88
	v_bfe_u32 v104, v90, 16, 4
	v_bfe_u32 v153, v90, 24, 4
	;; [unrolled: 1-line block ×4, first 2 shown]
	v_lshrrev_b32_e32 v90, 28, v90
	v_bfe_u32 v213, v99, 24, 4
	v_lshrrev_b32_e32 v216, 28, v99
	v_bfe_u32 v217, v99, 16, 4
	v_and_b32_e32 v218, 15, v99
	v_bfe_u32 v219, v99, 20, 4
	v_bfe_u32 v99, v99, 4, 4
	v_mul_i32_i24_e32 v134, v134, v203
	v_mul_i32_i24_e32 v137, v137, v205
	;; [unrolled: 1-line block ×10, first 2 shown]
	v_and_b32_e32 v200, 15, v200
	v_and_b32_e32 v199, 0xffff, v199
	v_mul_i32_i24_e32 v100, v141, v196
	v_and_b32_e32 v101, 0xffff, v197
	v_add3_u32 v108, v182, v129, v136
	v_mul_i32_i24_e32 v29, v138, v94
	v_add3_u32 v22, v128, v22, v96
	v_add3_u32 v25, v25, v98, v30
	;; [unrolled: 1-line block ×4, first 2 shown]
	v_mul_i32_i24_e32 v140, v140, v210
	v_mul_i32_i24_e32 v143, v143, v212
	;; [unrolled: 1-line block ×13, first 2 shown]
	ds_load_b32 v99, v80
	ds_load_b32 v193, v81
	;; [unrolled: 1-line block ×4, first 2 shown]
	v_mul_i32_i24_e32 v31, v148, v31
	v_mul_i32_i24_e32 v88, v148, v88
	v_mul_i32_i24_e32 v90, v148, v90
	v_mul_i32_i24_e32 v148, v148, v216
	v_mul_i32_i24_e32 v105, v147, v199
	v_and_b32_e32 v106, 0xffff, v200
	v_add3_u32 v109, v180, v134, v137
	v_mul_i32_i24_e32 v91, v144, v101
	v_add3_u32 v93, v108, v139, v142
	v_add3_u32 v22, v22, v29, v100
	v_add3_u32 v25, v25, v123, v122
	v_add3_u32 v26, v26, v174, v173
	v_add3_u32 v20, v20, v103, v102
	v_mul_i32_i24_e32 v23, v23, v218
	v_mul_i32_i24_e32 v146, v146, v217
	;; [unrolled: 1-line block ×9, first 2 shown]
	v_add3_u32 v27, v109, v140, v143
	v_add3_u32 v28, v93, v145, v148
	;; [unrolled: 1-line block ×12, first 2 shown]
	s_wait_dscnt 0x2
	v_pk_mul_f16 v193, v99, v193
	v_add3_u32 v21, v21, v27, v22
	v_add3_u32 v22, v23, v121, v31
	v_add3_u32 v23, v24, v172, v88
	v_add3_u32 v20, v20, v191, v90
	s_wait_dscnt 0x1
	v_pk_mul_f16 v194, v99, v194
	s_wait_dscnt 0x0
	v_pk_mul_f16 v25, v99, v183
	v_pk_mul_f16 v24, v99, v86
	v_cvt_f32_i32_e32 v21, v21
	v_cvt_f32_i32_e32 v22, v22
	;; [unrolled: 1-line block ×4, first 2 shown]
	v_add_nc_u32_e32 v83, 4, v83
	v_fma_mix_f32 v21, v24, v21, v24 op_sel:[0,0,1] op_sel_hi:[1,0,1]
	v_fma_mix_f32 v22, v193, v22, v193 op_sel:[0,0,1] op_sel_hi:[1,0,1]
	;; [unrolled: 1-line block ×4, first 2 shown]
	v_add_nc_u32_e32 v82, 4, v82
	v_add_nc_u32_e32 v81, 4, v81
	v_dual_add_f32 v17, v17, v21 :: v_dual_add_nc_u32 v80, 4, v80
	v_add_f32_e32 v34, v34, v22
	v_dual_add_f32 v60, v60, v23 :: v_dual_add_f32 v57, v57, v20
	s_cbranch_scc1 .LBB200_11
; %bb.12:                               ;   in Loop: Header=BB200_5 Depth=1
	s_bitset1_b32 s18, 7
	s_wait_loadcnt 0x0
	s_wait_alu 0xfffe
	s_cmp_ge_i32 s18, s5
	s_barrier_signal -1
	s_barrier_wait -1
	global_inv scope:SCOPE_SE
	s_cbranch_scc1 .LBB200_4
; %bb.13:                               ;   in Loop: Header=BB200_5 Depth=1
	v_add_nc_u32_e32 v20, s16, v65
	s_delay_alu instid0(VALU_DEP_1)
	v_cmp_gt_i32_e64 s1, s6, v20
	s_and_b32 s18, s0, s1
	s_wait_alu 0xfffe
	s_and_saveexec_b32 s1, s18
	s_cbranch_execz .LBB200_15
; %bb.14:                               ;   in Loop: Header=BB200_5 Depth=1
	v_add_nc_u32_e32 v20, v0, v20
	s_delay_alu instid0(VALU_DEP_1)
	v_mad_co_i64_i32 v[20:21], null, v20, 36, v[18:19]
	global_load_b32 v20, v[20:21], off offset:4
	s_wait_loadcnt 0x0
	ds_store_b32 v63, v20
.LBB200_15:                             ;   in Loop: Header=BB200_5 Depth=1
	s_wait_alu 0xfffe
	s_or_b32 exec_lo, exec_lo, s1
	s_and_saveexec_b32 s18, vcc_lo
	s_cbranch_execz .LBB200_18
; %bb.16:                               ;   in Loop: Header=BB200_5 Depth=1
	v_or_b32_e32 v20, 4, v78
	s_delay_alu instid0(VALU_DEP_1)
	v_cmp_gt_i32_e64 s1, s6, v20
	s_and_b32 s1, s0, s1
	s_wait_alu 0xfffe
	s_and_b32 exec_lo, exec_lo, s1
	s_cbranch_execz .LBB200_18
; %bb.17:                               ;   in Loop: Header=BB200_5 Depth=1
	v_ashrrev_i32_e32 v20, 31, v78
	v_ashrrev_i32_e32 v21, 31, v0
	v_add_co_u32 v22, s1, v0, v78
	s_wait_alu 0xf1ff
	s_delay_alu instid0(VALU_DEP_2) | instskip(NEXT) | instid1(VALU_DEP_2)
	v_add_co_ci_u32_e64 v23, null, v21, v20, s1
	v_mad_co_u64_u32 v[20:21], null, v22, 36, s[2:3]
	s_delay_alu instid0(VALU_DEP_1)
	v_mad_i32_i24 v21, v23, 36, v21
	global_load_b32 v20, v[20:21], off offset:144
	s_wait_loadcnt 0x0
	ds_store_b32 v64, v20
.LBB200_18:                             ;   in Loop: Header=BB200_5 Depth=1
	s_wait_alu 0xfffe
	s_or_b32 exec_lo, exec_lo, s18
	v_dual_mov_b32 v20, v62 :: v_dual_mov_b32 v21, v61
	v_mad_u32_u24 v26, 0x84, v33, 64
	v_dual_mov_b32 v22, v73 :: v_dual_mov_b32 v23, v72
	v_dual_mov_b32 v24, v71 :: v_dual_mov_b32 v25, v70
	s_mov_b32 s1, 12
	s_wait_loadcnt_dscnt 0x0
	s_barrier_signal -1
	s_barrier_wait -1
	global_inv scope:SCOPE_SE
.LBB200_19:                             ;   Parent Loop BB200_5 Depth=1
                                        ; =>  This Inner Loop Header: Depth=2
	ds_load_2addr_b32 v[30:31], v21 offset1:3
	ds_load_2addr_b32 v[78:79], v21 offset0:4 offset1:7
	ds_load_2addr_b32 v[80:81], v21 offset0:1 offset1:2
	ds_load_b32 v27, v20
	ds_load_2addr_b32 v[82:83], v26 offset1:1
	ds_load_2addr_b32 v[84:85], v26 offset0:2 offset1:3
	v_add_nc_u32_e32 v88, 0x1080, v26
	v_add_nc_u32_e32 v90, 0x1088, v26
	;; [unrolled: 1-line block ×6, first 2 shown]
	ds_load_2addr_b32 v[86:87], v21 offset0:5 offset1:6
	ds_load_b32 v100, v22
	ds_load_b32 v101, v23
	ds_load_b32 v29, v24
	ds_load_b32 v28, v25
	ds_load_2addr_b32 v[88:89], v88 offset1:1
	ds_load_2addr_b32 v[90:91], v90 offset1:1
	ds_load_2addr_b32 v[92:93], v92 offset1:1
	ds_load_2addr_b32 v[94:95], v94 offset1:1
	ds_load_2addr_b32 v[96:97], v96 offset1:1
	ds_load_2addr_b32 v[98:99], v98 offset1:1
	v_add_nc_u32_e32 v26, 16, v26
	v_add_nc_u32_e32 v24, 4, v24
	;; [unrolled: 1-line block ×5, first 2 shown]
	s_wait_alu 0xfffe
	s_add_co_i32 s1, s1, 4
	s_wait_dscnt 0x10
	v_lshrrev_b16 v131, 8, v30
	v_ashrrev_i32_e32 v132, 24, v30
	v_bfe_i32 v133, v30, 16, 8
	v_bfe_i32 v30, v30, 0, 8
	s_wait_dscnt 0xc
	v_and_b32_e32 v104, 15, v82
	v_bfe_u32 v105, v82, 8, 4
	v_bfe_u32 v106, v82, 16, 4
	;; [unrolled: 1-line block ×3, first 2 shown]
	s_wait_dscnt 0x5
	v_and_b32_e32 v155, 15, v88
	v_bfe_u32 v157, v88, 16, 4
	v_bfe_u32 v158, v88, 24, 4
	s_wait_dscnt 0x3
	v_and_b32_e32 v183, 15, v92
	v_bfe_i32 v131, v131, 0, 8
	v_mul_i32_i24_e32 v104, v30, v104
	v_lshrrev_b16 v102, 8, v78
	v_bfe_u32 v108, v82, 4, 4
	v_ashrrev_i32_e32 v134, 24, v78
	v_bfe_i32 v135, v78, 16, 8
	v_bfe_i32 v78, v78, 0, 8
	v_bfe_u32 v156, v88, 8, 4
	v_bfe_u32 v159, v88, 4, 4
	;; [unrolled: 1-line block ×6, first 2 shown]
	s_wait_dscnt 0x1
	v_bfe_u32 v210, v96, 24, 4
	v_and_b32_e32 v211, 0xf0f0f0f, v96
	v_lshrrev_b32_e32 v212, 4, v96
	v_lshrrev_b32_e32 v213, 28, v96
	v_mul_i32_i24_e32 v106, v133, v106
	v_mul_i32_i24_e32 v107, v132, v107
	v_bfe_u32 v214, v96, 16, 4
	v_and_b32_e32 v215, 15, v96
	v_bfe_u32 v216, v96, 20, 4
	v_bfe_u32 v96, v96, 4, 4
	v_mad_i32_i24 v104, v131, v105, v104
	v_mul_i32_i24_e32 v105, v30, v155
	v_mul_i32_i24_e32 v155, v133, v157
	;; [unrolled: 1-line block ×4, first 2 shown]
	v_bfe_u32 v109, v82, 12, 4
	v_bfe_u32 v160, v88, 12, 4
	;; [unrolled: 1-line block ×3, first 2 shown]
	v_bfe_i32 v102, v102, 0, 8
	v_mul_i32_i24_e32 v108, v78, v108
	v_mul_i32_i24_e32 v183, v133, v185
	v_mul_i32_i24_e32 v185, v132, v186
	v_mul_i32_i24_e32 v159, v78, v159
	v_mul_i32_i24_e32 v186, v78, v187
	v_mul_i32_i24_e32 v78, v96, v78
	v_mul_i32_i24_e32 v96, v216, v135
	v_add3_u32 v104, v104, v106, v107
	v_mad_i32_i24 v105, v131, v156, v105
	v_mad_i32_i24 v106, v131, v184, v158
	v_bfe_u32 v103, v82, 20, 4
	v_lshrrev_b32_e32 v82, 28, v82
	v_bfe_u32 v154, v88, 20, 4
	v_lshrrev_b32_e32 v88, 28, v88
	v_bfe_u32 v182, v92, 20, 4
	v_lshrrev_b32_e32 v92, 28, v92
	v_mul_i32_i24_e32 v109, v102, v109
	v_mul_i32_i24_e32 v160, v102, v160
	;; [unrolled: 1-line block ×3, first 2 shown]
	v_mad_i32_i24 v30, v215, v30, v78
	v_mad_i32_i24 v78, v214, v133, v96
	v_add3_u32 v96, v105, v155, v157
	v_add3_u32 v105, v106, v183, v185
	v_and_b32_e32 v111, 15, v83
	v_bfe_u32 v112, v83, 8, 4
	v_ashrrev_i32_e32 v136, 24, v80
	v_bfe_i32 v137, v80, 16, 8
	v_bfe_i32 v138, v80, 8, 8
	;; [unrolled: 1-line block ×3, first 2 shown]
	v_and_b32_e32 v162, 15, v89
	v_bfe_u32 v163, v89, 8, 4
	v_and_b32_e32 v190, 15, v93
	v_bfe_u32 v191, v93, 8, 4
	v_mul_i32_i24_e32 v103, v135, v103
	v_mul_i32_i24_e32 v82, v134, v82
	;; [unrolled: 1-line block ×6, first 2 shown]
	v_add3_u32 v104, v104, v109, v108
	v_add3_u32 v96, v96, v160, v159
	;; [unrolled: 1-line block ×3, first 2 shown]
	v_bfe_u32 v113, v83, 16, 4
	v_bfe_u32 v114, v83, 24, 4
	;; [unrolled: 1-line block ×6, first 2 shown]
	v_mul_i32_i24_e32 v111, v80, v111
	v_mul_i32_i24_e32 v112, v138, v112
	v_mul_i32_i24_e32 v162, v80, v162
	v_mul_i32_i24_e32 v163, v138, v163
	v_mul_i32_i24_e32 v190, v80, v190
	v_mul_i32_i24_e32 v191, v138, v191
	v_add3_u32 v82, v104, v103, v82
	v_add3_u32 v88, v96, v154, v88
	;; [unrolled: 1-line block ×3, first 2 shown]
	v_bfe_u32 v115, v83, 4, 4
	v_bfe_u32 v116, v83, 12, 4
	v_ashrrev_i32_e32 v139, 24, v86
	v_bfe_i32 v140, v86, 16, 8
	v_bfe_i32 v141, v86, 8, 8
	;; [unrolled: 1-line block ×3, first 2 shown]
	v_bfe_u32 v166, v89, 4, 4
	v_bfe_u32 v167, v89, 12, 4
	;; [unrolled: 1-line block ×4, first 2 shown]
	v_mul_i32_i24_e32 v113, v137, v113
	v_mul_i32_i24_e32 v114, v136, v114
	v_mul_i32_i24_e32 v164, v137, v164
	v_mul_i32_i24_e32 v165, v136, v165
	v_mul_i32_i24_e32 v192, v137, v192
	v_mul_i32_i24_e32 v193, v136, v193
	v_add3_u32 v82, v82, v112, v111
	v_add3_u32 v88, v88, v163, v162
	;; [unrolled: 1-line block ×3, first 2 shown]
	v_bfe_u32 v110, v83, 20, 4
	v_lshrrev_b32_e32 v83, 28, v83
	v_bfe_u32 v161, v89, 20, 4
	v_lshrrev_b32_e32 v89, 28, v89
	;; [unrolled: 2-line block ×3, first 2 shown]
	v_bfe_u32 v217, v97, 24, 4
	v_and_b32_e32 v218, 0xf0f0f0f, v97
	v_lshrrev_b32_e32 v219, 4, v97
	v_lshrrev_b32_e32 v220, 28, v97
	v_bfe_u32 v221, v97, 16, 4
	v_and_b32_e32 v222, 15, v97
	v_mul_i32_i24_e32 v115, v86, v115
	v_mul_i32_i24_e32 v116, v141, v116
	v_bfe_u32 v223, v97, 20, 4
	v_bfe_u32 v97, v97, 4, 4
	v_mul_i32_i24_e32 v166, v86, v166
	v_mul_i32_i24_e32 v167, v141, v167
	;; [unrolled: 1-line block ×4, first 2 shown]
	v_add3_u32 v82, v82, v113, v114
	v_add3_u32 v88, v88, v164, v165
	;; [unrolled: 1-line block ×3, first 2 shown]
	v_and_b32_e32 v118, 15, v84
	v_bfe_u32 v119, v84, 8, 4
	v_ashrrev_i32_e32 v142, 24, v81
	v_bfe_i32 v143, v81, 16, 8
	v_bfe_i32 v144, v81, 8, 8
	;; [unrolled: 1-line block ×3, first 2 shown]
	v_and_b32_e32 v169, 15, v90
	v_bfe_u32 v170, v90, 8, 4
	v_and_b32_e32 v197, 15, v94
	v_bfe_u32 v198, v94, 8, 4
	v_mul_i32_i24_e32 v110, v140, v110
	v_mul_i32_i24_e32 v83, v139, v83
	;; [unrolled: 1-line block ×8, first 2 shown]
	v_add3_u32 v82, v82, v115, v116
	v_add3_u32 v88, v88, v166, v167
	;; [unrolled: 1-line block ×3, first 2 shown]
	v_bfe_u32 v120, v84, 16, 4
	v_bfe_u32 v121, v84, 24, 4
	;; [unrolled: 1-line block ×4, first 2 shown]
	v_ashrrev_i32_e32 v151, 24, v79
	v_bfe_i32 v152, v79, 16, 8
	v_bfe_i32 v153, v79, 8, 8
	;; [unrolled: 1-line block ×3, first 2 shown]
	v_bfe_u32 v171, v90, 16, 4
	v_bfe_u32 v172, v90, 24, 4
	;; [unrolled: 1-line block ×8, first 2 shown]
	v_mul_i32_i24_e32 v118, v81, v118
	v_mul_i32_i24_e32 v119, v144, v119
	s_wait_dscnt 0x0
	v_bfe_u32 v231, v99, 24, 4
	v_and_b32_e32 v232, 0xf0f0f0f, v99
	v_lshrrev_b32_e32 v233, 4, v99
	v_lshrrev_b32_e32 v234, 28, v99
	v_bfe_u32 v235, v99, 16, 4
	v_and_b32_e32 v236, 15, v99
	v_bfe_u32 v237, v99, 20, 4
	v_bfe_u32 v99, v99, 4, 4
	v_lshrrev_b16 v212, 8, v212
	v_mul_i32_i24_e32 v169, v81, v169
	v_mul_i32_i24_e32 v170, v144, v170
	;; [unrolled: 1-line block ×4, first 2 shown]
	v_add3_u32 v30, v30, v80, v86
	v_add3_u32 v80, v82, v110, v83
	;; [unrolled: 1-line block ×4, first 2 shown]
	v_bfe_u32 v122, v84, 4, 4
	v_bfe_u32 v123, v84, 12, 4
	v_ashrrev_i32_e32 v145, 24, v87
	v_bfe_i32 v146, v87, 16, 8
	v_bfe_i32 v147, v87, 8, 8
	;; [unrolled: 1-line block ×3, first 2 shown]
	v_bfe_u32 v173, v90, 4, 4
	v_bfe_u32 v174, v90, 12, 4
	v_bfe_u32 v201, v94, 4, 4
	v_bfe_u32 v202, v94, 12, 4
	v_bfe_u32 v224, v98, 24, 4
	v_and_b32_e32 v225, 0xf0f0f0f, v98
	v_lshrrev_b32_e32 v226, 4, v98
	v_lshrrev_b32_e32 v227, 28, v98
	v_mul_i32_i24_e32 v120, v143, v120
	v_mul_i32_i24_e32 v121, v142, v121
	v_bfe_u32 v228, v98, 16, 4
	v_and_b32_e32 v229, 15, v98
	v_bfe_u32 v230, v98, 20, 4
	v_bfe_u32 v98, v98, 4, 4
	v_mul_i32_i24_e32 v129, v79, v129
	v_mul_i32_i24_e32 v124, v152, v124
	v_lshrrev_b16 v211, 8, v211
	v_lshrrev_b16 v135, 8, v218
	;; [unrolled: 1-line block ×3, first 2 shown]
	v_mul_i32_i24_e32 v171, v143, v171
	v_mul_i32_i24_e32 v172, v142, v172
	;; [unrolled: 1-line block ×10, first 2 shown]
	v_and_b32_e32 v152, 15, v212
	v_add3_u32 v80, v80, v119, v118
	v_add3_u32 v82, v82, v170, v169
	;; [unrolled: 1-line block ×3, first 2 shown]
	v_bfe_u32 v117, v84, 20, 4
	v_lshrrev_b32_e32 v84, 28, v84
	v_bfe_u32 v168, v90, 20, 4
	v_lshrrev_b32_e32 v90, 28, v90
	;; [unrolled: 2-line block ×3, first 2 shown]
	v_mul_i32_i24_e32 v122, v87, v122
	v_mul_i32_i24_e32 v123, v147, v123
	;; [unrolled: 1-line block ×4, first 2 shown]
	v_lshrrev_b16 v140, 8, v225
	v_lshrrev_b16 v213, 8, v226
	v_mul_i32_i24_e32 v81, v81, v229
	v_mul_i32_i24_e32 v173, v87, v173
	;; [unrolled: 1-line block ×6, first 2 shown]
	v_and_b32_e32 v107, 0xffff, v211
	v_and_b32_e32 v156, 15, v188
	v_and_b32_e32 v135, 0xffff, v135
	v_and_b32_e32 v108, 0xffff, v152
	v_add3_u32 v80, v80, v120, v121
	v_add3_u32 v82, v82, v171, v172
	;; [unrolled: 1-line block ×3, first 2 shown]
	v_and_b32_e32 v125, 15, v85
	v_bfe_u32 v126, v85, 8, 4
	v_ashrrev_i32_e32 v148, 24, v31
	v_bfe_i32 v149, v31, 16, 8
	v_bfe_i32 v150, v31, 8, 8
	;; [unrolled: 1-line block ×3, first 2 shown]
	v_and_b32_e32 v176, 15, v91
	v_bfe_u32 v177, v91, 8, 4
	v_and_b32_e32 v204, 15, v95
	v_bfe_u32 v205, v95, 8, 4
	v_mul_i32_i24_e32 v117, v146, v117
	v_mul_i32_i24_e32 v84, v145, v84
	;; [unrolled: 1-line block ×9, first 2 shown]
	v_lshrrev_b16 v146, 8, v232
	v_lshrrev_b16 v216, 8, v233
	v_and_b32_e32 v158, 15, v213
	v_and_b32_e32 v140, 0xffff, v140
	v_mad_i32_i24 v106, v210, v132, v134
	v_mul_i32_i24_e32 v107, v107, v131
	v_mul_i32_i24_e32 v109, v138, v135
	v_and_b32_e32 v96, 0xffff, v156
	v_mul_i32_i24_e32 v86, v108, v102
	v_add3_u32 v30, v30, v81, v87
	v_add3_u32 v80, v80, v122, v123
	;; [unrolled: 1-line block ×4, first 2 shown]
	v_bfe_u32 v127, v85, 16, 4
	v_bfe_u32 v128, v85, 24, 4
	v_bfe_u32 v130, v85, 12, 4
	v_lshrrev_b32_e32 v85, 28, v85
	v_bfe_u32 v178, v91, 16, 4
	v_bfe_u32 v179, v91, 24, 4
	v_bfe_u32 v181, v91, 12, 4
	v_lshrrev_b32_e32 v91, 28, v91
	;; [unrolled: 4-line block ×3, first 2 shown]
	v_mul_i32_i24_e32 v125, v31, v125
	v_mul_i32_i24_e32 v126, v150, v126
	;; [unrolled: 1-line block ×9, first 2 shown]
	v_and_b32_e32 v184, 15, v216
	v_and_b32_e32 v146, 0xffff, v146
	v_mul_i32_i24_e32 v103, v144, v140
	v_and_b32_e32 v104, 0xffff, v158
	v_add3_u32 v106, v106, v136, v139
	v_mul_i32_i24_e32 v88, v141, v96
	v_add3_u32 v83, v107, v86, v109
	v_add3_u32 v80, v80, v117, v84
	;; [unrolled: 1-line block ×4, first 2 shown]
	v_mul_i32_i24_e32 v127, v149, v127
	v_mul_i32_i24_e32 v128, v148, v128
	;; [unrolled: 1-line block ×13, first 2 shown]
	v_and_b32_e32 v111, 0xffff, v184
	v_add3_u32 v78, v78, v137, v97
	v_mul_i32_i24_e32 v89, v147, v104
	v_add3_u32 v93, v106, v142, v145
	v_add3_u32 v83, v83, v88, v103
	;; [unrolled: 1-line block ×5, first 2 shown]
	v_mul_i32_i24_e32 v130, v153, v130
	v_mul_i32_i24_e32 v31, v31, v236
	;; [unrolled: 1-line block ×6, first 2 shown]
	v_add3_u32 v78, v78, v143, v98
	v_add3_u32 v84, v93, v148, v151
	;; [unrolled: 1-line block ×12, first 2 shown]
	v_pk_mul_f16 v100, v27, v100
	v_add3_u32 v30, v30, v78, v31
	v_add3_u32 v31, v79, v124, v85
	;; [unrolled: 1-line block ×4, first 2 shown]
	v_pk_mul_f16 v101, v27, v101
	v_pk_mul_f16 v29, v27, v29
	v_pk_mul_f16 v27, v27, v28
	v_cvt_f32_i32_e32 v28, v30
	v_cvt_f32_i32_e32 v30, v31
	;; [unrolled: 1-line block ×4, first 2 shown]
	s_wait_alu 0xfffe
	s_cmp_lt_u32 s1, 28
	v_fma_mix_f32 v27, v27, v28, v27 op_sel:[0,0,1] op_sel_hi:[1,0,1]
	v_fma_mix_f32 v28, v100, v30, v100 op_sel:[0,0,1] op_sel_hi:[1,0,1]
	;; [unrolled: 1-line block ×4, first 2 shown]
	v_add_nc_u32_e32 v25, 4, v25
	v_add_nc_u32_e32 v23, 4, v23
	v_dual_add_f32 v17, v17, v27 :: v_dual_add_f32 v34, v34, v28
	s_delay_alu instid0(VALU_DEP_4)
	v_dual_add_f32 v60, v60, v30 :: v_dual_add_f32 v57, v57, v29
	s_cbranch_scc1 .LBB200_19
; %bb.20:                               ;   in Loop: Header=BB200_5 Depth=1
	s_wait_loadcnt 0x0
	s_barrier_signal -1
	s_barrier_wait -1
	global_inv scope:SCOPE_SE
	s_branch .LBB200_4
.LBB200_21:
	s_mul_i32 s0, s10, s7
	s_wait_loadcnt 0x0
	s_wait_alu 0xfffe
	v_cmp_gt_i32_e32 vcc_lo, s0, v32
	s_and_saveexec_b32 s0, vcc_lo
	s_cbranch_execz .LBB200_30
; %bb.22:
	v_mul_lo_u32 v0, v32, s9
	v_add_nc_u32_e32 v1, s11, v33
	s_mov_b32 s0, exec_lo
	s_delay_alu instid0(VALU_DEP_1)
	v_cmpx_gt_u32_e64 s9, v1
	s_cbranch_execz .LBB200_24
; %bb.23:
	s_delay_alu instid0(VALU_DEP_3) | instskip(SKIP_1) | instid1(VALU_DEP_2)
	v_dual_mov_b32 v3, 0 :: v_dual_add_nc_u32 v2, v0, v1
	v_cvt_f16_f32_e32 v4, v34
	v_lshlrev_b64_e32 v[2:3], 1, v[2:3]
	s_delay_alu instid0(VALU_DEP_1) | instskip(SKIP_1) | instid1(VALU_DEP_2)
	v_add_co_u32 v2, vcc_lo, s12, v2
	s_wait_alu 0xfffd
	v_add_co_ci_u32_e64 v3, null, s13, v3, vcc_lo
	global_store_b16 v[2:3], v4, off
.LBB200_24:
	s_wait_alu 0xfffe
	s_or_b32 exec_lo, exec_lo, s0
	v_add_nc_u32_e32 v2, 32, v1
	s_mov_b32 s0, exec_lo
	s_delay_alu instid0(VALU_DEP_1)
	v_cmpx_gt_u32_e64 s9, v2
	s_cbranch_execz .LBB200_26
; %bb.25:
	v_dual_mov_b32 v3, 0 :: v_dual_add_nc_u32 v2, v0, v2
	v_cvt_f16_f32_e32 v4, v60
	s_delay_alu instid0(VALU_DEP_2) | instskip(NEXT) | instid1(VALU_DEP_1)
	v_lshlrev_b64_e32 v[2:3], 1, v[2:3]
	v_add_co_u32 v2, vcc_lo, s12, v2
	s_wait_alu 0xfffd
	s_delay_alu instid0(VALU_DEP_2)
	v_add_co_ci_u32_e64 v3, null, s13, v3, vcc_lo
	global_store_b16 v[2:3], v4, off
.LBB200_26:
	s_wait_alu 0xfffe
	s_or_b32 exec_lo, exec_lo, s0
	v_add_nc_u32_e32 v2, 64, v1
	s_mov_b32 s0, exec_lo
	s_delay_alu instid0(VALU_DEP_1)
	v_cmpx_gt_u32_e64 s9, v2
	s_cbranch_execz .LBB200_28
; %bb.27:
	v_dual_mov_b32 v3, 0 :: v_dual_add_nc_u32 v2, v0, v2
	v_cvt_f16_f32_e32 v4, v57
	s_delay_alu instid0(VALU_DEP_2) | instskip(NEXT) | instid1(VALU_DEP_1)
	v_lshlrev_b64_e32 v[2:3], 1, v[2:3]
	v_add_co_u32 v2, vcc_lo, s12, v2
	s_wait_alu 0xfffd
	s_delay_alu instid0(VALU_DEP_2)
	v_add_co_ci_u32_e64 v3, null, s13, v3, vcc_lo
	global_store_b16 v[2:3], v4, off
.LBB200_28:
	s_wait_alu 0xfffe
	s_or_b32 exec_lo, exec_lo, s0
	v_add_nc_u32_e32 v1, 0x60, v1
	s_delay_alu instid0(VALU_DEP_1)
	v_cmp_gt_u32_e32 vcc_lo, s9, v1
	s_and_b32 exec_lo, exec_lo, vcc_lo
	s_cbranch_execz .LBB200_30
; %bb.29:
	v_dual_mov_b32 v1, 0 :: v_dual_add_nc_u32 v0, v0, v1
	v_cvt_f16_f32_e32 v2, v17
	s_delay_alu instid0(VALU_DEP_2) | instskip(NEXT) | instid1(VALU_DEP_1)
	v_lshlrev_b64_e32 v[0:1], 1, v[0:1]
	v_add_co_u32 v0, vcc_lo, s12, v0
	s_wait_alu 0xfffd
	s_delay_alu instid0(VALU_DEP_2)
	v_add_co_ci_u32_e64 v1, null, s13, v1, vcc_lo
	global_store_b16 v[0:1], v2, off
.LBB200_30:
	s_nop 0
	s_sendmsg sendmsg(MSG_DEALLOC_VGPRS)
	s_endpgm
	.section	.rodata,"a",@progbits
	.p2align	6, 0x0
	.amdhsa_kernel _ZL8moe_q4_1IN3c104HalfELb1EEvPKvS3_PT_PKiS7_S7_iiiiiii
		.amdhsa_group_segment_fixed_size 22272
		.amdhsa_private_segment_fixed_size 0
		.amdhsa_kernarg_size 76
		.amdhsa_user_sgpr_count 2
		.amdhsa_user_sgpr_dispatch_ptr 0
		.amdhsa_user_sgpr_queue_ptr 0
		.amdhsa_user_sgpr_kernarg_segment_ptr 1
		.amdhsa_user_sgpr_dispatch_id 0
		.amdhsa_user_sgpr_private_segment_size 0
		.amdhsa_wavefront_size32 1
		.amdhsa_uses_dynamic_stack 0
		.amdhsa_enable_private_segment 0
		.amdhsa_system_sgpr_workgroup_id_x 1
		.amdhsa_system_sgpr_workgroup_id_y 1
		.amdhsa_system_sgpr_workgroup_id_z 0
		.amdhsa_system_sgpr_workgroup_info 0
		.amdhsa_system_vgpr_workitem_id 1
		.amdhsa_next_free_vgpr 238
		.amdhsa_next_free_sgpr 21
		.amdhsa_reserve_vcc 1
		.amdhsa_float_round_mode_32 0
		.amdhsa_float_round_mode_16_64 0
		.amdhsa_float_denorm_mode_32 3
		.amdhsa_float_denorm_mode_16_64 3
		.amdhsa_fp16_overflow 0
		.amdhsa_workgroup_processor_mode 1
		.amdhsa_memory_ordered 1
		.amdhsa_forward_progress 1
		.amdhsa_inst_pref_size 68
		.amdhsa_round_robin_scheduling 0
		.amdhsa_exception_fp_ieee_invalid_op 0
		.amdhsa_exception_fp_denorm_src 0
		.amdhsa_exception_fp_ieee_div_zero 0
		.amdhsa_exception_fp_ieee_overflow 0
		.amdhsa_exception_fp_ieee_underflow 0
		.amdhsa_exception_fp_ieee_inexact 0
		.amdhsa_exception_int_div_zero 0
	.end_amdhsa_kernel
	.section	.text._ZL8moe_q4_1IN3c104HalfELb1EEvPKvS3_PT_PKiS7_S7_iiiiiii,"axG",@progbits,_ZL8moe_q4_1IN3c104HalfELb1EEvPKvS3_PT_PKiS7_S7_iiiiiii,comdat
.Lfunc_end200:
	.size	_ZL8moe_q4_1IN3c104HalfELb1EEvPKvS3_PT_PKiS7_S7_iiiiiii, .Lfunc_end200-_ZL8moe_q4_1IN3c104HalfELb1EEvPKvS3_PT_PKiS7_S7_iiiiiii
                                        ; -- End function
	.set _ZL8moe_q4_1IN3c104HalfELb1EEvPKvS3_PT_PKiS7_S7_iiiiiii.num_vgpr, 238
	.set _ZL8moe_q4_1IN3c104HalfELb1EEvPKvS3_PT_PKiS7_S7_iiiiiii.num_agpr, 0
	.set _ZL8moe_q4_1IN3c104HalfELb1EEvPKvS3_PT_PKiS7_S7_iiiiiii.numbered_sgpr, 21
	.set _ZL8moe_q4_1IN3c104HalfELb1EEvPKvS3_PT_PKiS7_S7_iiiiiii.num_named_barrier, 0
	.set _ZL8moe_q4_1IN3c104HalfELb1EEvPKvS3_PT_PKiS7_S7_iiiiiii.private_seg_size, 0
	.set _ZL8moe_q4_1IN3c104HalfELb1EEvPKvS3_PT_PKiS7_S7_iiiiiii.uses_vcc, 1
	.set _ZL8moe_q4_1IN3c104HalfELb1EEvPKvS3_PT_PKiS7_S7_iiiiiii.uses_flat_scratch, 0
	.set _ZL8moe_q4_1IN3c104HalfELb1EEvPKvS3_PT_PKiS7_S7_iiiiiii.has_dyn_sized_stack, 0
	.set _ZL8moe_q4_1IN3c104HalfELb1EEvPKvS3_PT_PKiS7_S7_iiiiiii.has_recursion, 0
	.set _ZL8moe_q4_1IN3c104HalfELb1EEvPKvS3_PT_PKiS7_S7_iiiiiii.has_indirect_call, 0
	.section	.AMDGPU.csdata,"",@progbits
; Kernel info:
; codeLenInByte = 8704
; TotalNumSgprs: 23
; NumVgprs: 238
; ScratchSize: 0
; MemoryBound: 0
; FloatMode: 240
; IeeeMode: 1
; LDSByteSize: 22272 bytes/workgroup (compile time only)
; SGPRBlocks: 0
; VGPRBlocks: 29
; NumSGPRsForWavesPerEU: 23
; NumVGPRsForWavesPerEU: 238
; Occupancy: 6
; WaveLimiterHint : 1
; COMPUTE_PGM_RSRC2:SCRATCH_EN: 0
; COMPUTE_PGM_RSRC2:USER_SGPR: 2
; COMPUTE_PGM_RSRC2:TRAP_HANDLER: 0
; COMPUTE_PGM_RSRC2:TGID_X_EN: 1
; COMPUTE_PGM_RSRC2:TGID_Y_EN: 1
; COMPUTE_PGM_RSRC2:TGID_Z_EN: 0
; COMPUTE_PGM_RSRC2:TIDIG_COMP_CNT: 1
	.section	.text._ZL8moe_q5_0IN3c104HalfELb0EEvPKvS3_PT_PKiS7_S7_iiiiiii,"axG",@progbits,_ZL8moe_q5_0IN3c104HalfELb0EEvPKvS3_PT_PKiS7_S7_iiiiiii,comdat
	.globl	_ZL8moe_q5_0IN3c104HalfELb0EEvPKvS3_PT_PKiS7_S7_iiiiiii ; -- Begin function _ZL8moe_q5_0IN3c104HalfELb0EEvPKvS3_PT_PKiS7_S7_iiiiiii
	.p2align	8
	.type	_ZL8moe_q5_0IN3c104HalfELb0EEvPKvS3_PT_PKiS7_S7_iiiiiii,@function
_ZL8moe_q5_0IN3c104HalfELb0EEvPKvS3_PT_PKiS7_S7_iiiiiii: ; @_ZL8moe_q5_0IN3c104HalfELb0EEvPKvS3_PT_PKiS7_S7_iiiiiii
; %bb.0:
	s_load_b128 s[4:7], s[0:1], 0x18
	s_mov_b32 s2, ttmp7
	s_mov_b32 s3, 0
	s_delay_alu instid0(SALU_CYCLE_1)
	s_lshl_b64 s[2:3], s[2:3], 2
	s_wait_kmcnt 0x0
	s_add_nc_u64 s[2:3], s[6:7], s[2:3]
	s_load_b32 s12, s[2:3], 0x0
	s_wait_kmcnt 0x0
	s_cmp_gt_u32 s12, 0xff
	s_cbranch_scc1 .LBB201_30
; %bb.1:
	s_load_b64 s[2:3], s[0:1], 0x28
	s_wait_kmcnt 0x0
	s_load_b32 s3, s[2:3], 0x0
	s_lshl_b32 s2, ttmp7, 3
	s_wait_kmcnt 0x0
	s_cmp_gt_u32 s2, s3
	s_cbranch_scc1 .LBB201_30
; %bb.2:
	v_bfe_u32 v3, v0, 10, 10
	v_mov_b32_e32 v2, 0
	s_lshl_b32 s18, ttmp9, 7
	s_delay_alu instid0(VALU_DEP_2) | instskip(NEXT) | instid1(VALU_DEP_2)
	v_add_nc_u32_e32 v1, s2, v3
	v_dual_mov_b32 v45, v2 :: v_dual_and_b32 v8, 0x3ff, v0
	v_mov_b32_e32 v51, v2
	v_mov_b32_e32 v9, v2
	s_delay_alu instid0(VALU_DEP_4) | instskip(NEXT) | instid1(VALU_DEP_1)
	v_lshlrev_b64_e32 v[4:5], 2, v[1:2]
	v_add_co_u32 v4, vcc_lo, s4, v4
	s_delay_alu instid0(VALU_DEP_1)
	v_add_co_ci_u32_e64 v5, null, s5, v5, vcc_lo
	global_load_b32 v7, v[4:5], off
	s_clause 0x2
	s_load_b64 s[10:11], s[0:1], 0x30
	s_load_b64 s[8:9], s[0:1], 0x10
	s_load_b128 s[4:7], s[0:1], 0x3c
	s_wait_kmcnt 0x0
	s_cmp_lt_i32 s11, 32
	s_cbranch_scc1 .LBB201_21
; %bb.3:
	s_abs_i32 s17, s7
	s_wait_loadcnt 0x0
	v_sub_nc_u32_e32 v4, 0, v7
	s_cvt_f32_u32 s19, s17
	s_sub_co_i32 s20, 0, s17
	s_ashr_i32 s13, s11, 31
	s_mul_i32 s12, s12, s10
	v_rcp_iflag_f32_e32 v6, s19
	v_max_i32_e32 v4, v7, v4
	s_lshr_b32 s13, s13, 27
	v_dual_mov_b32 v9, 0 :: v_dual_lshlrev_b32 v2, 3, v8
	s_add_co_i32 s15, s11, s13
	v_bfe_u32 v13, v0, 3, 7
	s_ashr_i32 s10, s15, 5
	s_load_b128 s[0:3], s[0:1], 0x0
	v_mul_lo_u32 v11, s10, v3
	s_delay_alu instid0(TRANS32_DEP_1)
	v_readfirstlane_b32 s19, v6
	s_lshl_b32 s16, s10, 3
	v_mad_u32_u24 v17, 0x104, v3, v2
	v_lshl_add_u32 v2, v3, 2, v13
	v_and_b32_e32 v12, 7, v0
	s_mul_f32 s19, s19, 0x4f7ffffe
	v_xor_b32_e32 v54, s7, v7
	s_ashr_i32 s14, s5, 31
	v_mul_lo_u32 v40, s10, v2
	s_wait_alu 0xfffe
	s_cvt_u32_f32 s19, s19
	v_and_b32_e32 v6, 0x1ffc, v2
	v_lshlrev_b32_e32 v45, 5, v2
	v_add_nc_u32_e32 v44, 32, v2
	s_wait_alu 0xfffe
	s_mul_i32 s20, s20, s19
	v_add_nc_u32_e32 v50, 64, v2
	s_mul_hi_u32 s20, s19, s20
	v_add_nc_u32_e32 v2, 0x60, v2
	s_add_co_i32 s19, s19, s20
	v_lshlrev_b32_e32 v5, 2, v12
	s_wait_alu 0xfffe
	v_mul_hi_u32 v51, v4, s19
	v_and_b32_e32 v47, 0x3ffc, v44
	v_and_b32_e32 v48, 0x3ffc, v50
	v_ashrrev_i32_e32 v56, 31, v54
	v_add3_u32 v6, v6, v5, 0x8200
	v_and_b32_e32 v55, 31, v0
	v_add3_u32 v71, v47, v5, 0x8200
	v_add3_u32 v72, v48, v5, 0x8200
	v_mul_lo_u32 v49, v51, s17
	v_add_nc_u32_e32 v52, 1, v51
	s_lshr_b32 s14, s14, 27
	v_add_nc_u32_e32 v59, 0x60, v8
	s_add_co_i32 s5, s5, s14
	s_mul_i32 s14, s10, s18
	s_ashr_i32 s13, s12, 31
	s_and_b32 s21, s15, 0xffffffe0
	v_sub_nc_u32_e32 v4, v4, v49
	s_ashr_i32 s15, s14, 31
	s_wait_alu 0xfffe
	s_ashr_i32 s5, s5, 5
	s_mul_u64 s[14:15], s[14:15], 22
	s_wait_kmcnt 0x0
	s_add_nc_u64 s[0:1], s[0:1], s[12:13]
	v_subrev_nc_u32_e32 v53, s17, v4
	v_cmp_le_u32_e32 vcc_lo, s17, v4
	v_lshlrev_b32_e32 v1, 2, v8
	v_add_nc_u32_e32 v14, s16, v11
	v_lshlrev_b32_e32 v70, 5, v44
	v_add_nc_u32_e32 v46, s21, v40
	s_wait_alu 0xfffd
	v_dual_cndmask_b32 v51, v51, v52 :: v_dual_cndmask_b32 v4, v4, v53
	v_and_b32_e32 v52, 0x3ffc, v2
	v_and_b32_e32 v16, 12, v1
	s_add_nc_u64 s[12:13], s[0:1], s[14:15]
	s_delay_alu instid0(VALU_DEP_3)
	v_add_nc_u32_e32 v53, 1, v51
	v_cmp_le_u32_e32 vcc_lo, s17, v4
	v_add_nc_u32_e32 v15, s16, v14
	v_add3_u32 v5, v52, v5, 0x8200
	v_lshl_add_u32 v52, v3, 7, 0x9280
	s_wait_alu 0xfffd
	v_dual_cndmask_b32 v4, v51, v53 :: v_dual_and_b32 v59, 0x1fc, v59
	v_add_nc_u32_e32 v18, s16, v15
	v_lshl_add_u32 v53, v3, 4, 0x9680
	v_and_b32_e32 v3, 28, v1
	v_lshl_or_b32 v54, v55, 2, v52
	v_xor_b32_e32 v4, v4, v56
	v_add_nc_u32_e32 v19, s16, v18
	v_add_nc_u32_e32 v55, v53, v1
	;; [unrolled: 1-line block ×4, first 2 shown]
	v_sub_nc_u32_e32 v4, v4, v56
	v_add_nc_u32_e32 v20, s16, v19
	v_and_b32_e32 v61, 0xfc, v0
	v_and_b32_e32 v60, 0x1fc, v1
	;; [unrolled: 1-line block ×3, first 2 shown]
	v_cmp_gt_i32_e64 s0, s4, v4
	v_add_nc_u32_e32 v25, s16, v20
	s_wait_alu 0xfffe
	v_mul_lo_u32 v58, v4, s5
	v_lshlrev_b32_e32 v4, 5, v8
	v_bfe_u32 v10, v0, 2, 8
	v_add_nc_u32_e32 v48, s21, v46
	v_add_nc_u32_e32 v30, s16, v25
	v_lshlrev_b32_e32 v73, 5, v50
	v_lshlrev_b32_e32 v2, 5, v2
	v_add_co_u32 v0, s1, s2, v3
	s_delay_alu instid0(VALU_DEP_4)
	v_add_nc_u32_e32 v34, s16, v30
	v_add_nc_u32_e32 v3, v4, v59
	;; [unrolled: 1-line block ×6, first 2 shown]
	v_cmp_gt_u32_e32 vcc_lo, 4, v8
	v_lshrrev_b32_e32 v57, 3, v1
	v_add_co_ci_u32_e64 v1, null, s3, 0, s1
	s_delay_alu instid0(VALU_DEP_4)
	v_add_nc_u32_e32 v41, s16, v38
	s_movk_i32 s1, 0x80
	v_add_nc_u32_e32 v21, 0x820, v17
	v_add_nc_u32_e32 v22, 0x1040, v17
	;; [unrolled: 1-line block ×20, first 2 shown]
	v_mul_u32_u24_e32 v56, 0x104, v8
	v_ashrrev_i32_e32 v59, 31, v58
	v_add_nc_u32_e32 v60, 0x8e00, v3
	v_add_nc_u32_e32 v49, s16, v47
	;; [unrolled: 1-line block ×9, first 2 shown]
	s_wait_alu 0xfffe
	v_mad_u32_u24 v68, 0x104, v8, s1
	v_add_nc_u32_e32 v69, v6, v45
	v_add_nc_u32_e32 v70, v71, v70
	;; [unrolled: 1-line block ×3, first 2 shown]
	v_dual_mov_b32 v51, 0 :: v_dual_add_nc_u32 v72, v5, v2
	v_dual_mov_b32 v45, 0 :: v_dual_mov_b32 v2, 0
	s_mov_b32 s15, 0
	s_and_b32 s19, vcc_lo, s0
	s_mov_b32 s14, s15
	s_branch .LBB201_5
.LBB201_4:                              ;   in Loop: Header=BB201_5 Depth=1
	s_add_co_i32 s14, s14, 8
	s_wait_alu 0xfffe
	s_cmp_ge_i32 s14, s10
	s_cbranch_scc1 .LBB201_21
.LBB201_5:                              ; =>This Loop Header: Depth=1
                                        ;     Child Loop BB201_11 Depth 2
                                        ;     Child Loop BB201_19 Depth 2
	s_mul_u64 s[16:17], s[14:15], 22
	s_wait_alu 0xfffe
	s_add_nc_u64 s[16:17], s[12:13], s[16:17]
	s_wait_alu 0xfffe
	v_mad_co_u64_u32 v[3:4], null, v10, 22, s[16:17]
	s_delay_alu instid0(VALU_DEP_1) | instskip(SKIP_3) | instid1(VALU_DEP_4)
	v_mad_co_u64_u32 v[5:6], null, v11, 22, v[3:4]
	v_mad_co_u64_u32 v[73:74], null, v14, 22, v[3:4]
	;; [unrolled: 1-line block ×4, first 2 shown]
	v_add_co_u32 v77, s1, v5, v16
	s_wait_alu 0xf1ff
	v_add_co_ci_u32_e64 v78, null, 0, v6, s1
	v_add_co_u32 v79, s1, v73, v16
	s_wait_alu 0xf1ff
	v_add_co_ci_u32_e64 v80, null, 0, v74, s1
	;; [unrolled: 3-line block ×4, first 2 shown]
	s_clause 0x7
	global_load_b32 v81, v[77:78], off offset:6
	global_load_b32 v79, v[79:80], off offset:6
	;; [unrolled: 1-line block ×8, first 2 shown]
	v_mad_co_u64_u32 v[5:6], null, v19, 22, v[3:4]
	v_mad_co_u64_u32 v[85:86], null, v20, 22, v[3:4]
	;; [unrolled: 1-line block ×4, first 2 shown]
	s_delay_alu instid0(VALU_DEP_4)
	v_add_co_u32 v89, s1, v5, v16
	s_wait_alu 0xf1ff
	v_add_co_ci_u32_e64 v90, null, 0, v6, s1
	v_add_co_u32 v96, s1, v85, v16
	s_wait_alu 0xf1ff
	v_add_co_ci_u32_e64 v97, null, 0, v86, s1
	s_clause 0x5
	global_load_b32 v74, v[94:95], off offset:2
	global_load_b32 v76, v[92:93], off offset:2
	;; [unrolled: 1-line block ×6, first 2 shown]
	v_add_co_u32 v5, s1, v92, v16
	s_wait_alu 0xf1ff
	v_add_co_ci_u32_e64 v6, null, 0, v93, s1
	v_add_co_u32 v85, s1, v94, v16
	s_wait_alu 0xf1ff
	v_add_co_ci_u32_e64 v86, null, 0, v95, s1
	s_clause 0x1
	global_load_b32 v75, v[5:6], off offset:6
	global_load_b32 v73, v[85:86], off offset:6
	v_mad_co_u64_u32 v[94:95], null, v34, 22, v[3:4]
	v_mad_co_u64_u32 v[5:6], null, v12, 22, s[16:17]
	;; [unrolled: 1-line block ×5, first 2 shown]
	v_add_co_u32 v92, s1, v94, v16
	v_mad_co_u64_u32 v[85:86], null, v40, 22, v[5:6]
	s_wait_alu 0xf1ff
	v_add_co_ci_u32_e64 v93, null, 0, v95, s1
	v_add_co_u32 v106, s1, v96, v16
	s_wait_alu 0xf1ff
	v_add_co_ci_u32_e64 v107, null, 0, v97, s1
	v_add_co_u32 v108, s1, v98, v16
	;; [unrolled: 3-line block ×3, first 2 shown]
	s_wait_alu 0xf1ff
	v_add_co_ci_u32_e64 v111, null, 0, v101, s1
	s_clause 0x8
	global_load_u16 v86, v[85:86], off
	global_load_b32 v112, v[92:93], off offset:6
	global_load_b32 v106, v[106:107], off offset:6
	;; [unrolled: 1-line block ×8, first 2 shown]
	v_mad_co_u64_u32 v[102:103], null, v43, 22, v[3:4]
	v_mad_co_u64_u32 v[104:105], null, v44, 22, v[3:4]
	s_lshl_b32 s16, s14, 5
	s_wait_alu 0xfffe
	s_cmp_lt_i32 s16, s11
	s_wait_loadcnt 0x18
	v_and_b32_e32 v95, 0xf0f0f0f, v81
	v_lshrrev_b32_e32 v81, 4, v81
	s_wait_loadcnt 0x17
	v_and_b32_e32 v97, 0xf0f0f0f, v79
	v_lshrrev_b32_e32 v79, 4, v79
	s_wait_loadcnt 0x14
	v_ashrrev_i32_e32 v80, v16, v80
	s_wait_loadcnt 0x13
	v_ashrrev_i32_e32 v82, v16, v82
	;; [unrolled: 2-line block ×4, first 2 shown]
	v_and_b32_e32 v98, 0xf0f0f0f, v77
	v_lshrrev_b32_e32 v77, 4, v77
	v_lshlrev_b32_e32 v122, 4, v82
	v_lshlrev_b32_e32 v115, 4, v83
	;; [unrolled: 1-line block ×6, first 2 shown]
	v_lshrrev_b32_e32 v111, 12, v84
	v_lshrrev_b32_e32 v113, 5, v84
	v_lshlrev_b32_e32 v114, 2, v84
	v_lshlrev_b32_e32 v84, 9, v84
	;; [unrolled: 1-line block ×3, first 2 shown]
	s_wait_loadcnt 0xe
	v_ashrrev_i32_e32 v88, v16, v88
	s_wait_loadcnt 0xd
	v_ashrrev_i32_e32 v91, v16, v91
	v_lshlrev_b32_e32 v117, 18, v83
	v_lshlrev_b32_e32 v118, 25, v83
	v_lshrrev_b32_e32 v119, 12, v83
	v_lshrrev_b32_e32 v120, 5, v83
	v_lshlrev_b32_e32 v121, 2, v83
	v_lshlrev_b32_e32 v83, 9, v83
	;; [unrolled: 1-line block ×5, first 2 shown]
	v_lshrrev_b32_e32 v126, 12, v82
	v_lshrrev_b32_e32 v127, 5, v82
	v_lshlrev_b32_e32 v128, 2, v82
	v_lshlrev_b32_e32 v82, 9, v82
	;; [unrolled: 1-line block ×4, first 2 shown]
	v_and_b32_e32 v99, 0xf0f0f0f, v78
	v_lshrrev_b32_e32 v78, 4, v78
	s_wait_loadcnt 0xb
	v_and_b32_e32 v101, 0xf0f0f0f, v89
	v_lshrrev_b32_e32 v89, 4, v89
	v_and_b32_e32 v81, 0xf0f0f0f, v81
	v_lshlrev_b32_e32 v131, 18, v80
	v_lshlrev_b32_e32 v132, 25, v80
	v_lshrrev_b32_e32 v133, 12, v80
	v_lshrrev_b32_e32 v134, 5, v80
	v_lshlrev_b32_e32 v135, 2, v80
	v_lshlrev_b32_e32 v80, 9, v80
	;; [unrolled: 1-line block ×8, first 2 shown]
	v_lshrrev_b32_e32 v147, 12, v88
	v_lshrrev_b32_e32 v148, 5, v88
	v_lshlrev_b32_e32 v149, 2, v88
	v_lshlrev_b32_e32 v88, 9, v88
	v_and_b32_e32 v107, 16, v107
	v_and_b32_e32 v108, 0x1000, v108
	;; [unrolled: 1-line block ×37, first 2 shown]
	v_or3_b32 v107, v107, v95, v108
	v_or3_b32 v95, v95, v109, v110
	v_or3_b32 v108, v111, v81, v113
	v_or3_b32 v81, v81, v114, v84
	v_or3_b32 v84, v115, v97, v116
	v_and_b32_e32 v117, 0x100000, v117
	v_and_b32_e32 v118, 0x10000000, v118
	v_or3_b32 v109, v119, v79, v120
	v_or3_b32 v79, v79, v121, v83
	;; [unrolled: 1-line block ×6, first 2 shown]
	v_lshlrev_b32_e32 v138, 18, v91
	v_lshlrev_b32_e32 v139, 25, v91
	v_and_b32_e32 v124, 0x100000, v124
	v_and_b32_e32 v125, 0x10000000, v125
	v_or3_b32 v111, v133, v78, v134
	v_or3_b32 v78, v78, v135, v80
	;; [unrolled: 1-line block ×5, first 2 shown]
	v_lshrrev_b32_e32 v89, 16, v95
	v_and_b32_e32 v95, 0x1f00, v107
	v_lshlrev_b16 v107, 8, v107
	v_and_b32_e32 v115, 0x1f00, v108
	v_lshlrev_b16 v108, 8, v108
	;; [unrolled: 2-line block ×3, first 2 shown]
	v_or3_b32 v97, v97, v117, v118
	v_and_b32_e32 v118, 0x1f00, v83
	v_lshlrev_b16 v83, 8, v83
	v_and_b32_e32 v131, 0x100000, v131
	v_and_b32_e32 v132, 0x10000000, v132
	;; [unrolled: 1-line block ×3, first 2 shown]
	v_lshlrev_b16 v82, 8, v82
	v_and_b32_e32 v138, 0x100000, v138
	v_and_b32_e32 v139, 0x10000000, v139
	v_or3_b32 v98, v98, v124, v125
	v_and_b32_e32 v122, 0x1f00, v80
	v_lshlrev_b16 v80, 8, v80
	v_lshrrev_b32_e32 v125, 16, v88
	v_and_b32_e32 v88, 0x1f00, v114
	v_add_nc_u16 v95, 0xf000, v95
	v_add_nc_u16 v107, 0xf000, v107
	v_and_b32_e32 v126, 0x1f00, v89
	v_lshlrev_b16 v89, 8, v89
	v_add_nc_u16 v108, 0xf000, v108
	v_add_nc_u16 v84, 0xf000, v84
	;; [unrolled: 1-line block ×3, first 2 shown]
	v_or3_b32 v99, v99, v131, v132
	v_add_nc_u16 v82, 0xf000, v82
	v_or3_b32 v100, v100, v138, v139
	v_lshrrev_b32_e32 v81, 16, v81
	v_add_nc_u16 v80, 0xf000, v80
	v_add_nc_u16 v137, 0xf000, v88
	v_perm_b32 v88, v107, v95, 0xc0c0105
	v_add_nc_u16 v95, 0xf000, v126
	v_add_nc_u16 v89, 0xf000, v89
	v_lshrrev_b16 v108, 8, v108
	v_lshrrev_b32_e32 v97, 16, v97
	v_lshrrev_b32_e32 v79, 16, v79
	v_and_b32_e32 v117, 0x1f00, v109
	v_lshlrev_b16 v109, 8, v109
	v_lshrrev_b16 v84, 8, v84
	v_lshrrev_b32_e32 v98, 16, v98
	v_lshrrev_b32_e32 v77, 16, v77
	v_and_b32_e32 v119, 0x1f00, v110
	v_lshlrev_b16 v110, 8, v110
	;; [unrolled: 5-line block ×3, first 2 shown]
	v_lshrrev_b16 v82, 8, v82
	v_lshrrev_b32_e32 v100, 16, v100
	v_and_b32_e32 v127, 0x1f00, v81
	v_lshlrev_b16 v81, 8, v81
	v_lshrrev_b16 v80, 8, v80
	v_perm_b32 v89, v89, v95, 0xc0c0105
	v_or_b32_e32 v95, v115, v108
	v_and_b32_e32 v128, 0x1f00, v97
	v_lshlrev_b16 v97, 8, v97
	v_add_nc_u16 v117, 0xf000, v117
	v_add_nc_u16 v109, 0xf000, v109
	v_and_b32_e32 v129, 0x1f00, v79
	v_lshlrev_b16 v79, 8, v79
	v_or_b32_e32 v84, v116, v84
	v_and_b32_e32 v130, 0x1f00, v98
	v_lshlrev_b16 v98, 8, v98
	v_add_nc_u16 v119, 0xf000, v119
	v_add_nc_u16 v110, 0xf000, v110
	v_and_b32_e32 v131, 0x1f00, v77
	v_lshlrev_b16 v77, 8, v77
	;; [unrolled: 7-line block ×3, first 2 shown]
	v_or_b32_e32 v82, v120, v82
	v_and_b32_e32 v134, 0x1f00, v100
	v_lshlrev_b16 v100, 8, v100
	v_add_nc_u16 v107, 0xf000, v127
	v_add_nc_u16 v81, 0xf000, v81
	v_or_b32_e32 v80, v122, v80
	v_lshl_or_b32 v88, v89, 16, v88
	v_add_nc_u16 v89, 0xf000, v95
	v_add_nc_u16 v126, 0xf000, v128
	v_add_nc_u16 v97, 0xf000, v97
	v_perm_b32 v109, v109, v117, 0xc0c0105
	v_add_nc_u16 v117, 0xf000, v129
	v_add_nc_u16 v79, 0xf000, v79
	v_add_nc_u16 v84, 0xf000, v84
	v_add_nc_u16 v127, 0xf000, v130
	v_add_nc_u16 v98, 0xf000, v98
	v_perm_b32 v110, v110, v119, 0xc0c0105
	v_add_nc_u16 v119, 0xf000, v131
	v_add_nc_u16 v77, 0xf000, v77
	;; [unrolled: 6-line block ×3, first 2 shown]
	v_add_nc_u16 v82, 0xf000, v82
	v_lshrrev_b32_e32 v90, 4, v90
	v_lshrrev_b32_e32 v140, 12, v91
	;; [unrolled: 1-line block ×3, first 2 shown]
	v_lshlrev_b32_e32 v142, 2, v91
	v_lshlrev_b32_e32 v91, 9, v91
	v_add_nc_u16 v129, 0xf000, v134
	v_add_nc_u16 v100, 0xf000, v100
	v_perm_b32 v81, v81, v107, 0xc0c0105
	v_add_nc_u16 v80, 0xf000, v80
	v_and_b32_e32 v89, 0xffff, v89
	v_perm_b32 v97, v97, v126, 0xc0c0105
	v_perm_b32 v79, v79, v117, 0xc0c0105
	v_and_b32_e32 v84, 0xffff, v84
	v_perm_b32 v98, v98, v127, 0xc0c0105
	v_perm_b32 v77, v77, v119, 0xc0c0105
	;; [unrolled: 3-line block ×3, first 2 shown]
	v_and_b32_e32 v82, 0xffff, v82
	v_and_b32_e32 v90, 0xf0f0f0f, v90
	;; [unrolled: 1-line block ×8, first 2 shown]
	v_perm_b32 v100, v100, v129, 0xc0c0105
	v_and_b32_e32 v80, 0xffff, v80
	v_lshl_or_b32 v81, v81, 16, v89
	v_lshl_or_b32 v79, v79, 16, v109
	;; [unrolled: 1-line block ×7, first 2 shown]
	v_or3_b32 v113, v140, v90, v141
	v_or3_b32 v90, v90, v142, v91
	;; [unrolled: 1-line block ×3, first 2 shown]
	v_lshl_or_b32 v95, v100, 16, v80
	ds_store_2addr_b32 v17, v88, v81 offset1:1
	ds_store_2addr_b32 v21, v84, v79 offset1:1
	;; [unrolled: 1-line block ×4, first 2 shown]
	v_mad_co_u64_u32 v[79:80], null, v47, 22, v[3:4]
	v_mad_co_u64_u32 v[3:4], null, v49, 22, v[3:4]
	v_add_co_u32 v77, s1, v102, v16
	v_and_b32_e32 v145, 0x100000, v145
	v_and_b32_e32 v146, 0x10000000, v146
	;; [unrolled: 1-line block ×3, first 2 shown]
	v_lshlrev_b16 v91, 8, v91
	s_wait_alu 0xf1ff
	v_add_co_ci_u32_e64 v78, null, 0, v103, s1
	v_add_co_u32 v81, s1, v104, v16
	s_wait_alu 0xf1ff
	v_add_co_ci_u32_e64 v82, null, 0, v105, s1
	v_add_co_u32 v83, s1, v79, v16
	v_or3_b32 v101, v101, v145, v146
	v_add_nc_u16 v91, 0xf000, v91
	s_wait_alu 0xf1ff
	v_add_co_ci_u32_e64 v84, null, 0, v80, s1
	v_add_co_u32 v88, s1, v3, v16
	v_ashrrev_i32_e32 v76, v16, v76
	s_wait_alu 0xf1ff
	v_add_co_ci_u32_e64 v89, null, 0, v4, s1
	s_clause 0x7
	global_load_b32 v77, v[77:78], off offset:6
	global_load_b32 v78, v[81:82], off offset:6
	;; [unrolled: 1-line block ×8, first 2 shown]
	v_lshrrev_b32_e32 v101, 16, v101
	v_lshrrev_b16 v91, 8, v91
	v_and_b32_e32 v3, 0x1f00, v125
	v_lshlrev_b16 v4, 8, v125
	v_lshlrev_b32_e32 v89, 4, v76
	v_lshlrev_b32_e32 v97, 11, v76
	v_and_b32_e32 v136, 0x1f00, v101
	v_lshlrev_b16 v101, 8, v101
	v_or_b32_e32 v91, v124, v91
	v_add_nc_u16 v3, 0xf000, v3
	v_add_nc_u16 v4, 0xf000, v4
	s_wait_loadcnt 0x12
	v_and_b32_e32 v98, 0xf0f0f0f, v75
	v_and_b32_e32 v89, 16, v89
	;; [unrolled: 1-line block ×3, first 2 shown]
	v_add_nc_u16 v130, 0xf000, v136
	v_add_nc_u16 v101, 0xf000, v101
	;; [unrolled: 1-line block ×3, first 2 shown]
	v_perm_b32 v3, v4, v3, 0xc0c0105
	v_or3_b32 v4, v89, v98, v97
	v_lshlrev_b32_e32 v89, 18, v76
	v_lshlrev_b32_e32 v97, 25, v76
	v_lshrrev_b32_e32 v75, 4, v75
	v_lshrrev_b32_e32 v99, 12, v76
	;; [unrolled: 1-line block ×3, first 2 shown]
	v_perm_b32 v101, v101, v130, 0xc0c0105
	v_and_b32_e32 v91, 0xffff, v91
	v_and_b32_e32 v89, 0x100000, v89
	;; [unrolled: 1-line block ×6, first 2 shown]
	v_lshl_or_b32 v91, v101, 16, v91
	v_lshlrev_b32_e32 v101, 2, v76
	v_lshlrev_b32_e32 v76, 9, v76
	v_or3_b32 v89, v98, v89, v97
	v_or3_b32 v98, v99, v75, v100
	v_lshlrev_b16 v114, 8, v114
	v_and_b32_e32 v99, 0x100000, v101
	v_and_b32_e32 v76, 0x10000000, v76
	v_lshrrev_b32_e32 v89, 16, v89
	v_lshlrev_b16 v100, 8, v98
	v_and_b32_e32 v97, 0x1f00, v4
	v_lshlrev_b16 v4, 8, v4
	v_or3_b32 v75, v75, v99, v76
	v_and_b32_e32 v76, 0x1f00, v89
	v_lshlrev_b16 v89, 8, v89
	v_add_nc_u16 v99, 0xf000, v100
	v_add_nc_u16 v88, 0xf000, v114
	;; [unrolled: 1-line block ×4, first 2 shown]
	v_lshrrev_b32_e32 v75, 16, v75
	v_add_nc_u16 v76, 0xf000, v76
	v_add_nc_u16 v89, 0xf000, v89
	v_and_b32_e32 v98, 0x1f00, v98
	v_lshrrev_b16 v99, 8, v99
	v_perm_b32 v88, v88, v137, 0xc0c0105
	v_and_b32_e32 v100, 0x1f00, v75
	v_lshlrev_b16 v75, 8, v75
	v_perm_b32 v4, v4, v97, 0xc0c0105
	v_perm_b32 v76, v89, v76, 0xc0c0105
	v_or_b32_e32 v89, v98, v99
	v_ashrrev_i32_e32 v74, v16, v74
	v_add_nc_u16 v97, 0xf000, v100
	v_add_nc_u16 v75, 0xf000, v75
	v_lshl_or_b32 v3, v3, 16, v88
	v_add_nc_u16 v88, 0xf000, v89
	v_lshl_or_b32 v4, v76, 16, v4
	v_lshlrev_b32_e32 v76, 4, v74
	v_lshlrev_b32_e32 v89, 11, v74
	v_perm_b32 v75, v75, v97, 0xc0c0105
	v_lshlrev_b32_e32 v97, 18, v74
	s_wait_loadcnt 0x11
	v_and_b32_e32 v98, 0xf0f0f0f, v73
	v_and_b32_e32 v76, 16, v76
	;; [unrolled: 1-line block ×3, first 2 shown]
	v_lshlrev_b32_e32 v99, 25, v74
	v_lshrrev_b32_e32 v73, 4, v73
	v_lshrrev_b32_e32 v100, 12, v74
	;; [unrolled: 1-line block ×3, first 2 shown]
	v_and_b32_e32 v97, 0x100000, v97
	v_and_b32_e32 v99, 0x10000000, v99
	v_or3_b32 v76, v76, v98, v89
	v_and_b32_e32 v73, 0xf0f0f0f, v73
	v_and_b32_e32 v89, 16, v100
	;; [unrolled: 1-line block ×3, first 2 shown]
	v_or3_b32 v97, v98, v97, v99
	v_lshlrev_b32_e32 v98, 2, v74
	v_lshlrev_b32_e32 v74, 9, v74
	v_and_b32_e32 v88, 0xffff, v88
	v_or3_b32 v89, v89, v73, v100
	v_lshrrev_b32_e32 v90, 16, v90
	v_and_b32_e32 v98, 0x100000, v98
	v_and_b32_e32 v74, 0x10000000, v74
	;; [unrolled: 1-line block ×3, first 2 shown]
	v_lshlrev_b16 v100, 8, v89
	v_lshlrev_b16 v113, 8, v113
	v_lshrrev_b32_e32 v97, 16, v97
	v_or3_b32 v73, v73, v98, v74
	v_lshl_or_b32 v74, v75, 16, v88
	v_add_nc_u16 v75, 0xf000, v100
	v_and_b32_e32 v89, 0x1f00, v89
	v_add_nc_u16 v123, 0xf000, v123
	v_lshrrev_b32_e32 v73, 16, v73
	v_add_nc_u16 v113, 0xf000, v113
	v_lshrrev_b16 v75, 8, v75
	v_and_b32_e32 v135, 0x1f00, v90
	v_lshlrev_b16 v90, 8, v90
	v_and_b32_e32 v88, 0x1f00, v97
	v_lshlrev_b16 v97, 8, v97
	;; [unrolled: 2-line block ×4, first 2 shown]
	v_or_b32_e32 v75, v89, v75
	v_perm_b32 v113, v113, v123, 0xc0c0105
	v_add_nc_u16 v123, 0xf000, v135
	v_add_nc_u16 v90, 0xf000, v90
	;; [unrolled: 1-line block ×4, first 2 shown]
	s_wait_loadcnt 0x8
	v_ashrrev_i32_e32 v94, v16, v94
	v_add_nc_u16 v99, 0xf000, v99
	v_add_nc_u16 v76, 0xf000, v76
	;; [unrolled: 1-line block ×5, first 2 shown]
	v_perm_b32 v90, v90, v123, 0xc0c0105
	v_perm_b32 v88, v89, v88, 0xc0c0105
	v_lshlrev_b32_e32 v89, 4, v94
	v_lshlrev_b32_e32 v98, 11, v94
	v_perm_b32 v76, v76, v99, 0xc0c0105
	v_perm_b32 v73, v73, v97, 0xc0c0105
	v_and_b32_e32 v75, 0xffff, v75
	v_lshl_or_b32 v90, v90, 16, v113
	v_and_b32_e32 v97, 0xf0f0f0f, v112
	v_and_b32_e32 v89, 16, v89
	;; [unrolled: 1-line block ×3, first 2 shown]
	v_lshlrev_b32_e32 v99, 18, v94
	v_lshlrev_b32_e32 v100, 25, v94
	v_lshl_or_b32 v76, v88, 16, v76
	v_lshl_or_b32 v73, v73, 16, v75
	v_or3_b32 v75, v89, v97, v98
	v_and_b32_e32 v88, 0x100000, v99
	v_and_b32_e32 v89, 0x10000000, v100
	ds_store_2addr_b32 v24, v95, v90 offset1:1
	ds_store_2addr_b32 v26, v91, v3 offset1:1
	;; [unrolled: 1-line block ×4, first 2 shown]
	v_lshrrev_b32_e32 v73, 4, v112
	v_lshrrev_b32_e32 v74, 12, v94
	;; [unrolled: 1-line block ×3, first 2 shown]
	v_or3_b32 v3, v97, v88, v89
	v_lshlrev_b32_e32 v88, 2, v94
	v_lshlrev_b32_e32 v89, 9, v94
	v_and_b32_e32 v73, 0xf0f0f0f, v73
	v_and_b32_e32 v74, 16, v74
	;; [unrolled: 1-line block ×6, first 2 shown]
	v_lshlrev_b16 v75, 8, v75
	v_lshrrev_b32_e32 v3, 16, v3
	v_or3_b32 v74, v74, v73, v76
	v_add_nc_u16 v4, 0xf000, v4
	v_or3_b32 v73, v73, v88, v89
	v_add_nc_u16 v75, 0xf000, v75
	v_and_b32_e32 v76, 0x1f00, v3
	v_lshlrev_b16 v88, 8, v74
	v_lshlrev_b16 v3, 8, v3
	v_lshrrev_b32_e32 v73, 16, v73
	v_perm_b32 v4, v75, v4, 0xc0c0105
	v_add_nc_u16 v75, 0xf000, v76
	v_add_nc_u16 v76, 0xf000, v88
	v_add_nc_u16 v3, 0xf000, v3
	v_and_b32_e32 v88, 0x1f00, v73
	v_ashrrev_i32_e32 v89, v16, v96
	v_and_b32_e32 v74, 0x1f00, v74
	v_lshrrev_b16 v76, 8, v76
	v_perm_b32 v3, v3, v75, 0xc0c0105
	v_add_nc_u16 v75, 0xf000, v88
	v_lshlrev_b32_e32 v88, 4, v89
	v_lshlrev_b16 v73, 8, v73
	v_or_b32_e32 v74, v74, v76
	v_lshlrev_b32_e32 v76, 11, v89
	v_and_b32_e32 v90, 0xf0f0f0f, v106
	v_and_b32_e32 v88, 16, v88
	v_lshlrev_b32_e32 v91, 18, v89
	v_lshlrev_b32_e32 v94, 25, v89
	v_and_b32_e32 v76, 0x1000, v76
	v_add_nc_u16 v73, 0xf000, v73
	v_add_nc_u16 v74, 0xf000, v74
	v_and_b32_e32 v91, 0x100000, v91
	v_and_b32_e32 v94, 0x10000000, v94
	v_or3_b32 v76, v88, v90, v76
	v_lshl_or_b32 v88, v3, 16, v4
	v_perm_b32 v75, v73, v75, 0xc0c0105
	v_and_b32_e32 v95, 0xffff, v74
	v_or3_b32 v3, v90, v91, v94
	v_and_b32_e32 v4, 0x1f00, v76
	v_lshlrev_b16 v73, 8, v76
	v_lshrrev_b32_e32 v74, 4, v106
	v_lshlrev_b32_e32 v76, 2, v89
	v_lshlrev_b32_e32 v90, 9, v89
	v_lshrrev_b32_e32 v91, 12, v89
	v_lshrrev_b32_e32 v89, 5, v89
	v_and_b32_e32 v74, 0xf0f0f0f, v74
	v_and_b32_e32 v76, 0x100000, v76
	;; [unrolled: 1-line block ×5, first 2 shown]
	v_lshrrev_b32_e32 v3, 16, v3
	v_add_nc_u16 v4, 0xf000, v4
	v_add_nc_u16 v73, 0xf000, v73
	v_or3_b32 v76, v74, v76, v90
	v_or3_b32 v89, v91, v74, v89
	v_and_b32_e32 v74, 0x1f00, v3
	v_lshlrev_b16 v3, 8, v3
	v_perm_b32 v90, v73, v4, 0xc0c0105
	v_lshrrev_b32_e32 v76, 16, v76
	v_lshlrev_b16 v4, 8, v89
	v_add_nc_u16 v91, 0xf000, v74
	v_add_nc_u16 v94, 0xf000, v3
	v_mad_co_u64_u32 v[73:74], null, v48, 22, v[5:6]
	s_delay_alu instid0(VALU_DEP_4)
	v_add_nc_u16 v97, 0xf000, v4
	v_mad_co_u64_u32 v[3:4], null, v46, 22, v[5:6]
	v_mad_co_u64_u32 v[5:6], null, v50, 22, v[5:6]
	v_and_b32_e32 v96, 0x1f00, v76
	v_lshlrev_b16 v76, 8, v76
	v_and_b32_e32 v89, 0x1f00, v89
	v_lshrrev_b16 v97, 8, v97
	s_clause 0x2
	global_load_u16 v3, v[3:4], off
	global_load_u16 v73, v[73:74], off
	;; [unrolled: 1-line block ×3, first 2 shown]
	v_add_nc_u16 v96, 0xf000, v96
	v_add_nc_u16 v76, 0xf000, v76
	v_ashrrev_i32_e32 v4, v16, v93
	v_perm_b32 v74, v94, v91, 0xc0c0105
	v_and_b32_e32 v93, 0xf0f0f0f, v92
	v_lshrrev_b32_e32 v92, 4, v92
	v_perm_b32 v76, v76, v96, 0xc0c0105
	v_lshrrev_b32_e32 v94, 12, v4
	v_lshrrev_b32_e32 v96, 5, v4
	v_or_b32_e32 v6, v89, v97
	v_lshlrev_b32_e32 v89, 4, v4
	v_lshlrev_b32_e32 v91, 11, v4
	v_and_b32_e32 v92, 0xf0f0f0f, v92
	v_and_b32_e32 v94, 16, v94
	;; [unrolled: 1-line block ×5, first 2 shown]
	v_lshlrev_b32_e32 v97, 18, v4
	v_lshlrev_b32_e32 v98, 25, v4
	;; [unrolled: 1-line block ×4, first 2 shown]
	v_or3_b32 v94, v94, v92, v96
	v_and_b32_e32 v97, 0x100000, v97
	v_and_b32_e32 v98, 0x10000000, v98
	v_or3_b32 v89, v89, v93, v91
	v_and_b32_e32 v91, 0x100000, v99
	v_and_b32_e32 v4, 0x10000000, v4
	v_lshlrev_b16 v96, 8, v94
	v_or3_b32 v93, v93, v97, v98
	v_and_b32_e32 v97, 0x1f00, v89
	v_and_b32_e32 v94, 0x1f00, v94
	v_or3_b32 v4, v92, v91, v4
	v_add_nc_u16 v92, 0xf000, v96
	v_lshrrev_b32_e32 v91, 16, v93
	v_lshlrev_b16 v89, 8, v89
	v_add_nc_u16 v93, 0xf000, v97
	v_lshrrev_b32_e32 v4, 16, v4
	v_lshrrev_b16 v92, 8, v92
	v_and_b32_e32 v96, 0x1f00, v91
	v_lshlrev_b16 v91, 8, v91
	v_add_nc_u16 v6, 0xf000, v6
	v_and_b32_e32 v97, 0x1f00, v4
	v_lshlrev_b16 v4, 8, v4
	v_or_b32_e32 v92, v94, v92
	v_add_nc_u16 v89, 0xf000, v89
	v_add_nc_u16 v94, 0xf000, v96
	;; [unrolled: 1-line block ×6, first 2 shown]
	v_and_b32_e32 v6, 0xffff, v6
	v_perm_b32 v89, v89, v93, 0xc0c0105
	v_perm_b32 v91, v91, v94, 0xc0c0105
	;; [unrolled: 1-line block ×3, first 2 shown]
	v_and_b32_e32 v92, 0xffff, v92
	v_lshl_or_b32 v75, v75, 16, v95
	v_ashrrev_i32_e32 v87, v16, v87
	v_lshl_or_b32 v74, v74, 16, v90
	v_lshl_or_b32 v6, v76, 16, v6
	;; [unrolled: 1-line block ×4, first 2 shown]
	ds_store_2addr_b32 v29, v88, v75 offset1:1
	ds_store_2addr_b32 v31, v74, v6 offset1:1
	;; [unrolled: 1-line block ×3, first 2 shown]
	v_lshlrev_b32_e32 v4, 4, v87
	v_lshlrev_b32_e32 v6, 11, v87
	;; [unrolled: 1-line block ×4, first 2 shown]
	v_and_b32_e32 v76, 0xf0f0f0f, v85
	v_and_b32_e32 v4, 16, v4
	v_and_b32_e32 v6, 0x1000, v6
	v_and_b32_e32 v74, 0x100000, v74
	v_and_b32_e32 v75, 0x10000000, v75
	v_lshrrev_b32_e32 v85, 4, v85
	v_lshrrev_b32_e32 v88, 12, v87
	;; [unrolled: 1-line block ×3, first 2 shown]
	v_or3_b32 v4, v4, v76, v6
	v_or3_b32 v6, v76, v74, v75
	v_and_b32_e32 v74, 0xf0f0f0f, v85
	v_and_b32_e32 v75, 16, v88
	;; [unrolled: 1-line block ×4, first 2 shown]
	v_lshlrev_b32_e32 v88, 2, v87
	v_lshlrev_b32_e32 v87, 9, v87
	v_lshrrev_b32_e32 v6, 16, v6
	v_or3_b32 v75, v75, v74, v76
	v_add_nc_u16 v76, 0xf000, v85
	v_and_b32_e32 v85, 0x100000, v88
	v_and_b32_e32 v87, 0x10000000, v87
	v_lshlrev_b16 v4, 8, v4
	v_lshlrev_b16 v88, 8, v75
	v_and_b32_e32 v89, 0x1f00, v6
	v_lshlrev_b16 v6, 8, v6
	v_or3_b32 v74, v74, v85, v87
	v_add_nc_u16 v4, 0xf000, v4
	v_add_nc_u16 v85, 0xf000, v88
	v_add_nc_u16 v87, 0xf000, v89
	v_add_nc_u16 v6, 0xf000, v6
	v_lshrrev_b32_e32 v74, 16, v74
	v_and_b32_e32 v75, 0x1f00, v75
	v_lshrrev_b16 v85, 8, v85
	v_perm_b32 v4, v4, v76, 0xc0c0105
	v_perm_b32 v6, v6, v87, 0xc0c0105
	v_and_b32_e32 v76, 0x1f00, v74
	s_wait_loadcnt 0x3
	v_ashrrev_i32_e32 v84, v16, v84
	v_lshlrev_b16 v74, 8, v74
	v_or_b32_e32 v75, v75, v85
	v_lshl_or_b32 v4, v6, 16, v4
	v_add_nc_u16 v6, 0xf000, v76
	v_lshlrev_b32_e32 v76, 18, v84
	v_lshlrev_b32_e32 v85, 25, v84
	v_add_nc_u16 v74, 0xf000, v74
	v_add_nc_u16 v75, 0xf000, v75
	v_and_b32_e32 v87, 0xf0f0f0f, v77
	v_lshlrev_b32_e32 v88, 4, v84
	v_lshlrev_b32_e32 v89, 11, v84
	v_and_b32_e32 v76, 0x100000, v76
	v_and_b32_e32 v85, 0x10000000, v85
	v_perm_b32 v6, v74, v6, 0xc0c0105
	v_and_b32_e32 v74, 0xffff, v75
	v_and_b32_e32 v75, 16, v88
	v_and_b32_e32 v88, 0x1000, v89
	v_or3_b32 v76, v87, v76, v85
	v_lshrrev_b32_e32 v77, 4, v77
	v_lshrrev_b32_e32 v85, 12, v84
	;; [unrolled: 1-line block ×3, first 2 shown]
	v_or3_b32 v75, v75, v87, v88
	v_lshlrev_b32_e32 v88, 2, v84
	v_and_b32_e32 v77, 0xf0f0f0f, v77
	v_and_b32_e32 v85, 16, v85
	;; [unrolled: 1-line block ×3, first 2 shown]
	v_lshlrev_b32_e32 v84, 9, v84
	v_and_b32_e32 v89, 0x1f00, v75
	v_lshrrev_b32_e32 v76, 16, v76
	v_lshl_or_b32 v6, v6, 16, v74
	v_or3_b32 v85, v85, v77, v87
	v_and_b32_e32 v87, 0x100000, v88
	v_and_b32_e32 v84, 0x10000000, v84
	v_add_nc_u16 v88, 0xf000, v89
	v_lshlrev_b16 v75, 8, v75
	v_lshlrev_b16 v89, 8, v85
	v_and_b32_e32 v85, 0x1f00, v85
	v_or3_b32 v74, v77, v87, v84
	v_and_b32_e32 v77, 0x1f00, v76
	v_lshlrev_b16 v76, 8, v76
	v_add_nc_u16 v84, 0xf000, v89
	v_ashrrev_i32_e32 v80, v16, v80
	v_lshrrev_b32_e32 v74, 16, v74
	v_add_nc_u16 v77, 0xf000, v77
	v_add_nc_u16 v76, 0xf000, v76
	v_lshrrev_b16 v84, 8, v84
	v_add_nc_u16 v75, 0xf000, v75
	v_and_b32_e32 v87, 0x1f00, v74
	v_lshlrev_b16 v74, 8, v74
	v_perm_b32 v76, v76, v77, 0xc0c0105
	v_or_b32_e32 v84, v85, v84
	v_lshlrev_b32_e32 v85, 4, v80
	v_add_nc_u16 v77, 0xf000, v87
	v_add_nc_u16 v74, 0xf000, v74
	v_lshlrev_b32_e32 v87, 11, v80
	v_add_nc_u16 v84, 0xf000, v84
	v_lshlrev_b32_e32 v89, 18, v80
	v_lshlrev_b32_e32 v90, 25, v80
	v_perm_b32 v75, v75, v88, 0xc0c0105
	v_and_b32_e32 v88, 0xf0f0f0f, v78
	v_and_b32_e32 v85, 16, v85
	;; [unrolled: 1-line block ×3, first 2 shown]
	v_perm_b32 v74, v74, v77, 0xc0c0105
	v_and_b32_e32 v77, 0xffff, v84
	v_and_b32_e32 v84, 0x100000, v89
	;; [unrolled: 1-line block ×3, first 2 shown]
	v_or3_b32 v85, v85, v88, v87
	v_lshl_or_b32 v75, v76, 16, v75
	v_lshl_or_b32 v74, v74, 16, v77
	v_lshrrev_b32_e32 v76, 4, v78
	v_or3_b32 v77, v88, v84, v89
	v_lshlrev_b32_e32 v84, 2, v80
	v_lshlrev_b32_e32 v87, 9, v80
	v_lshrrev_b32_e32 v88, 12, v80
	v_lshrrev_b32_e32 v80, 5, v80
	v_and_b32_e32 v76, 0xf0f0f0f, v76
	v_and_b32_e32 v84, 0x100000, v84
	;; [unrolled: 1-line block ×3, first 2 shown]
	v_lshrrev_b32_e32 v77, 16, v77
	v_and_b32_e32 v88, 16, v88
	v_and_b32_e32 v80, 0x1000, v80
	v_and_b32_e32 v78, 0x1f00, v85
	v_or3_b32 v84, v76, v84, v87
	v_lshlrev_b16 v85, 8, v85
	v_and_b32_e32 v87, 0x1f00, v77
	v_or3_b32 v76, v88, v76, v80
	v_add_nc_u16 v78, 0xf000, v78
	v_lshlrev_b16 v77, 8, v77
	v_lshrrev_b32_e32 v80, 16, v84
	v_add_nc_u16 v84, 0xf000, v85
	v_add_nc_u16 v85, 0xf000, v87
	v_lshlrev_b16 v87, 8, v76
	v_add_nc_u16 v77, 0xf000, v77
	v_and_b32_e32 v88, 0x1f00, v80
	v_perm_b32 v78, v84, v78, 0xc0c0105
	v_ashrrev_i32_e32 v79, v16, v79
	v_add_nc_u16 v84, 0xf000, v87
	v_perm_b32 v77, v77, v85, 0xc0c0105
	v_add_nc_u16 v85, 0xf000, v88
	v_lshlrev_b16 v80, 8, v80
	v_lshlrev_b32_e32 v87, 4, v79
	v_and_b32_e32 v76, 0x1f00, v76
	v_lshrrev_b16 v84, 8, v84
	v_lshlrev_b32_e32 v88, 11, v79
	v_lshlrev_b32_e32 v90, 18, v79
	;; [unrolled: 1-line block ×3, first 2 shown]
	v_and_b32_e32 v89, 0xf0f0f0f, v81
	v_and_b32_e32 v87, 16, v87
	;; [unrolled: 1-line block ×3, first 2 shown]
	v_add_nc_u16 v80, 0xf000, v80
	v_or_b32_e32 v76, v76, v84
	v_and_b32_e32 v84, 0x100000, v90
	v_and_b32_e32 v90, 0x10000000, v91
	v_or3_b32 v87, v87, v89, v88
	v_lshl_or_b32 v77, v77, 16, v78
	v_perm_b32 v78, v80, v85, 0xc0c0105
	v_lshrrev_b32_e32 v81, 4, v81
	v_or3_b32 v80, v89, v84, v90
	v_lshrrev_b32_e32 v85, 12, v79
	v_lshrrev_b32_e32 v88, 5, v79
	v_lshlrev_b32_e32 v89, 2, v79
	v_lshlrev_b32_e32 v79, 9, v79
	v_and_b32_e32 v81, 0xf0f0f0f, v81
	v_and_b32_e32 v85, 16, v85
	;; [unrolled: 1-line block ×6, first 2 shown]
	v_lshlrev_b16 v87, 8, v87
	v_lshrrev_b32_e32 v80, 16, v80
	v_or3_b32 v85, v85, v81, v88
	v_or3_b32 v79, v81, v89, v79
	v_add_nc_u16 v84, 0xf000, v84
	v_add_nc_u16 v81, 0xf000, v87
	v_and_b32_e32 v87, 0x1f00, v80
	v_lshlrev_b16 v88, 8, v85
	v_lshrrev_b32_e32 v79, 16, v79
	v_lshlrev_b16 v80, 8, v80
	v_perm_b32 v81, v81, v84, 0xc0c0105
	v_add_nc_u16 v84, 0xf000, v87
	v_add_nc_u16 v87, 0xf000, v88
	v_and_b32_e32 v88, 0x1f00, v79
	v_lshlrev_b16 v79, 8, v79
	v_ashrrev_i32_e32 v83, v16, v83
	v_and_b32_e32 v85, 0x1f00, v85
	v_lshrrev_b16 v87, 8, v87
	v_add_nc_u16 v88, 0xf000, v88
	v_add_nc_u16 v79, 0xf000, v79
	;; [unrolled: 1-line block ×3, first 2 shown]
	v_lshrrev_b32_e32 v89, 12, v83
	v_lshrrev_b32_e32 v90, 5, v83
	v_or_b32_e32 v85, v85, v87
	v_perm_b32 v79, v79, v88, 0xc0c0105
	v_and_b32_e32 v88, 0xf0f0f0f, v82
	v_lshrrev_b32_e32 v82, 4, v82
	v_perm_b32 v80, v80, v84, 0xc0c0105
	v_lshlrev_b32_e32 v84, 4, v83
	v_lshlrev_b32_e32 v87, 11, v83
	v_and_b32_e32 v89, 16, v89
	v_and_b32_e32 v82, 0xf0f0f0f, v82
	;; [unrolled: 1-line block ×5, first 2 shown]
	v_lshlrev_b32_e32 v91, 18, v83
	v_lshlrev_b32_e32 v92, 25, v83
	;; [unrolled: 1-line block ×4, first 2 shown]
	v_or3_b32 v89, v89, v82, v90
	v_and_b32_e32 v91, 0x100000, v91
	v_and_b32_e32 v92, 0x10000000, v92
	v_or3_b32 v84, v84, v88, v87
	v_and_b32_e32 v87, 0x100000, v93
	v_and_b32_e32 v83, 0x10000000, v83
	v_lshlrev_b16 v90, 8, v89
	v_or3_b32 v88, v88, v91, v92
	v_and_b32_e32 v91, 0x1f00, v84
	v_and_b32_e32 v89, 0x1f00, v89
	v_or3_b32 v82, v82, v87, v83
	v_add_nc_u16 v87, 0xf000, v90
	v_lshrrev_b32_e32 v83, 16, v88
	v_lshlrev_b16 v84, 8, v84
	v_add_nc_u16 v88, 0xf000, v91
	v_lshrrev_b32_e32 v82, 16, v82
	v_lshrrev_b16 v87, 8, v87
	v_and_b32_e32 v90, 0x1f00, v83
	v_lshlrev_b16 v83, 8, v83
	v_add_nc_u16 v76, 0xf000, v76
	v_and_b32_e32 v91, 0x1f00, v82
	v_lshlrev_b16 v82, 8, v82
	v_or_b32_e32 v87, v89, v87
	v_add_nc_u16 v85, 0xf000, v85
	v_add_nc_u16 v84, 0xf000, v84
	v_add_nc_u16 v89, 0xf000, v90
	v_add_nc_u16 v83, 0xf000, v83
	v_add_nc_u16 v90, 0xf000, v91
	v_add_nc_u16 v82, 0xf000, v82
	v_add_nc_u16 v87, 0xf000, v87
	v_and_b32_e32 v76, 0xffff, v76
	v_and_b32_e32 v85, 0xffff, v85
	v_perm_b32 v84, v84, v88, 0xc0c0105
	v_perm_b32 v83, v83, v89, 0xc0c0105
	;; [unrolled: 1-line block ×3, first 2 shown]
	v_and_b32_e32 v87, 0xffff, v87
	v_lshl_or_b32 v76, v78, 16, v76
	v_lshl_or_b32 v78, v80, 16, v81
	;; [unrolled: 1-line block ×5, first 2 shown]
	v_cvt_f32_f16_e32 v86, v86
	ds_store_2addr_b32 v33, v4, v6 offset1:1
	ds_store_2addr_b32 v35, v75, v74 offset1:1
	;; [unrolled: 1-line block ×5, first 2 shown]
	s_wait_loadcnt 0x2
	v_cvt_f32_f16_e32 v3, v3
	s_wait_loadcnt 0x1
	v_cvt_f32_f16_e32 v4, v73
	;; [unrolled: 2-line block ×3, first 2 shown]
	ds_store_b32 v69, v86
	ds_store_b32 v70, v3
	;; [unrolled: 1-line block ×4, first 2 shown]
	s_cbranch_scc0 .LBB201_4
; %bb.6:                                ;   in Loop: Header=BB201_5 Depth=1
	v_add_nc_u32_e32 v3, s14, v13
	s_delay_alu instid0(VALU_DEP_1)
	v_cmp_gt_i32_e64 s1, s5, v3
	s_and_b32 s17, s0, s1
	s_wait_alu 0xfffe
	s_and_saveexec_b32 s1, s17
	s_cbranch_execz .LBB201_8
; %bb.7:                                ;   in Loop: Header=BB201_5 Depth=1
	v_add_nc_u32_e32 v3, v58, v3
	s_delay_alu instid0(VALU_DEP_1)
	v_mad_co_i64_i32 v[3:4], null, v3, 36, v[0:1]
	global_load_b32 v3, v[3:4], off offset:4
	s_wait_loadcnt 0x0
	ds_store_b32 v54, v3
.LBB201_8:                              ;   in Loop: Header=BB201_5 Depth=1
	s_wait_alu 0xfffe
	s_or_b32 exec_lo, exec_lo, s1
	v_add_nc_u32_e32 v3, s14, v8
	s_delay_alu instid0(VALU_DEP_1)
	v_cmp_gt_i32_e64 s1, s5, v3
	s_and_b32 s17, s19, s1
	s_wait_alu 0xfffe
	s_and_saveexec_b32 s1, s17
	s_cbranch_execz .LBB201_10
; %bb.9:                                ;   in Loop: Header=BB201_5 Depth=1
	v_add_nc_u32_e32 v4, v58, v3
	s_delay_alu instid0(VALU_DEP_1)
	v_mad_co_i64_i32 v[4:5], null, v4, 36, s[2:3]
	global_load_b32 v4, v[4:5], off
	s_wait_loadcnt 0x0
	v_cvt_f32_f16_e32 v4, v4
	ds_store_b32 v55, v4
.LBB201_10:                             ;   in Loop: Header=BB201_5 Depth=1
	s_wait_alu 0xfffe
	s_or_b32 exec_lo, exec_lo, s1
	v_dual_mov_b32 v4, v52 :: v_dual_mov_b32 v5, v56
	v_dual_mov_b32 v6, v53 :: v_dual_mov_b32 v73, v63
	v_dual_mov_b32 v74, v62 :: v_dual_mov_b32 v75, v61
	v_mov_b32_e32 v76, v60
	s_mov_b32 s1, -4
	s_wait_dscnt 0x0
	s_barrier_signal -1
	s_barrier_wait -1
	global_inv scope:SCOPE_SE
.LBB201_11:                             ;   Parent Loop BB201_5 Depth=1
                                        ; =>  This Inner Loop Header: Depth=2
	ds_load_2addr_b32 v[77:78], v4 offset0:3 offset1:4
	ds_load_2addr_b32 v[79:80], v4 offset0:5 offset1:6
	ds_load_2addr_b32 v[81:82], v5 offset1:1
	ds_load_2addr_b32 v[83:84], v4 offset0:1 offset1:2
	ds_load_2addr_b32 v[85:86], v4 offset1:7
	ds_load_b32 v117, v6
	ds_load_2addr_b32 v[87:88], v5 offset0:2 offset1:3
	ds_load_2addr_b32 v[89:90], v5 offset0:4 offset1:5
	;; [unrolled: 1-line block ×3, first 2 shown]
	ds_load_b32 v118, v73
	ds_load_b32 v119, v74
	;; [unrolled: 1-line block ×4, first 2 shown]
	v_add_nc_u32_e32 v93, 0x2080, v5
	v_add_nc_u32_e32 v95, 0x2088, v5
	;; [unrolled: 1-line block ×13, first 2 shown]
	s_wait_dscnt 0xc
	v_lshlrev_b32_e32 v129, 24, v78
	v_lshlrev_b32_e32 v130, 16, v78
	s_wait_dscnt 0x3
	v_dual_mul_f32 v118, v117, v118 :: v_dual_lshlrev_b32 v123, 8, v83
	ds_load_2addr_b32 v[93:94], v93 offset1:1
	ds_load_2addr_b32 v[95:96], v95 offset1:1
	;; [unrolled: 1-line block ×12, first 2 shown]
	s_wait_dscnt 0xe
	v_dual_mul_f32 v119, v117, v119 :: v_dual_lshlrev_b32 v122, 8, v78
	v_lshlrev_b32_e32 v124, 8, v79
	v_lshlrev_b32_e32 v125, 8, v84
	;; [unrolled: 1-line block ×16, first 2 shown]
	v_perm_b32 v146, v130, v129, 0xc0c0703
	v_perm_b32 v147, v78, v122, 0x7030c0c
	v_dot4_i32_iu8 v81, v85, v81, 0 neg_lo:[1,1,0]
	v_lshlrev_b32_e32 v142, 16, v86
	v_perm_b32 v143, v79, v83, 0x7030c0c
	v_perm_b32 v144, v80, v84, 0xc0c0703
	;; [unrolled: 1-line block ×3, first 2 shown]
	s_wait_dscnt 0xb
	v_dot4_i32_iu8 v93, v85, v93, 0 neg_lo:[1,1,0]
	s_wait_dscnt 0x7
	v_dot4_i32_iu8 v101, v85, v101, 0 neg_lo:[1,1,0]
	v_perm_b32 v148, v132, v131, 0xc0c0703
	v_perm_b32 v83, v83, v123, 0x7030c0c
	;; [unrolled: 1-line block ×11, first 2 shown]
	s_wait_dscnt 0x3
	v_perm_b32 v130, v109, v130, 0xc0c0503
	v_perm_b32 v132, v134, v132, 0x7030c0c
	s_wait_dscnt 0x2
	v_perm_b32 v134, v112, v111, 0x5010c0c
	v_perm_b32 v154, v85, v110, 0xc0c0501
	;; [unrolled: 1-line block ×13, first 2 shown]
	s_wait_dscnt 0x1
	v_perm_b32 v110, v114, v113, 0xc0c0602
	s_wait_dscnt 0x0
	v_perm_b32 v112, v116, v115, 0x6020c0c
	v_perm_b32 v123, v126, v125, 0xc0c0703
	v_perm_b32 v124, v128, v127, 0x7030c0c
	v_perm_b32 v125, v114, v113, 0xc0c0400
	v_perm_b32 v126, v116, v115, 0x4000c0c
	v_perm_b32 v127, v137, v135, 0xc0c0703
	v_perm_b32 v128, v141, v139, 0x7030c0c
	v_perm_b32 v137, v114, v113, 0xc0c0703
	v_perm_b32 v139, v116, v115, 0x7030c0c
	v_perm_b32 v113, v114, v113, 0xc0c0501
	v_perm_b32 v114, v116, v115, 0x5010c0c
	v_perm_b32 v115, v138, v136, 0xc0c0703
	v_or_b32_e32 v136, v147, v146
	v_or_b32_e32 v83, v83, v148
	;; [unrolled: 1-line block ×3, first 2 shown]
	v_perm_b32 v116, v142, v140, 0x7030c0c
	v_or_b32_e32 v84, v84, v150
	v_dot4_i32_iu8 v81, v136, v82, v81 neg_lo:[1,1,0]
	v_dot4_i32_iu8 v82, v136, v94, v93 neg_lo:[1,1,0]
	v_dot4_i32_iu8 v93, v136, v102, v101 neg_lo:[1,1,0]
	v_or_b32_e32 v130, v132, v130
	v_or_b32_e32 v132, v134, v154
	v_dot4_i32_iu8 v81, v83, v87, v81 neg_lo:[1,1,0]
	v_dot4_i32_iu8 v82, v83, v95, v82 neg_lo:[1,1,0]
	v_dot4_i32_iu8 v83, v83, v103, v93 neg_lo:[1,1,0]
	v_or_b32_e32 v134, v155, v156
	;; [unrolled: 5-line block ×3, first 2 shown]
	v_or_b32_e32 v80, v80, v151
	v_or_b32_e32 v129, v131, v129
	;; [unrolled: 1-line block ×9, first 2 shown]
	v_dot4_i32_iu8 v101, v130, v132, 0 neg_lo:[1,1,0]
	v_dot4_i32_iu8 v78, v78, v134, 0 neg_lo:[1,1,0]
	;; [unrolled: 1-line block ×5, first 2 shown]
	v_perm_b32 v153, v142, v141, 0xc0c0703
	v_or_b32_e32 v77, v77, v152
	v_or_b32_e32 v110, v112, v110
	;; [unrolled: 1-line block ×4, first 2 shown]
	v_dot4_i32_iu8 v85, v109, v85, 0 neg_lo:[1,1,0]
	v_dot4_i32_iu8 v83, v129, v131, 0 neg_lo:[1,1,0]
	;; [unrolled: 1-line block ×7, first 2 shown]
	v_or_b32_e32 v86, v86, v153
	v_dot4_i32_iu8 v85, v111, v110, v85 neg_lo:[1,1,0]
	v_dot4_i32_iu8 v80, v122, v112, v83 neg_lo:[1,1,0]
	v_add_nc_u32_e32 v78, v84, v78
	v_dot4_i32_iu8 v81, v77, v91, v81 neg_lo:[1,1,0]
	v_dot4_i32_iu8 v82, v77, v99, v82 neg_lo:[1,1,0]
	;; [unrolled: 1-line block ×3, first 2 shown]
	v_add_nc_u32_e32 v75, 4, v75
	v_add3_u32 v78, v80, v85, v78
	v_dot4_i32_iu8 v80, v86, v92, v81 neg_lo:[1,1,0]
	v_dot4_i32_iu8 v81, v86, v100, v82 neg_lo:[1,1,0]
	;; [unrolled: 1-line block ×3, first 2 shown]
	v_dual_mul_f32 v79, v117, v120 :: v_dual_add_nc_u32 v74, 4, v74
	v_mul_f32_e32 v82, v117, v121
	v_cvt_f32_i32_e32 v78, v78
	v_cvt_f32_i32_e32 v80, v80
	;; [unrolled: 1-line block ×4, first 2 shown]
	v_add_nc_u32_e32 v73, 4, v73
	s_delay_alu instid0(VALU_DEP_4)
	v_dual_fmac_f32 v9, v118, v80 :: v_dual_add_nc_u32 v6, 4, v6
	v_add_nc_u32_e32 v5, 32, v5
	v_add_nc_u32_e32 v4, 32, v4
	v_dual_fmac_f32 v2, v82, v78 :: v_dual_fmac_f32 v51, v119, v81
	v_fmac_f32_e32 v45, v79, v77
	s_wait_alu 0xfffe
	s_add_co_i32 s1, s1, 4
	s_wait_alu 0xfffe
	s_cmp_lt_u32 s1, 12
	s_cbranch_scc1 .LBB201_11
; %bb.12:                               ;   in Loop: Header=BB201_5 Depth=1
	s_bitset1_b32 s16, 7
	s_wait_loadcnt 0x0
	s_wait_alu 0xfffe
	s_cmp_ge_i32 s16, s11
	s_barrier_signal -1
	s_barrier_wait -1
	global_inv scope:SCOPE_SE
	s_cbranch_scc1 .LBB201_4
; %bb.13:                               ;   in Loop: Header=BB201_5 Depth=1
	v_add_nc_u32_e32 v4, s14, v57
	s_delay_alu instid0(VALU_DEP_1)
	v_cmp_gt_i32_e64 s1, s5, v4
	s_and_b32 s16, s0, s1
	s_wait_alu 0xfffe
	s_and_saveexec_b32 s1, s16
	s_cbranch_execz .LBB201_15
; %bb.14:                               ;   in Loop: Header=BB201_5 Depth=1
	v_add_nc_u32_e32 v4, v58, v4
	s_delay_alu instid0(VALU_DEP_1)
	v_mad_co_i64_i32 v[4:5], null, v4, 36, v[0:1]
	global_load_b32 v4, v[4:5], off offset:4
	s_wait_loadcnt 0x0
	ds_store_b32 v54, v4
.LBB201_15:                             ;   in Loop: Header=BB201_5 Depth=1
	s_wait_alu 0xfffe
	s_or_b32 exec_lo, exec_lo, s1
	s_and_saveexec_b32 s16, vcc_lo
	s_cbranch_execz .LBB201_18
; %bb.16:                               ;   in Loop: Header=BB201_5 Depth=1
	v_or_b32_e32 v4, 4, v3
	s_delay_alu instid0(VALU_DEP_1)
	v_cmp_gt_i32_e64 s1, s5, v4
	s_and_b32 s1, s0, s1
	s_wait_alu 0xfffe
	s_and_b32 exec_lo, exec_lo, s1
	s_cbranch_execz .LBB201_18
; %bb.17:                               ;   in Loop: Header=BB201_5 Depth=1
	v_ashrrev_i32_e32 v4, 31, v3
	v_add_co_u32 v3, s1, v58, v3
	s_wait_alu 0xf1ff
	s_delay_alu instid0(VALU_DEP_2) | instskip(NEXT) | instid1(VALU_DEP_2)
	v_add_co_ci_u32_e64 v5, null, v59, v4, s1
	v_mad_co_u64_u32 v[3:4], null, v3, 36, s[2:3]
	s_delay_alu instid0(VALU_DEP_1)
	v_mad_i32_i24 v4, v5, 36, v4
	global_load_b32 v3, v[3:4], off offset:144
	s_wait_loadcnt 0x0
	v_cvt_f32_f16_e32 v3, v3
	ds_store_b32 v55, v3
.LBB201_18:                             ;   in Loop: Header=BB201_5 Depth=1
	s_wait_alu 0xfffe
	s_or_b32 exec_lo, exec_lo, s16
	v_dual_mov_b32 v3, v53 :: v_dual_mov_b32 v4, v52
	v_dual_mov_b32 v5, v68 :: v_dual_mov_b32 v6, v67
	;; [unrolled: 1-line block ×3, first 2 shown]
	v_mov_b32_e32 v75, v64
	s_mov_b32 s1, 12
	s_wait_loadcnt_dscnt 0x0
	s_barrier_signal -1
	s_barrier_wait -1
	global_inv scope:SCOPE_SE
.LBB201_19:                             ;   Parent Loop BB201_5 Depth=1
                                        ; =>  This Inner Loop Header: Depth=2
	ds_load_2addr_b32 v[76:77], v4 offset1:7
	ds_load_2addr_b32 v[78:79], v4 offset0:3 offset1:4
	ds_load_2addr_b32 v[80:81], v4 offset0:5 offset1:6
	;; [unrolled: 1-line block ×3, first 2 shown]
	ds_load_b32 v116, v3
	ds_load_2addr_b32 v[84:85], v5 offset1:1
	ds_load_2addr_b32 v[86:87], v5 offset0:2 offset1:3
	ds_load_2addr_b32 v[88:89], v5 offset0:4 offset1:5
	;; [unrolled: 1-line block ×3, first 2 shown]
	ds_load_b32 v117, v6
	ds_load_b32 v118, v73
	;; [unrolled: 1-line block ×4, first 2 shown]
	v_add_nc_u32_e32 v74, 4, v74
	v_add_nc_u32_e32 v94, 0x2088, v5
	;; [unrolled: 1-line block ×12, first 2 shown]
	s_wait_dscnt 0xb
	v_lshlrev_b32_e32 v121, 8, v79
	v_lshlrev_b32_e32 v128, 24, v79
	;; [unrolled: 1-line block ×3, first 2 shown]
	s_wait_dscnt 0x3
	v_dual_mul_f32 v117, v116, v117 :: v_dual_lshlrev_b32 v122, 8, v82
	v_add_nc_u32_e32 v92, 0x2080, v5
	v_lshlrev_b32_e32 v123, 8, v80
	v_lshlrev_b32_e32 v124, 8, v83
	ds_load_2addr_b32 v[92:93], v92 offset1:1
	ds_load_2addr_b32 v[94:95], v94 offset1:1
	;; [unrolled: 1-line block ×12, first 2 shown]
	v_lshlrev_b32_e32 v125, 8, v81
	v_lshlrev_b32_e32 v126, 8, v78
	;; [unrolled: 1-line block ×14, first 2 shown]
	v_perm_b32 v145, v129, v128, 0xc0c0703
	v_perm_b32 v146, v79, v121, 0x7030c0c
	v_dot4_i32_iu8 v84, v76, v84, 0 neg_lo:[1,1,0]
	v_lshlrev_b32_e32 v141, 16, v77
	v_perm_b32 v142, v80, v82, 0x7030c0c
	v_perm_b32 v143, v81, v83, 0xc0c0703
	;; [unrolled: 1-line block ×3, first 2 shown]
	s_wait_dscnt 0xb
	v_dot4_i32_iu8 v92, v76, v92, 0 neg_lo:[1,1,0]
	s_wait_dscnt 0x7
	v_dot4_i32_iu8 v100, v76, v100, 0 neg_lo:[1,1,0]
	v_perm_b32 v147, v131, v130, 0xc0c0703
	v_perm_b32 v82, v82, v122, 0x7030c0c
	;; [unrolled: 1-line block ×11, first 2 shown]
	s_wait_dscnt 0x3
	v_perm_b32 v129, v108, v129, 0xc0c0503
	v_perm_b32 v131, v133, v131, 0x7030c0c
	s_wait_dscnt 0x2
	v_perm_b32 v133, v111, v110, 0x5010c0c
	v_perm_b32 v153, v76, v109, 0xc0c0501
	;; [unrolled: 1-line block ×13, first 2 shown]
	s_wait_dscnt 0x1
	v_perm_b32 v109, v113, v112, 0xc0c0602
	s_wait_dscnt 0x0
	v_perm_b32 v111, v115, v114, 0x6020c0c
	v_perm_b32 v122, v125, v124, 0xc0c0703
	;; [unrolled: 1-line block ×12, first 2 shown]
	v_or_b32_e32 v135, v146, v145
	v_or_b32_e32 v82, v82, v147
	;; [unrolled: 1-line block ×3, first 2 shown]
	v_perm_b32 v115, v141, v139, 0x7030c0c
	v_or_b32_e32 v83, v83, v149
	v_dot4_i32_iu8 v84, v135, v85, v84 neg_lo:[1,1,0]
	v_dot4_i32_iu8 v85, v135, v93, v92 neg_lo:[1,1,0]
	v_dot4_i32_iu8 v92, v135, v101, v100 neg_lo:[1,1,0]
	v_or_b32_e32 v129, v131, v129
	v_or_b32_e32 v131, v133, v153
	v_dot4_i32_iu8 v84, v82, v86, v84 neg_lo:[1,1,0]
	v_dot4_i32_iu8 v85, v82, v94, v85 neg_lo:[1,1,0]
	v_dot4_i32_iu8 v82, v82, v102, v92 neg_lo:[1,1,0]
	v_or_b32_e32 v133, v154, v155
	;; [unrolled: 5-line block ×3, first 2 shown]
	v_or_b32_e32 v81, v81, v150
	v_or_b32_e32 v128, v130, v128
	;; [unrolled: 1-line block ×9, first 2 shown]
	v_dot4_i32_iu8 v100, v129, v131, 0 neg_lo:[1,1,0]
	v_dot4_i32_iu8 v79, v79, v133, 0 neg_lo:[1,1,0]
	;; [unrolled: 1-line block ×5, first 2 shown]
	v_perm_b32 v152, v141, v140, 0xc0c0703
	v_or_b32_e32 v78, v78, v151
	v_or_b32_e32 v109, v111, v109
	;; [unrolled: 1-line block ×4, first 2 shown]
	v_dot4_i32_iu8 v76, v108, v76, 0 neg_lo:[1,1,0]
	v_dot4_i32_iu8 v82, v128, v130, 0 neg_lo:[1,1,0]
	;; [unrolled: 1-line block ×7, first 2 shown]
	v_or_b32_e32 v77, v77, v152
	v_dot4_i32_iu8 v76, v110, v109, v76 neg_lo:[1,1,0]
	v_dot4_i32_iu8 v81, v121, v111, v82 neg_lo:[1,1,0]
	v_add_nc_u32_e32 v79, v83, v79
	v_dot4_i32_iu8 v82, v78, v90, v84 neg_lo:[1,1,0]
	v_dot4_i32_iu8 v83, v78, v98, v85 neg_lo:[1,1,0]
	;; [unrolled: 1-line block ×3, first 2 shown]
	v_dual_mul_f32 v118, v116, v118 :: v_dual_add_nc_u32 v75, 4, v75
	v_add3_u32 v76, v81, v76, v79
	v_dot4_i32_iu8 v79, v77, v91, v82 neg_lo:[1,1,0]
	v_dot4_i32_iu8 v81, v77, v99, v83 neg_lo:[1,1,0]
	;; [unrolled: 1-line block ×3, first 2 shown]
	v_dual_mul_f32 v80, v116, v119 :: v_dual_add_nc_u32 v73, 4, v73
	v_dual_mul_f32 v78, v116, v120 :: v_dual_add_nc_u32 v5, 32, v5
	v_cvt_f32_i32_e32 v76, v76
	v_cvt_f32_i32_e32 v79, v79
	;; [unrolled: 1-line block ×4, first 2 shown]
	v_add_nc_u32_e32 v6, 4, v6
	v_add_nc_u32_e32 v4, 32, v4
	v_dual_fmac_f32 v2, v78, v76 :: v_dual_add_nc_u32 v3, 4, v3
	v_fmac_f32_e32 v9, v117, v79
	v_fmac_f32_e32 v51, v118, v81
	;; [unrolled: 1-line block ×3, first 2 shown]
	s_wait_alu 0xfffe
	s_add_co_i32 s1, s1, 4
	s_wait_alu 0xfffe
	s_cmp_lt_u32 s1, 28
	s_cbranch_scc1 .LBB201_19
; %bb.20:                               ;   in Loop: Header=BB201_5 Depth=1
	s_wait_loadcnt 0x0
	s_barrier_signal -1
	s_barrier_wait -1
	global_inv scope:SCOPE_SE
	s_branch .LBB201_4
.LBB201_21:
	s_mul_i32 s0, s7, s4
	s_wait_loadcnt 0x0
	s_wait_alu 0xfffe
	v_cmp_gt_i32_e32 vcc_lo, s0, v7
	s_and_saveexec_b32 s0, vcc_lo
	s_cbranch_execz .LBB201_30
; %bb.22:
	v_mul_lo_u32 v0, v7, s6
	v_add_nc_u32_e32 v1, s18, v8
	s_mov_b32 s0, exec_lo
	s_delay_alu instid0(VALU_DEP_1)
	v_cmpx_gt_u32_e64 s6, v1
	s_cbranch_execz .LBB201_24
; %bb.23:
	s_delay_alu instid0(VALU_DEP_3) | instskip(SKIP_1) | instid1(VALU_DEP_2)
	v_dual_mov_b32 v4, 0 :: v_dual_add_nc_u32 v3, v0, v1
	v_cvt_f16_f32_e32 v5, v9
	v_lshlrev_b64_e32 v[3:4], 1, v[3:4]
	s_delay_alu instid0(VALU_DEP_1) | instskip(SKIP_1) | instid1(VALU_DEP_2)
	v_add_co_u32 v3, vcc_lo, s8, v3
	s_wait_alu 0xfffd
	v_add_co_ci_u32_e64 v4, null, s9, v4, vcc_lo
	global_store_b16 v[3:4], v5, off
.LBB201_24:
	s_wait_alu 0xfffe
	s_or_b32 exec_lo, exec_lo, s0
	v_add_nc_u32_e32 v3, 32, v1
	s_mov_b32 s0, exec_lo
	s_delay_alu instid0(VALU_DEP_1)
	v_cmpx_gt_u32_e64 s6, v3
	s_cbranch_execz .LBB201_26
; %bb.25:
	v_dual_mov_b32 v4, 0 :: v_dual_add_nc_u32 v3, v0, v3
	v_cvt_f16_f32_e32 v5, v51
	s_delay_alu instid0(VALU_DEP_2) | instskip(NEXT) | instid1(VALU_DEP_1)
	v_lshlrev_b64_e32 v[3:4], 1, v[3:4]
	v_add_co_u32 v3, vcc_lo, s8, v3
	s_wait_alu 0xfffd
	s_delay_alu instid0(VALU_DEP_2)
	v_add_co_ci_u32_e64 v4, null, s9, v4, vcc_lo
	global_store_b16 v[3:4], v5, off
.LBB201_26:
	s_wait_alu 0xfffe
	s_or_b32 exec_lo, exec_lo, s0
	v_add_nc_u32_e32 v3, 64, v1
	s_mov_b32 s0, exec_lo
	s_delay_alu instid0(VALU_DEP_1)
	v_cmpx_gt_u32_e64 s6, v3
	s_cbranch_execz .LBB201_28
; %bb.27:
	v_dual_mov_b32 v4, 0 :: v_dual_add_nc_u32 v3, v0, v3
	v_cvt_f16_f32_e32 v5, v45
	s_delay_alu instid0(VALU_DEP_2) | instskip(NEXT) | instid1(VALU_DEP_1)
	v_lshlrev_b64_e32 v[3:4], 1, v[3:4]
	v_add_co_u32 v3, vcc_lo, s8, v3
	s_wait_alu 0xfffd
	s_delay_alu instid0(VALU_DEP_2)
	v_add_co_ci_u32_e64 v4, null, s9, v4, vcc_lo
	global_store_b16 v[3:4], v5, off
.LBB201_28:
	s_wait_alu 0xfffe
	s_or_b32 exec_lo, exec_lo, s0
	v_add_nc_u32_e32 v1, 0x60, v1
	s_delay_alu instid0(VALU_DEP_1)
	v_cmp_gt_u32_e32 vcc_lo, s6, v1
	s_and_b32 exec_lo, exec_lo, vcc_lo
	s_cbranch_execz .LBB201_30
; %bb.29:
	v_dual_mov_b32 v1, 0 :: v_dual_add_nc_u32 v0, v0, v1
	v_cvt_f16_f32_e32 v2, v2
	s_delay_alu instid0(VALU_DEP_2) | instskip(NEXT) | instid1(VALU_DEP_1)
	v_lshlrev_b64_e32 v[0:1], 1, v[0:1]
	v_add_co_u32 v0, vcc_lo, s8, v0
	s_wait_alu 0xfffd
	s_delay_alu instid0(VALU_DEP_2)
	v_add_co_ci_u32_e64 v1, null, s9, v1, vcc_lo
	global_store_b16 v[0:1], v2, off
.LBB201_30:
	s_nop 0
	s_sendmsg sendmsg(MSG_DEALLOC_VGPRS)
	s_endpgm
	.section	.rodata,"a",@progbits
	.p2align	6, 0x0
	.amdhsa_kernel _ZL8moe_q5_0IN3c104HalfELb0EEvPKvS3_PT_PKiS7_S7_iiiiiii
		.amdhsa_group_segment_fixed_size 38656
		.amdhsa_private_segment_fixed_size 0
		.amdhsa_kernarg_size 76
		.amdhsa_user_sgpr_count 2
		.amdhsa_user_sgpr_dispatch_ptr 0
		.amdhsa_user_sgpr_queue_ptr 0
		.amdhsa_user_sgpr_kernarg_segment_ptr 1
		.amdhsa_user_sgpr_dispatch_id 0
		.amdhsa_user_sgpr_private_segment_size 0
		.amdhsa_wavefront_size32 1
		.amdhsa_uses_dynamic_stack 0
		.amdhsa_enable_private_segment 0
		.amdhsa_system_sgpr_workgroup_id_x 1
		.amdhsa_system_sgpr_workgroup_id_y 1
		.amdhsa_system_sgpr_workgroup_id_z 0
		.amdhsa_system_sgpr_workgroup_info 0
		.amdhsa_system_vgpr_workitem_id 1
		.amdhsa_next_free_vgpr 217
		.amdhsa_next_free_sgpr 22
		.amdhsa_reserve_vcc 1
		.amdhsa_float_round_mode_32 0
		.amdhsa_float_round_mode_16_64 0
		.amdhsa_float_denorm_mode_32 3
		.amdhsa_float_denorm_mode_16_64 3
		.amdhsa_fp16_overflow 0
		.amdhsa_workgroup_processor_mode 1
		.amdhsa_memory_ordered 1
		.amdhsa_forward_progress 1
		.amdhsa_inst_pref_size 97
		.amdhsa_round_robin_scheduling 0
		.amdhsa_exception_fp_ieee_invalid_op 0
		.amdhsa_exception_fp_denorm_src 0
		.amdhsa_exception_fp_ieee_div_zero 0
		.amdhsa_exception_fp_ieee_overflow 0
		.amdhsa_exception_fp_ieee_underflow 0
		.amdhsa_exception_fp_ieee_inexact 0
		.amdhsa_exception_int_div_zero 0
	.end_amdhsa_kernel
	.section	.text._ZL8moe_q5_0IN3c104HalfELb0EEvPKvS3_PT_PKiS7_S7_iiiiiii,"axG",@progbits,_ZL8moe_q5_0IN3c104HalfELb0EEvPKvS3_PT_PKiS7_S7_iiiiiii,comdat
.Lfunc_end201:
	.size	_ZL8moe_q5_0IN3c104HalfELb0EEvPKvS3_PT_PKiS7_S7_iiiiiii, .Lfunc_end201-_ZL8moe_q5_0IN3c104HalfELb0EEvPKvS3_PT_PKiS7_S7_iiiiiii
                                        ; -- End function
	.set _ZL8moe_q5_0IN3c104HalfELb0EEvPKvS3_PT_PKiS7_S7_iiiiiii.num_vgpr, 158
	.set _ZL8moe_q5_0IN3c104HalfELb0EEvPKvS3_PT_PKiS7_S7_iiiiiii.num_agpr, 0
	.set _ZL8moe_q5_0IN3c104HalfELb0EEvPKvS3_PT_PKiS7_S7_iiiiiii.numbered_sgpr, 22
	.set _ZL8moe_q5_0IN3c104HalfELb0EEvPKvS3_PT_PKiS7_S7_iiiiiii.num_named_barrier, 0
	.set _ZL8moe_q5_0IN3c104HalfELb0EEvPKvS3_PT_PKiS7_S7_iiiiiii.private_seg_size, 0
	.set _ZL8moe_q5_0IN3c104HalfELb0EEvPKvS3_PT_PKiS7_S7_iiiiiii.uses_vcc, 1
	.set _ZL8moe_q5_0IN3c104HalfELb0EEvPKvS3_PT_PKiS7_S7_iiiiiii.uses_flat_scratch, 0
	.set _ZL8moe_q5_0IN3c104HalfELb0EEvPKvS3_PT_PKiS7_S7_iiiiiii.has_dyn_sized_stack, 0
	.set _ZL8moe_q5_0IN3c104HalfELb0EEvPKvS3_PT_PKiS7_S7_iiiiiii.has_recursion, 0
	.set _ZL8moe_q5_0IN3c104HalfELb0EEvPKvS3_PT_PKiS7_S7_iiiiiii.has_indirect_call, 0
	.section	.AMDGPU.csdata,"",@progbits
; Kernel info:
; codeLenInByte = 12320
; TotalNumSgprs: 24
; NumVgprs: 158
; ScratchSize: 0
; MemoryBound: 0
; FloatMode: 240
; IeeeMode: 1
; LDSByteSize: 38656 bytes/workgroup (compile time only)
; SGPRBlocks: 0
; VGPRBlocks: 27
; NumSGPRsForWavesPerEU: 24
; NumVGPRsForWavesPerEU: 217
; Occupancy: 6
; WaveLimiterHint : 1
; COMPUTE_PGM_RSRC2:SCRATCH_EN: 0
; COMPUTE_PGM_RSRC2:USER_SGPR: 2
; COMPUTE_PGM_RSRC2:TRAP_HANDLER: 0
; COMPUTE_PGM_RSRC2:TGID_X_EN: 1
; COMPUTE_PGM_RSRC2:TGID_Y_EN: 1
; COMPUTE_PGM_RSRC2:TGID_Z_EN: 0
; COMPUTE_PGM_RSRC2:TIDIG_COMP_CNT: 1
	.section	.text._ZL8moe_q5_0IN3c104HalfELb1EEvPKvS3_PT_PKiS7_S7_iiiiiii,"axG",@progbits,_ZL8moe_q5_0IN3c104HalfELb1EEvPKvS3_PT_PKiS7_S7_iiiiiii,comdat
	.globl	_ZL8moe_q5_0IN3c104HalfELb1EEvPKvS3_PT_PKiS7_S7_iiiiiii ; -- Begin function _ZL8moe_q5_0IN3c104HalfELb1EEvPKvS3_PT_PKiS7_S7_iiiiiii
	.p2align	8
	.type	_ZL8moe_q5_0IN3c104HalfELb1EEvPKvS3_PT_PKiS7_S7_iiiiiii,@function
_ZL8moe_q5_0IN3c104HalfELb1EEvPKvS3_PT_PKiS7_S7_iiiiiii: ; @_ZL8moe_q5_0IN3c104HalfELb1EEvPKvS3_PT_PKiS7_S7_iiiiiii
; %bb.0:
	s_load_b128 s[4:7], s[0:1], 0x18
	s_mov_b32 s2, ttmp7
	s_mov_b32 s3, 0
	s_delay_alu instid0(SALU_CYCLE_1)
	s_lshl_b64 s[2:3], s[2:3], 2
	s_wait_kmcnt 0x0
	s_add_nc_u64 s[2:3], s[6:7], s[2:3]
	s_load_b32 s14, s[2:3], 0x0
	s_wait_kmcnt 0x0
	s_cmp_gt_u32 s14, 0xff
	s_cbranch_scc1 .LBB202_30
; %bb.1:
	s_load_b64 s[2:3], s[0:1], 0x28
	s_wait_kmcnt 0x0
	s_load_b32 s3, s[2:3], 0x0
	s_lshl_b32 s2, ttmp7, 3
	s_wait_kmcnt 0x0
	s_cmp_gt_u32 s2, s3
	s_cbranch_scc1 .LBB202_30
; %bb.2:
	v_bfe_u32 v19, v0, 10, 10
	v_mov_b32_e32 v15, 0
	s_lshl_b32 s11, ttmp9, 7
	s_delay_alu instid0(VALU_DEP_2) | instskip(NEXT) | instid1(VALU_DEP_2)
	v_add_nc_u32_e32 v14, s2, v19
	v_dual_mov_b32 v62, v15 :: v_dual_and_b32 v39, 0x3ff, v0
	v_mov_b32_e32 v66, v15
	v_mov_b32_e32 v40, v15
	s_delay_alu instid0(VALU_DEP_4) | instskip(NEXT) | instid1(VALU_DEP_1)
	v_lshlrev_b64_e32 v[1:2], 2, v[14:15]
	v_add_co_u32 v1, vcc_lo, s4, v1
	s_delay_alu instid0(VALU_DEP_1)
	v_add_co_ci_u32_e64 v2, null, s5, v2, vcc_lo
	global_load_b32 v38, v[1:2], off
	s_clause 0x2
	s_load_b128 s[4:7], s[0:1], 0x30
	s_load_b64 s[12:13], s[0:1], 0x10
	s_load_b96 s[8:10], s[0:1], 0x40
	s_wait_kmcnt 0x0
	s_cmp_lt_i32 s5, 32
	s_cbranch_scc1 .LBB202_21
; %bb.3:
	s_load_b128 s[0:3], s[0:1], 0x0
	s_ashr_i32 s15, s5, 31
	s_mul_i32 s14, s14, s4
	s_lshr_b32 s4, s15, 27
	s_ashr_i32 s15, s14, 31
	s_wait_alu 0xfffe
	s_add_co_i32 s4, s5, s4
	s_ashr_i32 s16, s8, 31
	s_wait_alu 0xfffe
	s_ashr_i32 s4, s4, 5
	s_not_b32 s17, s11
	s_wait_alu 0xfffe
	s_mul_i32 s18, s4, s11
	s_lshr_b32 s20, s16, 27
	s_ashr_i32 s19, s18, 31
	s_wait_loadcnt 0x0
	v_sub_nc_u32_e32 v26, 0, v38
	s_mul_u64 s[18:19], s[18:19], 22
	s_add_co_i32 s16, s6, s17
	s_add_co_i32 s6, s8, s20
	v_dual_mov_b32 v40, 0 :: v_dual_add_nc_u32 v1, 8, v19
	v_max_i32_e32 v26, v38, v26
	v_add_nc_u32_e32 v6, 24, v19
	s_wait_kmcnt 0x0
	s_add_nc_u64 s[0:1], s[0:1], s[14:15]
	v_min_i32_e32 v2, s16, v19
	s_add_nc_u64 s[14:15], s[0:1], s[18:19]
	s_abs_i32 s0, s10
	v_lshlrev_b32_e32 v18, 3, v39
	s_cvt_f32_u32 s1, s0
	s_sub_co_i32 s8, 0, s0
	v_add_nc_u32_e32 v8, 40, v19
	v_min_i32_e32 v4, s16, v1
	v_rcp_iflag_f32_e32 v24, s1
	v_add_nc_u32_e32 v10, 56, v19
	v_min_i32_e32 v6, s16, v6
	v_dual_mov_b32 v66, 0 :: v_dual_add_nc_u32 v11, 64, v19
	v_add_nc_u32_e32 v12, 0x48, v19
	v_mul_lo_u32 v43, v2, s4
	v_mad_co_u64_u32 v[1:2], null, 0x104, v2, v[18:19]
	v_min_i32_e32 v8, s16, v8
	s_delay_alu instid0(TRANS32_DEP_1)
	v_readfirstlane_b32 s1, v24
	v_dual_mov_b32 v62, 0 :: v_dual_add_nc_u32 v13, 0x50, v19
	v_add_nc_u32_e32 v14, 0x58, v19
	v_mul_lo_u32 v44, v4, s4
	s_mul_f32 s1, s1, 0x4f7ffffe
	v_min_i32_e32 v10, s16, v10
	v_add_nc_u32_e32 v15, 0x60, v19
	v_min_i32_e32 v11, s16, v11
	s_wait_alu 0xfffe
	s_cvt_u32_f32 s1, s1
	v_add_nc_u32_e32 v16, 0x68, v19
	v_add_nc_u32_e32 v17, 0x70, v19
	v_mul_lo_u32 v46, v6, s4
	s_wait_alu 0xfffe
	s_mul_i32 s8, s8, s1
	v_min_i32_e32 v12, s16, v12
	s_mul_hi_u32 s8, s1, s8
	v_add_nc_u32_e32 v22, 0x78, v19
	s_add_co_i32 s1, s1, s8
	v_min_i32_e32 v13, s16, v13
	s_wait_alu 0xfffe
	v_mul_hi_u32 v28, v26, s1
	v_bfe_u32 v55, v0, 3, 7
	v_mul_lo_u32 v48, v8, s4
	v_min_i32_e32 v14, s16, v14
	v_min_i32_e32 v15, s16, v15
	v_mul_lo_u32 v50, v10, s4
	v_min_i32_e32 v16, s16, v16
	v_min_i32_e32 v17, s16, v17
	v_mul_lo_u32 v29, v28, s0
	v_mul_lo_u32 v51, v11, s4
	v_min_i32_e32 v22, s16, v22
	v_mul_lo_u32 v52, v12, s4
	v_lshl_add_u32 v21, v19, 2, v55
	v_mul_lo_u32 v53, v13, s4
	v_mul_lo_u32 v54, v14, s4
	;; [unrolled: 1-line block ×3, first 2 shown]
	v_sub_nc_u32_e32 v26, v26, v29
	v_add_nc_u32_e32 v29, 1, v28
	v_mul_lo_u32 v57, v16, s4
	v_mul_lo_u32 v58, v17, s4
	v_min_i32_e32 v23, s16, v21
	v_cmp_le_u32_e32 vcc_lo, s0, v26
	v_add_nc_u32_e32 v3, 16, v19
	v_add_nc_u32_e32 v7, 32, v19
	v_mul_lo_u32 v59, v22, s4
	v_and_b32_e32 v60, 7, v0
	s_wait_alu 0xfffd
	v_dual_cndmask_b32 v28, v28, v29 :: v_dual_add_nc_u32 v9, 48, v19
	v_min_i32_e32 v5, s16, v3
	v_min_i32_e32 v7, s16, v7
	v_mad_co_u64_u32 v[2:3], null, 0x104, v4, v[18:19]
	s_delay_alu instid0(VALU_DEP_4) | instskip(NEXT) | instid1(VALU_DEP_4)
	v_min_i32_e32 v9, s16, v9
	v_mad_co_u64_u32 v[3:4], null, 0x104, v5, v[18:19]
	v_mul_lo_u32 v45, v5, s4
	v_mad_co_u64_u32 v[4:5], null, 0x104, v6, v[18:19]
	v_mad_co_u64_u32 v[5:6], null, 0x104, v7, v[18:19]
	v_mul_lo_u32 v47, v7, s4
	v_mad_co_u64_u32 v[6:7], null, 0x104, v8, v[18:19]
	;; [unrolled: 3-line block ×3, first 2 shown]
	v_mad_co_u64_u32 v[9:10], null, 0x104, v11, v[18:19]
	v_mad_co_u64_u32 v[10:11], null, 0x104, v12, v[18:19]
	;; [unrolled: 1-line block ×8, first 2 shown]
	v_add_nc_u32_e32 v18, 32, v21
	v_add_nc_u32_e32 v22, 64, v21
	;; [unrolled: 1-line block ×3, first 2 shown]
	v_ashrrev_i32_e32 v15, 31, v23
	v_xor_b32_e32 v29, s10, v38
	v_min_i32_e32 v18, s16, v18
	v_min_i32_e32 v22, s16, v22
	;; [unrolled: 1-line block ×3, first 2 shown]
	v_lshrrev_b32_e32 v15, 30, v15
	v_lshlrev_b32_e32 v24, 2, v60
	v_ashrrev_i32_e32 v25, 31, v18
	v_ashrrev_i32_e32 v27, 31, v22
	;; [unrolled: 1-line block ×3, first 2 shown]
	v_mul_lo_u32 v63, v18, s4
	v_lshlrev_b32_e32 v31, 5, v18
	v_lshrrev_b32_e32 v25, 30, v25
	v_lshrrev_b32_e32 v27, 30, v27
	v_add_nc_u32_e32 v15, v23, v15
	v_ashrrev_i32_e32 v29, 31, v29
	v_lshlrev_b32_e32 v20, 2, v39
	v_add_nc_u32_e32 v25, v18, v25
	v_lshrrev_b32_e32 v18, 30, v30
	v_subrev_nc_u32_e32 v30, s0, v26
	v_add_nc_u32_e32 v27, v22, v27
	v_and_b32_e32 v15, -4, v15
	v_and_b32_e32 v25, -4, v25
	v_add_nc_u32_e32 v18, v21, v18
	v_cndmask_b32_e32 v26, v26, v30, vcc_lo
	v_add_nc_u32_e32 v30, 1, v28
	v_and_b32_e32 v27, -4, v27
	v_mul_lo_u32 v61, v23, s4
	v_and_b32_e32 v18, -4, v18
	v_cmp_le_u32_e32 vcc_lo, s0, v26
	v_add3_u32 v15, v15, v24, 0x8200
	v_lshlrev_b32_e32 v23, 5, v23
	v_add3_u32 v25, v25, v24, 0x8200
	v_add3_u32 v27, v27, v24, 0x8200
	s_wait_alu 0xfffd
	v_cndmask_b32_e32 v26, v28, v30, vcc_lo
	v_add3_u32 v24, v18, v24, 0x8200
	v_and_b32_e32 v18, 31, v0
	v_lshl_add_u32 v67, v19, 7, 0x9280
	v_lshl_add_u32 v68, v19, 4, 0x9680
	v_xor_b32_e32 v26, v26, v29
	v_add_nc_u32_e32 v28, 0x60, v39
	v_add_nc_u32_e32 v83, v15, v23
	v_lshl_or_b32 v69, v18, 2, v67
	v_dual_mov_b32 v15, 0 :: v_dual_add_nc_u32 v18, 32, v39
	v_and_b32_e32 v42, 12, v20
	v_and_b32_e32 v19, 28, v20
	v_add_nc_u32_e32 v70, v68, v20
	v_sub_nc_u32_e32 v20, v26, v29
	v_add_nc_u32_e32 v26, 64, v39
	s_ashr_i32 s6, s6, 5
	v_bfe_u32 v41, v0, 2, 8
	v_and_b32_e32 v28, 0x1fc, v28
	v_cmp_gt_i32_e64 s0, s7, v20
	v_mul_lo_u32 v73, v20, s6
	v_lshlrev_b32_e32 v20, 5, v39
	v_and_b32_e32 v26, 0x1fc, v26
	v_and_b32_e32 v29, 0x1fc, v18
	;; [unrolled: 1-line block ×3, first 2 shown]
	v_mul_lo_u32 v64, v22, s4
	v_lshlrev_b32_e32 v22, 5, v22
	v_mul_lo_u32 v65, v21, s4
	v_lshlrev_b32_e32 v21, 5, v21
	v_add_nc_u32_e32 v28, v20, v28
	v_add_nc_u32_e32 v26, v20, v26
	;; [unrolled: 1-line block ×4, first 2 shown]
	v_lshrrev_b32_e32 v72, 3, v18
	v_add_co_u32 v18, s1, s2, v19
	v_cmp_gt_u32_e32 vcc_lo, 4, v39
	s_wait_alu 0xf1ff
	v_add_co_ci_u32_e64 v19, null, s3, 0, s1
	s_movk_i32 s1, 0x80
	v_mul_u32_u24_e32 v71, 0x104, v39
	v_ashrrev_i32_e32 v0, 31, v73
	v_add_nc_u32_e32 v74, 0x8e00, v28
	v_add_nc_u32_e32 v75, 0x8a00, v26
	;; [unrolled: 1-line block ×8, first 2 shown]
	s_wait_alu 0xfffe
	v_mad_u32_u24 v82, 0x104, v39, s1
	v_add_nc_u32_e32 v84, v25, v31
	v_add_nc_u32_e32 v85, v27, v22
	;; [unrolled: 1-line block ×3, first 2 shown]
	s_mov_b32 s17, 0
	s_and_b32 s8, vcc_lo, s0
	s_wait_alu 0xfffe
	s_mov_b32 s16, s17
	s_branch .LBB202_5
.LBB202_4:                              ;   in Loop: Header=BB202_5 Depth=1
	s_add_co_i32 s16, s16, 8
	s_wait_alu 0xfffe
	s_cmp_ge_i32 s16, s4
	s_cbranch_scc1 .LBB202_21
.LBB202_5:                              ; =>This Loop Header: Depth=1
                                        ;     Child Loop BB202_11 Depth 2
                                        ;     Child Loop BB202_19 Depth 2
	s_wait_alu 0xfffe
	s_mul_u64 s[18:19], s[16:17], 22
	s_wait_alu 0xfffe
	s_add_nc_u64 s[18:19], s[14:15], s[18:19]
	s_wait_alu 0xfffe
	v_mad_co_u64_u32 v[20:21], null, v41, 22, s[18:19]
	v_mad_co_u64_u32 v[87:88], null, v60, 22, s[18:19]
	s_lshl_b32 s18, s16, 5
	s_wait_alu 0xfffe
	s_cmp_lt_i32 s18, s5
	v_mad_co_i64_i32 v[22:23], null, v43, 22, v[20:21]
	v_mad_co_i64_i32 v[24:25], null, v44, 22, v[20:21]
	;; [unrolled: 1-line block ×4, first 2 shown]
	s_delay_alu instid0(VALU_DEP_4)
	v_add_co_u32 v30, s1, v22, v42
	s_wait_alu 0xf1ff
	v_add_co_ci_u32_e64 v31, null, 0, v23, s1
	v_add_co_u32 v32, s1, v24, v42
	s_wait_alu 0xf1ff
	v_add_co_ci_u32_e64 v33, null, 0, v25, s1
	;; [unrolled: 3-line block ×4, first 2 shown]
	s_clause 0x7
	global_load_b32 v91, v[30:31], off offset:6
	global_load_b32 v92, v[32:33], off offset:6
	;; [unrolled: 1-line block ×8, first 2 shown]
	v_mad_co_i64_i32 v[24:25], null, v61, 22, v[87:88]
	v_mad_co_i64_i32 v[26:27], null, v63, 22, v[87:88]
	;; [unrolled: 1-line block ×6, first 2 shown]
	s_clause 0x3
	global_load_u16 v98, v[24:25], off
	global_load_u16 v99, v[26:27], off
	;; [unrolled: 1-line block ×4, first 2 shown]
	v_mad_co_i64_i32 v[24:25], null, v50, 22, v[20:21]
	v_mad_co_i64_i32 v[34:35], null, v49, 22, v[20:21]
	v_add_co_u32 v26, s1, v22, v42
	s_wait_alu 0xf1ff
	v_add_co_ci_u32_e64 v27, null, 0, v23, s1
	v_add_co_u32 v28, s1, v32, v42
	s_wait_alu 0xf1ff
	v_add_co_ci_u32_e64 v29, null, 0, v33, s1
	s_clause 0x5
	global_load_b32 v102, v[24:25], off offset:2
	global_load_b32 v103, v[34:35], off offset:2
	;; [unrolled: 1-line block ×6, first 2 shown]
	v_add_co_u32 v22, s1, v34, v42
	s_wait_alu 0xf1ff
	v_add_co_ci_u32_e64 v23, null, 0, v35, s1
	v_add_co_u32 v24, s1, v24, v42
	s_wait_alu 0xf1ff
	v_add_co_ci_u32_e64 v25, null, 0, v25, s1
	s_clause 0x1
	global_load_b32 v108, v[22:23], off offset:6
	global_load_b32 v109, v[24:25], off offset:6
	v_mad_co_i64_i32 v[27:28], null, v51, 22, v[20:21]
	v_mad_co_i64_i32 v[29:30], null, v52, 22, v[20:21]
	;; [unrolled: 1-line block ×4, first 2 shown]
	s_delay_alu instid0(VALU_DEP_4)
	v_add_co_u32 v22, s1, v27, v42
	s_wait_alu 0xf1ff
	v_add_co_ci_u32_e64 v23, null, 0, v28, s1
	v_add_co_u32 v24, s1, v29, v42
	s_wait_alu 0xf1ff
	v_add_co_ci_u32_e64 v25, null, 0, v30, s1
	v_add_co_u32 v35, s1, v31, v42
	s_wait_alu 0xf1ff
	v_add_co_ci_u32_e64 v36, null, 0, v32, s1
	v_add_co_u32 v87, s1, v33, v42
	s_wait_alu 0xf1ff
	v_add_co_ci_u32_e64 v88, null, 0, v34, s1
	s_clause 0x7
	global_load_b32 v110, v[22:23], off offset:6
	global_load_b32 v111, v[24:25], off offset:6
	;; [unrolled: 1-line block ×8, first 2 shown]
	v_mad_co_i64_i32 v[89:90], null, v56, 22, v[20:21]
	s_wait_loadcnt 0x1b
	v_and_b32_e32 v31, 0xf0f0f0f, v91
	v_lshrrev_b32_e32 v32, 4, v91
	s_wait_loadcnt 0x19
	v_and_b32_e32 v87, 0xf0f0f0f, v93
	v_lshrrev_b32_e32 v88, 4, v93
	s_wait_loadcnt 0x17
	v_ashrrev_i32_e32 v91, v42, v94
	s_wait_loadcnt 0x16
	v_ashrrev_i32_e32 v36, v42, v95
	;; [unrolled: 2-line block ×4, first 2 shown]
	v_lshrrev_b32_e32 v35, 4, v92
	v_and_b32_e32 v32, 0xf0f0f0f, v32
	v_lshlrev_b32_e32 v121, 4, v36
	v_lshlrev_b32_e32 v114, 4, v33
	;; [unrolled: 1-line block ×5, first 2 shown]
	v_lshrrev_b32_e32 v118, 12, v33
	v_lshrrev_b32_e32 v119, 5, v33
	s_wait_loadcnt 0x13
	v_cvt_f32_f16_e32 v27, v98
	s_wait_loadcnt 0x12
	v_cvt_f32_f16_e32 v28, v99
	;; [unrolled: 2-line block ×4, first 2 shown]
	v_lshlrev_b32_e32 v99, 4, v30
	v_lshlrev_b32_e32 v100, 11, v30
	;; [unrolled: 1-line block ×8, first 2 shown]
	v_lshrrev_b32_e32 v125, 12, v36
	s_wait_loadcnt 0xd
	v_ashrrev_i32_e32 v96, v42, v104
	s_wait_loadcnt 0xc
	v_ashrrev_i32_e32 v93, v42, v105
	s_wait_loadcnt 0xb
	v_and_b32_e32 v94, 0xf0f0f0f, v106
	v_lshrrev_b32_e32 v95, 4, v106
	v_lshlrev_b32_e32 v104, 25, v30
	v_lshrrev_b32_e32 v105, 12, v30
	v_lshrrev_b32_e32 v106, 5, v30
	s_wait_loadcnt 0xa
	v_and_b32_e32 v97, 0xf0f0f0f, v107
	v_lshrrev_b32_e32 v98, 4, v107
	v_lshlrev_b32_e32 v107, 2, v30
	v_lshlrev_b32_e32 v30, 9, v30
	v_lshrrev_b32_e32 v126, 5, v36
	v_lshlrev_b32_e32 v127, 2, v36
	v_lshlrev_b32_e32 v36, 9, v36
	;; [unrolled: 1-line block ×8, first 2 shown]
	v_lshrrev_b32_e32 v146, 12, v96
	v_lshrrev_b32_e32 v147, 5, v96
	v_lshlrev_b32_e32 v148, 2, v96
	v_lshlrev_b32_e32 v96, 9, v96
	v_and_b32_e32 v99, 16, v99
	v_and_b32_e32 v100, 0x1000, v100
	;; [unrolled: 1-line block ×31, first 2 shown]
	v_or3_b32 v99, v99, v31, v100
	v_or3_b32 v31, v31, v101, v104
	;; [unrolled: 1-line block ×5, first 2 shown]
	v_and_b32_e32 v116, 0x100000, v116
	v_and_b32_e32 v117, 0x10000000, v117
	v_or3_b32 v101, v118, v35, v119
	v_or3_b32 v33, v35, v120, v33
	;; [unrolled: 1-line block ×3, first 2 shown]
	v_lshrrev_b32_e32 v37, 4, v37
	v_lshlrev_b32_e32 v130, 18, v91
	v_lshlrev_b32_e32 v131, 25, v91
	v_lshrrev_b32_e32 v132, 12, v91
	v_lshrrev_b32_e32 v133, 5, v91
	v_lshlrev_b32_e32 v134, 2, v91
	v_lshlrev_b32_e32 v91, 9, v91
	v_and_b32_e32 v123, 0x100000, v123
	v_and_b32_e32 v124, 0x10000000, v124
	v_or3_b32 v104, v125, v88, v126
	v_or3_b32 v36, v88, v127, v36
	;; [unrolled: 1-line block ×5, first 2 shown]
	v_lshrrev_b32_e32 v31, 16, v31
	v_and_b32_e32 v98, 0x1f00, v99
	v_lshlrev_b16 v99, 8, v99
	v_and_b32_e32 v114, 0x1f00, v100
	v_lshlrev_b16 v100, 8, v100
	;; [unrolled: 2-line block ×3, first 2 shown]
	v_or3_b32 v34, v34, v116, v117
	v_and_b32_e32 v117, 0x1f00, v35
	v_lshlrev_b16 v35, 8, v35
	v_and_b32_e32 v37, 0xf0f0f0f, v37
	v_and_b32_e32 v130, 0x100000, v130
	;; [unrolled: 1-line block ×7, first 2 shown]
	v_or3_b32 v87, v87, v123, v124
	v_and_b32_e32 v119, 0x1f00, v88
	v_lshlrev_b16 v88, 8, v88
	v_add_nc_u16 v98, 0xf000, v98
	v_add_nc_u16 v99, 0xf000, v99
	v_and_b32_e32 v124, 0x1f00, v31
	v_lshlrev_b16 v31, 8, v31
	v_add_nc_u16 v100, 0xf000, v100
	v_add_nc_u16 v32, 0xf000, v32
	;; [unrolled: 1-line block ×3, first 2 shown]
	v_or3_b32 v92, v92, v130, v131
	v_or3_b32 v105, v132, v37, v133
	;; [unrolled: 1-line block ×3, first 2 shown]
	v_lshrrev_b32_e32 v30, 16, v30
	v_add_nc_u16 v88, 0xf000, v88
	v_perm_b32 v98, v99, v98, 0xc0c0105
	v_add_nc_u16 v99, 0xf000, v124
	v_add_nc_u16 v31, 0xf000, v31
	v_lshrrev_b16 v100, 8, v100
	v_lshrrev_b32_e32 v34, 16, v34
	v_lshrrev_b32_e32 v33, 16, v33
	v_and_b32_e32 v116, 0x1f00, v101
	v_lshlrev_b16 v101, 8, v101
	v_lshrrev_b16 v32, 8, v32
	v_lshrrev_b32_e32 v87, 16, v87
	v_lshrrev_b32_e32 v36, 16, v36
	v_and_b32_e32 v118, 0x1f00, v104
	v_lshlrev_b16 v104, 8, v104
	;; [unrolled: 5-line block ×3, first 2 shown]
	v_and_b32_e32 v125, 0x1f00, v30
	v_lshlrev_b16 v30, 8, v30
	v_lshrrev_b16 v88, 8, v88
	v_perm_b32 v31, v31, v99, 0xc0c0105
	v_or_b32_e32 v99, v114, v100
	v_and_b32_e32 v126, 0x1f00, v34
	v_lshlrev_b16 v34, 8, v34
	v_add_nc_u16 v116, 0xf000, v116
	v_add_nc_u16 v101, 0xf000, v101
	v_and_b32_e32 v127, 0x1f00, v33
	v_lshlrev_b16 v33, 8, v33
	v_or_b32_e32 v32, v115, v32
	v_and_b32_e32 v128, 0x1f00, v87
	v_lshlrev_b16 v87, 8, v87
	v_add_nc_u16 v118, 0xf000, v118
	v_add_nc_u16 v104, 0xf000, v104
	v_and_b32_e32 v129, 0x1f00, v36
	v_lshlrev_b16 v36, 8, v36
	;; [unrolled: 7-line block ×3, first 2 shown]
	v_add_nc_u16 v124, 0xf000, v125
	v_add_nc_u16 v30, 0xf000, v30
	v_or_b32_e32 v88, v119, v88
	v_lshl_or_b32 v31, v31, 16, v98
	v_add_nc_u16 v98, 0xf000, v99
	v_add_nc_u16 v125, 0xf000, v126
	v_add_nc_u16 v34, 0xf000, v34
	v_perm_b32 v101, v101, v116, 0xc0c0105
	v_add_nc_u16 v116, 0xf000, v127
	v_add_nc_u16 v33, 0xf000, v33
	v_add_nc_u16 v32, 0xf000, v32
	v_add_nc_u16 v126, 0xf000, v128
	v_add_nc_u16 v87, 0xf000, v87
	v_perm_b32 v104, v104, v118, 0xc0c0105
	v_add_nc_u16 v118, 0xf000, v129
	v_add_nc_u16 v36, 0xf000, v36
	;; [unrolled: 6-line block ×3, first 2 shown]
	v_perm_b32 v30, v30, v124, 0xc0c0105
	v_add_nc_u16 v88, 0xf000, v88
	v_and_b32_e32 v98, 0xffff, v98
	v_perm_b32 v34, v34, v125, 0xc0c0105
	v_perm_b32 v33, v33, v116, 0xc0c0105
	v_and_b32_e32 v32, 0xffff, v32
	v_perm_b32 v87, v87, v126, 0xc0c0105
	v_perm_b32 v36, v36, v118, 0xc0c0105
	;; [unrolled: 3-line block ×3, first 2 shown]
	v_and_b32_e32 v88, 0xffff, v88
	v_lshl_or_b32 v30, v30, 16, v98
	v_lshl_or_b32 v33, v33, 16, v101
	;; [unrolled: 1-line block ×7, first 2 shown]
	ds_store_2addr_b32 v1, v31, v30 offset1:1
	ds_store_b32 v83, v27
	ds_store_2addr_b32 v2, v32, v33 offset1:1
	ds_store_b32 v84, v28
	;; [unrolled: 2-line block ×3, first 2 shown]
	ds_store_2addr_b32 v4, v35, v37 offset1:1
	v_mad_co_i64_i32 v[27:28], null, v57, 22, v[20:21]
	v_mad_co_i64_i32 v[31:32], null, v58, 22, v[20:21]
	;; [unrolled: 1-line block ×3, first 2 shown]
	v_add_co_u32 v29, s1, v89, v42
	s_wait_alu 0xf1ff
	v_add_co_ci_u32_e64 v30, null, 0, v90, s1
	v_add_co_u32 v33, s1, v27, v42
	s_wait_alu 0xf1ff
	v_add_co_ci_u32_e64 v34, null, 0, v28, s1
	v_add_co_u32 v35, s1, v31, v42
	v_lshlrev_b32_e32 v135, 4, v93
	v_lshlrev_b32_e32 v136, 11, v93
	s_wait_alu 0xf1ff
	v_add_co_ci_u32_e64 v36, null, 0, v32, s1
	v_add_co_u32 v87, s1, v20, v42
	s_wait_alu 0xf1ff
	v_add_co_ci_u32_e64 v88, null, 0, v21, s1
	v_and_b32_e32 v135, 16, v135
	v_and_b32_e32 v136, 0x1000, v136
	s_clause 0x7
	global_load_b32 v29, v[29:30], off offset:6
	global_load_b32 v30, v[33:34], off offset:6
	;; [unrolled: 1-line block ×8, first 2 shown]
	v_lshlrev_b32_e32 v137, 18, v93
	v_lshlrev_b32_e32 v138, 25, v93
	v_lshrrev_b32_e32 v139, 12, v93
	v_or3_b32 v91, v135, v94, v136
	v_lshrrev_b32_e32 v140, 5, v93
	v_and_b32_e32 v137, 0x100000, v137
	v_and_b32_e32 v138, 0x10000000, v138
	v_lshlrev_b32_e32 v141, 2, v93
	v_and_b32_e32 v121, 0x1f00, v91
	v_lshlrev_b16 v91, 8, v91
	v_lshlrev_b32_e32 v93, 9, v93
	v_or3_b32 v94, v94, v137, v138
	v_and_b32_e32 v95, 0xf0f0f0f, v95
	v_and_b32_e32 v139, 16, v139
	v_add_nc_u16 v91, 0xf000, v91
	v_and_b32_e32 v140, 0x1000, v140
	v_and_b32_e32 v141, 0x100000, v141
	v_and_b32_e32 v93, 0x10000000, v93
	v_and_b32_e32 v142, 16, v142
	v_and_b32_e32 v143, 0x1000, v143
	v_lshrrev_b32_e32 v94, 16, v94
	v_lshrrev_b16 v91, 8, v91
	v_or3_b32 v106, v139, v95, v140
	v_or3_b32 v93, v95, v141, v93
	;; [unrolled: 1-line block ×3, first 2 shown]
	v_and_b32_e32 v132, 0x1f00, v94
	v_lshlrev_b16 v94, 8, v94
	v_or_b32_e32 v91, v121, v91
	v_and_b32_e32 v144, 0x100000, v144
	v_and_b32_e32 v145, 0x10000000, v145
	;; [unrolled: 1-line block ×3, first 2 shown]
	v_lshlrev_b16 v95, 8, v95
	v_add_nc_u16 v128, 0xf000, v132
	v_add_nc_u16 v94, 0xf000, v94
	;; [unrolled: 1-line block ×3, first 2 shown]
	v_or3_b32 v97, v97, v144, v145
	v_add_nc_u16 v92, 0xf000, v95
	v_lshlrev_b16 v95, 8, v107
	v_perm_b32 v94, v94, v128, 0xc0c0105
	v_and_b32_e32 v91, 0xffff, v91
	v_lshrrev_b32_e32 v97, 16, v97
	v_lshrrev_b32_e32 v93, 16, v93
	v_add_nc_u16 v95, 0xf000, v95
	v_and_b32_e32 v122, 0x1f00, v106
	v_lshl_or_b32 v91, v94, 16, v91
	v_lshrrev_b32_e32 v94, 16, v96
	v_lshlrev_b16 v106, 8, v106
	v_and_b32_e32 v31, 0x1f00, v107
	v_lshrrev_b16 v32, 8, v95
	v_and_b32_e32 v35, 0x1f00, v97
	v_lshlrev_b16 v36, 8, v97
	v_and_b32_e32 v87, 0x1f00, v94
	v_lshlrev_b16 v88, 8, v94
	v_add_nc_u16 v122, 0xf000, v122
	v_add_nc_u16 v106, 0xf000, v106
	v_and_b32_e32 v133, 0x1f00, v93
	v_lshlrev_b16 v93, 8, v93
	v_add_nc_u16 v37, 0xf000, v123
	v_or_b32_e32 v31, v31, v32
	v_add_nc_u16 v32, 0xf000, v35
	v_add_nc_u16 v35, 0xf000, v36
	;; [unrolled: 1-line block ×4, first 2 shown]
	v_ashrrev_i32_e32 v88, v42, v103
	v_perm_b32 v106, v106, v122, 0xc0c0105
	v_add_nc_u16 v122, 0xf000, v133
	v_add_nc_u16 v93, 0xf000, v93
	v_perm_b32 v37, v92, v37, 0xc0c0105
	v_perm_b32 v32, v35, v32, 0xc0c0105
	;; [unrolled: 1-line block ×3, first 2 shown]
	v_lshlrev_b32_e32 v87, 11, v88
	v_perm_b32 v93, v93, v122, 0xc0c0105
	v_add_nc_u16 v31, 0xf000, v31
	v_lshl_or_b32 v32, v32, 16, v37
	v_lshrrev_b32_e32 v89, 12, v88
	v_and_b32_e32 v37, 0x1000, v87
	s_wait_loadcnt 0x11
	v_lshrrev_b32_e32 v87, 4, v108
	v_lshrrev_b32_e32 v90, 5, v88
	v_lshl_or_b32 v93, v93, 16, v106
	v_and_b32_e32 v31, 0xffff, v31
	v_lshlrev_b32_e32 v36, 4, v88
	v_and_b32_e32 v87, 0xf0f0f0f, v87
	v_and_b32_e32 v89, 16, v89
	;; [unrolled: 1-line block ×3, first 2 shown]
	ds_store_2addr_b32 v5, v91, v93 offset1:1
	v_lshl_or_b32 v31, v35, 16, v31
	v_and_b32_e32 v35, 0xf0f0f0f, v108
	v_and_b32_e32 v36, 16, v36
	v_lshlrev_b32_e32 v91, 18, v88
	v_lshlrev_b32_e32 v92, 25, v88
	;; [unrolled: 1-line block ×4, first 2 shown]
	v_or3_b32 v89, v89, v87, v90
	v_and_b32_e32 v91, 0x100000, v91
	v_and_b32_e32 v92, 0x10000000, v92
	v_or3_b32 v36, v36, v35, v37
	v_and_b32_e32 v37, 0x100000, v93
	v_and_b32_e32 v88, 0x10000000, v88
	v_lshlrev_b16 v90, 8, v89
	v_or3_b32 v35, v35, v91, v92
	v_and_b32_e32 v91, 0x1f00, v36
	v_and_b32_e32 v89, 0x1f00, v89
	v_or3_b32 v37, v87, v37, v88
	v_add_nc_u16 v87, 0xf000, v90
	v_lshrrev_b32_e32 v35, 16, v35
	v_lshlrev_b16 v36, 8, v36
	v_add_nc_u16 v88, 0xf000, v91
	v_lshrrev_b32_e32 v37, 16, v37
	v_lshrrev_b16 v87, 8, v87
	v_and_b32_e32 v90, 0x1f00, v35
	v_lshlrev_b16 v35, 8, v35
	v_add_nc_u16 v36, 0xf000, v36
	v_and_b32_e32 v91, 0x1f00, v37
	v_lshlrev_b16 v37, 8, v37
	v_or_b32_e32 v87, v89, v87
	v_add_nc_u16 v89, 0xf000, v90
	v_add_nc_u16 v35, 0xf000, v35
	;; [unrolled: 1-line block ×5, first 2 shown]
	v_perm_b32 v36, v36, v88, 0xc0c0105
	v_ashrrev_i32_e32 v88, v42, v102
	v_perm_b32 v35, v35, v89, 0xc0c0105
	v_perm_b32 v37, v37, v90, 0xc0c0105
	v_and_b32_e32 v87, 0xffff, v87
	ds_store_2addr_b32 v6, v32, v31 offset1:1
	v_lshrrev_b32_e32 v89, 12, v88
	v_lshl_or_b32 v35, v35, 16, v36
	v_lshrrev_b32_e32 v90, 5, v88
	v_lshl_or_b32 v36, v37, 16, v87
	s_wait_loadcnt 0x10
	v_lshrrev_b32_e32 v87, 4, v109
	v_lshlrev_b32_e32 v31, 4, v88
	v_lshlrev_b32_e32 v32, 11, v88
	v_and_b32_e32 v89, 16, v89
	v_and_b32_e32 v90, 0x1000, v90
	;; [unrolled: 1-line block ×6, first 2 shown]
	v_lshlrev_b32_e32 v91, 18, v88
	v_lshlrev_b32_e32 v92, 25, v88
	;; [unrolled: 1-line block ×4, first 2 shown]
	v_or3_b32 v89, v89, v87, v90
	v_and_b32_e32 v91, 0x100000, v91
	v_and_b32_e32 v92, 0x10000000, v92
	v_or3_b32 v31, v31, v37, v32
	v_and_b32_e32 v32, 0x100000, v93
	v_and_b32_e32 v88, 0x10000000, v88
	v_lshlrev_b16 v90, 8, v89
	v_or3_b32 v37, v37, v91, v92
	v_and_b32_e32 v91, 0x1f00, v31
	v_and_b32_e32 v89, 0x1f00, v89
	v_or3_b32 v32, v87, v32, v88
	v_add_nc_u16 v87, 0xf000, v90
	v_lshrrev_b32_e32 v37, 16, v37
	v_lshlrev_b16 v31, 8, v31
	v_add_nc_u16 v88, 0xf000, v91
	v_lshrrev_b32_e32 v32, 16, v32
	v_lshrrev_b16 v87, 8, v87
	v_and_b32_e32 v90, 0x1f00, v37
	v_add_nc_u16 v31, 0xf000, v31
	v_lshlrev_b16 v37, 8, v37
	v_and_b32_e32 v91, 0x1f00, v32
	v_lshlrev_b16 v32, 8, v32
	v_or_b32_e32 v87, v89, v87
	v_add_nc_u16 v89, 0xf000, v90
	v_add_nc_u16 v37, 0xf000, v37
	;; [unrolled: 1-line block ×5, first 2 shown]
	v_perm_b32 v31, v31, v88, 0xc0c0105
	s_wait_loadcnt 0x8
	v_ashrrev_i32_e32 v88, v42, v113
	v_perm_b32 v37, v37, v89, 0xc0c0105
	v_perm_b32 v32, v32, v90, 0xc0c0105
	v_and_b32_e32 v87, 0xffff, v87
	ds_store_2addr_b32 v7, v35, v36 offset1:1
	v_lshrrev_b32_e32 v89, 12, v88
	v_lshrrev_b32_e32 v90, 5, v88
	v_lshlrev_b32_e32 v35, 4, v88
	v_lshl_or_b32 v32, v32, 16, v87
	v_lshrrev_b32_e32 v87, 4, v110
	v_lshlrev_b32_e32 v36, 11, v88
	v_and_b32_e32 v89, 16, v89
	v_and_b32_e32 v90, 0x1000, v90
	v_lshl_or_b32 v31, v37, 16, v31
	v_and_b32_e32 v87, 0xf0f0f0f, v87
	v_and_b32_e32 v37, 0xf0f0f0f, v110
	;; [unrolled: 1-line block ×4, first 2 shown]
	v_lshlrev_b32_e32 v91, 18, v88
	v_lshlrev_b32_e32 v92, 25, v88
	;; [unrolled: 1-line block ×4, first 2 shown]
	v_or3_b32 v89, v89, v87, v90
	v_and_b32_e32 v91, 0x100000, v91
	v_and_b32_e32 v92, 0x10000000, v92
	v_or3_b32 v35, v35, v37, v36
	v_and_b32_e32 v36, 0x100000, v93
	v_and_b32_e32 v88, 0x10000000, v88
	v_lshlrev_b16 v90, 8, v89
	v_or3_b32 v37, v37, v91, v92
	v_and_b32_e32 v91, 0x1f00, v35
	v_and_b32_e32 v89, 0x1f00, v89
	v_or3_b32 v36, v87, v36, v88
	v_add_nc_u16 v87, 0xf000, v90
	v_lshrrev_b32_e32 v37, 16, v37
	v_lshlrev_b16 v35, 8, v35
	v_add_nc_u16 v88, 0xf000, v91
	v_lshrrev_b32_e32 v36, 16, v36
	v_lshrrev_b16 v87, 8, v87
	v_and_b32_e32 v90, 0x1f00, v37
	v_add_nc_u16 v35, 0xf000, v35
	v_lshlrev_b16 v37, 8, v37
	v_and_b32_e32 v91, 0x1f00, v36
	v_lshlrev_b16 v36, 8, v36
	v_or_b32_e32 v87, v89, v87
	v_add_nc_u16 v89, 0xf000, v90
	v_add_nc_u16 v37, 0xf000, v37
	;; [unrolled: 1-line block ×5, first 2 shown]
	v_perm_b32 v35, v35, v88, 0xc0c0105
	v_ashrrev_i32_e32 v88, v42, v112
	v_perm_b32 v37, v37, v89, 0xc0c0105
	v_perm_b32 v36, v36, v90, 0xc0c0105
	v_and_b32_e32 v87, 0xffff, v87
	ds_store_2addr_b32 v8, v31, v32 offset1:1
	v_lshrrev_b32_e32 v89, 12, v88
	v_lshrrev_b32_e32 v90, 5, v88
	v_lshlrev_b32_e32 v31, 4, v88
	v_lshl_or_b32 v36, v36, 16, v87
	v_lshrrev_b32_e32 v87, 4, v111
	v_lshlrev_b32_e32 v32, 11, v88
	v_and_b32_e32 v89, 16, v89
	v_and_b32_e32 v90, 0x1000, v90
	v_lshl_or_b32 v35, v37, 16, v35
	v_and_b32_e32 v87, 0xf0f0f0f, v87
	v_and_b32_e32 v37, 0xf0f0f0f, v111
	;; [unrolled: 1-line block ×4, first 2 shown]
	v_lshlrev_b32_e32 v91, 18, v88
	v_lshlrev_b32_e32 v92, 25, v88
	;; [unrolled: 1-line block ×4, first 2 shown]
	v_or3_b32 v89, v89, v87, v90
	v_and_b32_e32 v91, 0x100000, v91
	v_and_b32_e32 v92, 0x10000000, v92
	v_or3_b32 v31, v31, v37, v32
	v_and_b32_e32 v32, 0x100000, v93
	v_and_b32_e32 v88, 0x10000000, v88
	v_lshlrev_b16 v90, 8, v89
	v_or3_b32 v37, v37, v91, v92
	v_and_b32_e32 v91, 0x1f00, v31
	v_and_b32_e32 v89, 0x1f00, v89
	v_or3_b32 v32, v87, v32, v88
	v_add_nc_u16 v87, 0xf000, v90
	v_lshrrev_b32_e32 v37, 16, v37
	v_lshlrev_b16 v31, 8, v31
	v_add_nc_u16 v88, 0xf000, v91
	v_lshrrev_b32_e32 v32, 16, v32
	v_lshrrev_b16 v87, 8, v87
	v_and_b32_e32 v90, 0x1f00, v37
	v_lshlrev_b16 v37, 8, v37
	v_add_nc_u16 v31, 0xf000, v31
	v_and_b32_e32 v91, 0x1f00, v32
	v_lshlrev_b16 v32, 8, v32
	v_or_b32_e32 v87, v89, v87
	v_add_nc_u16 v89, 0xf000, v90
	v_add_nc_u16 v37, 0xf000, v37
	;; [unrolled: 1-line block ×5, first 2 shown]
	v_perm_b32 v31, v31, v88, 0xc0c0105
	v_ashrrev_i32_e32 v26, v42, v26
	v_perm_b32 v37, v37, v89, 0xc0c0105
	v_perm_b32 v32, v32, v90, 0xc0c0105
	v_and_b32_e32 v87, 0xffff, v87
	ds_store_2addr_b32 v9, v35, v36 offset1:1
	v_lshrrev_b32_e32 v88, 5, v26
	v_lshl_or_b32 v31, v37, 16, v31
	v_and_b32_e32 v37, 0xf0f0f0f, v25
	v_lshl_or_b32 v32, v32, 16, v87
	v_lshrrev_b32_e32 v25, 4, v25
	v_lshrrev_b32_e32 v87, 12, v26
	v_lshlrev_b32_e32 v35, 4, v26
	v_lshlrev_b32_e32 v36, 11, v26
	v_and_b32_e32 v88, 0x1000, v88
	v_and_b32_e32 v25, 0xf0f0f0f, v25
	;; [unrolled: 1-line block ×5, first 2 shown]
	v_lshlrev_b32_e32 v89, 18, v26
	v_lshlrev_b32_e32 v90, 25, v26
	;; [unrolled: 1-line block ×4, first 2 shown]
	v_or3_b32 v87, v87, v25, v88
	v_and_b32_e32 v89, 0x100000, v89
	v_and_b32_e32 v90, 0x10000000, v90
	v_or3_b32 v35, v35, v37, v36
	v_and_b32_e32 v36, 0x100000, v91
	v_and_b32_e32 v26, 0x10000000, v26
	v_lshlrev_b16 v88, 8, v87
	v_or3_b32 v37, v37, v89, v90
	v_and_b32_e32 v89, 0x1f00, v35
	v_and_b32_e32 v87, 0x1f00, v87
	v_or3_b32 v25, v25, v36, v26
	v_add_nc_u16 v36, 0xf000, v88
	v_lshrrev_b32_e32 v26, 16, v37
	v_lshlrev_b16 v35, 8, v35
	v_add_nc_u16 v37, 0xf000, v89
	v_lshrrev_b32_e32 v25, 16, v25
	v_lshrrev_b16 v36, 8, v36
	v_and_b32_e32 v88, 0x1f00, v26
	v_lshlrev_b16 v26, 8, v26
	v_add_nc_u16 v35, 0xf000, v35
	v_and_b32_e32 v89, 0x1f00, v25
	v_lshlrev_b16 v25, 8, v25
	v_or_b32_e32 v36, v87, v36
	v_add_nc_u16 v87, 0xf000, v88
	v_add_nc_u16 v26, 0xf000, v26
	;; [unrolled: 1-line block ×5, first 2 shown]
	v_perm_b32 v35, v35, v37, 0xc0c0105
	v_ashrrev_i32_e32 v24, v42, v24
	v_perm_b32 v26, v26, v87, 0xc0c0105
	v_perm_b32 v25, v25, v88, 0xc0c0105
	v_and_b32_e32 v36, 0xffff, v36
	ds_store_2addr_b32 v10, v31, v32 offset1:1
	v_lshrrev_b32_e32 v37, 5, v24
	v_lshl_or_b32 v26, v26, 16, v35
	v_and_b32_e32 v35, 0xf0f0f0f, v23
	v_lshl_or_b32 v25, v25, 16, v36
	v_lshrrev_b32_e32 v23, 4, v23
	v_lshrrev_b32_e32 v36, 12, v24
	v_lshlrev_b32_e32 v31, 4, v24
	v_lshlrev_b32_e32 v32, 11, v24
	;; [unrolled: 1-line block ×4, first 2 shown]
	v_and_b32_e32 v23, 0xf0f0f0f, v23
	v_and_b32_e32 v36, 16, v36
	;; [unrolled: 1-line block ×6, first 2 shown]
	v_lshlrev_b32_e32 v89, 2, v24
	v_lshlrev_b32_e32 v24, 9, v24
	v_and_b32_e32 v88, 0x10000000, v88
	v_or3_b32 v36, v36, v23, v37
	v_or3_b32 v31, v31, v35, v32
	v_and_b32_e32 v32, 0x100000, v89
	v_and_b32_e32 v24, 0x10000000, v24
	v_or3_b32 v35, v35, v87, v88
	v_lshlrev_b16 v37, 8, v36
	v_and_b32_e32 v87, 0x1f00, v31
	v_lshlrev_b16 v31, 8, v31
	v_or3_b32 v23, v23, v32, v24
	v_lshrrev_b32_e32 v24, 16, v35
	v_add_nc_u16 v32, 0xf000, v37
	v_and_b32_e32 v36, 0x1f00, v36
	v_add_nc_u16 v35, 0xf000, v87
	v_lshrrev_b32_e32 v23, 16, v23
	v_and_b32_e32 v37, 0x1f00, v24
	v_lshrrev_b16 v32, 8, v32
	v_lshlrev_b16 v24, 8, v24
	v_add_nc_u16 v31, 0xf000, v31
	v_and_b32_e32 v87, 0x1f00, v23
	v_lshlrev_b16 v23, 8, v23
	v_or_b32_e32 v32, v36, v32
	v_add_nc_u16 v36, 0xf000, v37
	v_add_nc_u16 v24, 0xf000, v24
	;; [unrolled: 1-line block ×5, first 2 shown]
	v_perm_b32 v31, v31, v35, 0xc0c0105
	s_wait_loadcnt 0x0
	v_ashrrev_i32_e32 v28, v42, v28
	v_perm_b32 v24, v24, v36, 0xc0c0105
	v_perm_b32 v23, v23, v37, 0xc0c0105
	v_and_b32_e32 v32, 0xffff, v32
	ds_store_2addr_b32 v11, v26, v25 offset1:1
	v_lshlrev_b32_e32 v25, 4, v28
	v_lshl_or_b32 v24, v24, 16, v31
	v_lshlrev_b32_e32 v26, 11, v28
	v_and_b32_e32 v31, 0xf0f0f0f, v29
	v_lshrrev_b32_e32 v29, 4, v29
	v_lshrrev_b32_e32 v35, 12, v28
	;; [unrolled: 1-line block ×3, first 2 shown]
	v_lshl_or_b32 v23, v23, 16, v32
	v_and_b32_e32 v25, 16, v25
	v_lshlrev_b32_e32 v32, 18, v28
	v_and_b32_e32 v26, 0x1000, v26
	v_lshlrev_b32_e32 v37, 25, v28
	v_and_b32_e32 v29, 0xf0f0f0f, v29
	v_and_b32_e32 v35, 16, v35
	;; [unrolled: 1-line block ×4, first 2 shown]
	v_lshlrev_b32_e32 v87, 2, v28
	v_lshlrev_b32_e32 v28, 9, v28
	v_and_b32_e32 v37, 0x10000000, v37
	v_or3_b32 v25, v25, v31, v26
	v_or3_b32 v26, v35, v29, v36
	v_and_b32_e32 v35, 0x100000, v87
	v_and_b32_e32 v28, 0x10000000, v28
	v_or3_b32 v31, v31, v32, v37
	v_and_b32_e32 v32, 0x1f00, v25
	v_lshlrev_b16 v36, 8, v26
	v_and_b32_e32 v26, 0x1f00, v26
	v_or3_b32 v28, v29, v35, v28
	v_lshrrev_b32_e32 v29, 16, v31
	v_add_nc_u16 v31, 0xf000, v32
	v_add_nc_u16 v32, 0xf000, v36
	v_lshlrev_b16 v25, 8, v25
	v_lshrrev_b32_e32 v28, 16, v28
	v_and_b32_e32 v35, 0x1f00, v29
	v_lshlrev_b16 v29, 8, v29
	v_lshrrev_b16 v32, 8, v32
	v_add_nc_u16 v25, 0xf000, v25
	v_and_b32_e32 v36, 0x1f00, v28
	v_lshlrev_b16 v28, 8, v28
	v_add_nc_u16 v35, 0xf000, v35
	v_or_b32_e32 v26, v26, v32
	v_add_nc_u16 v29, 0xf000, v29
	v_add_nc_u16 v32, 0xf000, v36
	v_ashrrev_i32_e32 v27, v42, v27
	v_add_nc_u16 v28, 0xf000, v28
	v_add_nc_u16 v26, 0xf000, v26
	v_perm_b32 v25, v25, v31, 0xc0c0105
	v_perm_b32 v29, v29, v35, 0xc0c0105
	v_lshlrev_b32_e32 v36, 18, v27
	v_perm_b32 v28, v28, v32, 0xc0c0105
	v_and_b32_e32 v26, 0xffff, v26
	v_lshlrev_b32_e32 v37, 25, v27
	v_lshlrev_b32_e32 v31, 4, v27
	;; [unrolled: 1-line block ×3, first 2 shown]
	v_and_b32_e32 v35, 0xf0f0f0f, v30
	v_lshl_or_b32 v25, v29, 16, v25
	v_lshl_or_b32 v26, v28, 16, v26
	v_and_b32_e32 v28, 0x100000, v36
	v_and_b32_e32 v29, 0x10000000, v37
	;; [unrolled: 1-line block ×4, first 2 shown]
	ds_store_2addr_b32 v12, v24, v23 offset1:1
	ds_store_2addr_b32 v13, v25, v26 offset1:1
	v_lshrrev_b32_e32 v23, 4, v30
	v_or3_b32 v24, v35, v28, v29
	v_lshlrev_b32_e32 v26, 2, v27
	v_lshlrev_b32_e32 v28, 9, v27
	v_lshrrev_b32_e32 v29, 12, v27
	v_lshrrev_b32_e32 v27, 5, v27
	v_or3_b32 v31, v31, v35, v32
	v_and_b32_e32 v23, 0xf0f0f0f, v23
	v_and_b32_e32 v26, 0x100000, v26
	v_and_b32_e32 v28, 0x10000000, v28
	v_and_b32_e32 v29, 16, v29
	v_and_b32_e32 v27, 0x1000, v27
	v_and_b32_e32 v25, 0x1f00, v31
	v_lshrrev_b32_e32 v24, 16, v24
	v_or3_b32 v26, v23, v26, v28
	v_lshlrev_b16 v28, 8, v31
	v_or3_b32 v23, v29, v23, v27
	v_add_nc_u16 v25, 0xf000, v25
	v_and_b32_e32 v30, 0x1f00, v24
	v_lshlrev_b16 v24, 8, v24
	v_lshrrev_b32_e32 v26, 16, v26
	v_add_nc_u16 v27, 0xf000, v28
	v_lshlrev_b16 v29, 8, v23
	v_add_nc_u16 v28, 0xf000, v30
	v_add_nc_u16 v24, 0xf000, v24
	v_and_b32_e32 v30, 0x1f00, v26
	v_perm_b32 v25, v27, v25, 0xc0c0105
	v_ashrrev_i32_e32 v21, v42, v21
	v_add_nc_u16 v27, 0xf000, v29
	v_perm_b32 v24, v24, v28, 0xc0c0105
	v_add_nc_u16 v28, 0xf000, v30
	v_lshlrev_b16 v26, 8, v26
	v_lshlrev_b32_e32 v29, 4, v21
	v_and_b32_e32 v23, 0x1f00, v23
	v_lshrrev_b16 v27, 8, v27
	v_lshlrev_b32_e32 v30, 11, v21
	v_lshlrev_b32_e32 v32, 18, v21
	v_lshlrev_b32_e32 v35, 25, v21
	v_and_b32_e32 v31, 0xf0f0f0f, v33
	v_and_b32_e32 v29, 16, v29
	;; [unrolled: 1-line block ×3, first 2 shown]
	v_add_nc_u16 v26, 0xf000, v26
	v_or_b32_e32 v23, v23, v27
	v_and_b32_e32 v27, 0x100000, v32
	v_and_b32_e32 v32, 0x10000000, v35
	v_or3_b32 v29, v29, v31, v30
	v_lshl_or_b32 v24, v24, 16, v25
	v_perm_b32 v25, v26, v28, 0xc0c0105
	v_lshrrev_b32_e32 v28, 4, v33
	v_or3_b32 v26, v31, v27, v32
	v_lshrrev_b32_e32 v30, 12, v21
	v_lshrrev_b32_e32 v31, 5, v21
	v_lshlrev_b32_e32 v32, 2, v21
	v_lshlrev_b32_e32 v21, 9, v21
	v_and_b32_e32 v28, 0xf0f0f0f, v28
	v_and_b32_e32 v30, 16, v30
	;; [unrolled: 1-line block ×6, first 2 shown]
	v_lshlrev_b16 v29, 8, v29
	v_lshrrev_b32_e32 v26, 16, v26
	v_or3_b32 v30, v30, v28, v31
	v_or3_b32 v21, v28, v32, v21
	v_add_nc_u16 v27, 0xf000, v27
	v_add_nc_u16 v28, 0xf000, v29
	v_and_b32_e32 v29, 0x1f00, v26
	v_lshlrev_b16 v31, 8, v30
	v_lshrrev_b32_e32 v21, 16, v21
	v_lshlrev_b16 v26, 8, v26
	v_perm_b32 v27, v28, v27, 0xc0c0105
	v_add_nc_u16 v28, 0xf000, v29
	v_add_nc_u16 v29, 0xf000, v31
	v_and_b32_e32 v31, 0x1f00, v21
	v_lshlrev_b16 v21, 8, v21
	v_ashrrev_i32_e32 v20, v42, v20
	v_and_b32_e32 v30, 0x1f00, v30
	v_lshrrev_b16 v29, 8, v29
	v_add_nc_u16 v31, 0xf000, v31
	v_add_nc_u16 v21, 0xf000, v21
	;; [unrolled: 1-line block ×3, first 2 shown]
	v_lshrrev_b32_e32 v32, 4, v34
	v_lshrrev_b32_e32 v33, 12, v20
	v_or_b32_e32 v29, v30, v29
	v_perm_b32 v21, v21, v31, 0xc0c0105
	v_and_b32_e32 v31, 0xf0f0f0f, v34
	v_lshrrev_b32_e32 v34, 5, v20
	v_perm_b32 v26, v26, v28, 0xc0c0105
	v_lshlrev_b32_e32 v28, 4, v20
	v_lshlrev_b32_e32 v30, 11, v20
	;; [unrolled: 1-line block ×4, first 2 shown]
	v_and_b32_e32 v32, 0xf0f0f0f, v32
	v_and_b32_e32 v33, 16, v33
	;; [unrolled: 1-line block ×6, first 2 shown]
	v_lshlrev_b32_e32 v37, 2, v20
	v_lshlrev_b32_e32 v20, 9, v20
	v_and_b32_e32 v36, 0x10000000, v36
	v_or3_b32 v33, v33, v32, v34
	v_or3_b32 v28, v28, v31, v30
	v_and_b32_e32 v30, 0x100000, v37
	v_and_b32_e32 v20, 0x10000000, v20
	v_or3_b32 v31, v31, v35, v36
	v_lshlrev_b16 v34, 8, v33
	v_and_b32_e32 v35, 0x1f00, v28
	v_and_b32_e32 v33, 0x1f00, v33
	v_or3_b32 v20, v32, v30, v20
	v_lshrrev_b32_e32 v30, 16, v31
	v_add_nc_u16 v31, 0xf000, v34
	v_lshlrev_b16 v28, 8, v28
	v_add_nc_u16 v32, 0xf000, v35
	v_lshrrev_b32_e32 v20, 16, v20
	v_and_b32_e32 v34, 0x1f00, v30
	v_lshrrev_b16 v31, 8, v31
	v_lshlrev_b16 v30, 8, v30
	v_add_nc_u16 v23, 0xf000, v23
	v_and_b32_e32 v35, 0x1f00, v20
	v_lshlrev_b16 v20, 8, v20
	v_or_b32_e32 v31, v33, v31
	v_add_nc_u16 v29, 0xf000, v29
	v_add_nc_u16 v28, 0xf000, v28
	;; [unrolled: 1-line block ×7, first 2 shown]
	v_and_b32_e32 v23, 0xffff, v23
	v_and_b32_e32 v29, 0xffff, v29
	v_perm_b32 v28, v28, v32, 0xc0c0105
	v_perm_b32 v30, v30, v33, 0xc0c0105
	;; [unrolled: 1-line block ×3, first 2 shown]
	v_and_b32_e32 v31, 0xffff, v31
	v_lshl_or_b32 v23, v25, 16, v23
	v_lshl_or_b32 v25, v26, 16, v27
	;; [unrolled: 1-line block ×5, first 2 shown]
	ds_store_2addr_b32 v14, v24, v23 offset1:1
	ds_store_2addr_b32 v16, v25, v21 offset1:1
	;; [unrolled: 1-line block ×3, first 2 shown]
	ds_store_b32 v86, v22
	s_cbranch_scc0 .LBB202_4
; %bb.6:                                ;   in Loop: Header=BB202_5 Depth=1
	v_add_nc_u32_e32 v20, s16, v55
	s_delay_alu instid0(VALU_DEP_1)
	v_cmp_gt_i32_e64 s1, s6, v20
	s_and_b32 s19, s0, s1
	s_wait_alu 0xfffe
	s_and_saveexec_b32 s1, s19
	s_cbranch_execz .LBB202_8
; %bb.7:                                ;   in Loop: Header=BB202_5 Depth=1
	v_add_nc_u32_e32 v20, v73, v20
	s_delay_alu instid0(VALU_DEP_1)
	v_mad_co_i64_i32 v[20:21], null, v20, 36, v[18:19]
	global_load_b32 v20, v[20:21], off offset:4
	s_wait_loadcnt 0x0
	ds_store_b32 v69, v20
.LBB202_8:                              ;   in Loop: Header=BB202_5 Depth=1
	s_wait_alu 0xfffe
	s_or_b32 exec_lo, exec_lo, s1
	v_add_nc_u32_e32 v20, s16, v39
	s_delay_alu instid0(VALU_DEP_1)
	v_cmp_gt_i32_e64 s1, s6, v20
	s_and_b32 s19, s8, s1
	s_wait_alu 0xfffe
	s_and_saveexec_b32 s1, s19
	s_cbranch_execz .LBB202_10
; %bb.9:                                ;   in Loop: Header=BB202_5 Depth=1
	v_add_nc_u32_e32 v21, v73, v20
	s_delay_alu instid0(VALU_DEP_1)
	v_mad_co_i64_i32 v[21:22], null, v21, 36, s[2:3]
	global_load_b32 v21, v[21:22], off
	s_wait_loadcnt 0x0
	v_cvt_f32_f16_e32 v21, v21
	ds_store_b32 v70, v21
.LBB202_10:                             ;   in Loop: Header=BB202_5 Depth=1
	s_wait_alu 0xfffe
	s_or_b32 exec_lo, exec_lo, s1
	v_dual_mov_b32 v21, v67 :: v_dual_mov_b32 v22, v71
	v_dual_mov_b32 v23, v68 :: v_dual_mov_b32 v24, v77
	;; [unrolled: 1-line block ×3, first 2 shown]
	v_mov_b32_e32 v27, v74
	s_mov_b32 s1, -4
	s_wait_dscnt 0x0
	s_barrier_signal -1
	s_barrier_wait -1
	global_inv scope:SCOPE_SE
.LBB202_11:                             ;   Parent Loop BB202_5 Depth=1
                                        ; =>  This Inner Loop Header: Depth=2
	ds_load_2addr_b32 v[28:29], v21 offset0:3 offset1:4
	ds_load_2addr_b32 v[30:31], v21 offset0:5 offset1:6
	ds_load_2addr_b32 v[32:33], v22 offset1:1
	ds_load_2addr_b32 v[34:35], v21 offset0:1 offset1:2
	ds_load_2addr_b32 v[36:37], v21 offset1:7
	ds_load_b32 v117, v23
	ds_load_2addr_b32 v[87:88], v22 offset0:2 offset1:3
	ds_load_2addr_b32 v[89:90], v22 offset0:4 offset1:5
	;; [unrolled: 1-line block ×3, first 2 shown]
	ds_load_b32 v118, v24
	ds_load_b32 v119, v25
	ds_load_b32 v120, v26
	ds_load_b32 v121, v27
	v_add_nc_u32_e32 v93, 0x2080, v22
	v_add_nc_u32_e32 v27, 4, v27
	;; [unrolled: 1-line block ×12, first 2 shown]
	s_wait_dscnt 0xc
	v_lshlrev_b32_e32 v122, 8, v29
	v_lshlrev_b32_e32 v129, 24, v29
	;; [unrolled: 1-line block ×3, first 2 shown]
	s_wait_dscnt 0x9
	v_lshlrev_b32_e32 v123, 8, v34
	s_wait_dscnt 0x3
	v_mul_f32_e32 v118, v117, v118
	v_add_nc_u32_e32 v95, 0x2088, v22
	s_wait_dscnt 0x2
	v_mul_f32_e32 v119, v117, v119
	v_add_nc_u32_e32 v97, 0x2090, v22
	ds_load_2addr_b32 v[93:94], v93 offset1:1
	ds_load_2addr_b32 v[95:96], v95 offset1:1
	;; [unrolled: 1-line block ×12, first 2 shown]
	v_lshlrev_b32_e32 v124, 8, v30
	v_lshlrev_b32_e32 v125, 8, v35
	;; [unrolled: 1-line block ×16, first 2 shown]
	v_perm_b32 v146, v130, v129, 0xc0c0703
	v_perm_b32 v147, v29, v122, 0x7030c0c
	v_dot4_i32_iu8 v32, v36, v32, 0 neg_lo:[1,1,0]
	v_lshlrev_b32_e32 v142, 16, v37
	v_perm_b32 v143, v30, v34, 0x7030c0c
	v_perm_b32 v144, v31, v35, 0xc0c0703
	;; [unrolled: 1-line block ×3, first 2 shown]
	s_wait_dscnt 0xb
	v_dot4_i32_iu8 v93, v36, v93, 0 neg_lo:[1,1,0]
	s_wait_dscnt 0x7
	v_dot4_i32_iu8 v101, v36, v101, 0 neg_lo:[1,1,0]
	v_perm_b32 v148, v132, v131, 0xc0c0703
	v_perm_b32 v34, v34, v123, 0x7030c0c
	;; [unrolled: 1-line block ×11, first 2 shown]
	s_wait_dscnt 0x3
	v_perm_b32 v130, v109, v130, 0xc0c0503
	v_perm_b32 v132, v134, v132, 0x7030c0c
	s_wait_dscnt 0x2
	v_perm_b32 v134, v112, v111, 0x5010c0c
	v_perm_b32 v154, v36, v110, 0xc0c0501
	;; [unrolled: 1-line block ×13, first 2 shown]
	s_wait_dscnt 0x1
	v_perm_b32 v110, v114, v113, 0xc0c0602
	s_wait_dscnt 0x0
	v_perm_b32 v112, v116, v115, 0x6020c0c
	v_perm_b32 v123, v126, v125, 0xc0c0703
	;; [unrolled: 1-line block ×12, first 2 shown]
	v_or_b32_e32 v136, v147, v146
	v_or_b32_e32 v34, v34, v148
	;; [unrolled: 1-line block ×3, first 2 shown]
	v_perm_b32 v116, v142, v140, 0x7030c0c
	v_or_b32_e32 v35, v35, v150
	v_dot4_i32_iu8 v32, v136, v33, v32 neg_lo:[1,1,0]
	v_dot4_i32_iu8 v33, v136, v94, v93 neg_lo:[1,1,0]
	v_dot4_i32_iu8 v93, v136, v102, v101 neg_lo:[1,1,0]
	v_or_b32_e32 v130, v132, v130
	v_or_b32_e32 v132, v134, v154
	v_dot4_i32_iu8 v32, v34, v87, v32 neg_lo:[1,1,0]
	v_dot4_i32_iu8 v33, v34, v95, v33 neg_lo:[1,1,0]
	v_dot4_i32_iu8 v34, v34, v103, v93 neg_lo:[1,1,0]
	v_or_b32_e32 v134, v155, v156
	;; [unrolled: 5-line block ×3, first 2 shown]
	v_or_b32_e32 v31, v31, v151
	v_or_b32_e32 v129, v131, v129
	;; [unrolled: 1-line block ×9, first 2 shown]
	v_dot4_i32_iu8 v101, v130, v132, 0 neg_lo:[1,1,0]
	v_dot4_i32_iu8 v29, v29, v134, 0 neg_lo:[1,1,0]
	;; [unrolled: 1-line block ×5, first 2 shown]
	v_perm_b32 v153, v142, v141, 0xc0c0703
	v_or_b32_e32 v28, v28, v152
	v_or_b32_e32 v110, v112, v110
	;; [unrolled: 1-line block ×4, first 2 shown]
	v_dot4_i32_iu8 v36, v109, v36, 0 neg_lo:[1,1,0]
	v_dot4_i32_iu8 v34, v129, v131, 0 neg_lo:[1,1,0]
	;; [unrolled: 1-line block ×7, first 2 shown]
	v_or_b32_e32 v37, v37, v153
	v_dot4_i32_iu8 v36, v111, v110, v36 neg_lo:[1,1,0]
	v_dot4_i32_iu8 v31, v122, v112, v34 neg_lo:[1,1,0]
	v_add_nc_u32_e32 v29, v35, v29
	v_dot4_i32_iu8 v32, v28, v91, v32 neg_lo:[1,1,0]
	v_dot4_i32_iu8 v33, v28, v99, v33 neg_lo:[1,1,0]
	;; [unrolled: 1-line block ×3, first 2 shown]
	v_add_nc_u32_e32 v24, 4, v24
	v_add3_u32 v29, v31, v36, v29
	v_dot4_i32_iu8 v31, v37, v92, v32 neg_lo:[1,1,0]
	v_dot4_i32_iu8 v32, v37, v100, v33 neg_lo:[1,1,0]
	;; [unrolled: 1-line block ×3, first 2 shown]
	v_mul_f32_e32 v30, v117, v120
	v_mul_f32_e32 v33, v117, v121
	v_cvt_f32_i32_e32 v29, v29
	v_cvt_f32_i32_e32 v31, v31
	;; [unrolled: 1-line block ×4, first 2 shown]
	v_add_nc_u32_e32 v25, 4, v25
	v_add_nc_u32_e32 v23, 4, v23
	v_dual_fmac_f32 v15, v33, v29 :: v_dual_add_nc_u32 v22, 32, v22
	v_dual_fmac_f32 v40, v118, v31 :: v_dual_add_nc_u32 v21, 32, v21
	v_fmac_f32_e32 v66, v119, v32
	v_fmac_f32_e32 v62, v30, v28
	s_wait_alu 0xfffe
	s_add_co_i32 s1, s1, 4
	s_wait_alu 0xfffe
	s_cmp_lt_u32 s1, 12
	s_cbranch_scc1 .LBB202_11
; %bb.12:                               ;   in Loop: Header=BB202_5 Depth=1
	s_bitset1_b32 s18, 7
	s_wait_loadcnt 0x0
	s_wait_alu 0xfffe
	s_cmp_ge_i32 s18, s5
	s_barrier_signal -1
	s_barrier_wait -1
	global_inv scope:SCOPE_SE
	s_cbranch_scc1 .LBB202_4
; %bb.13:                               ;   in Loop: Header=BB202_5 Depth=1
	v_add_nc_u32_e32 v21, s16, v72
	s_delay_alu instid0(VALU_DEP_1)
	v_cmp_gt_i32_e64 s1, s6, v21
	s_and_b32 s18, s0, s1
	s_wait_alu 0xfffe
	s_and_saveexec_b32 s1, s18
	s_cbranch_execz .LBB202_15
; %bb.14:                               ;   in Loop: Header=BB202_5 Depth=1
	v_add_nc_u32_e32 v21, v73, v21
	s_delay_alu instid0(VALU_DEP_1)
	v_mad_co_i64_i32 v[21:22], null, v21, 36, v[18:19]
	global_load_b32 v21, v[21:22], off offset:4
	s_wait_loadcnt 0x0
	ds_store_b32 v69, v21
.LBB202_15:                             ;   in Loop: Header=BB202_5 Depth=1
	s_wait_alu 0xfffe
	s_or_b32 exec_lo, exec_lo, s1
	s_and_saveexec_b32 s18, vcc_lo
	s_cbranch_execz .LBB202_18
; %bb.16:                               ;   in Loop: Header=BB202_5 Depth=1
	v_or_b32_e32 v21, 4, v20
	s_delay_alu instid0(VALU_DEP_1)
	v_cmp_gt_i32_e64 s1, s6, v21
	s_and_b32 s1, s0, s1
	s_wait_alu 0xfffe
	s_and_b32 exec_lo, exec_lo, s1
	s_cbranch_execz .LBB202_18
; %bb.17:                               ;   in Loop: Header=BB202_5 Depth=1
	v_ashrrev_i32_e32 v21, 31, v20
	v_add_co_u32 v20, s1, v73, v20
	s_wait_alu 0xf1ff
	s_delay_alu instid0(VALU_DEP_2) | instskip(NEXT) | instid1(VALU_DEP_2)
	v_add_co_ci_u32_e64 v22, null, v0, v21, s1
	v_mad_co_u64_u32 v[20:21], null, v20, 36, s[2:3]
	s_delay_alu instid0(VALU_DEP_1)
	v_mad_i32_i24 v21, v22, 36, v21
	global_load_b32 v20, v[20:21], off offset:144
	s_wait_loadcnt 0x0
	v_cvt_f32_f16_e32 v20, v20
	ds_store_b32 v70, v20
.LBB202_18:                             ;   in Loop: Header=BB202_5 Depth=1
	s_wait_alu 0xfffe
	s_or_b32 exec_lo, exec_lo, s18
	v_dual_mov_b32 v20, v68 :: v_dual_mov_b32 v21, v67
	v_dual_mov_b32 v22, v82 :: v_dual_mov_b32 v23, v81
	;; [unrolled: 1-line block ×3, first 2 shown]
	v_mov_b32_e32 v26, v78
	s_mov_b32 s1, 12
	s_wait_loadcnt_dscnt 0x0
	s_barrier_signal -1
	s_barrier_wait -1
	global_inv scope:SCOPE_SE
.LBB202_19:                             ;   Parent Loop BB202_5 Depth=1
                                        ; =>  This Inner Loop Header: Depth=2
	ds_load_2addr_b32 v[27:28], v21 offset1:7
	ds_load_2addr_b32 v[29:30], v21 offset0:3 offset1:4
	ds_load_2addr_b32 v[31:32], v21 offset0:5 offset1:6
	;; [unrolled: 1-line block ×3, first 2 shown]
	ds_load_b32 v37, v20
	ds_load_2addr_b32 v[35:36], v22 offset1:1
	ds_load_2addr_b32 v[87:88], v22 offset0:2 offset1:3
	ds_load_2addr_b32 v[89:90], v22 offset0:4 offset1:5
	;; [unrolled: 1-line block ×3, first 2 shown]
	ds_load_b32 v117, v23
	ds_load_b32 v118, v24
	ds_load_b32 v119, v25
	ds_load_b32 v120, v26
	v_add_nc_u32_e32 v25, 4, v25
	v_add_nc_u32_e32 v95, 0x2088, v22
	;; [unrolled: 1-line block ×12, first 2 shown]
	s_wait_dscnt 0xb
	v_lshlrev_b32_e32 v121, 8, v30
	v_lshlrev_b32_e32 v128, 24, v30
	v_lshlrev_b32_e32 v129, 16, v30
	s_wait_dscnt 0x9
	v_lshlrev_b32_e32 v122, 8, v33
	s_wait_dscnt 0x2
	v_dual_mul_f32 v118, v37, v118 :: v_dual_lshlrev_b32 v123, 8, v31
	v_add_nc_u32_e32 v93, 0x2080, v22
	v_lshlrev_b32_e32 v124, 8, v34
	v_lshlrev_b32_e32 v125, 8, v32
	ds_load_2addr_b32 v[93:94], v93 offset1:1
	ds_load_2addr_b32 v[95:96], v95 offset1:1
	;; [unrolled: 1-line block ×12, first 2 shown]
	v_lshlrev_b32_e32 v126, 8, v29
	v_lshlrev_b32_e32 v127, 8, v28
	;; [unrolled: 1-line block ×13, first 2 shown]
	v_perm_b32 v145, v129, v128, 0xc0c0703
	v_perm_b32 v146, v30, v121, 0x7030c0c
	v_dot4_i32_iu8 v35, v27, v35, 0 neg_lo:[1,1,0]
	v_lshlrev_b32_e32 v141, 16, v28
	v_perm_b32 v142, v31, v33, 0x7030c0c
	v_perm_b32 v143, v32, v34, 0xc0c0703
	;; [unrolled: 1-line block ×3, first 2 shown]
	s_wait_dscnt 0xb
	v_dot4_i32_iu8 v93, v27, v93, 0 neg_lo:[1,1,0]
	s_wait_dscnt 0x7
	v_dot4_i32_iu8 v101, v27, v101, 0 neg_lo:[1,1,0]
	v_perm_b32 v147, v131, v130, 0xc0c0703
	v_perm_b32 v33, v33, v122, 0x7030c0c
	;; [unrolled: 1-line block ×11, first 2 shown]
	s_wait_dscnt 0x3
	v_perm_b32 v129, v109, v129, 0xc0c0503
	v_perm_b32 v131, v133, v131, 0x7030c0c
	s_wait_dscnt 0x2
	v_perm_b32 v133, v112, v111, 0x5010c0c
	v_perm_b32 v153, v27, v110, 0xc0c0501
	;; [unrolled: 1-line block ×13, first 2 shown]
	s_wait_dscnt 0x1
	v_perm_b32 v110, v114, v113, 0xc0c0602
	s_wait_dscnt 0x0
	v_perm_b32 v112, v116, v115, 0x6020c0c
	v_perm_b32 v122, v125, v124, 0xc0c0703
	v_perm_b32 v123, v127, v126, 0x7030c0c
	v_perm_b32 v124, v114, v113, 0xc0c0400
	v_perm_b32 v125, v116, v115, 0x4000c0c
	v_perm_b32 v126, v136, v134, 0xc0c0703
	v_perm_b32 v127, v140, v138, 0x7030c0c
	v_perm_b32 v136, v114, v113, 0xc0c0703
	v_perm_b32 v138, v116, v115, 0x7030c0c
	v_perm_b32 v113, v114, v113, 0xc0c0501
	v_perm_b32 v114, v116, v115, 0x5010c0c
	v_perm_b32 v115, v137, v135, 0xc0c0703
	v_or_b32_e32 v135, v146, v145
	v_or_b32_e32 v33, v33, v147
	;; [unrolled: 1-line block ×3, first 2 shown]
	v_perm_b32 v116, v141, v139, 0x7030c0c
	v_or_b32_e32 v34, v34, v149
	v_dot4_i32_iu8 v35, v135, v36, v35 neg_lo:[1,1,0]
	v_dot4_i32_iu8 v36, v135, v94, v93 neg_lo:[1,1,0]
	v_dot4_i32_iu8 v93, v135, v102, v101 neg_lo:[1,1,0]
	v_or_b32_e32 v129, v131, v129
	v_or_b32_e32 v131, v133, v153
	v_dot4_i32_iu8 v35, v33, v87, v35 neg_lo:[1,1,0]
	v_dot4_i32_iu8 v36, v33, v95, v36 neg_lo:[1,1,0]
	v_dot4_i32_iu8 v33, v33, v103, v93 neg_lo:[1,1,0]
	v_or_b32_e32 v133, v154, v155
	;; [unrolled: 5-line block ×3, first 2 shown]
	v_or_b32_e32 v32, v32, v150
	v_or_b32_e32 v128, v130, v128
	;; [unrolled: 1-line block ×9, first 2 shown]
	v_dot4_i32_iu8 v101, v129, v131, 0 neg_lo:[1,1,0]
	v_dot4_i32_iu8 v30, v30, v133, 0 neg_lo:[1,1,0]
	;; [unrolled: 1-line block ×5, first 2 shown]
	v_perm_b32 v152, v141, v140, 0xc0c0703
	v_or_b32_e32 v29, v29, v151
	v_or_b32_e32 v110, v112, v110
	;; [unrolled: 1-line block ×4, first 2 shown]
	v_dot4_i32_iu8 v27, v109, v27, 0 neg_lo:[1,1,0]
	v_dot4_i32_iu8 v33, v128, v130, 0 neg_lo:[1,1,0]
	;; [unrolled: 1-line block ×7, first 2 shown]
	v_or_b32_e32 v28, v28, v152
	v_dot4_i32_iu8 v27, v111, v110, v27 neg_lo:[1,1,0]
	v_dot4_i32_iu8 v32, v121, v112, v33 neg_lo:[1,1,0]
	v_add_nc_u32_e32 v30, v34, v30
	v_dot4_i32_iu8 v33, v29, v91, v35 neg_lo:[1,1,0]
	v_dot4_i32_iu8 v34, v29, v99, v36 neg_lo:[1,1,0]
	;; [unrolled: 1-line block ×3, first 2 shown]
	v_dual_mul_f32 v117, v37, v117 :: v_dual_add_nc_u32 v26, 4, v26
	v_add3_u32 v27, v32, v27, v30
	v_dot4_i32_iu8 v30, v28, v92, v33 neg_lo:[1,1,0]
	v_dot4_i32_iu8 v32, v28, v100, v34 neg_lo:[1,1,0]
	;; [unrolled: 1-line block ×3, first 2 shown]
	v_dual_mul_f32 v31, v37, v119 :: v_dual_add_nc_u32 v24, 4, v24
	v_dual_mul_f32 v29, v37, v120 :: v_dual_add_nc_u32 v22, 32, v22
	v_cvt_f32_i32_e32 v27, v27
	v_cvt_f32_i32_e32 v30, v30
	v_cvt_f32_i32_e32 v32, v32
	v_cvt_f32_i32_e32 v28, v28
	v_add_nc_u32_e32 v23, 4, v23
	v_add_nc_u32_e32 v21, 32, v21
	v_dual_fmac_f32 v15, v29, v27 :: v_dual_add_nc_u32 v20, 4, v20
	v_fmac_f32_e32 v40, v117, v30
	v_fmac_f32_e32 v66, v118, v32
	;; [unrolled: 1-line block ×3, first 2 shown]
	s_wait_alu 0xfffe
	s_add_co_i32 s1, s1, 4
	s_wait_alu 0xfffe
	s_cmp_lt_u32 s1, 28
	s_cbranch_scc1 .LBB202_19
; %bb.20:                               ;   in Loop: Header=BB202_5 Depth=1
	s_wait_loadcnt 0x0
	s_barrier_signal -1
	s_barrier_wait -1
	global_inv scope:SCOPE_SE
	s_branch .LBB202_4
.LBB202_21:
	s_mul_i32 s0, s10, s7
	s_wait_loadcnt 0x0
	s_wait_alu 0xfffe
	v_cmp_gt_i32_e32 vcc_lo, s0, v38
	s_and_saveexec_b32 s0, vcc_lo
	s_cbranch_execz .LBB202_30
; %bb.22:
	v_mul_lo_u32 v0, v38, s9
	v_add_nc_u32_e32 v1, s11, v39
	s_mov_b32 s0, exec_lo
	s_delay_alu instid0(VALU_DEP_1)
	v_cmpx_gt_u32_e64 s9, v1
	s_cbranch_execz .LBB202_24
; %bb.23:
	s_delay_alu instid0(VALU_DEP_3) | instskip(SKIP_1) | instid1(VALU_DEP_2)
	v_dual_mov_b32 v3, 0 :: v_dual_add_nc_u32 v2, v0, v1
	v_cvt_f16_f32_e32 v4, v40
	v_lshlrev_b64_e32 v[2:3], 1, v[2:3]
	s_delay_alu instid0(VALU_DEP_1) | instskip(SKIP_1) | instid1(VALU_DEP_2)
	v_add_co_u32 v2, vcc_lo, s12, v2
	s_wait_alu 0xfffd
	v_add_co_ci_u32_e64 v3, null, s13, v3, vcc_lo
	global_store_b16 v[2:3], v4, off
.LBB202_24:
	s_wait_alu 0xfffe
	s_or_b32 exec_lo, exec_lo, s0
	v_add_nc_u32_e32 v2, 32, v1
	s_mov_b32 s0, exec_lo
	s_delay_alu instid0(VALU_DEP_1)
	v_cmpx_gt_u32_e64 s9, v2
	s_cbranch_execz .LBB202_26
; %bb.25:
	v_dual_mov_b32 v3, 0 :: v_dual_add_nc_u32 v2, v0, v2
	v_cvt_f16_f32_e32 v4, v66
	s_delay_alu instid0(VALU_DEP_2) | instskip(NEXT) | instid1(VALU_DEP_1)
	v_lshlrev_b64_e32 v[2:3], 1, v[2:3]
	v_add_co_u32 v2, vcc_lo, s12, v2
	s_wait_alu 0xfffd
	s_delay_alu instid0(VALU_DEP_2)
	v_add_co_ci_u32_e64 v3, null, s13, v3, vcc_lo
	global_store_b16 v[2:3], v4, off
.LBB202_26:
	s_wait_alu 0xfffe
	s_or_b32 exec_lo, exec_lo, s0
	v_add_nc_u32_e32 v2, 64, v1
	s_mov_b32 s0, exec_lo
	s_delay_alu instid0(VALU_DEP_1)
	v_cmpx_gt_u32_e64 s9, v2
	s_cbranch_execz .LBB202_28
; %bb.27:
	v_dual_mov_b32 v3, 0 :: v_dual_add_nc_u32 v2, v0, v2
	v_cvt_f16_f32_e32 v4, v62
	s_delay_alu instid0(VALU_DEP_2) | instskip(NEXT) | instid1(VALU_DEP_1)
	v_lshlrev_b64_e32 v[2:3], 1, v[2:3]
	v_add_co_u32 v2, vcc_lo, s12, v2
	s_wait_alu 0xfffd
	s_delay_alu instid0(VALU_DEP_2)
	v_add_co_ci_u32_e64 v3, null, s13, v3, vcc_lo
	global_store_b16 v[2:3], v4, off
.LBB202_28:
	s_wait_alu 0xfffe
	s_or_b32 exec_lo, exec_lo, s0
	v_add_nc_u32_e32 v1, 0x60, v1
	s_delay_alu instid0(VALU_DEP_1)
	v_cmp_gt_u32_e32 vcc_lo, s9, v1
	s_and_b32 exec_lo, exec_lo, vcc_lo
	s_cbranch_execz .LBB202_30
; %bb.29:
	v_dual_mov_b32 v1, 0 :: v_dual_add_nc_u32 v0, v0, v1
	v_cvt_f16_f32_e32 v2, v15
	s_delay_alu instid0(VALU_DEP_2) | instskip(NEXT) | instid1(VALU_DEP_1)
	v_lshlrev_b64_e32 v[0:1], 1, v[0:1]
	v_add_co_u32 v0, vcc_lo, s12, v0
	s_wait_alu 0xfffd
	s_delay_alu instid0(VALU_DEP_2)
	v_add_co_ci_u32_e64 v1, null, s13, v1, vcc_lo
	global_store_b16 v[0:1], v2, off
.LBB202_30:
	s_nop 0
	s_sendmsg sendmsg(MSG_DEALLOC_VGPRS)
	s_endpgm
	.section	.rodata,"a",@progbits
	.p2align	6, 0x0
	.amdhsa_kernel _ZL8moe_q5_0IN3c104HalfELb1EEvPKvS3_PT_PKiS7_S7_iiiiiii
		.amdhsa_group_segment_fixed_size 38656
		.amdhsa_private_segment_fixed_size 0
		.amdhsa_kernarg_size 76
		.amdhsa_user_sgpr_count 2
		.amdhsa_user_sgpr_dispatch_ptr 0
		.amdhsa_user_sgpr_queue_ptr 0
		.amdhsa_user_sgpr_kernarg_segment_ptr 1
		.amdhsa_user_sgpr_dispatch_id 0
		.amdhsa_user_sgpr_private_segment_size 0
		.amdhsa_wavefront_size32 1
		.amdhsa_uses_dynamic_stack 0
		.amdhsa_enable_private_segment 0
		.amdhsa_system_sgpr_workgroup_id_x 1
		.amdhsa_system_sgpr_workgroup_id_y 1
		.amdhsa_system_sgpr_workgroup_id_z 0
		.amdhsa_system_sgpr_workgroup_info 0
		.amdhsa_system_vgpr_workitem_id 1
		.amdhsa_next_free_vgpr 217
		.amdhsa_next_free_sgpr 21
		.amdhsa_reserve_vcc 1
		.amdhsa_float_round_mode_32 0
		.amdhsa_float_round_mode_16_64 0
		.amdhsa_float_denorm_mode_32 3
		.amdhsa_float_denorm_mode_16_64 3
		.amdhsa_fp16_overflow 0
		.amdhsa_workgroup_processor_mode 1
		.amdhsa_memory_ordered 1
		.amdhsa_forward_progress 1
		.amdhsa_inst_pref_size 99
		.amdhsa_round_robin_scheduling 0
		.amdhsa_exception_fp_ieee_invalid_op 0
		.amdhsa_exception_fp_denorm_src 0
		.amdhsa_exception_fp_ieee_div_zero 0
		.amdhsa_exception_fp_ieee_overflow 0
		.amdhsa_exception_fp_ieee_underflow 0
		.amdhsa_exception_fp_ieee_inexact 0
		.amdhsa_exception_int_div_zero 0
	.end_amdhsa_kernel
	.section	.text._ZL8moe_q5_0IN3c104HalfELb1EEvPKvS3_PT_PKiS7_S7_iiiiiii,"axG",@progbits,_ZL8moe_q5_0IN3c104HalfELb1EEvPKvS3_PT_PKiS7_S7_iiiiiii,comdat
.Lfunc_end202:
	.size	_ZL8moe_q5_0IN3c104HalfELb1EEvPKvS3_PT_PKiS7_S7_iiiiiii, .Lfunc_end202-_ZL8moe_q5_0IN3c104HalfELb1EEvPKvS3_PT_PKiS7_S7_iiiiiii
                                        ; -- End function
	.set _ZL8moe_q5_0IN3c104HalfELb1EEvPKvS3_PT_PKiS7_S7_iiiiiii.num_vgpr, 158
	.set _ZL8moe_q5_0IN3c104HalfELb1EEvPKvS3_PT_PKiS7_S7_iiiiiii.num_agpr, 0
	.set _ZL8moe_q5_0IN3c104HalfELb1EEvPKvS3_PT_PKiS7_S7_iiiiiii.numbered_sgpr, 21
	.set _ZL8moe_q5_0IN3c104HalfELb1EEvPKvS3_PT_PKiS7_S7_iiiiiii.num_named_barrier, 0
	.set _ZL8moe_q5_0IN3c104HalfELb1EEvPKvS3_PT_PKiS7_S7_iiiiiii.private_seg_size, 0
	.set _ZL8moe_q5_0IN3c104HalfELb1EEvPKvS3_PT_PKiS7_S7_iiiiiii.uses_vcc, 1
	.set _ZL8moe_q5_0IN3c104HalfELb1EEvPKvS3_PT_PKiS7_S7_iiiiiii.uses_flat_scratch, 0
	.set _ZL8moe_q5_0IN3c104HalfELb1EEvPKvS3_PT_PKiS7_S7_iiiiiii.has_dyn_sized_stack, 0
	.set _ZL8moe_q5_0IN3c104HalfELb1EEvPKvS3_PT_PKiS7_S7_iiiiiii.has_recursion, 0
	.set _ZL8moe_q5_0IN3c104HalfELb1EEvPKvS3_PT_PKiS7_S7_iiiiiii.has_indirect_call, 0
	.section	.AMDGPU.csdata,"",@progbits
; Kernel info:
; codeLenInByte = 12664
; TotalNumSgprs: 23
; NumVgprs: 158
; ScratchSize: 0
; MemoryBound: 0
; FloatMode: 240
; IeeeMode: 1
; LDSByteSize: 38656 bytes/workgroup (compile time only)
; SGPRBlocks: 0
; VGPRBlocks: 27
; NumSGPRsForWavesPerEU: 23
; NumVGPRsForWavesPerEU: 217
; Occupancy: 6
; WaveLimiterHint : 1
; COMPUTE_PGM_RSRC2:SCRATCH_EN: 0
; COMPUTE_PGM_RSRC2:USER_SGPR: 2
; COMPUTE_PGM_RSRC2:TRAP_HANDLER: 0
; COMPUTE_PGM_RSRC2:TGID_X_EN: 1
; COMPUTE_PGM_RSRC2:TGID_Y_EN: 1
; COMPUTE_PGM_RSRC2:TGID_Z_EN: 0
; COMPUTE_PGM_RSRC2:TIDIG_COMP_CNT: 1
	.section	.text._ZL8moe_q5_1IN3c104HalfELb0EEvPKvS3_PT_PKiS7_S7_iiiiiii,"axG",@progbits,_ZL8moe_q5_1IN3c104HalfELb0EEvPKvS3_PT_PKiS7_S7_iiiiiii,comdat
	.globl	_ZL8moe_q5_1IN3c104HalfELb0EEvPKvS3_PT_PKiS7_S7_iiiiiii ; -- Begin function _ZL8moe_q5_1IN3c104HalfELb0EEvPKvS3_PT_PKiS7_S7_iiiiiii
	.p2align	8
	.type	_ZL8moe_q5_1IN3c104HalfELb0EEvPKvS3_PT_PKiS7_S7_iiiiiii,@function
_ZL8moe_q5_1IN3c104HalfELb0EEvPKvS3_PT_PKiS7_S7_iiiiiii: ; @_ZL8moe_q5_1IN3c104HalfELb0EEvPKvS3_PT_PKiS7_S7_iiiiiii
; %bb.0:
	s_load_b128 s[4:7], s[0:1], 0x18
	s_mov_b32 s2, ttmp7
	s_mov_b32 s3, 0
	s_delay_alu instid0(SALU_CYCLE_1)
	s_lshl_b64 s[2:3], s[2:3], 2
	s_wait_kmcnt 0x0
	s_add_nc_u64 s[2:3], s[6:7], s[2:3]
	s_load_b32 s12, s[2:3], 0x0
	s_wait_kmcnt 0x0
	s_cmp_gt_u32 s12, 0xff
	s_cbranch_scc1 .LBB203_30
; %bb.1:
	s_load_b64 s[2:3], s[0:1], 0x28
	s_wait_kmcnt 0x0
	s_load_b32 s3, s[2:3], 0x0
	s_lshl_b32 s2, ttmp7, 3
	s_wait_kmcnt 0x0
	s_cmp_gt_u32 s2, s3
	s_cbranch_scc1 .LBB203_30
; %bb.2:
	v_bfe_u32 v3, v0, 10, 10
	v_mov_b32_e32 v2, 0
	s_lshl_b32 s18, ttmp9, 7
	s_delay_alu instid0(VALU_DEP_2) | instskip(NEXT) | instid1(VALU_DEP_2)
	v_add_nc_u32_e32 v1, s2, v3
	v_dual_mov_b32 v43, v2 :: v_dual_and_b32 v6, 0x3ff, v0
	v_mov_b32_e32 v49, v2
	v_mov_b32_e32 v7, v2
	s_delay_alu instid0(VALU_DEP_4) | instskip(NEXT) | instid1(VALU_DEP_1)
	v_lshlrev_b64_e32 v[4:5], 2, v[1:2]
	v_add_co_u32 v4, vcc_lo, s4, v4
	s_delay_alu instid0(VALU_DEP_1)
	v_add_co_ci_u32_e64 v5, null, s5, v5, vcc_lo
	global_load_b32 v5, v[4:5], off
	s_clause 0x2
	s_load_b64 s[10:11], s[0:1], 0x30
	s_load_b64 s[8:9], s[0:1], 0x10
	s_load_b128 s[4:7], s[0:1], 0x3c
	s_wait_kmcnt 0x0
	s_cmp_lt_i32 s11, 32
	s_cbranch_scc1 .LBB203_21
; %bb.3:
	s_abs_i32 s17, s7
	s_wait_loadcnt 0x0
	v_sub_nc_u32_e32 v4, 0, v5
	s_cvt_f32_u32 s19, s17
	s_sub_co_i32 s20, 0, s17
	v_dual_mov_b32 v7, 0 :: v_dual_lshlrev_b32 v2, 3, v6
	s_delay_alu instid0(SALU_CYCLE_1)
	v_rcp_iflag_f32_e32 v32, s19
	v_max_i32_e32 v4, v5, v4
	v_bfe_u32 v11, v0, 3, 7
	s_ashr_i32 s13, s11, 31
	v_mad_u32_u24 v15, 0x104, v3, v2
	s_lshr_b32 s13, s13, 27
	s_mul_i32 s12, s12, s10
	v_lshl_add_u32 v2, v3, 2, v11
	s_add_co_i32 s15, s11, s13
	v_and_b32_e32 v10, 7, v0
	v_readfirstlane_b32 s19, v32
	s_ashr_i32 s10, s15, 5
	v_and_b32_e32 v42, 0x1ffc, v2
	v_mul_lo_u32 v38, s10, v2
	v_lshlrev_b32_e32 v49, 5, v2
	s_mul_f32 s19, s19, 0x4f7ffffe
	v_add_nc_u32_e32 v44, 32, v2
	v_add_nc_u32_e32 v48, 64, v2
	;; [unrolled: 1-line block ×3, first 2 shown]
	s_wait_alu 0xfffe
	s_cvt_u32_f32 s19, s19
	v_mul_lo_u32 v9, s10, v3
	v_and_b32_e32 v45, 0x3ffc, v44
	v_and_b32_e32 v46, 0x3ffc, v48
	s_wait_alu 0xfffe
	s_mul_i32 s20, s20, s19
	s_lshl_b32 s16, s10, 3
	s_mul_hi_u32 s20, s19, s20
	v_lshlrev_b32_e32 v68, 5, v44
	s_add_co_i32 s19, s19, s20
	v_add_nc_u32_e32 v12, s16, v9
	s_wait_alu 0xfffe
	v_mul_hi_u32 v50, v4, s19
	v_lshlrev_b32_e32 v71, 5, v48
	s_load_b128 s[0:3], s[0:1], 0x0
	v_xor_b32_e32 v53, s7, v5
	s_ashr_i32 s14, s5, 31
	v_add_nc_u32_e32 v57, 64, v6
	s_lshr_b32 s14, s14, 27
	v_add_nc_u32_e32 v58, 0x60, v6
	v_mul_lo_u32 v47, v50, s17
	v_add_nc_u32_e32 v51, 1, v50
	v_ashrrev_i32_e32 v55, 31, v53
	s_add_co_i32 s5, s5, s14
	s_mul_i32 s14, s10, s18
	s_ashr_i32 s13, s12, 31
	s_and_b32 s21, s15, 0xffffffe0
	s_ashr_i32 s15, s14, 31
	v_sub_nc_u32_e32 v4, v4, v47
	s_wait_alu 0xfffe
	s_ashr_i32 s5, s5, 5
	s_mul_u64 s[14:15], s[14:15], 24
	v_add_nc_u32_e32 v44, s21, v38
	v_and_b32_e32 v58, 0x1fc, v58
	v_cmp_le_u32_e32 vcc_lo, s17, v4
	v_lshlrev_b32_e32 v1, 2, v6
	v_subrev_nc_u32_e32 v52, s17, v4
	v_lshlrev_b32_e32 v43, 2, v10
	s_wait_kmcnt 0x0
	s_add_nc_u64 s[0:1], s[0:1], s[12:13]
	s_wait_alu 0xfffd
	v_dual_cndmask_b32 v50, v50, v51 :: v_dual_and_b32 v51, 0x3ffc, v2
	v_cndmask_b32_e32 v4, v4, v52, vcc_lo
	v_add3_u32 v67, v42, v43, 0x8200
	v_add3_u32 v69, v45, v43, 0x8200
	;; [unrolled: 1-line block ×4, first 2 shown]
	v_lshlrev_b32_e32 v2, 5, v2
	v_add_nc_u32_e32 v52, 1, v50
	v_add_nc_u32_e32 v68, v69, v68
	;; [unrolled: 1-line block ×3, first 2 shown]
	v_cmp_le_u32_e32 vcc_lo, s17, v4
	v_dual_mov_b32 v43, 0 :: v_dual_add_nc_u32 v70, v43, v2
	v_dual_mov_b32 v2, 0 :: v_dual_add_nc_u32 v13, s16, v12
	s_wait_alu 0xfffd
	v_dual_cndmask_b32 v4, v50, v52 :: v_dual_add_nc_u32 v19, 0x820, v15
	v_lshl_add_u32 v51, v3, 4, 0x9680
	s_delay_alu instid0(VALU_DEP_3)
	v_add_nc_u32_e32 v16, s16, v13
	v_and_b32_e32 v14, 12, v1
	v_lshl_add_u32 v50, v3, 7, 0x9280
	v_xor_b32_e32 v4, v4, v55
	v_and_b32_e32 v3, 28, v1
	v_add_nc_u32_e32 v17, s16, v16
	v_add_nc_u32_e32 v53, v51, v1
	;; [unrolled: 1-line block ×3, first 2 shown]
	v_sub_nc_u32_e32 v4, v4, v55
	s_add_nc_u64 s[12:13], s[0:1], s[14:15]
	v_add_nc_u32_e32 v18, s16, v17
	v_and_b32_e32 v57, 0x1fc, v57
	v_and_b32_e32 v59, 0x1fc, v1
	v_cmp_gt_i32_e64 s0, s4, v4
	s_wait_alu 0xfffe
	v_mul_lo_u32 v56, v4, s5
	v_add_nc_u32_e32 v23, s16, v18
	v_lshlrev_b32_e32 v4, 5, v6
	v_and_b32_e32 v60, 0xfc, v0
	v_bfe_u32 v8, v0, 2, 8
	v_add_nc_u32_e32 v46, s21, v44
	v_add_nc_u32_e32 v28, s16, v23
	v_and_b32_e32 v54, 31, v0
	v_add_co_u32 v0, s1, s2, v3
	v_add_nc_u32_e32 v3, v4, v58
	s_delay_alu instid0(VALU_DEP_4)
	v_add_nc_u32_e32 v32, s16, v28
	v_add_nc_u32_e32 v63, v4, v57
	;; [unrolled: 1-line block ×4, first 2 shown]
	v_cmp_gt_u32_e32 vcc_lo, 4, v6
	v_add_nc_u32_e32 v36, s16, v32
	v_lshrrev_b32_e32 v55, 3, v1
	v_add_co_ci_u32_e64 v1, null, s3, 0, s1
	s_movk_i32 s1, 0x80
	v_add_nc_u32_e32 v39, s16, v36
	v_add_nc_u32_e32 v20, 0x1040, v15
	;; [unrolled: 1-line block ×19, first 2 shown]
	v_lshl_or_b32 v52, v54, 2, v50
	v_add_nc_u32_e32 v45, s16, v42
	v_mul_u32_u24_e32 v54, 0x104, v6
	v_ashrrev_i32_e32 v57, 31, v56
	v_add_nc_u32_e32 v58, 0x8e00, v3
	v_add_nc_u32_e32 v59, 0x8a00, v63
	;; [unrolled: 1-line block ×9, first 2 shown]
	s_wait_alu 0xfffe
	v_mad_u32_u24 v66, 0x104, v6, s1
	v_add_nc_u32_e32 v67, v67, v49
	v_mov_b32_e32 v49, 0
	s_mov_b32 s15, 0
	s_and_b32 s19, vcc_lo, s0
	s_mov_b32 s14, s15
	s_branch .LBB203_5
.LBB203_4:                              ;   in Loop: Header=BB203_5 Depth=1
	s_add_co_i32 s14, s14, 8
	s_wait_alu 0xfffe
	s_cmp_ge_i32 s14, s10
	s_cbranch_scc1 .LBB203_21
.LBB203_5:                              ; =>This Loop Header: Depth=1
                                        ;     Child Loop BB203_11 Depth 2
                                        ;     Child Loop BB203_19 Depth 2
	s_mul_u64 s[16:17], s[14:15], 24
	s_wait_alu 0xfffe
	s_add_nc_u64 s[16:17], s[12:13], s[16:17]
	s_wait_alu 0xfffe
	v_mad_co_u64_u32 v[3:4], null, v8, 24, s[16:17]
	s_delay_alu instid0(VALU_DEP_1) | instskip(SKIP_3) | instid1(VALU_DEP_4)
	v_mad_co_u64_u32 v[71:72], null, v9, 24, v[3:4]
	v_mad_co_u64_u32 v[73:74], null, v12, 24, v[3:4]
	;; [unrolled: 1-line block ×4, first 2 shown]
	v_add_co_u32 v79, s1, v71, v14
	v_mad_co_u64_u32 v[85:86], null, v17, 24, v[3:4]
	s_wait_alu 0xf1ff
	v_add_co_ci_u32_e64 v80, null, 0, v72, s1
	v_add_co_u32 v81, s1, v73, v14
	v_mad_co_u64_u32 v[89:90], null, v18, 24, v[3:4]
	s_wait_alu 0xf1ff
	v_add_co_ci_u32_e64 v82, null, 0, v74, s1
	;; [unrolled: 4-line block ×4, first 2 shown]
	v_add_co_u32 v91, s1, v85, v14
	s_wait_alu 0xf1ff
	v_add_co_ci_u32_e64 v92, null, 0, v86, s1
	v_add_co_u32 v97, s1, v89, v14
	s_wait_alu 0xf1ff
	v_add_co_ci_u32_e64 v98, null, 0, v90, s1
	;; [unrolled: 3-line block ×4, first 2 shown]
	s_clause 0xf
	global_load_b32 v103, v[79:80], off offset:8
	global_load_b32 v104, v[81:82], off offset:8
	global_load_b32 v83, v[83:84], off offset:8
	global_load_b32 v84, v[87:88], off offset:8
	global_load_b32 v87, v[77:78], off offset:4
	global_load_b32 v88, v[75:76], off offset:4
	global_load_b32 v105, v[73:74], off offset:4
	global_load_b32 v106, v[71:72], off offset:4
	global_load_b32 v91, v[91:92], off offset:8
	global_load_b32 v92, v[97:98], off offset:8
	global_load_b32 v97, v[99:100], off offset:8
	global_load_b32 v98, v[101:102], off offset:8
	global_load_b32 v95, v[95:96], off offset:4
	global_load_b32 v93, v[93:94], off offset:4
	global_load_b32 v89, v[89:90], off offset:4
	global_load_b32 v85, v[85:86], off offset:4
	v_mad_co_u64_u32 v[71:72], null, v32, 24, v[3:4]
	v_mad_co_u64_u32 v[73:74], null, v36, 24, v[3:4]
	;; [unrolled: 1-line block ×4, first 2 shown]
	s_delay_alu instid0(VALU_DEP_4)
	v_add_co_u32 v79, s1, v71, v14
	s_wait_alu 0xf1ff
	v_add_co_ci_u32_e64 v80, null, 0, v72, s1
	v_add_co_u32 v81, s1, v73, v14
	s_wait_alu 0xf1ff
	v_add_co_ci_u32_e64 v82, null, 0, v74, s1
	s_clause 0x5
	global_load_b32 v86, v[77:78], off offset:4
	global_load_b32 v90, v[75:76], off offset:4
	;; [unrolled: 1-line block ×6, first 2 shown]
	v_add_co_u32 v71, s1, v75, v14
	s_wait_alu 0xf1ff
	v_add_co_ci_u32_e64 v72, null, 0, v76, s1
	v_mad_co_u64_u32 v[75:76], null, v47, 24, v[3:4]
	v_mad_co_u64_u32 v[73:74], null, v42, 24, v[3:4]
	global_load_b32 v101, v[71:72], off offset:8
	v_add_co_u32 v71, s1, v77, v14
	s_wait_alu 0xf1ff
	v_add_co_ci_u32_e64 v72, null, 0, v78, s1
	v_mad_co_u64_u32 v[77:78], null, v10, 24, s[16:17]
	s_lshl_b32 s16, s14, 5
	global_load_b32 v102, v[71:72], off offset:8
	v_mad_co_u64_u32 v[71:72], null, v41, 24, v[3:4]
	v_mad_co_u64_u32 v[3:4], null, v45, 24, v[3:4]
	;; [unrolled: 1-line block ×3, first 2 shown]
	s_wait_alu 0xfffe
	s_cmp_lt_i32 s16, s11
	s_delay_alu instid0(VALU_DEP_3) | instskip(SKIP_1) | instid1(VALU_DEP_4)
	v_add_co_u32 v79, s1, v71, v14
	s_wait_alu 0xf1ff
	v_add_co_ci_u32_e64 v80, null, 0, v72, s1
	s_clause 0x4
	global_load_b32 v107, v[75:76], off offset:4
	global_load_b32 v108, v[3:4], off offset:4
	global_load_b32 v109, v[73:74], off offset:4
	global_load_b32 v110, v[71:72], off offset:4
	global_load_b32 v111, v[79:80], off offset:8
	v_add_co_u32 v73, s1, v73, v14
	s_wait_alu 0xf1ff
	v_add_co_ci_u32_e64 v74, null, 0, v74, s1
	v_add_co_u32 v3, s1, v3, v14
	v_mad_co_u64_u32 v[71:72], null, v38, 24, v[77:78]
	s_wait_alu 0xf1ff
	v_add_co_ci_u32_e64 v4, null, 0, v4, s1
	v_add_co_u32 v75, s1, v75, v14
	v_mad_co_u64_u32 v[79:80], null, v44, 24, v[77:78]
	s_wait_alu 0xf1ff
	v_add_co_ci_u32_e64 v76, null, 0, v76, s1
	v_mad_co_u64_u32 v[77:78], null, v48, 24, v[77:78]
	s_clause 0x6
	global_load_b32 v73, v[73:74], off offset:8
	global_load_b32 v3, v[3:4], off offset:8
	;; [unrolled: 1-line block ×3, first 2 shown]
	global_load_b32 v71, v[71:72], off
	global_load_b32 v72, v[79:80], off
	global_load_b32 v74, v[81:82], off
	global_load_b32 v75, v[77:78], off
	s_wait_loadcnt 0x23
	v_lshrrev_b32_e32 v78, 4, v103
	s_wait_loadcnt 0x22
	v_lshrrev_b32_e32 v81, 4, v104
	v_and_b32_e32 v77, 0xf0f0f0f, v103
	s_wait_loadcnt 0x20
	v_and_b32_e32 v103, 0xf0f0f0f, v84
	s_wait_loadcnt 0x1f
	v_ashrrev_i32_e32 v87, v14, v87
	s_wait_loadcnt 0x1e
	v_ashrrev_i32_e32 v82, v14, v88
	s_wait_loadcnt 0x1d
	v_ashrrev_i32_e32 v79, v14, v105
	s_wait_loadcnt 0x1c
	v_ashrrev_i32_e32 v76, v14, v106
	v_and_b32_e32 v88, 0xf0f0f0f, v83
	v_lshrrev_b32_e32 v83, 4, v83
	v_lshlrev_b32_e32 v129, 4, v82
	v_lshlrev_b32_e32 v122, 4, v79
	s_wait_loadcnt 0x17
	v_ashrrev_i32_e32 v95, v14, v95
	s_wait_loadcnt 0x16
	v_ashrrev_i32_e32 v93, v14, v93
	;; [unrolled: 2-line block ×4, first 2 shown]
	v_lshlrev_b32_e32 v115, 4, v76
	v_lshlrev_b32_e32 v116, 11, v76
	v_lshrrev_b32_e32 v119, 12, v76
	v_lshrrev_b32_e32 v120, 5, v76
	v_lshlrev_b32_e32 v123, 11, v79
	v_lshrrev_b32_e32 v126, 12, v79
	v_lshrrev_b32_e32 v127, 5, v79
	;; [unrolled: 3-line block ×3, first 2 shown]
	v_lshrrev_b32_e32 v84, 4, v84
	v_lshlrev_b32_e32 v136, 4, v87
	v_lshlrev_b32_e32 v137, 11, v87
	v_lshrrev_b32_e32 v140, 12, v87
	v_lshrrev_b32_e32 v141, 5, v87
	v_and_b32_e32 v80, 0xf0f0f0f, v104
	v_and_b32_e32 v104, 0xf0f0f0f, v91
	v_lshrrev_b32_e32 v91, 4, v91
	v_lshlrev_b32_e32 v143, 4, v85
	v_lshlrev_b32_e32 v144, 11, v85
	v_lshrrev_b32_e32 v147, 12, v85
	v_lshrrev_b32_e32 v148, 5, v85
	v_and_b32_e32 v105, 0xf0f0f0f, v92
	v_lshrrev_b32_e32 v92, 4, v92
	v_and_b32_e32 v106, 0xf0f0f0f, v97
	v_lshrrev_b32_e32 v97, 4, v97
	v_and_b32_e32 v112, 0xf0f0f0f, v98
	v_lshrrev_b32_e32 v98, 4, v98
	v_lshlrev_b32_e32 v117, 18, v76
	v_lshlrev_b32_e32 v118, 25, v76
	v_and_b32_e32 v78, 0xf0f0f0f, v78
	v_lshlrev_b32_e32 v121, 2, v76
	v_lshlrev_b32_e32 v76, 9, v76
	;; [unrolled: 1-line block ×4, first 2 shown]
	v_lshrrev_b32_e32 v154, 12, v89
	v_lshrrev_b32_e32 v155, 5, v89
	v_lshlrev_b32_e32 v157, 4, v93
	v_lshlrev_b32_e32 v158, 11, v93
	v_lshrrev_b32_e32 v161, 12, v93
	v_lshrrev_b32_e32 v162, 5, v93
	v_lshlrev_b32_e32 v164, 4, v95
	v_lshlrev_b32_e32 v165, 11, v95
	v_lshrrev_b32_e32 v168, 12, v95
	v_lshrrev_b32_e32 v169, 5, v95
	v_and_b32_e32 v115, 16, v115
	v_and_b32_e32 v116, 0x1000, v116
	v_and_b32_e32 v119, 16, v119
	v_and_b32_e32 v120, 0x1000, v120
	v_lshlrev_b32_e32 v124, 18, v79
	v_lshlrev_b32_e32 v125, 25, v79
	v_and_b32_e32 v81, 0xf0f0f0f, v81
	v_lshlrev_b32_e32 v128, 2, v79
	v_lshlrev_b32_e32 v79, 9, v79
	v_and_b32_e32 v122, 16, v122
	v_and_b32_e32 v123, 0x1000, v123
	v_and_b32_e32 v126, 16, v126
	v_and_b32_e32 v127, 0x1000, v127
	v_lshlrev_b32_e32 v131, 18, v82
	v_lshlrev_b32_e32 v132, 25, v82
	v_and_b32_e32 v83, 0xf0f0f0f, v83
	v_lshlrev_b32_e32 v135, 2, v82
	v_lshlrev_b32_e32 v82, 9, v82
	;; [unrolled: 9-line block ×5, first 2 shown]
	v_lshlrev_b32_e32 v159, 18, v93
	v_lshlrev_b32_e32 v160, 25, v93
	v_and_b32_e32 v97, 0xf0f0f0f, v97
	v_lshlrev_b32_e32 v163, 2, v93
	v_lshlrev_b32_e32 v93, 9, v93
	;; [unrolled: 1-line block ×4, first 2 shown]
	v_and_b32_e32 v98, 0xf0f0f0f, v98
	v_lshlrev_b32_e32 v170, 2, v95
	v_lshlrev_b32_e32 v95, 9, v95
	v_and_b32_e32 v117, 0x100000, v117
	v_and_b32_e32 v118, 0x10000000, v118
	;; [unrolled: 1-line block ×16, first 2 shown]
	v_or3_b32 v77, v115, v77, v116
	v_or3_b32 v78, v119, v78, v120
	v_and_b32_e32 v124, 0x100000, v124
	v_and_b32_e32 v125, 0x10000000, v125
	v_and_b32_e32 v128, 0x100000, v128
	v_and_b32_e32 v79, 0x10000000, v79
	v_or3_b32 v80, v122, v80, v123
	v_or3_b32 v81, v126, v81, v127
	v_and_b32_e32 v131, 0x100000, v131
	v_and_b32_e32 v132, 0x10000000, v132
	v_and_b32_e32 v135, 0x100000, v135
	v_and_b32_e32 v82, 0x10000000, v82
	;; [unrolled: 6-line block ×4, first 2 shown]
	v_or3_b32 v104, v143, v104, v144
	v_or3_b32 v91, v147, v91, v148
	s_wait_loadcnt 0x10
	v_ashrrev_i32_e32 v96, v14, v96
	v_ashrrev_i32_e32 v94, v14, v94
	v_and_b32_e32 v152, 0x100000, v152
	v_and_b32_e32 v153, 0x10000000, v153
	;; [unrolled: 1-line block ×12, first 2 shown]
	v_or3_b32 v105, v150, v105, v151
	v_or3_b32 v92, v154, v92, v155
	;; [unrolled: 1-line block ×16, first 2 shown]
	s_wait_loadcnt 0xf
	v_and_b32_e32 v113, 0xf0f0f0f, v99
	v_lshrrev_b32_e32 v99, 4, v99
	v_lshlrev_b32_e32 v171, 4, v96
	v_lshlrev_b32_e32 v172, 11, v96
	v_lshrrev_b32_e32 v175, 12, v96
	v_lshrrev_b32_e32 v176, 5, v96
	v_or3_b32 v87, v105, v152, v153
	v_or3_b32 v88, v92, v156, v89
	;; [unrolled: 1-line block ×6, first 2 shown]
	ds_store_2addr_b32 v15, v77, v76 offset1:1
	ds_store_2addr_b32 v19, v78, v79 offset1:1
	;; [unrolled: 1-line block ×8, first 2 shown]
	s_wait_loadcnt 0xe
	v_lshrrev_b32_e32 v80, 4, v100
	v_lshrrev_b32_e32 v81, 12, v94
	v_lshrrev_b32_e32 v82, 5, v94
	v_lshlrev_b32_e32 v173, 18, v96
	v_lshlrev_b32_e32 v174, 25, v96
	v_and_b32_e32 v99, 0xf0f0f0f, v99
	v_lshlrev_b32_e32 v177, 2, v96
	v_lshlrev_b32_e32 v96, 9, v96
	;; [unrolled: 1-line block ×4, first 2 shown]
	v_and_b32_e32 v171, 16, v171
	v_and_b32_e32 v172, 0x1000, v172
	;; [unrolled: 1-line block ×7, first 2 shown]
	v_ashrrev_i32_e32 v84, v14, v90
	v_and_b32_e32 v114, 0xf0f0f0f, v100
	v_and_b32_e32 v173, 0x100000, v173
	;; [unrolled: 1-line block ×7, first 2 shown]
	v_or3_b32 v113, v171, v113, v172
	v_or3_b32 v99, v175, v99, v176
	v_lshlrev_b32_e32 v78, 18, v94
	v_lshlrev_b32_e32 v83, 25, v94
	;; [unrolled: 1-line block ×4, first 2 shown]
	v_or3_b32 v80, v81, v80, v82
	v_lshlrev_b32_e32 v81, 4, v84
	v_lshlrev_b32_e32 v82, 11, v84
	v_or3_b32 v76, v113, v173, v174
	v_or3_b32 v77, v99, v177, v96
	;; [unrolled: 1-line block ×3, first 2 shown]
	v_and_b32_e32 v78, 0x100000, v78
	v_and_b32_e32 v83, 0x10000000, v83
	;; [unrolled: 1-line block ×4, first 2 shown]
	s_wait_loadcnt 0xd
	v_and_b32_e32 v88, 0xf0f0f0f, v101
	v_and_b32_e32 v81, 16, v81
	;; [unrolled: 1-line block ×3, first 2 shown]
	ds_store_2addr_b32 v27, v76, v77 offset1:1
	v_or3_b32 v76, v79, v78, v83
	v_or3_b32 v77, v80, v85, v87
	v_lshrrev_b32_e32 v80, 4, v101
	v_or3_b32 v79, v81, v88, v82
	v_lshrrev_b32_e32 v81, 12, v84
	v_lshrrev_b32_e32 v82, 5, v84
	v_ashrrev_i32_e32 v85, v14, v86
	v_and_b32_e32 v80, 0xf0f0f0f, v80
	v_lshlrev_b32_e32 v78, 18, v84
	v_and_b32_e32 v81, 16, v81
	v_and_b32_e32 v82, 0x1000, v82
	v_lshlrev_b32_e32 v83, 25, v84
	v_lshlrev_b32_e32 v86, 2, v84
	;; [unrolled: 1-line block ×3, first 2 shown]
	v_and_b32_e32 v78, 0x100000, v78
	v_or3_b32 v80, v81, v80, v82
	v_lshlrev_b32_e32 v81, 4, v85
	v_lshlrev_b32_e32 v82, 11, v85
	v_and_b32_e32 v83, 0x10000000, v83
	v_and_b32_e32 v86, 0x100000, v86
	;; [unrolled: 1-line block ×3, first 2 shown]
	s_wait_loadcnt 0xc
	v_and_b32_e32 v87, 0xf0f0f0f, v102
	v_and_b32_e32 v81, 16, v81
	;; [unrolled: 1-line block ×3, first 2 shown]
	ds_store_2addr_b32 v29, v76, v77 offset1:1
	v_or3_b32 v76, v79, v78, v83
	v_or3_b32 v77, v80, v86, v84
	v_lshrrev_b32_e32 v80, 4, v102
	v_or3_b32 v79, v81, v87, v82
	v_lshrrev_b32_e32 v81, 12, v85
	v_lshrrev_b32_e32 v82, 5, v85
	s_wait_loadcnt 0x8
	v_ashrrev_i32_e32 v84, v14, v110
	v_and_b32_e32 v80, 0xf0f0f0f, v80
	v_lshlrev_b32_e32 v78, 18, v85
	v_and_b32_e32 v81, 16, v81
	v_and_b32_e32 v82, 0x1000, v82
	v_lshlrev_b32_e32 v83, 25, v85
	v_lshlrev_b32_e32 v86, 2, v85
	;; [unrolled: 1-line block ×3, first 2 shown]
	v_and_b32_e32 v78, 0x100000, v78
	v_or3_b32 v80, v81, v80, v82
	v_lshlrev_b32_e32 v81, 4, v84
	v_lshlrev_b32_e32 v82, 11, v84
	v_and_b32_e32 v83, 0x10000000, v83
	v_and_b32_e32 v86, 0x100000, v86
	;; [unrolled: 1-line block ×3, first 2 shown]
	s_wait_loadcnt 0x7
	v_and_b32_e32 v87, 0xf0f0f0f, v111
	v_and_b32_e32 v81, 16, v81
	;; [unrolled: 1-line block ×3, first 2 shown]
	ds_store_2addr_b32 v30, v76, v77 offset1:1
	v_or3_b32 v76, v79, v78, v83
	v_or3_b32 v77, v80, v86, v85
	v_lshrrev_b32_e32 v80, 4, v111
	v_or3_b32 v79, v81, v87, v82
	v_lshrrev_b32_e32 v81, 12, v84
	v_lshrrev_b32_e32 v82, 5, v84
	v_ashrrev_i32_e32 v85, v14, v109
	v_and_b32_e32 v80, 0xf0f0f0f, v80
	v_lshlrev_b32_e32 v78, 18, v84
	v_and_b32_e32 v81, 16, v81
	v_and_b32_e32 v82, 0x1000, v82
	v_lshlrev_b32_e32 v83, 25, v84
	v_lshlrev_b32_e32 v86, 2, v84
	;; [unrolled: 1-line block ×3, first 2 shown]
	v_and_b32_e32 v78, 0x100000, v78
	v_or3_b32 v80, v81, v80, v82
	v_lshlrev_b32_e32 v81, 4, v85
	v_lshlrev_b32_e32 v82, 11, v85
	v_and_b32_e32 v83, 0x10000000, v83
	v_and_b32_e32 v86, 0x100000, v86
	;; [unrolled: 1-line block ×3, first 2 shown]
	s_wait_loadcnt 0x6
	v_and_b32_e32 v87, 0xf0f0f0f, v73
	v_and_b32_e32 v81, 16, v81
	;; [unrolled: 1-line block ×3, first 2 shown]
	v_lshlrev_b32_e32 v88, 18, v85
	v_lshlrev_b32_e32 v89, 25, v85
	v_or3_b32 v78, v79, v78, v83
	v_or3_b32 v79, v80, v86, v84
	;; [unrolled: 1-line block ×3, first 2 shown]
	v_and_b32_e32 v81, 0x100000, v88
	v_and_b32_e32 v82, 0x10000000, v89
	v_lshrrev_b32_e32 v83, 12, v85
	v_lshrrev_b32_e32 v84, 5, v85
	v_ashrrev_i32_e32 v86, v14, v108
	v_lshrrev_b32_e32 v73, 4, v73
	v_or3_b32 v80, v80, v81, v82
	v_and_b32_e32 v81, 16, v83
	v_and_b32_e32 v82, 0x1000, v84
	v_lshlrev_b32_e32 v83, 4, v86
	v_lshlrev_b32_e32 v84, 11, v86
	s_wait_loadcnt 0x5
	v_and_b32_e32 v88, 0xf0f0f0f, v3
	v_and_b32_e32 v73, 0xf0f0f0f, v73
	v_lshlrev_b32_e32 v87, 2, v85
	v_and_b32_e32 v83, 16, v83
	v_and_b32_e32 v84, 0x1000, v84
	v_lshlrev_b32_e32 v85, 9, v85
	v_or3_b32 v73, v81, v73, v82
	v_and_b32_e32 v81, 0x100000, v87
	v_lshrrev_b32_e32 v3, 4, v3
	v_or3_b32 v83, v83, v88, v84
	v_ashrrev_i32_e32 v88, v14, v107
	v_and_b32_e32 v82, 0x10000000, v85
	v_lshrrev_b32_e32 v85, 12, v86
	v_lshrrev_b32_e32 v87, 5, v86
	v_and_b32_e32 v3, 0xf0f0f0f, v3
	v_lshlrev_b32_e32 v90, 4, v88
	v_lshlrev_b32_e32 v91, 11, v88
	v_and_b32_e32 v85, 16, v85
	v_and_b32_e32 v87, 0x1000, v87
	s_wait_loadcnt 0x4
	v_and_b32_e32 v93, 0xf0f0f0f, v4
	v_and_b32_e32 v90, 16, v90
	;; [unrolled: 1-line block ×3, first 2 shown]
	v_lshlrev_b32_e32 v89, 18, v86
	v_lshlrev_b32_e32 v92, 2, v86
	v_or3_b32 v3, v85, v3, v87
	v_lshrrev_b32_e32 v4, 4, v4
	v_or3_b32 v87, v90, v93, v91
	v_lshrrev_b32_e32 v90, 12, v88
	v_lshrrev_b32_e32 v91, 5, v88
	v_and_b32_e32 v84, 0x100000, v89
	v_lshlrev_b32_e32 v89, 25, v86
	v_lshlrev_b32_e32 v86, 9, v86
	v_and_b32_e32 v85, 0x100000, v92
	v_lshlrev_b32_e32 v92, 18, v88
	v_lshlrev_b32_e32 v93, 25, v88
	v_and_b32_e32 v4, 0xf0f0f0f, v4
	v_and_b32_e32 v90, 16, v90
	;; [unrolled: 1-line block ×3, first 2 shown]
	v_lshlrev_b32_e32 v94, 2, v88
	v_lshlrev_b32_e32 v88, 9, v88
	v_and_b32_e32 v89, 0x10000000, v89
	v_and_b32_e32 v86, 0x10000000, v86
	;; [unrolled: 1-line block ×4, first 2 shown]
	v_or3_b32 v4, v90, v4, v91
	v_and_b32_e32 v90, 0x100000, v94
	v_and_b32_e32 v88, 0x10000000, v88
	v_or3_b32 v73, v73, v81, v82
	v_or3_b32 v81, v83, v84, v89
	;; [unrolled: 1-line block ×5, first 2 shown]
	ds_store_2addr_b32 v31, v76, v77 offset1:1
	ds_store_2addr_b32 v33, v78, v79 offset1:1
	;; [unrolled: 1-line block ×5, first 2 shown]
	s_wait_loadcnt 0x3
	ds_store_b32 v67, v71
	s_wait_loadcnt 0x2
	ds_store_b32 v68, v72
	;; [unrolled: 2-line block ×4, first 2 shown]
	s_cbranch_scc0 .LBB203_4
; %bb.6:                                ;   in Loop: Header=BB203_5 Depth=1
	v_add_nc_u32_e32 v3, s14, v11
	s_delay_alu instid0(VALU_DEP_1)
	v_cmp_gt_i32_e64 s1, s5, v3
	s_and_b32 s17, s0, s1
	s_wait_alu 0xfffe
	s_and_saveexec_b32 s1, s17
	s_cbranch_execz .LBB203_8
; %bb.7:                                ;   in Loop: Header=BB203_5 Depth=1
	v_add_nc_u32_e32 v3, v56, v3
	s_delay_alu instid0(VALU_DEP_1)
	v_mad_co_i64_i32 v[3:4], null, v3, 36, v[0:1]
	global_load_b32 v3, v[3:4], off offset:4
	s_wait_loadcnt 0x0
	ds_store_b32 v52, v3
.LBB203_8:                              ;   in Loop: Header=BB203_5 Depth=1
	s_wait_alu 0xfffe
	s_or_b32 exec_lo, exec_lo, s1
	v_add_nc_u32_e32 v3, s14, v6
	s_delay_alu instid0(VALU_DEP_1)
	v_cmp_gt_i32_e64 s1, s5, v3
	s_and_b32 s17, s19, s1
	s_wait_alu 0xfffe
	s_and_saveexec_b32 s1, s17
	s_cbranch_execz .LBB203_10
; %bb.9:                                ;   in Loop: Header=BB203_5 Depth=1
	v_add_nc_u32_e32 v4, v56, v3
	s_delay_alu instid0(VALU_DEP_1)
	v_mad_co_i64_i32 v[71:72], null, v4, 36, s[2:3]
	global_load_b32 v4, v[71:72], off
	s_wait_loadcnt 0x0
	ds_store_b32 v53, v4
.LBB203_10:                             ;   in Loop: Header=BB203_5 Depth=1
	s_wait_alu 0xfffe
	s_or_b32 exec_lo, exec_lo, s1
	v_dual_mov_b32 v4, v50 :: v_dual_mov_b32 v71, v54
	v_dual_mov_b32 v72, v51 :: v_dual_mov_b32 v73, v61
	v_dual_mov_b32 v74, v60 :: v_dual_mov_b32 v75, v59
	v_mov_b32_e32 v76, v58
	s_mov_b32 s1, -4
	s_wait_dscnt 0x0
	s_barrier_signal -1
	s_barrier_wait -1
	global_inv scope:SCOPE_SE
.LBB203_11:                             ;   Parent Loop BB203_5 Depth=1
                                        ; =>  This Inner Loop Header: Depth=2
	v_add_nc_u32_e32 v93, 0x2080, v71
	v_add_nc_u32_e32 v95, 0x2088, v71
	;; [unrolled: 1-line block ×3, first 2 shown]
	ds_load_2addr_b32 v[77:78], v4 offset0:3 offset1:4
	ds_load_2addr_b32 v[79:80], v4 offset0:5 offset1:6
	ds_load_2addr_b32 v[81:82], v71 offset1:1
	ds_load_2addr_b32 v[83:84], v4 offset0:1 offset1:2
	ds_load_2addr_b32 v[85:86], v4 offset1:7
	ds_load_b32 v117, v72
	ds_load_2addr_b32 v[87:88], v71 offset0:2 offset1:3
	ds_load_2addr_b32 v[89:90], v71 offset0:4 offset1:5
	;; [unrolled: 1-line block ×3, first 2 shown]
	v_add_nc_u32_e32 v99, 0x2098, v71
	v_add_nc_u32_e32 v101, 0x4100, v71
	;; [unrolled: 1-line block ×9, first 2 shown]
	ds_load_b32 v118, v73
	ds_load_b32 v119, v74
	;; [unrolled: 1-line block ×4, first 2 shown]
	ds_load_2addr_b32 v[93:94], v93 offset1:1
	ds_load_2addr_b32 v[95:96], v95 offset1:1
	;; [unrolled: 1-line block ×12, first 2 shown]
	s_wait_dscnt 0x18
	v_lshlrev_b32_e32 v122, 8, v78
	v_lshlrev_b32_e32 v129, 24, v78
	;; [unrolled: 1-line block ×3, first 2 shown]
	s_wait_dscnt 0x15
	v_lshlrev_b32_e32 v123, 8, v83
	v_lshlrev_b32_e32 v124, 8, v79
	;; [unrolled: 1-line block ×5, first 2 shown]
	s_wait_dscnt 0x14
	v_lshlrev_b32_e32 v128, 8, v86
	v_lshlrev_b32_e32 v131, 24, v83
	;; [unrolled: 1-line block ×12, first 2 shown]
	v_perm_b32 v146, v130, v129, 0xc0c0703
	v_perm_b32 v147, v78, v122, 0x7030c0c
	v_dot4_i32_iu8 v81, v85, v81, 0 neg_lo:[1,1,0]
	v_lshlrev_b32_e32 v142, 16, v86
	v_perm_b32 v143, v79, v83, 0x7030c0c
	v_perm_b32 v144, v80, v84, 0xc0c0703
	;; [unrolled: 1-line block ×3, first 2 shown]
	s_wait_dscnt 0xb
	v_dot4_i32_iu8 v93, v85, v93, 0 neg_lo:[1,1,0]
	s_wait_dscnt 0x7
	v_dot4_i32_iu8 v101, v85, v101, 0 neg_lo:[1,1,0]
	v_perm_b32 v148, v132, v131, 0xc0c0703
	v_perm_b32 v83, v83, v123, 0x7030c0c
	;; [unrolled: 1-line block ×11, first 2 shown]
	s_wait_dscnt 0x3
	v_perm_b32 v130, v109, v130, 0xc0c0503
	v_perm_b32 v132, v134, v132, 0x7030c0c
	s_wait_dscnt 0x2
	v_perm_b32 v134, v112, v111, 0x5010c0c
	v_perm_b32 v154, v85, v110, 0xc0c0501
	;; [unrolled: 1-line block ×13, first 2 shown]
	s_wait_dscnt 0x1
	v_perm_b32 v110, v114, v113, 0xc0c0602
	s_wait_dscnt 0x0
	v_perm_b32 v112, v116, v115, 0x6020c0c
	v_perm_b32 v123, v126, v125, 0xc0c0703
	;; [unrolled: 1-line block ×12, first 2 shown]
	v_or_b32_e32 v136, v147, v146
	v_or_b32_e32 v83, v83, v148
	;; [unrolled: 1-line block ×3, first 2 shown]
	v_perm_b32 v116, v142, v140, 0x7030c0c
	v_or_b32_e32 v84, v84, v150
	v_dot4_i32_iu8 v81, v136, v82, v81 neg_lo:[1,1,0]
	v_dot4_i32_iu8 v82, v136, v94, v93 neg_lo:[1,1,0]
	v_dot4_i32_iu8 v93, v136, v102, v101 neg_lo:[1,1,0]
	v_or_b32_e32 v130, v132, v130
	v_or_b32_e32 v132, v134, v154
	v_dot4_i32_iu8 v81, v83, v87, v81 neg_lo:[1,1,0]
	v_dot4_i32_iu8 v82, v83, v95, v82 neg_lo:[1,1,0]
	v_dot4_i32_iu8 v83, v83, v103, v93 neg_lo:[1,1,0]
	v_or_b32_e32 v134, v155, v156
	;; [unrolled: 5-line block ×3, first 2 shown]
	v_or_b32_e32 v80, v80, v151
	v_or_b32_e32 v129, v131, v129
	;; [unrolled: 1-line block ×9, first 2 shown]
	v_dot4_i32_iu8 v101, v130, v132, 0 neg_lo:[1,1,0]
	v_dot4_i32_iu8 v78, v78, v134, 0 neg_lo:[1,1,0]
	;; [unrolled: 1-line block ×5, first 2 shown]
	v_perm_b32 v153, v142, v141, 0xc0c0703
	v_or_b32_e32 v77, v77, v152
	v_or_b32_e32 v110, v112, v110
	;; [unrolled: 1-line block ×4, first 2 shown]
	v_dot4_i32_iu8 v85, v109, v85, 0 neg_lo:[1,1,0]
	v_dot4_i32_iu8 v83, v129, v131, 0 neg_lo:[1,1,0]
	;; [unrolled: 1-line block ×7, first 2 shown]
	v_or_b32_e32 v86, v86, v153
	v_dot4_i32_iu8 v85, v111, v110, v85 neg_lo:[1,1,0]
	v_dot4_i32_iu8 v80, v122, v112, v83 neg_lo:[1,1,0]
	v_add_nc_u32_e32 v78, v84, v78
	v_dot4_i32_iu8 v81, v77, v91, v81 neg_lo:[1,1,0]
	v_dot4_i32_iu8 v82, v77, v99, v82 neg_lo:[1,1,0]
	;; [unrolled: 1-line block ×3, first 2 shown]
	v_pk_mul_f16 v118, v117, v118
	v_add3_u32 v78, v80, v85, v78
	v_dot4_i32_iu8 v80, v86, v92, v81 neg_lo:[1,1,0]
	v_dot4_i32_iu8 v81, v86, v100, v82 neg_lo:[1,1,0]
	;; [unrolled: 1-line block ×3, first 2 shown]
	v_pk_mul_f16 v119, v117, v119
	v_pk_mul_f16 v79, v117, v120
	v_pk_mul_f16 v82, v117, v121
	v_cvt_f32_i32_e32 v78, v78
	v_cvt_f32_i32_e32 v80, v80
	;; [unrolled: 1-line block ×4, first 2 shown]
	v_add_nc_u32_e32 v75, 4, v75
	v_fma_mix_f32 v78, v82, v78, v82 op_sel:[0,0,1] op_sel_hi:[1,0,1]
	v_fma_mix_f32 v80, v118, v80, v118 op_sel:[0,0,1] op_sel_hi:[1,0,1]
	;; [unrolled: 1-line block ×4, first 2 shown]
	v_add_nc_u32_e32 v76, 4, v76
	s_delay_alu instid0(VALU_DEP_4) | instskip(SKIP_1) | instid1(VALU_DEP_4)
	v_dual_add_f32 v7, v7, v80 :: v_dual_add_nc_u32 v74, 4, v74
	v_add_nc_u32_e32 v73, 4, v73
	v_dual_add_f32 v43, v43, v77 :: v_dual_add_nc_u32 v72, 4, v72
	v_add_nc_u32_e32 v71, 32, v71
	v_add_nc_u32_e32 v4, 32, v4
	v_dual_add_f32 v2, v2, v78 :: v_dual_add_f32 v49, v49, v81
	s_wait_alu 0xfffe
	s_add_co_i32 s1, s1, 4
	s_wait_alu 0xfffe
	s_cmp_lt_u32 s1, 12
	s_cbranch_scc1 .LBB203_11
; %bb.12:                               ;   in Loop: Header=BB203_5 Depth=1
	s_bitset1_b32 s16, 7
	s_wait_loadcnt 0x0
	s_wait_alu 0xfffe
	s_cmp_ge_i32 s16, s11
	s_barrier_signal -1
	s_barrier_wait -1
	global_inv scope:SCOPE_SE
	s_cbranch_scc1 .LBB203_4
; %bb.13:                               ;   in Loop: Header=BB203_5 Depth=1
	v_add_nc_u32_e32 v4, s14, v55
	s_delay_alu instid0(VALU_DEP_1)
	v_cmp_gt_i32_e64 s1, s5, v4
	s_and_b32 s16, s0, s1
	s_wait_alu 0xfffe
	s_and_saveexec_b32 s1, s16
	s_cbranch_execz .LBB203_15
; %bb.14:                               ;   in Loop: Header=BB203_5 Depth=1
	v_add_nc_u32_e32 v4, v56, v4
	s_delay_alu instid0(VALU_DEP_1)
	v_mad_co_i64_i32 v[71:72], null, v4, 36, v[0:1]
	global_load_b32 v4, v[71:72], off offset:4
	s_wait_loadcnt 0x0
	ds_store_b32 v52, v4
.LBB203_15:                             ;   in Loop: Header=BB203_5 Depth=1
	s_wait_alu 0xfffe
	s_or_b32 exec_lo, exec_lo, s1
	s_and_saveexec_b32 s16, vcc_lo
	s_cbranch_execz .LBB203_18
; %bb.16:                               ;   in Loop: Header=BB203_5 Depth=1
	v_or_b32_e32 v4, 4, v3
	s_delay_alu instid0(VALU_DEP_1)
	v_cmp_gt_i32_e64 s1, s5, v4
	s_and_b32 s1, s0, s1
	s_wait_alu 0xfffe
	s_and_b32 exec_lo, exec_lo, s1
	s_cbranch_execz .LBB203_18
; %bb.17:                               ;   in Loop: Header=BB203_5 Depth=1
	v_ashrrev_i32_e32 v4, 31, v3
	v_add_co_u32 v3, s1, v56, v3
	s_wait_alu 0xf1ff
	s_delay_alu instid0(VALU_DEP_2) | instskip(NEXT) | instid1(VALU_DEP_2)
	v_add_co_ci_u32_e64 v71, null, v57, v4, s1
	v_mad_co_u64_u32 v[3:4], null, v3, 36, s[2:3]
	s_delay_alu instid0(VALU_DEP_1)
	v_mad_i32_i24 v4, v71, 36, v4
	global_load_b32 v3, v[3:4], off offset:144
	s_wait_loadcnt 0x0
	ds_store_b32 v53, v3
.LBB203_18:                             ;   in Loop: Header=BB203_5 Depth=1
	s_wait_alu 0xfffe
	s_or_b32 exec_lo, exec_lo, s16
	v_dual_mov_b32 v3, v51 :: v_dual_mov_b32 v4, v50
	v_dual_mov_b32 v71, v66 :: v_dual_mov_b32 v72, v65
	;; [unrolled: 1-line block ×3, first 2 shown]
	v_mov_b32_e32 v75, v62
	s_mov_b32 s1, 12
	s_wait_loadcnt_dscnt 0x0
	s_barrier_signal -1
	s_barrier_wait -1
	global_inv scope:SCOPE_SE
.LBB203_19:                             ;   Parent Loop BB203_5 Depth=1
                                        ; =>  This Inner Loop Header: Depth=2
	v_add_nc_u32_e32 v92, 0x2080, v71
	v_add_nc_u32_e32 v94, 0x2088, v71
	ds_load_2addr_b32 v[76:77], v4 offset1:7
	ds_load_2addr_b32 v[78:79], v4 offset0:3 offset1:4
	ds_load_2addr_b32 v[80:81], v4 offset0:5 offset1:6
	;; [unrolled: 1-line block ×3, first 2 shown]
	ds_load_b32 v116, v3
	ds_load_2addr_b32 v[84:85], v71 offset1:1
	ds_load_2addr_b32 v[86:87], v71 offset0:2 offset1:3
	ds_load_2addr_b32 v[88:89], v71 offset0:4 offset1:5
	;; [unrolled: 1-line block ×3, first 2 shown]
	v_add_nc_u32_e32 v96, 0x2090, v71
	v_add_nc_u32_e32 v98, 0x2098, v71
	v_add_nc_u32_e32 v100, 0x4100, v71
	v_add_nc_u32_e32 v102, 0x4108, v71
	v_add_nc_u32_e32 v104, 0x4110, v71
	v_add_nc_u32_e32 v106, 0x4118, v71
	v_add_nc_u32_e32 v108, 0x6180, v71
	v_add_nc_u32_e32 v110, 0x6188, v71
	v_add_nc_u32_e32 v112, 0x6190, v71
	v_add_nc_u32_e32 v114, 0x6198, v71
	ds_load_b32 v117, v72
	ds_load_b32 v118, v73
	ds_load_b32 v119, v74
	ds_load_b32 v120, v75
	ds_load_2addr_b32 v[92:93], v92 offset1:1
	ds_load_2addr_b32 v[94:95], v94 offset1:1
	;; [unrolled: 1-line block ×12, first 2 shown]
	s_wait_dscnt 0x17
	v_lshlrev_b32_e32 v121, 8, v79
	v_lshlrev_b32_e32 v128, 24, v79
	;; [unrolled: 1-line block ×3, first 2 shown]
	s_wait_dscnt 0x15
	v_lshlrev_b32_e32 v122, 8, v82
	v_lshlrev_b32_e32 v123, 8, v80
	;; [unrolled: 1-line block ×17, first 2 shown]
	v_perm_b32 v145, v129, v128, 0xc0c0703
	v_perm_b32 v146, v79, v121, 0x7030c0c
	s_wait_dscnt 0x13
	v_dot4_i32_iu8 v84, v76, v84, 0 neg_lo:[1,1,0]
	v_lshlrev_b32_e32 v141, 16, v77
	v_perm_b32 v142, v80, v82, 0x7030c0c
	v_perm_b32 v143, v81, v83, 0xc0c0703
	;; [unrolled: 1-line block ×3, first 2 shown]
	s_wait_dscnt 0xb
	v_dot4_i32_iu8 v92, v76, v92, 0 neg_lo:[1,1,0]
	s_wait_dscnt 0x7
	v_dot4_i32_iu8 v100, v76, v100, 0 neg_lo:[1,1,0]
	v_perm_b32 v147, v131, v130, 0xc0c0703
	v_perm_b32 v82, v82, v122, 0x7030c0c
	;; [unrolled: 1-line block ×11, first 2 shown]
	s_wait_dscnt 0x3
	v_perm_b32 v129, v108, v129, 0xc0c0503
	v_perm_b32 v131, v133, v131, 0x7030c0c
	s_wait_dscnt 0x2
	v_perm_b32 v133, v111, v110, 0x5010c0c
	v_perm_b32 v153, v76, v109, 0xc0c0501
	;; [unrolled: 1-line block ×13, first 2 shown]
	s_wait_dscnt 0x1
	v_perm_b32 v109, v113, v112, 0xc0c0602
	s_wait_dscnt 0x0
	v_perm_b32 v111, v115, v114, 0x6020c0c
	v_perm_b32 v122, v125, v124, 0xc0c0703
	;; [unrolled: 1-line block ×12, first 2 shown]
	v_or_b32_e32 v135, v146, v145
	v_or_b32_e32 v82, v82, v147
	;; [unrolled: 1-line block ×3, first 2 shown]
	v_perm_b32 v115, v141, v139, 0x7030c0c
	v_or_b32_e32 v83, v83, v149
	v_dot4_i32_iu8 v84, v135, v85, v84 neg_lo:[1,1,0]
	v_dot4_i32_iu8 v85, v135, v93, v92 neg_lo:[1,1,0]
	v_dot4_i32_iu8 v92, v135, v101, v100 neg_lo:[1,1,0]
	v_or_b32_e32 v129, v131, v129
	v_or_b32_e32 v131, v133, v153
	v_dot4_i32_iu8 v84, v82, v86, v84 neg_lo:[1,1,0]
	v_dot4_i32_iu8 v85, v82, v94, v85 neg_lo:[1,1,0]
	v_dot4_i32_iu8 v82, v82, v102, v92 neg_lo:[1,1,0]
	v_or_b32_e32 v133, v154, v155
	;; [unrolled: 5-line block ×3, first 2 shown]
	v_or_b32_e32 v81, v81, v150
	v_or_b32_e32 v128, v130, v128
	;; [unrolled: 1-line block ×9, first 2 shown]
	v_dot4_i32_iu8 v100, v129, v131, 0 neg_lo:[1,1,0]
	v_dot4_i32_iu8 v79, v79, v133, 0 neg_lo:[1,1,0]
	;; [unrolled: 1-line block ×5, first 2 shown]
	v_perm_b32 v152, v141, v140, 0xc0c0703
	v_or_b32_e32 v78, v78, v151
	v_or_b32_e32 v109, v111, v109
	;; [unrolled: 1-line block ×4, first 2 shown]
	v_dot4_i32_iu8 v76, v108, v76, 0 neg_lo:[1,1,0]
	v_dot4_i32_iu8 v82, v128, v130, 0 neg_lo:[1,1,0]
	;; [unrolled: 1-line block ×7, first 2 shown]
	v_or_b32_e32 v77, v77, v152
	v_dot4_i32_iu8 v76, v110, v109, v76 neg_lo:[1,1,0]
	v_dot4_i32_iu8 v81, v121, v111, v82 neg_lo:[1,1,0]
	v_add_nc_u32_e32 v79, v83, v79
	v_dot4_i32_iu8 v82, v78, v90, v84 neg_lo:[1,1,0]
	v_dot4_i32_iu8 v83, v78, v98, v85 neg_lo:[1,1,0]
	;; [unrolled: 1-line block ×3, first 2 shown]
	v_pk_mul_f16 v117, v116, v117
	v_add3_u32 v76, v81, v76, v79
	v_dot4_i32_iu8 v79, v77, v91, v82 neg_lo:[1,1,0]
	v_dot4_i32_iu8 v81, v77, v99, v83 neg_lo:[1,1,0]
	;; [unrolled: 1-line block ×3, first 2 shown]
	v_pk_mul_f16 v118, v116, v118
	v_pk_mul_f16 v80, v116, v119
	;; [unrolled: 1-line block ×3, first 2 shown]
	v_cvt_f32_i32_e32 v76, v76
	v_cvt_f32_i32_e32 v79, v79
	;; [unrolled: 1-line block ×4, first 2 shown]
	v_add_nc_u32_e32 v73, 4, v73
	v_fma_mix_f32 v76, v78, v76, v78 op_sel:[0,0,1] op_sel_hi:[1,0,1]
	v_fma_mix_f32 v78, v117, v79, v117 op_sel:[0,0,1] op_sel_hi:[1,0,1]
	;; [unrolled: 1-line block ×4, first 2 shown]
	s_delay_alu instid0(VALU_DEP_4) | instskip(NEXT) | instid1(VALU_DEP_3)
	v_dual_add_f32 v2, v2, v76 :: v_dual_add_nc_u32 v75, 4, v75
	v_dual_add_f32 v49, v49, v79 :: v_dual_add_nc_u32 v74, 4, v74
	v_add_nc_u32_e32 v72, 4, v72
	v_add_nc_u32_e32 v71, 32, v71
	;; [unrolled: 1-line block ×4, first 2 shown]
	v_add_f32_e32 v7, v7, v78
	v_add_f32_e32 v43, v43, v77
	s_wait_alu 0xfffe
	s_add_co_i32 s1, s1, 4
	s_wait_alu 0xfffe
	s_cmp_lt_u32 s1, 28
	s_cbranch_scc1 .LBB203_19
; %bb.20:                               ;   in Loop: Header=BB203_5 Depth=1
	s_wait_loadcnt 0x0
	s_barrier_signal -1
	s_barrier_wait -1
	global_inv scope:SCOPE_SE
	s_branch .LBB203_4
.LBB203_21:
	s_mul_i32 s0, s7, s4
	s_wait_loadcnt 0x0
	s_wait_alu 0xfffe
	v_cmp_gt_i32_e32 vcc_lo, s0, v5
	s_and_saveexec_b32 s0, vcc_lo
	s_cbranch_execz .LBB203_30
; %bb.22:
	v_mul_lo_u32 v0, v5, s6
	v_add_nc_u32_e32 v1, s18, v6
	s_mov_b32 s0, exec_lo
	s_delay_alu instid0(VALU_DEP_1)
	v_cmpx_gt_u32_e64 s6, v1
	s_cbranch_execz .LBB203_24
; %bb.23:
	s_delay_alu instid0(VALU_DEP_3) | instskip(SKIP_1) | instid1(VALU_DEP_2)
	v_dual_mov_b32 v4, 0 :: v_dual_add_nc_u32 v3, v0, v1
	v_cvt_f16_f32_e32 v5, v7
	v_lshlrev_b64_e32 v[3:4], 1, v[3:4]
	s_delay_alu instid0(VALU_DEP_1) | instskip(SKIP_1) | instid1(VALU_DEP_2)
	v_add_co_u32 v3, vcc_lo, s8, v3
	s_wait_alu 0xfffd
	v_add_co_ci_u32_e64 v4, null, s9, v4, vcc_lo
	global_store_b16 v[3:4], v5, off
.LBB203_24:
	s_wait_alu 0xfffe
	s_or_b32 exec_lo, exec_lo, s0
	v_add_nc_u32_e32 v3, 32, v1
	s_mov_b32 s0, exec_lo
	s_delay_alu instid0(VALU_DEP_1)
	v_cmpx_gt_u32_e64 s6, v3
	s_cbranch_execz .LBB203_26
; %bb.25:
	v_dual_mov_b32 v4, 0 :: v_dual_add_nc_u32 v3, v0, v3
	v_cvt_f16_f32_e32 v5, v49
	s_delay_alu instid0(VALU_DEP_2) | instskip(NEXT) | instid1(VALU_DEP_1)
	v_lshlrev_b64_e32 v[3:4], 1, v[3:4]
	v_add_co_u32 v3, vcc_lo, s8, v3
	s_wait_alu 0xfffd
	s_delay_alu instid0(VALU_DEP_2)
	v_add_co_ci_u32_e64 v4, null, s9, v4, vcc_lo
	global_store_b16 v[3:4], v5, off
.LBB203_26:
	s_wait_alu 0xfffe
	s_or_b32 exec_lo, exec_lo, s0
	v_add_nc_u32_e32 v3, 64, v1
	s_mov_b32 s0, exec_lo
	s_delay_alu instid0(VALU_DEP_1)
	v_cmpx_gt_u32_e64 s6, v3
	s_cbranch_execz .LBB203_28
; %bb.27:
	v_dual_mov_b32 v4, 0 :: v_dual_add_nc_u32 v3, v0, v3
	v_cvt_f16_f32_e32 v5, v43
	s_delay_alu instid0(VALU_DEP_2) | instskip(NEXT) | instid1(VALU_DEP_1)
	v_lshlrev_b64_e32 v[3:4], 1, v[3:4]
	v_add_co_u32 v3, vcc_lo, s8, v3
	s_wait_alu 0xfffd
	s_delay_alu instid0(VALU_DEP_2)
	v_add_co_ci_u32_e64 v4, null, s9, v4, vcc_lo
	global_store_b16 v[3:4], v5, off
.LBB203_28:
	s_wait_alu 0xfffe
	s_or_b32 exec_lo, exec_lo, s0
	v_add_nc_u32_e32 v1, 0x60, v1
	s_delay_alu instid0(VALU_DEP_1)
	v_cmp_gt_u32_e32 vcc_lo, s6, v1
	s_and_b32 exec_lo, exec_lo, vcc_lo
	s_cbranch_execz .LBB203_30
; %bb.29:
	v_dual_mov_b32 v1, 0 :: v_dual_add_nc_u32 v0, v0, v1
	v_cvt_f16_f32_e32 v2, v2
	s_delay_alu instid0(VALU_DEP_2) | instskip(NEXT) | instid1(VALU_DEP_1)
	v_lshlrev_b64_e32 v[0:1], 1, v[0:1]
	v_add_co_u32 v0, vcc_lo, s8, v0
	s_wait_alu 0xfffd
	s_delay_alu instid0(VALU_DEP_2)
	v_add_co_ci_u32_e64 v1, null, s9, v1, vcc_lo
	global_store_b16 v[0:1], v2, off
.LBB203_30:
	s_nop 0
	s_sendmsg sendmsg(MSG_DEALLOC_VGPRS)
	s_endpgm
	.section	.rodata,"a",@progbits
	.p2align	6, 0x0
	.amdhsa_kernel _ZL8moe_q5_1IN3c104HalfELb0EEvPKvS3_PT_PKiS7_S7_iiiiiii
		.amdhsa_group_segment_fixed_size 38656
		.amdhsa_private_segment_fixed_size 0
		.amdhsa_kernarg_size 76
		.amdhsa_user_sgpr_count 2
		.amdhsa_user_sgpr_dispatch_ptr 0
		.amdhsa_user_sgpr_queue_ptr 0
		.amdhsa_user_sgpr_kernarg_segment_ptr 1
		.amdhsa_user_sgpr_dispatch_id 0
		.amdhsa_user_sgpr_private_segment_size 0
		.amdhsa_wavefront_size32 1
		.amdhsa_uses_dynamic_stack 0
		.amdhsa_enable_private_segment 0
		.amdhsa_system_sgpr_workgroup_id_x 1
		.amdhsa_system_sgpr_workgroup_id_y 1
		.amdhsa_system_sgpr_workgroup_id_z 0
		.amdhsa_system_sgpr_workgroup_info 0
		.amdhsa_system_vgpr_workitem_id 1
		.amdhsa_next_free_vgpr 217
		.amdhsa_next_free_sgpr 22
		.amdhsa_reserve_vcc 1
		.amdhsa_float_round_mode_32 0
		.amdhsa_float_round_mode_16_64 0
		.amdhsa_float_denorm_mode_32 3
		.amdhsa_float_denorm_mode_16_64 3
		.amdhsa_fp16_overflow 0
		.amdhsa_workgroup_processor_mode 1
		.amdhsa_memory_ordered 1
		.amdhsa_forward_progress 1
		.amdhsa_inst_pref_size 68
		.amdhsa_round_robin_scheduling 0
		.amdhsa_exception_fp_ieee_invalid_op 0
		.amdhsa_exception_fp_denorm_src 0
		.amdhsa_exception_fp_ieee_div_zero 0
		.amdhsa_exception_fp_ieee_overflow 0
		.amdhsa_exception_fp_ieee_underflow 0
		.amdhsa_exception_fp_ieee_inexact 0
		.amdhsa_exception_int_div_zero 0
	.end_amdhsa_kernel
	.section	.text._ZL8moe_q5_1IN3c104HalfELb0EEvPKvS3_PT_PKiS7_S7_iiiiiii,"axG",@progbits,_ZL8moe_q5_1IN3c104HalfELb0EEvPKvS3_PT_PKiS7_S7_iiiiiii,comdat
.Lfunc_end203:
	.size	_ZL8moe_q5_1IN3c104HalfELb0EEvPKvS3_PT_PKiS7_S7_iiiiiii, .Lfunc_end203-_ZL8moe_q5_1IN3c104HalfELb0EEvPKvS3_PT_PKiS7_S7_iiiiiii
                                        ; -- End function
	.set _ZL8moe_q5_1IN3c104HalfELb0EEvPKvS3_PT_PKiS7_S7_iiiiiii.num_vgpr, 180
	.set _ZL8moe_q5_1IN3c104HalfELb0EEvPKvS3_PT_PKiS7_S7_iiiiiii.num_agpr, 0
	.set _ZL8moe_q5_1IN3c104HalfELb0EEvPKvS3_PT_PKiS7_S7_iiiiiii.numbered_sgpr, 22
	.set _ZL8moe_q5_1IN3c104HalfELb0EEvPKvS3_PT_PKiS7_S7_iiiiiii.num_named_barrier, 0
	.set _ZL8moe_q5_1IN3c104HalfELb0EEvPKvS3_PT_PKiS7_S7_iiiiiii.private_seg_size, 0
	.set _ZL8moe_q5_1IN3c104HalfELb0EEvPKvS3_PT_PKiS7_S7_iiiiiii.uses_vcc, 1
	.set _ZL8moe_q5_1IN3c104HalfELb0EEvPKvS3_PT_PKiS7_S7_iiiiiii.uses_flat_scratch, 0
	.set _ZL8moe_q5_1IN3c104HalfELb0EEvPKvS3_PT_PKiS7_S7_iiiiiii.has_dyn_sized_stack, 0
	.set _ZL8moe_q5_1IN3c104HalfELb0EEvPKvS3_PT_PKiS7_S7_iiiiiii.has_recursion, 0
	.set _ZL8moe_q5_1IN3c104HalfELb0EEvPKvS3_PT_PKiS7_S7_iiiiiii.has_indirect_call, 0
	.section	.AMDGPU.csdata,"",@progbits
; Kernel info:
; codeLenInByte = 8584
; TotalNumSgprs: 24
; NumVgprs: 180
; ScratchSize: 0
; MemoryBound: 0
; FloatMode: 240
; IeeeMode: 1
; LDSByteSize: 38656 bytes/workgroup (compile time only)
; SGPRBlocks: 0
; VGPRBlocks: 27
; NumSGPRsForWavesPerEU: 24
; NumVGPRsForWavesPerEU: 217
; Occupancy: 6
; WaveLimiterHint : 1
; COMPUTE_PGM_RSRC2:SCRATCH_EN: 0
; COMPUTE_PGM_RSRC2:USER_SGPR: 2
; COMPUTE_PGM_RSRC2:TRAP_HANDLER: 0
; COMPUTE_PGM_RSRC2:TGID_X_EN: 1
; COMPUTE_PGM_RSRC2:TGID_Y_EN: 1
; COMPUTE_PGM_RSRC2:TGID_Z_EN: 0
; COMPUTE_PGM_RSRC2:TIDIG_COMP_CNT: 1
	.section	.text._ZL8moe_q5_1IN3c104HalfELb1EEvPKvS3_PT_PKiS7_S7_iiiiiii,"axG",@progbits,_ZL8moe_q5_1IN3c104HalfELb1EEvPKvS3_PT_PKiS7_S7_iiiiiii,comdat
	.globl	_ZL8moe_q5_1IN3c104HalfELb1EEvPKvS3_PT_PKiS7_S7_iiiiiii ; -- Begin function _ZL8moe_q5_1IN3c104HalfELb1EEvPKvS3_PT_PKiS7_S7_iiiiiii
	.p2align	8
	.type	_ZL8moe_q5_1IN3c104HalfELb1EEvPKvS3_PT_PKiS7_S7_iiiiiii,@function
_ZL8moe_q5_1IN3c104HalfELb1EEvPKvS3_PT_PKiS7_S7_iiiiiii: ; @_ZL8moe_q5_1IN3c104HalfELb1EEvPKvS3_PT_PKiS7_S7_iiiiiii
; %bb.0:
	s_load_b128 s[4:7], s[0:1], 0x18
	s_mov_b32 s2, ttmp7
	s_mov_b32 s3, 0
	s_delay_alu instid0(SALU_CYCLE_1)
	s_lshl_b64 s[2:3], s[2:3], 2
	s_wait_kmcnt 0x0
	s_add_nc_u64 s[2:3], s[6:7], s[2:3]
	s_load_b32 s14, s[2:3], 0x0
	s_wait_kmcnt 0x0
	s_cmp_gt_u32 s14, 0xff
	s_cbranch_scc1 .LBB204_30
; %bb.1:
	s_load_b64 s[2:3], s[0:1], 0x28
	s_wait_kmcnt 0x0
	s_load_b32 s3, s[2:3], 0x0
	s_lshl_b32 s2, ttmp7, 3
	s_wait_kmcnt 0x0
	s_cmp_gt_u32 s2, s3
	s_cbranch_scc1 .LBB204_30
; %bb.2:
	v_bfe_u32 v19, v0, 10, 10
	v_mov_b32_e32 v15, 0
	s_lshl_b32 s11, ttmp9, 7
	s_delay_alu instid0(VALU_DEP_2) | instskip(NEXT) | instid1(VALU_DEP_2)
	v_add_nc_u32_e32 v14, s2, v19
	v_dual_mov_b32 v46, v15 :: v_dual_and_b32 v23, 0x3ff, v0
	v_mov_b32_e32 v50, v15
	v_mov_b32_e32 v24, v15
	s_delay_alu instid0(VALU_DEP_4) | instskip(NEXT) | instid1(VALU_DEP_1)
	v_lshlrev_b64_e32 v[1:2], 2, v[14:15]
	v_add_co_u32 v1, vcc_lo, s4, v1
	s_delay_alu instid0(VALU_DEP_1)
	v_add_co_ci_u32_e64 v2, null, s5, v2, vcc_lo
	global_load_b32 v22, v[1:2], off
	s_clause 0x2
	s_load_b128 s[4:7], s[0:1], 0x30
	s_load_b64 s[12:13], s[0:1], 0x10
	s_load_b96 s[8:10], s[0:1], 0x40
	s_wait_kmcnt 0x0
	s_cmp_lt_i32 s5, 32
	s_cbranch_scc1 .LBB204_21
; %bb.3:
	s_load_b128 s[0:3], s[0:1], 0x0
	s_ashr_i32 s15, s5, 31
	s_mul_i32 s14, s14, s4
	s_lshr_b32 s4, s15, 27
	s_ashr_i32 s15, s14, 31
	s_wait_alu 0xfffe
	s_add_co_i32 s4, s5, s4
	s_ashr_i32 s16, s8, 31
	s_wait_alu 0xfffe
	s_ashr_i32 s4, s4, 5
	s_not_b32 s17, s11
	s_wait_alu 0xfffe
	s_mul_i32 s18, s4, s11
	s_lshr_b32 s20, s16, 27
	s_ashr_i32 s19, s18, 31
	s_wait_loadcnt 0x0
	v_sub_nc_u32_e32 v49, 0, v22
	s_mul_u64 s[18:19], s[18:19], 24
	s_add_co_i32 s16, s6, s17
	s_add_co_i32 s6, s8, s20
	v_dual_mov_b32 v24, 0 :: v_dual_add_nc_u32 v1, 8, v19
	v_max_i32_e32 v49, v22, v49
	v_add_nc_u32_e32 v6, 24, v19
	s_wait_kmcnt 0x0
	s_add_nc_u64 s[0:1], s[0:1], s[14:15]
	v_add_nc_u32_e32 v7, 32, v19
	s_add_nc_u64 s[14:15], s[0:1], s[18:19]
	s_abs_i32 s0, s10
	v_min_i32_e32 v2, s16, v19
	s_cvt_f32_u32 s1, s0
	s_sub_co_i32 s8, 0, s0
	v_lshlrev_b32_e32 v18, 3, v23
	v_add_nc_u32_e32 v8, 40, v19
	v_rcp_iflag_f32_e32 v45, s1
	v_min_i32_e32 v4, s16, v1
	v_add_nc_u32_e32 v9, 48, v19
	v_add_nc_u32_e32 v10, 56, v19
	v_min_i32_e32 v6, s16, v6
	v_add_nc_u32_e32 v11, 64, v19
	v_min_i32_e32 v7, s16, v7
	v_add_nc_u32_e32 v12, 0x48, v19
	v_mul_lo_u32 v27, v2, s4
	v_mad_co_u64_u32 v[1:2], null, 0x104, v2, v[18:19]
	v_readfirstlane_b32 s1, v45
	v_min_i32_e32 v8, s16, v8
	v_add_nc_u32_e32 v13, 0x50, v19
	v_min_i32_e32 v9, s16, v9
	v_add_nc_u32_e32 v14, 0x58, v19
	s_mul_f32 s1, s1, 0x4f7ffffe
	v_mul_lo_u32 v28, v4, s4
	v_min_i32_e32 v10, s16, v10
	v_add_nc_u32_e32 v15, 0x60, v19
	s_wait_alu 0xfffe
	s_cvt_u32_f32 s1, s1
	v_min_i32_e32 v11, s16, v11
	v_add_nc_u32_e32 v16, 0x68, v19
	v_add_nc_u32_e32 v17, 0x70, v19
	s_wait_alu 0xfffe
	s_mul_i32 s8, s8, s1
	v_mul_lo_u32 v30, v6, s4
	s_mul_hi_u32 s8, s1, s8
	v_min_i32_e32 v12, s16, v12
	s_add_co_i32 s1, s1, s8
	v_add_nc_u32_e32 v43, 0x78, v19
	s_wait_alu 0xfffe
	v_mul_hi_u32 v52, v49, s1
	v_mul_lo_u32 v31, v7, s4
	v_min_i32_e32 v13, s16, v13
	v_bfe_u32 v39, v0, 3, 7
	v_mul_lo_u32 v32, v8, s4
	v_min_i32_e32 v14, s16, v14
	v_mul_lo_u32 v33, v9, s4
	v_min_i32_e32 v15, s16, v15
	v_mul_lo_u32 v54, v52, s0
	v_mul_lo_u32 v34, v10, s4
	v_min_i32_e32 v16, s16, v16
	v_min_i32_e32 v17, s16, v17
	v_mul_lo_u32 v35, v11, s4
	v_min_i32_e32 v44, s16, v43
	v_mul_lo_u32 v36, v12, s4
	v_lshl_add_u32 v21, v19, 2, v39
	v_sub_nc_u32_e32 v54, v49, v54
	v_add_nc_u32_e32 v49, 1, v52
	v_mul_lo_u32 v37, v13, s4
	v_mul_lo_u32 v38, v14, s4
	;; [unrolled: 1-line block ×3, first 2 shown]
	v_cmp_le_u32_e32 vcc_lo, s0, v54
	v_add_nc_u32_e32 v3, 16, v19
	v_mul_lo_u32 v41, v16, s4
	v_mul_lo_u32 v42, v17, s4
	v_add_nc_u32_e32 v47, 64, v21
	s_wait_alu 0xfffd
	v_cndmask_b32_e32 v52, v52, v49, vcc_lo
	v_min_i32_e32 v5, s16, v3
	v_mad_co_u64_u32 v[2:3], null, 0x104, v4, v[18:19]
	v_min_i32_e32 v51, s16, v47
	v_min_i32_e32 v46, s16, v21
	s_delay_alu instid0(VALU_DEP_4)
	v_mad_co_u64_u32 v[3:4], null, 0x104, v5, v[18:19]
	v_mul_lo_u32 v29, v5, s4
	v_mad_co_u64_u32 v[4:5], null, 0x104, v6, v[18:19]
	v_mad_co_u64_u32 v[5:6], null, 0x104, v7, v[18:19]
	;; [unrolled: 1-line block ×13, first 2 shown]
	v_add_nc_u32_e32 v18, 32, v21
	v_mul_lo_u32 v43, v44, s4
	v_and_b32_e32 v44, 7, v0
	v_add_nc_u32_e32 v21, 0x60, v21
	v_ashrrev_i32_e32 v15, 31, v46
	v_min_i32_e32 v18, s16, v18
	v_lshlrev_b32_e32 v71, 5, v51
	v_lshlrev_b32_e32 v50, 2, v44
	v_min_i32_e32 v21, s16, v21
	v_lshrrev_b32_e32 v15, 30, v15
	v_ashrrev_i32_e32 v48, 31, v18
	v_lshlrev_b32_e32 v69, 5, v18
	v_add_nc_u32_e32 v58, 64, v23
	v_ashrrev_i32_e32 v55, 31, v21
	v_add_nc_u32_e32 v15, v46, v15
	v_lshrrev_b32_e32 v47, 30, v48
	v_ashrrev_i32_e32 v48, 31, v51
	v_add_nc_u32_e32 v59, 0x60, v23
	s_ashr_i32 s6, s6, 5
	v_and_b32_e32 v15, -4, v15
	v_add_nc_u32_e32 v47, v18, v47
	v_lshrrev_b32_e32 v48, 30, v48
	v_bfe_u32 v25, v0, 2, 8
	v_and_b32_e32 v59, 0x1fc, v59
	v_add3_u32 v15, v15, v50, 0x8200
	v_and_b32_e32 v53, -4, v47
	v_add_nc_u32_e32 v48, v51, v48
	v_mul_lo_u32 v47, v18, s4
	v_lshrrev_b32_e32 v18, 30, v55
	v_and_b32_e32 v58, 0x1fc, v58
	v_add3_u32 v68, v53, v50, 0x8200
	v_and_b32_e32 v53, -4, v48
	v_mul_lo_u32 v48, v51, s4
	v_subrev_nc_u32_e32 v51, s0, v54
	v_add_nc_u32_e32 v18, v21, v18
	v_mul_lo_u32 v45, v46, s4
	v_add3_u32 v70, v53, v50, 0x8200
	v_xor_b32_e32 v53, s10, v22
	v_dual_cndmask_b32 v51, v54, v51 :: v_dual_add_nc_u32 v54, 1, v52
	v_and_b32_e32 v18, -4, v18
	v_lshlrev_b32_e32 v46, 5, v46
	s_delay_alu instid0(VALU_DEP_4) | instskip(NEXT) | instid1(VALU_DEP_4)
	v_ashrrev_i32_e32 v55, 31, v53
	v_cmp_le_u32_e32 vcc_lo, s0, v51
	v_lshlrev_b32_e32 v20, 2, v23
	v_add3_u32 v50, v18, v50, 0x8200
	v_and_b32_e32 v18, 31, v0
	v_lshl_add_u32 v51, v19, 7, 0x9280
	s_wait_alu 0xfffd
	v_cndmask_b32_e32 v53, v52, v54, vcc_lo
	v_lshl_add_u32 v52, v19, 4, 0x9680
	v_and_b32_e32 v26, 12, v20
	v_and_b32_e32 v19, 28, v20
	;; [unrolled: 1-line block ×3, first 2 shown]
	v_xor_b32_e32 v56, v53, v55
	v_lshl_or_b32 v53, v18, 2, v51
	v_add_nc_u32_e32 v54, v52, v20
	v_add_nc_u32_e32 v18, 32, v23
	v_mul_lo_u32 v49, v21, s4
	v_sub_nc_u32_e32 v20, v56, v55
	v_lshlrev_b32_e32 v21, 5, v21
	v_cmp_gt_u32_e32 vcc_lo, 4, v23
	v_and_b32_e32 v60, 0x1fc, v18
	v_lshrrev_b32_e32 v56, 3, v18
	v_cmp_gt_i32_e64 s0, s7, v20
	v_mul_lo_u32 v57, v20, s6
	v_lshlrev_b32_e32 v20, 5, v23
	v_add_co_u32 v18, s1, s2, v19
	s_wait_alu 0xf1ff
	v_add_co_ci_u32_e64 v19, null, s3, 0, s1
	s_delay_alu instid0(VALU_DEP_3)
	v_add_nc_u32_e32 v62, v20, v59
	v_add_nc_u32_e32 v63, v20, v58
	;; [unrolled: 1-line block ×4, first 2 shown]
	s_movk_i32 s1, 0x80
	v_mul_u32_u24_e32 v55, 0x104, v23
	v_ashrrev_i32_e32 v0, 31, v57
	v_add_nc_u32_e32 v58, 0x8e00, v62
	v_add_nc_u32_e32 v59, 0x8a00, v63
	;; [unrolled: 1-line block ×8, first 2 shown]
	s_wait_alu 0xfffe
	v_mad_u32_u24 v66, 0x104, v23, s1
	v_add_nc_u32_e32 v67, v15, v46
	v_add_nc_u32_e32 v68, v68, v69
	;; [unrolled: 1-line block ×4, first 2 shown]
	v_mov_b32_e32 v50, 0
	v_dual_mov_b32 v46, 0 :: v_dual_mov_b32 v15, 0
	s_mov_b32 s17, 0
	s_and_b32 s8, vcc_lo, s0
	s_wait_alu 0xfffe
	s_mov_b32 s16, s17
	s_branch .LBB204_5
.LBB204_4:                              ;   in Loop: Header=BB204_5 Depth=1
	s_add_co_i32 s16, s16, 8
	s_wait_alu 0xfffe
	s_cmp_ge_i32 s16, s4
	s_cbranch_scc1 .LBB204_21
.LBB204_5:                              ; =>This Loop Header: Depth=1
                                        ;     Child Loop BB204_11 Depth 2
                                        ;     Child Loop BB204_19 Depth 2
	s_wait_alu 0xfffe
	s_mul_u64 s[18:19], s[16:17], 24
	s_wait_alu 0xfffe
	s_add_nc_u64 s[18:19], s[14:15], s[18:19]
	s_wait_alu 0xfffe
	v_mad_co_u64_u32 v[20:21], null, v25, 24, s[18:19]
	s_delay_alu instid0(VALU_DEP_1) | instskip(SKIP_3) | instid1(VALU_DEP_4)
	v_mad_co_i64_i32 v[71:72], null, v27, 24, v[20:21]
	v_mad_co_i64_i32 v[73:74], null, v28, 24, v[20:21]
	;; [unrolled: 1-line block ×4, first 2 shown]
	v_add_co_u32 v79, s1, v71, v26
	v_mad_co_i64_i32 v[85:86], null, v31, 24, v[20:21]
	s_wait_alu 0xf1ff
	v_add_co_ci_u32_e64 v80, null, 0, v72, s1
	v_add_co_u32 v81, s1, v73, v26
	v_mad_co_i64_i32 v[89:90], null, v32, 24, v[20:21]
	s_wait_alu 0xf1ff
	v_add_co_ci_u32_e64 v82, null, 0, v74, s1
	;; [unrolled: 4-line block ×4, first 2 shown]
	v_add_co_u32 v91, s1, v85, v26
	s_wait_alu 0xf1ff
	v_add_co_ci_u32_e64 v92, null, 0, v86, s1
	v_add_co_u32 v97, s1, v89, v26
	s_wait_alu 0xf1ff
	v_add_co_ci_u32_e64 v98, null, 0, v90, s1
	;; [unrolled: 3-line block ×4, first 2 shown]
	s_clause 0xf
	global_load_b32 v103, v[79:80], off offset:8
	global_load_b32 v104, v[81:82], off offset:8
	;; [unrolled: 1-line block ×16, first 2 shown]
	v_mad_co_i64_i32 v[71:72], null, v35, 24, v[20:21]
	v_mad_co_i64_i32 v[73:74], null, v36, 24, v[20:21]
	;; [unrolled: 1-line block ×4, first 2 shown]
	s_delay_alu instid0(VALU_DEP_4)
	v_add_co_u32 v79, s1, v71, v26
	s_wait_alu 0xf1ff
	v_add_co_ci_u32_e64 v80, null, 0, v72, s1
	v_add_co_u32 v81, s1, v73, v26
	s_wait_alu 0xf1ff
	v_add_co_ci_u32_e64 v82, null, 0, v74, s1
	s_clause 0x5
	global_load_b32 v86, v[77:78], off offset:4
	global_load_b32 v90, v[75:76], off offset:4
	global_load_b32 v94, v[73:74], off offset:4
	global_load_b32 v96, v[71:72], off offset:4
	global_load_b32 v99, v[79:80], off offset:8
	global_load_b32 v100, v[81:82], off offset:8
	v_add_co_u32 v71, s1, v75, v26
	s_wait_alu 0xf1ff
	v_add_co_ci_u32_e64 v72, null, 0, v76, s1
	v_mad_co_i64_i32 v[75:76], null, v43, 24, v[20:21]
	v_mad_co_i64_i32 v[73:74], null, v41, 24, v[20:21]
	global_load_b32 v101, v[71:72], off offset:8
	v_add_co_u32 v71, s1, v77, v26
	s_wait_alu 0xf1ff
	v_add_co_ci_u32_e64 v72, null, 0, v78, s1
	v_mad_co_u64_u32 v[77:78], null, v44, 24, s[18:19]
	s_lshl_b32 s18, s16, 5
	global_load_b32 v102, v[71:72], off offset:8
	v_mad_co_i64_i32 v[71:72], null, v40, 24, v[20:21]
	v_mad_co_i64_i32 v[20:21], null, v42, 24, v[20:21]
	;; [unrolled: 1-line block ×3, first 2 shown]
	s_wait_alu 0xfffe
	s_cmp_lt_i32 s18, s5
	s_delay_alu instid0(VALU_DEP_3) | instskip(SKIP_1) | instid1(VALU_DEP_4)
	v_add_co_u32 v79, s1, v71, v26
	s_wait_alu 0xf1ff
	v_add_co_ci_u32_e64 v80, null, 0, v72, s1
	s_clause 0x4
	global_load_b32 v107, v[75:76], off offset:4
	global_load_b32 v108, v[20:21], off offset:4
	;; [unrolled: 1-line block ×5, first 2 shown]
	v_add_co_u32 v73, s1, v73, v26
	s_wait_alu 0xf1ff
	v_add_co_ci_u32_e64 v74, null, 0, v74, s1
	v_add_co_u32 v20, s1, v20, v26
	v_mad_co_i64_i32 v[71:72], null, v45, 24, v[77:78]
	s_wait_alu 0xf1ff
	v_add_co_ci_u32_e64 v21, null, 0, v21, s1
	v_add_co_u32 v75, s1, v75, v26
	v_mad_co_i64_i32 v[79:80], null, v47, 24, v[77:78]
	s_wait_alu 0xf1ff
	v_add_co_ci_u32_e64 v76, null, 0, v76, s1
	v_mad_co_i64_i32 v[77:78], null, v49, 24, v[77:78]
	s_clause 0x6
	global_load_b32 v73, v[73:74], off offset:8
	global_load_b32 v20, v[20:21], off offset:8
	;; [unrolled: 1-line block ×3, first 2 shown]
	global_load_b32 v71, v[71:72], off
	global_load_b32 v72, v[79:80], off
	;; [unrolled: 1-line block ×4, first 2 shown]
	s_wait_loadcnt 0x23
	v_lshrrev_b32_e32 v78, 4, v103
	s_wait_loadcnt 0x22
	v_lshrrev_b32_e32 v81, 4, v104
	v_and_b32_e32 v77, 0xf0f0f0f, v103
	s_wait_loadcnt 0x20
	v_and_b32_e32 v103, 0xf0f0f0f, v84
	s_wait_loadcnt 0x1f
	v_ashrrev_i32_e32 v87, v26, v87
	s_wait_loadcnt 0x1e
	v_ashrrev_i32_e32 v82, v26, v88
	;; [unrolled: 2-line block ×4, first 2 shown]
	v_and_b32_e32 v88, 0xf0f0f0f, v83
	v_lshrrev_b32_e32 v83, 4, v83
	v_lshlrev_b32_e32 v129, 4, v82
	v_lshlrev_b32_e32 v122, 4, v79
	s_wait_loadcnt 0x17
	v_ashrrev_i32_e32 v95, v26, v95
	s_wait_loadcnt 0x16
	v_ashrrev_i32_e32 v93, v26, v93
	;; [unrolled: 2-line block ×4, first 2 shown]
	v_lshlrev_b32_e32 v115, 4, v76
	v_lshlrev_b32_e32 v116, 11, v76
	v_lshrrev_b32_e32 v119, 12, v76
	v_lshrrev_b32_e32 v120, 5, v76
	v_lshlrev_b32_e32 v123, 11, v79
	v_lshrrev_b32_e32 v126, 12, v79
	v_lshrrev_b32_e32 v127, 5, v79
	v_lshlrev_b32_e32 v130, 11, v82
	v_lshrrev_b32_e32 v133, 12, v82
	v_lshrrev_b32_e32 v134, 5, v82
	v_lshrrev_b32_e32 v84, 4, v84
	v_lshlrev_b32_e32 v136, 4, v87
	v_lshlrev_b32_e32 v137, 11, v87
	v_lshrrev_b32_e32 v140, 12, v87
	v_lshrrev_b32_e32 v141, 5, v87
	v_and_b32_e32 v80, 0xf0f0f0f, v104
	v_and_b32_e32 v104, 0xf0f0f0f, v91
	v_lshrrev_b32_e32 v91, 4, v91
	v_lshlrev_b32_e32 v143, 4, v85
	v_lshlrev_b32_e32 v144, 11, v85
	v_lshrrev_b32_e32 v147, 12, v85
	v_lshrrev_b32_e32 v148, 5, v85
	v_and_b32_e32 v105, 0xf0f0f0f, v92
	v_lshrrev_b32_e32 v92, 4, v92
	v_and_b32_e32 v106, 0xf0f0f0f, v97
	;; [unrolled: 2-line block ×3, first 2 shown]
	v_lshrrev_b32_e32 v98, 4, v98
	v_lshlrev_b32_e32 v117, 18, v76
	v_lshlrev_b32_e32 v118, 25, v76
	v_and_b32_e32 v78, 0xf0f0f0f, v78
	v_lshlrev_b32_e32 v121, 2, v76
	v_lshlrev_b32_e32 v76, 9, v76
	v_lshlrev_b32_e32 v150, 4, v89
	v_lshlrev_b32_e32 v151, 11, v89
	v_lshrrev_b32_e32 v154, 12, v89
	v_lshrrev_b32_e32 v155, 5, v89
	v_lshlrev_b32_e32 v157, 4, v93
	v_lshlrev_b32_e32 v158, 11, v93
	v_lshrrev_b32_e32 v161, 12, v93
	v_lshrrev_b32_e32 v162, 5, v93
	v_lshlrev_b32_e32 v164, 4, v95
	v_lshlrev_b32_e32 v165, 11, v95
	v_lshrrev_b32_e32 v168, 12, v95
	v_lshrrev_b32_e32 v169, 5, v95
	v_and_b32_e32 v115, 16, v115
	v_and_b32_e32 v116, 0x1000, v116
	v_and_b32_e32 v119, 16, v119
	v_and_b32_e32 v120, 0x1000, v120
	v_lshlrev_b32_e32 v124, 18, v79
	v_lshlrev_b32_e32 v125, 25, v79
	v_and_b32_e32 v81, 0xf0f0f0f, v81
	v_lshlrev_b32_e32 v128, 2, v79
	v_lshlrev_b32_e32 v79, 9, v79
	v_and_b32_e32 v122, 16, v122
	v_and_b32_e32 v123, 0x1000, v123
	v_and_b32_e32 v126, 16, v126
	v_and_b32_e32 v127, 0x1000, v127
	v_lshlrev_b32_e32 v131, 18, v82
	v_lshlrev_b32_e32 v132, 25, v82
	v_and_b32_e32 v83, 0xf0f0f0f, v83
	v_lshlrev_b32_e32 v135, 2, v82
	v_lshlrev_b32_e32 v82, 9, v82
	;; [unrolled: 9-line block ×5, first 2 shown]
	v_lshlrev_b32_e32 v159, 18, v93
	v_lshlrev_b32_e32 v160, 25, v93
	v_and_b32_e32 v97, 0xf0f0f0f, v97
	v_lshlrev_b32_e32 v163, 2, v93
	v_lshlrev_b32_e32 v93, 9, v93
	;; [unrolled: 1-line block ×4, first 2 shown]
	v_and_b32_e32 v98, 0xf0f0f0f, v98
	v_lshlrev_b32_e32 v170, 2, v95
	v_lshlrev_b32_e32 v95, 9, v95
	v_and_b32_e32 v117, 0x100000, v117
	v_and_b32_e32 v118, 0x10000000, v118
	;; [unrolled: 1-line block ×16, first 2 shown]
	v_or3_b32 v77, v115, v77, v116
	v_or3_b32 v78, v119, v78, v120
	v_and_b32_e32 v124, 0x100000, v124
	v_and_b32_e32 v125, 0x10000000, v125
	v_and_b32_e32 v128, 0x100000, v128
	v_and_b32_e32 v79, 0x10000000, v79
	v_or3_b32 v80, v122, v80, v123
	v_or3_b32 v81, v126, v81, v127
	v_and_b32_e32 v131, 0x100000, v131
	v_and_b32_e32 v132, 0x10000000, v132
	v_and_b32_e32 v135, 0x100000, v135
	v_and_b32_e32 v82, 0x10000000, v82
	;; [unrolled: 6-line block ×4, first 2 shown]
	v_or3_b32 v104, v143, v104, v144
	v_or3_b32 v91, v147, v91, v148
	s_wait_loadcnt 0x10
	v_ashrrev_i32_e32 v96, v26, v96
	v_ashrrev_i32_e32 v94, v26, v94
	v_and_b32_e32 v152, 0x100000, v152
	v_and_b32_e32 v153, 0x10000000, v153
	;; [unrolled: 1-line block ×12, first 2 shown]
	v_or3_b32 v105, v150, v105, v151
	v_or3_b32 v92, v154, v92, v155
	;; [unrolled: 1-line block ×16, first 2 shown]
	s_wait_loadcnt 0xf
	v_and_b32_e32 v113, 0xf0f0f0f, v99
	v_lshrrev_b32_e32 v99, 4, v99
	v_lshlrev_b32_e32 v171, 4, v96
	v_lshlrev_b32_e32 v172, 11, v96
	v_lshrrev_b32_e32 v175, 12, v96
	v_lshrrev_b32_e32 v176, 5, v96
	v_or3_b32 v87, v105, v152, v153
	v_or3_b32 v88, v92, v156, v89
	;; [unrolled: 1-line block ×6, first 2 shown]
	ds_store_2addr_b32 v1, v77, v76 offset1:1
	ds_store_2addr_b32 v2, v78, v79 offset1:1
	;; [unrolled: 1-line block ×8, first 2 shown]
	s_wait_loadcnt 0xe
	v_lshrrev_b32_e32 v80, 4, v100
	v_lshrrev_b32_e32 v81, 12, v94
	;; [unrolled: 1-line block ×3, first 2 shown]
	v_lshlrev_b32_e32 v173, 18, v96
	v_lshlrev_b32_e32 v174, 25, v96
	v_and_b32_e32 v99, 0xf0f0f0f, v99
	v_lshlrev_b32_e32 v177, 2, v96
	v_lshlrev_b32_e32 v96, 9, v96
	;; [unrolled: 1-line block ×4, first 2 shown]
	v_and_b32_e32 v171, 16, v171
	v_and_b32_e32 v172, 0x1000, v172
	;; [unrolled: 1-line block ×7, first 2 shown]
	v_ashrrev_i32_e32 v84, v26, v90
	v_and_b32_e32 v114, 0xf0f0f0f, v100
	v_and_b32_e32 v173, 0x100000, v173
	;; [unrolled: 1-line block ×7, first 2 shown]
	v_or3_b32 v113, v171, v113, v172
	v_or3_b32 v99, v175, v99, v176
	v_lshlrev_b32_e32 v78, 18, v94
	v_lshlrev_b32_e32 v83, 25, v94
	;; [unrolled: 1-line block ×4, first 2 shown]
	v_or3_b32 v80, v81, v80, v82
	v_lshlrev_b32_e32 v81, 4, v84
	v_lshlrev_b32_e32 v82, 11, v84
	v_or3_b32 v76, v113, v173, v174
	v_or3_b32 v77, v99, v177, v96
	;; [unrolled: 1-line block ×3, first 2 shown]
	v_and_b32_e32 v78, 0x100000, v78
	v_and_b32_e32 v83, 0x10000000, v83
	;; [unrolled: 1-line block ×4, first 2 shown]
	s_wait_loadcnt 0xd
	v_and_b32_e32 v88, 0xf0f0f0f, v101
	v_and_b32_e32 v81, 16, v81
	;; [unrolled: 1-line block ×3, first 2 shown]
	ds_store_2addr_b32 v9, v76, v77 offset1:1
	v_or3_b32 v76, v79, v78, v83
	v_or3_b32 v77, v80, v85, v87
	v_lshrrev_b32_e32 v80, 4, v101
	v_or3_b32 v79, v81, v88, v82
	v_lshrrev_b32_e32 v81, 12, v84
	v_lshrrev_b32_e32 v82, 5, v84
	v_ashrrev_i32_e32 v85, v26, v86
	v_and_b32_e32 v80, 0xf0f0f0f, v80
	v_lshlrev_b32_e32 v78, 18, v84
	v_and_b32_e32 v81, 16, v81
	v_and_b32_e32 v82, 0x1000, v82
	v_lshlrev_b32_e32 v83, 25, v84
	v_lshlrev_b32_e32 v86, 2, v84
	;; [unrolled: 1-line block ×3, first 2 shown]
	v_and_b32_e32 v78, 0x100000, v78
	v_or3_b32 v80, v81, v80, v82
	v_lshlrev_b32_e32 v81, 4, v85
	v_lshlrev_b32_e32 v82, 11, v85
	v_and_b32_e32 v83, 0x10000000, v83
	v_and_b32_e32 v86, 0x100000, v86
	;; [unrolled: 1-line block ×3, first 2 shown]
	s_wait_loadcnt 0xc
	v_and_b32_e32 v87, 0xf0f0f0f, v102
	v_and_b32_e32 v81, 16, v81
	;; [unrolled: 1-line block ×3, first 2 shown]
	ds_store_2addr_b32 v10, v76, v77 offset1:1
	v_or3_b32 v76, v79, v78, v83
	v_or3_b32 v77, v80, v86, v84
	v_lshrrev_b32_e32 v80, 4, v102
	v_or3_b32 v79, v81, v87, v82
	v_lshrrev_b32_e32 v81, 12, v85
	v_lshrrev_b32_e32 v82, 5, v85
	s_wait_loadcnt 0x8
	v_ashrrev_i32_e32 v84, v26, v110
	v_and_b32_e32 v80, 0xf0f0f0f, v80
	v_lshlrev_b32_e32 v78, 18, v85
	v_and_b32_e32 v81, 16, v81
	v_and_b32_e32 v82, 0x1000, v82
	v_lshlrev_b32_e32 v83, 25, v85
	v_lshlrev_b32_e32 v86, 2, v85
	;; [unrolled: 1-line block ×3, first 2 shown]
	v_and_b32_e32 v78, 0x100000, v78
	v_or3_b32 v80, v81, v80, v82
	v_lshlrev_b32_e32 v81, 4, v84
	v_lshlrev_b32_e32 v82, 11, v84
	v_and_b32_e32 v83, 0x10000000, v83
	v_and_b32_e32 v86, 0x100000, v86
	;; [unrolled: 1-line block ×3, first 2 shown]
	s_wait_loadcnt 0x7
	v_and_b32_e32 v87, 0xf0f0f0f, v111
	v_and_b32_e32 v81, 16, v81
	;; [unrolled: 1-line block ×3, first 2 shown]
	ds_store_2addr_b32 v11, v76, v77 offset1:1
	v_or3_b32 v76, v79, v78, v83
	v_or3_b32 v77, v80, v86, v85
	v_lshrrev_b32_e32 v80, 4, v111
	v_or3_b32 v79, v81, v87, v82
	v_lshrrev_b32_e32 v81, 12, v84
	v_lshrrev_b32_e32 v82, 5, v84
	v_ashrrev_i32_e32 v85, v26, v109
	v_and_b32_e32 v80, 0xf0f0f0f, v80
	v_lshlrev_b32_e32 v78, 18, v84
	v_and_b32_e32 v81, 16, v81
	v_and_b32_e32 v82, 0x1000, v82
	v_lshlrev_b32_e32 v83, 25, v84
	v_lshlrev_b32_e32 v86, 2, v84
	;; [unrolled: 1-line block ×3, first 2 shown]
	v_and_b32_e32 v78, 0x100000, v78
	v_or3_b32 v80, v81, v80, v82
	v_lshlrev_b32_e32 v81, 4, v85
	v_lshlrev_b32_e32 v82, 11, v85
	v_and_b32_e32 v83, 0x10000000, v83
	v_and_b32_e32 v86, 0x100000, v86
	;; [unrolled: 1-line block ×3, first 2 shown]
	s_wait_loadcnt 0x6
	v_and_b32_e32 v87, 0xf0f0f0f, v73
	v_and_b32_e32 v81, 16, v81
	;; [unrolled: 1-line block ×3, first 2 shown]
	v_lshlrev_b32_e32 v88, 18, v85
	v_lshlrev_b32_e32 v89, 25, v85
	v_or3_b32 v78, v79, v78, v83
	v_or3_b32 v79, v80, v86, v84
	;; [unrolled: 1-line block ×3, first 2 shown]
	v_and_b32_e32 v81, 0x100000, v88
	v_and_b32_e32 v82, 0x10000000, v89
	v_lshrrev_b32_e32 v83, 12, v85
	v_lshrrev_b32_e32 v84, 5, v85
	v_ashrrev_i32_e32 v86, v26, v108
	v_lshrrev_b32_e32 v73, 4, v73
	v_or3_b32 v80, v80, v81, v82
	v_and_b32_e32 v81, 16, v83
	v_and_b32_e32 v82, 0x1000, v84
	v_lshlrev_b32_e32 v83, 4, v86
	v_lshlrev_b32_e32 v84, 11, v86
	s_wait_loadcnt 0x5
	v_and_b32_e32 v88, 0xf0f0f0f, v20
	v_and_b32_e32 v73, 0xf0f0f0f, v73
	v_lshlrev_b32_e32 v87, 2, v85
	v_and_b32_e32 v83, 16, v83
	v_and_b32_e32 v84, 0x1000, v84
	v_lshlrev_b32_e32 v85, 9, v85
	v_or3_b32 v73, v81, v73, v82
	v_and_b32_e32 v81, 0x100000, v87
	v_lshrrev_b32_e32 v20, 4, v20
	v_or3_b32 v83, v83, v88, v84
	v_ashrrev_i32_e32 v88, v26, v107
	v_and_b32_e32 v82, 0x10000000, v85
	v_lshrrev_b32_e32 v85, 12, v86
	v_lshrrev_b32_e32 v87, 5, v86
	v_and_b32_e32 v20, 0xf0f0f0f, v20
	v_lshlrev_b32_e32 v90, 4, v88
	v_lshlrev_b32_e32 v91, 11, v88
	v_and_b32_e32 v85, 16, v85
	v_and_b32_e32 v87, 0x1000, v87
	s_wait_loadcnt 0x4
	v_and_b32_e32 v93, 0xf0f0f0f, v21
	v_and_b32_e32 v90, 16, v90
	;; [unrolled: 1-line block ×3, first 2 shown]
	v_lshlrev_b32_e32 v89, 18, v86
	v_lshlrev_b32_e32 v92, 2, v86
	v_or3_b32 v20, v85, v20, v87
	v_lshrrev_b32_e32 v21, 4, v21
	v_or3_b32 v87, v90, v93, v91
	v_lshrrev_b32_e32 v90, 12, v88
	v_lshrrev_b32_e32 v91, 5, v88
	v_and_b32_e32 v84, 0x100000, v89
	v_lshlrev_b32_e32 v89, 25, v86
	v_lshlrev_b32_e32 v86, 9, v86
	v_and_b32_e32 v85, 0x100000, v92
	v_lshlrev_b32_e32 v92, 18, v88
	v_lshlrev_b32_e32 v93, 25, v88
	v_and_b32_e32 v21, 0xf0f0f0f, v21
	v_and_b32_e32 v90, 16, v90
	;; [unrolled: 1-line block ×3, first 2 shown]
	v_lshlrev_b32_e32 v94, 2, v88
	v_lshlrev_b32_e32 v88, 9, v88
	v_and_b32_e32 v89, 0x10000000, v89
	v_and_b32_e32 v86, 0x10000000, v86
	;; [unrolled: 1-line block ×4, first 2 shown]
	v_or3_b32 v21, v90, v21, v91
	v_and_b32_e32 v90, 0x100000, v94
	v_and_b32_e32 v88, 0x10000000, v88
	v_or3_b32 v73, v73, v81, v82
	v_or3_b32 v81, v83, v84, v89
	;; [unrolled: 1-line block ×5, first 2 shown]
	ds_store_2addr_b32 v12, v76, v77 offset1:1
	ds_store_2addr_b32 v13, v78, v79 offset1:1
	;; [unrolled: 1-line block ×5, first 2 shown]
	s_wait_loadcnt 0x3
	ds_store_b32 v67, v71
	s_wait_loadcnt 0x2
	ds_store_b32 v68, v72
	;; [unrolled: 2-line block ×4, first 2 shown]
	s_cbranch_scc0 .LBB204_4
; %bb.6:                                ;   in Loop: Header=BB204_5 Depth=1
	v_add_nc_u32_e32 v20, s16, v39
	s_delay_alu instid0(VALU_DEP_1)
	v_cmp_gt_i32_e64 s1, s6, v20
	s_and_b32 s19, s0, s1
	s_wait_alu 0xfffe
	s_and_saveexec_b32 s1, s19
	s_cbranch_execz .LBB204_8
; %bb.7:                                ;   in Loop: Header=BB204_5 Depth=1
	v_add_nc_u32_e32 v20, v57, v20
	s_delay_alu instid0(VALU_DEP_1)
	v_mad_co_i64_i32 v[20:21], null, v20, 36, v[18:19]
	global_load_b32 v20, v[20:21], off offset:4
	s_wait_loadcnt 0x0
	ds_store_b32 v53, v20
.LBB204_8:                              ;   in Loop: Header=BB204_5 Depth=1
	s_wait_alu 0xfffe
	s_or_b32 exec_lo, exec_lo, s1
	v_add_nc_u32_e32 v20, s16, v23
	s_delay_alu instid0(VALU_DEP_1)
	v_cmp_gt_i32_e64 s1, s6, v20
	s_and_b32 s19, s8, s1
	s_wait_alu 0xfffe
	s_and_saveexec_b32 s1, s19
	s_cbranch_execz .LBB204_10
; %bb.9:                                ;   in Loop: Header=BB204_5 Depth=1
	v_add_nc_u32_e32 v21, v57, v20
	s_delay_alu instid0(VALU_DEP_1)
	v_mad_co_i64_i32 v[71:72], null, v21, 36, s[2:3]
	global_load_b32 v21, v[71:72], off
	s_wait_loadcnt 0x0
	ds_store_b32 v54, v21
.LBB204_10:                             ;   in Loop: Header=BB204_5 Depth=1
	s_wait_alu 0xfffe
	s_or_b32 exec_lo, exec_lo, s1
	v_dual_mov_b32 v21, v51 :: v_dual_mov_b32 v72, v52
	v_dual_mov_b32 v71, v55 :: v_dual_mov_b32 v74, v60
	;; [unrolled: 1-line block ×3, first 2 shown]
	v_mov_b32_e32 v75, v59
	s_mov_b32 s1, -4
	s_wait_dscnt 0x0
	s_barrier_signal -1
	s_barrier_wait -1
	global_inv scope:SCOPE_SE
.LBB204_11:                             ;   Parent Loop BB204_5 Depth=1
                                        ; =>  This Inner Loop Header: Depth=2
	v_add_nc_u32_e32 v93, 0x2080, v71
	v_add_nc_u32_e32 v95, 0x2088, v71
	v_add_nc_u32_e32 v97, 0x2090, v71
	ds_load_2addr_b32 v[77:78], v21 offset0:3 offset1:4
	ds_load_2addr_b32 v[79:80], v21 offset0:5 offset1:6
	ds_load_2addr_b32 v[81:82], v71 offset1:1
	ds_load_2addr_b32 v[83:84], v21 offset0:1 offset1:2
	ds_load_2addr_b32 v[85:86], v21 offset1:7
	ds_load_b32 v117, v72
	ds_load_2addr_b32 v[87:88], v71 offset0:2 offset1:3
	ds_load_2addr_b32 v[89:90], v71 offset0:4 offset1:5
	;; [unrolled: 1-line block ×3, first 2 shown]
	v_add_nc_u32_e32 v99, 0x2098, v71
	v_add_nc_u32_e32 v101, 0x4100, v71
	;; [unrolled: 1-line block ×9, first 2 shown]
	ds_load_b32 v118, v73
	ds_load_b32 v119, v74
	;; [unrolled: 1-line block ×4, first 2 shown]
	ds_load_2addr_b32 v[93:94], v93 offset1:1
	ds_load_2addr_b32 v[95:96], v95 offset1:1
	;; [unrolled: 1-line block ×12, first 2 shown]
	s_wait_dscnt 0x18
	v_lshlrev_b32_e32 v122, 8, v78
	v_lshlrev_b32_e32 v129, 24, v78
	;; [unrolled: 1-line block ×3, first 2 shown]
	s_wait_dscnt 0x15
	v_lshlrev_b32_e32 v123, 8, v83
	v_lshlrev_b32_e32 v124, 8, v79
	;; [unrolled: 1-line block ×5, first 2 shown]
	s_wait_dscnt 0x14
	v_lshlrev_b32_e32 v128, 8, v86
	v_lshlrev_b32_e32 v131, 24, v83
	;; [unrolled: 1-line block ×12, first 2 shown]
	v_perm_b32 v146, v130, v129, 0xc0c0703
	v_perm_b32 v147, v78, v122, 0x7030c0c
	v_dot4_i32_iu8 v81, v85, v81, 0 neg_lo:[1,1,0]
	v_lshlrev_b32_e32 v142, 16, v86
	v_perm_b32 v143, v79, v83, 0x7030c0c
	v_perm_b32 v144, v80, v84, 0xc0c0703
	;; [unrolled: 1-line block ×3, first 2 shown]
	s_wait_dscnt 0xb
	v_dot4_i32_iu8 v93, v85, v93, 0 neg_lo:[1,1,0]
	s_wait_dscnt 0x7
	v_dot4_i32_iu8 v101, v85, v101, 0 neg_lo:[1,1,0]
	v_perm_b32 v148, v132, v131, 0xc0c0703
	v_perm_b32 v83, v83, v123, 0x7030c0c
	v_perm_b32 v149, v134, v133, 0xc0c0703
	v_perm_b32 v79, v79, v124, 0x7030c0c
	v_perm_b32 v150, v136, v135, 0xc0c0703
	v_perm_b32 v84, v84, v125, 0x7030c0c
	v_perm_b32 v151, v138, v137, 0xc0c0703
	v_perm_b32 v80, v80, v126, 0x7030c0c
	v_perm_b32 v152, v140, v139, 0xc0c0703
	v_perm_b32 v77, v77, v127, 0x7030c0c
	v_perm_b32 v86, v86, v128, 0x7030c0c
	s_wait_dscnt 0x3
	v_perm_b32 v130, v109, v130, 0xc0c0503
	v_perm_b32 v132, v134, v132, 0x7030c0c
	s_wait_dscnt 0x2
	v_perm_b32 v134, v112, v111, 0x5010c0c
	v_perm_b32 v154, v85, v110, 0xc0c0501
	;; [unrolled: 1-line block ×13, first 2 shown]
	s_wait_dscnt 0x1
	v_perm_b32 v110, v114, v113, 0xc0c0602
	s_wait_dscnt 0x0
	v_perm_b32 v112, v116, v115, 0x6020c0c
	v_perm_b32 v123, v126, v125, 0xc0c0703
	;; [unrolled: 1-line block ×12, first 2 shown]
	v_or_b32_e32 v136, v147, v146
	v_or_b32_e32 v83, v83, v148
	;; [unrolled: 1-line block ×3, first 2 shown]
	v_perm_b32 v116, v142, v140, 0x7030c0c
	v_or_b32_e32 v84, v84, v150
	v_dot4_i32_iu8 v81, v136, v82, v81 neg_lo:[1,1,0]
	v_dot4_i32_iu8 v82, v136, v94, v93 neg_lo:[1,1,0]
	v_dot4_i32_iu8 v93, v136, v102, v101 neg_lo:[1,1,0]
	v_or_b32_e32 v130, v132, v130
	v_or_b32_e32 v132, v134, v154
	v_dot4_i32_iu8 v81, v83, v87, v81 neg_lo:[1,1,0]
	v_dot4_i32_iu8 v82, v83, v95, v82 neg_lo:[1,1,0]
	v_dot4_i32_iu8 v83, v83, v103, v93 neg_lo:[1,1,0]
	v_or_b32_e32 v134, v155, v156
	;; [unrolled: 5-line block ×3, first 2 shown]
	v_or_b32_e32 v80, v80, v151
	v_or_b32_e32 v129, v131, v129
	;; [unrolled: 1-line block ×9, first 2 shown]
	v_dot4_i32_iu8 v101, v130, v132, 0 neg_lo:[1,1,0]
	v_dot4_i32_iu8 v78, v78, v134, 0 neg_lo:[1,1,0]
	;; [unrolled: 1-line block ×5, first 2 shown]
	v_perm_b32 v153, v142, v141, 0xc0c0703
	v_or_b32_e32 v77, v77, v152
	v_or_b32_e32 v110, v112, v110
	;; [unrolled: 1-line block ×4, first 2 shown]
	v_dot4_i32_iu8 v85, v109, v85, 0 neg_lo:[1,1,0]
	v_dot4_i32_iu8 v83, v129, v131, 0 neg_lo:[1,1,0]
	;; [unrolled: 1-line block ×7, first 2 shown]
	v_or_b32_e32 v86, v86, v153
	v_dot4_i32_iu8 v85, v111, v110, v85 neg_lo:[1,1,0]
	v_dot4_i32_iu8 v80, v122, v112, v83 neg_lo:[1,1,0]
	v_add_nc_u32_e32 v78, v84, v78
	v_dot4_i32_iu8 v81, v77, v91, v81 neg_lo:[1,1,0]
	v_dot4_i32_iu8 v82, v77, v99, v82 neg_lo:[1,1,0]
	;; [unrolled: 1-line block ×3, first 2 shown]
	v_pk_mul_f16 v118, v117, v118
	v_add3_u32 v78, v80, v85, v78
	v_dot4_i32_iu8 v80, v86, v92, v81 neg_lo:[1,1,0]
	v_dot4_i32_iu8 v81, v86, v100, v82 neg_lo:[1,1,0]
	;; [unrolled: 1-line block ×3, first 2 shown]
	v_pk_mul_f16 v119, v117, v119
	v_pk_mul_f16 v79, v117, v120
	;; [unrolled: 1-line block ×3, first 2 shown]
	v_cvt_f32_i32_e32 v78, v78
	v_cvt_f32_i32_e32 v80, v80
	;; [unrolled: 1-line block ×4, first 2 shown]
	v_add_nc_u32_e32 v75, 4, v75
	v_fma_mix_f32 v78, v82, v78, v82 op_sel:[0,0,1] op_sel_hi:[1,0,1]
	v_fma_mix_f32 v80, v118, v80, v118 op_sel:[0,0,1] op_sel_hi:[1,0,1]
	;; [unrolled: 1-line block ×4, first 2 shown]
	s_delay_alu instid0(VALU_DEP_4)
	v_dual_add_f32 v15, v15, v78 :: v_dual_add_nc_u32 v76, 4, v76
	v_add_nc_u32_e32 v74, 4, v74
	v_add_nc_u32_e32 v73, 4, v73
	;; [unrolled: 1-line block ×4, first 2 shown]
	v_dual_add_f32 v24, v24, v80 :: v_dual_add_nc_u32 v21, 32, v21
	v_add_f32_e32 v50, v50, v81
	v_add_f32_e32 v46, v46, v77
	s_wait_alu 0xfffe
	s_add_co_i32 s1, s1, 4
	s_wait_alu 0xfffe
	s_cmp_lt_u32 s1, 12
	s_cbranch_scc1 .LBB204_11
; %bb.12:                               ;   in Loop: Header=BB204_5 Depth=1
	s_bitset1_b32 s18, 7
	s_wait_loadcnt 0x0
	s_wait_alu 0xfffe
	s_cmp_ge_i32 s18, s5
	s_barrier_signal -1
	s_barrier_wait -1
	global_inv scope:SCOPE_SE
	s_cbranch_scc1 .LBB204_4
; %bb.13:                               ;   in Loop: Header=BB204_5 Depth=1
	v_add_nc_u32_e32 v21, s16, v56
	s_delay_alu instid0(VALU_DEP_1)
	v_cmp_gt_i32_e64 s1, s6, v21
	s_and_b32 s18, s0, s1
	s_wait_alu 0xfffe
	s_and_saveexec_b32 s1, s18
	s_cbranch_execz .LBB204_15
; %bb.14:                               ;   in Loop: Header=BB204_5 Depth=1
	v_add_nc_u32_e32 v21, v57, v21
	s_delay_alu instid0(VALU_DEP_1)
	v_mad_co_i64_i32 v[71:72], null, v21, 36, v[18:19]
	global_load_b32 v21, v[71:72], off offset:4
	s_wait_loadcnt 0x0
	ds_store_b32 v53, v21
.LBB204_15:                             ;   in Loop: Header=BB204_5 Depth=1
	s_wait_alu 0xfffe
	s_or_b32 exec_lo, exec_lo, s1
	s_and_saveexec_b32 s18, vcc_lo
	s_cbranch_execz .LBB204_18
; %bb.16:                               ;   in Loop: Header=BB204_5 Depth=1
	v_or_b32_e32 v21, 4, v20
	s_delay_alu instid0(VALU_DEP_1)
	v_cmp_gt_i32_e64 s1, s6, v21
	s_and_b32 s1, s0, s1
	s_wait_alu 0xfffe
	s_and_b32 exec_lo, exec_lo, s1
	s_cbranch_execz .LBB204_18
; %bb.17:                               ;   in Loop: Header=BB204_5 Depth=1
	v_ashrrev_i32_e32 v21, 31, v20
	v_add_co_u32 v20, s1, v57, v20
	s_wait_alu 0xf1ff
	s_delay_alu instid0(VALU_DEP_2) | instskip(NEXT) | instid1(VALU_DEP_2)
	v_add_co_ci_u32_e64 v71, null, v0, v21, s1
	v_mad_co_u64_u32 v[20:21], null, v20, 36, s[2:3]
	s_delay_alu instid0(VALU_DEP_1)
	v_mad_i32_i24 v21, v71, 36, v21
	global_load_b32 v20, v[20:21], off offset:144
	s_wait_loadcnt 0x0
	ds_store_b32 v54, v20
.LBB204_18:                             ;   in Loop: Header=BB204_5 Depth=1
	s_wait_alu 0xfffe
	s_or_b32 exec_lo, exec_lo, s18
	v_dual_mov_b32 v20, v52 :: v_dual_mov_b32 v21, v51
	v_dual_mov_b32 v71, v66 :: v_dual_mov_b32 v72, v65
	;; [unrolled: 1-line block ×3, first 2 shown]
	v_mov_b32_e32 v75, v62
	s_mov_b32 s1, 12
	s_wait_loadcnt_dscnt 0x0
	s_barrier_signal -1
	s_barrier_wait -1
	global_inv scope:SCOPE_SE
.LBB204_19:                             ;   Parent Loop BB204_5 Depth=1
                                        ; =>  This Inner Loop Header: Depth=2
	v_add_nc_u32_e32 v92, 0x2080, v71
	v_add_nc_u32_e32 v94, 0x2088, v71
	ds_load_2addr_b32 v[76:77], v21 offset1:7
	ds_load_2addr_b32 v[78:79], v21 offset0:3 offset1:4
	ds_load_2addr_b32 v[80:81], v21 offset0:5 offset1:6
	;; [unrolled: 1-line block ×3, first 2 shown]
	ds_load_b32 v116, v20
	ds_load_2addr_b32 v[84:85], v71 offset1:1
	ds_load_2addr_b32 v[86:87], v71 offset0:2 offset1:3
	ds_load_2addr_b32 v[88:89], v71 offset0:4 offset1:5
	;; [unrolled: 1-line block ×3, first 2 shown]
	v_add_nc_u32_e32 v96, 0x2090, v71
	v_add_nc_u32_e32 v98, 0x2098, v71
	;; [unrolled: 1-line block ×10, first 2 shown]
	ds_load_b32 v117, v72
	ds_load_b32 v118, v73
	;; [unrolled: 1-line block ×4, first 2 shown]
	ds_load_2addr_b32 v[92:93], v92 offset1:1
	ds_load_2addr_b32 v[94:95], v94 offset1:1
	;; [unrolled: 1-line block ×12, first 2 shown]
	s_wait_dscnt 0x17
	v_lshlrev_b32_e32 v121, 8, v79
	v_lshlrev_b32_e32 v128, 24, v79
	;; [unrolled: 1-line block ×3, first 2 shown]
	s_wait_dscnt 0x15
	v_lshlrev_b32_e32 v122, 8, v82
	v_lshlrev_b32_e32 v123, 8, v80
	;; [unrolled: 1-line block ×17, first 2 shown]
	v_perm_b32 v145, v129, v128, 0xc0c0703
	v_perm_b32 v146, v79, v121, 0x7030c0c
	s_wait_dscnt 0x13
	v_dot4_i32_iu8 v84, v76, v84, 0 neg_lo:[1,1,0]
	v_lshlrev_b32_e32 v141, 16, v77
	v_perm_b32 v142, v80, v82, 0x7030c0c
	v_perm_b32 v143, v81, v83, 0xc0c0703
	;; [unrolled: 1-line block ×3, first 2 shown]
	s_wait_dscnt 0xb
	v_dot4_i32_iu8 v92, v76, v92, 0 neg_lo:[1,1,0]
	s_wait_dscnt 0x7
	v_dot4_i32_iu8 v100, v76, v100, 0 neg_lo:[1,1,0]
	v_perm_b32 v147, v131, v130, 0xc0c0703
	v_perm_b32 v82, v82, v122, 0x7030c0c
	;; [unrolled: 1-line block ×11, first 2 shown]
	s_wait_dscnt 0x3
	v_perm_b32 v129, v108, v129, 0xc0c0503
	v_perm_b32 v131, v133, v131, 0x7030c0c
	s_wait_dscnt 0x2
	v_perm_b32 v133, v111, v110, 0x5010c0c
	v_perm_b32 v153, v76, v109, 0xc0c0501
	v_perm_b32 v154, v111, v110, 0x7030c0c
	v_perm_b32 v155, v76, v109, 0xc0c0703
	v_perm_b32 v79, v108, v79, 0xc0c0703
	v_perm_b32 v128, v108, v128, 0xc0c0403
	v_perm_b32 v130, v132, v130, 0x7030c0c
	v_perm_b32 v132, v111, v110, 0x4000c0c
	v_perm_b32 v156, v76, v109, 0xc0c0400
	v_perm_b32 v108, v108, v121, 0xc0c0603
	v_perm_b32 v121, v123, v122, 0x7030c0c
	v_perm_b32 v110, v111, v110, 0x6020c0c
	v_perm_b32 v76, v76, v109, 0xc0c0602
	s_wait_dscnt 0x1
	v_perm_b32 v109, v113, v112, 0xc0c0602
	s_wait_dscnt 0x0
	v_perm_b32 v111, v115, v114, 0x6020c0c
	v_perm_b32 v122, v125, v124, 0xc0c0703
	;; [unrolled: 1-line block ×12, first 2 shown]
	v_or_b32_e32 v135, v146, v145
	v_or_b32_e32 v82, v82, v147
	;; [unrolled: 1-line block ×3, first 2 shown]
	v_perm_b32 v115, v141, v139, 0x7030c0c
	v_or_b32_e32 v83, v83, v149
	v_dot4_i32_iu8 v84, v135, v85, v84 neg_lo:[1,1,0]
	v_dot4_i32_iu8 v85, v135, v93, v92 neg_lo:[1,1,0]
	v_dot4_i32_iu8 v92, v135, v101, v100 neg_lo:[1,1,0]
	v_or_b32_e32 v129, v131, v129
	v_or_b32_e32 v131, v133, v153
	v_dot4_i32_iu8 v84, v82, v86, v84 neg_lo:[1,1,0]
	v_dot4_i32_iu8 v85, v82, v94, v85 neg_lo:[1,1,0]
	v_dot4_i32_iu8 v82, v82, v102, v92 neg_lo:[1,1,0]
	v_or_b32_e32 v133, v154, v155
	;; [unrolled: 5-line block ×3, first 2 shown]
	v_or_b32_e32 v81, v81, v150
	v_or_b32_e32 v128, v130, v128
	;; [unrolled: 1-line block ×9, first 2 shown]
	v_dot4_i32_iu8 v100, v129, v131, 0 neg_lo:[1,1,0]
	v_dot4_i32_iu8 v79, v79, v133, 0 neg_lo:[1,1,0]
	v_dot4_i32_iu8 v84, v83, v88, v84 neg_lo:[1,1,0]
	v_dot4_i32_iu8 v85, v83, v96, v85 neg_lo:[1,1,0]
	v_dot4_i32_iu8 v80, v83, v104, v80 neg_lo:[1,1,0]
	v_perm_b32 v152, v141, v140, 0xc0c0703
	v_or_b32_e32 v78, v78, v151
	v_or_b32_e32 v109, v111, v109
	v_or_b32_e32 v111, v125, v124
	v_or_b32_e32 v121, v127, v126
	v_dot4_i32_iu8 v76, v108, v76, 0 neg_lo:[1,1,0]
	v_dot4_i32_iu8 v82, v128, v130, 0 neg_lo:[1,1,0]
	;; [unrolled: 1-line block ×7, first 2 shown]
	v_or_b32_e32 v77, v77, v152
	v_dot4_i32_iu8 v76, v110, v109, v76 neg_lo:[1,1,0]
	v_dot4_i32_iu8 v81, v121, v111, v82 neg_lo:[1,1,0]
	v_add_nc_u32_e32 v79, v83, v79
	v_dot4_i32_iu8 v82, v78, v90, v84 neg_lo:[1,1,0]
	v_dot4_i32_iu8 v83, v78, v98, v85 neg_lo:[1,1,0]
	;; [unrolled: 1-line block ×3, first 2 shown]
	v_pk_mul_f16 v117, v116, v117
	v_add3_u32 v76, v81, v76, v79
	v_dot4_i32_iu8 v79, v77, v91, v82 neg_lo:[1,1,0]
	v_dot4_i32_iu8 v81, v77, v99, v83 neg_lo:[1,1,0]
	v_dot4_i32_iu8 v77, v77, v107, v78 neg_lo:[1,1,0]
	v_pk_mul_f16 v118, v116, v118
	v_pk_mul_f16 v80, v116, v119
	;; [unrolled: 1-line block ×3, first 2 shown]
	v_cvt_f32_i32_e32 v76, v76
	v_cvt_f32_i32_e32 v79, v79
	;; [unrolled: 1-line block ×4, first 2 shown]
	v_add_nc_u32_e32 v74, 4, v74
	v_fma_mix_f32 v76, v78, v76, v78 op_sel:[0,0,1] op_sel_hi:[1,0,1]
	v_fma_mix_f32 v78, v117, v79, v117 op_sel:[0,0,1] op_sel_hi:[1,0,1]
	;; [unrolled: 1-line block ×4, first 2 shown]
	v_add_nc_u32_e32 v75, 4, v75
	v_add_nc_u32_e32 v73, 4, v73
	;; [unrolled: 1-line block ×3, first 2 shown]
	s_delay_alu instid0(VALU_DEP_4)
	v_dual_add_f32 v46, v46, v77 :: v_dual_add_nc_u32 v71, 32, v71
	v_add_nc_u32_e32 v21, 32, v21
	v_add_nc_u32_e32 v20, 4, v20
	v_dual_add_f32 v15, v15, v76 :: v_dual_add_f32 v24, v24, v78
	v_add_f32_e32 v50, v50, v79
	s_wait_alu 0xfffe
	s_add_co_i32 s1, s1, 4
	s_wait_alu 0xfffe
	s_cmp_lt_u32 s1, 28
	s_cbranch_scc1 .LBB204_19
; %bb.20:                               ;   in Loop: Header=BB204_5 Depth=1
	s_wait_loadcnt 0x0
	s_barrier_signal -1
	s_barrier_wait -1
	global_inv scope:SCOPE_SE
	s_branch .LBB204_4
.LBB204_21:
	s_mul_i32 s0, s10, s7
	s_wait_loadcnt 0x0
	s_wait_alu 0xfffe
	v_cmp_gt_i32_e32 vcc_lo, s0, v22
	s_and_saveexec_b32 s0, vcc_lo
	s_cbranch_execz .LBB204_30
; %bb.22:
	v_mul_lo_u32 v0, v22, s9
	v_add_nc_u32_e32 v1, s11, v23
	s_mov_b32 s0, exec_lo
	s_delay_alu instid0(VALU_DEP_1)
	v_cmpx_gt_u32_e64 s9, v1
	s_cbranch_execz .LBB204_24
; %bb.23:
	s_delay_alu instid0(VALU_DEP_3) | instskip(SKIP_1) | instid1(VALU_DEP_2)
	v_dual_mov_b32 v3, 0 :: v_dual_add_nc_u32 v2, v0, v1
	v_cvt_f16_f32_e32 v4, v24
	v_lshlrev_b64_e32 v[2:3], 1, v[2:3]
	s_delay_alu instid0(VALU_DEP_1) | instskip(SKIP_1) | instid1(VALU_DEP_2)
	v_add_co_u32 v2, vcc_lo, s12, v2
	s_wait_alu 0xfffd
	v_add_co_ci_u32_e64 v3, null, s13, v3, vcc_lo
	global_store_b16 v[2:3], v4, off
.LBB204_24:
	s_wait_alu 0xfffe
	s_or_b32 exec_lo, exec_lo, s0
	v_add_nc_u32_e32 v2, 32, v1
	s_mov_b32 s0, exec_lo
	s_delay_alu instid0(VALU_DEP_1)
	v_cmpx_gt_u32_e64 s9, v2
	s_cbranch_execz .LBB204_26
; %bb.25:
	v_dual_mov_b32 v3, 0 :: v_dual_add_nc_u32 v2, v0, v2
	v_cvt_f16_f32_e32 v4, v50
	s_delay_alu instid0(VALU_DEP_2) | instskip(NEXT) | instid1(VALU_DEP_1)
	v_lshlrev_b64_e32 v[2:3], 1, v[2:3]
	v_add_co_u32 v2, vcc_lo, s12, v2
	s_wait_alu 0xfffd
	s_delay_alu instid0(VALU_DEP_2)
	v_add_co_ci_u32_e64 v3, null, s13, v3, vcc_lo
	global_store_b16 v[2:3], v4, off
.LBB204_26:
	s_wait_alu 0xfffe
	s_or_b32 exec_lo, exec_lo, s0
	v_add_nc_u32_e32 v2, 64, v1
	s_mov_b32 s0, exec_lo
	s_delay_alu instid0(VALU_DEP_1)
	v_cmpx_gt_u32_e64 s9, v2
	s_cbranch_execz .LBB204_28
; %bb.27:
	v_dual_mov_b32 v3, 0 :: v_dual_add_nc_u32 v2, v0, v2
	v_cvt_f16_f32_e32 v4, v46
	s_delay_alu instid0(VALU_DEP_2) | instskip(NEXT) | instid1(VALU_DEP_1)
	v_lshlrev_b64_e32 v[2:3], 1, v[2:3]
	v_add_co_u32 v2, vcc_lo, s12, v2
	s_wait_alu 0xfffd
	s_delay_alu instid0(VALU_DEP_2)
	v_add_co_ci_u32_e64 v3, null, s13, v3, vcc_lo
	global_store_b16 v[2:3], v4, off
.LBB204_28:
	s_wait_alu 0xfffe
	s_or_b32 exec_lo, exec_lo, s0
	v_add_nc_u32_e32 v1, 0x60, v1
	s_delay_alu instid0(VALU_DEP_1)
	v_cmp_gt_u32_e32 vcc_lo, s9, v1
	s_and_b32 exec_lo, exec_lo, vcc_lo
	s_cbranch_execz .LBB204_30
; %bb.29:
	v_dual_mov_b32 v1, 0 :: v_dual_add_nc_u32 v0, v0, v1
	v_cvt_f16_f32_e32 v2, v15
	s_delay_alu instid0(VALU_DEP_2) | instskip(NEXT) | instid1(VALU_DEP_1)
	v_lshlrev_b64_e32 v[0:1], 1, v[0:1]
	v_add_co_u32 v0, vcc_lo, s12, v0
	s_wait_alu 0xfffd
	s_delay_alu instid0(VALU_DEP_2)
	v_add_co_ci_u32_e64 v1, null, s13, v1, vcc_lo
	global_store_b16 v[0:1], v2, off
.LBB204_30:
	s_nop 0
	s_sendmsg sendmsg(MSG_DEALLOC_VGPRS)
	s_endpgm
	.section	.rodata,"a",@progbits
	.p2align	6, 0x0
	.amdhsa_kernel _ZL8moe_q5_1IN3c104HalfELb1EEvPKvS3_PT_PKiS7_S7_iiiiiii
		.amdhsa_group_segment_fixed_size 38656
		.amdhsa_private_segment_fixed_size 0
		.amdhsa_kernarg_size 76
		.amdhsa_user_sgpr_count 2
		.amdhsa_user_sgpr_dispatch_ptr 0
		.amdhsa_user_sgpr_queue_ptr 0
		.amdhsa_user_sgpr_kernarg_segment_ptr 1
		.amdhsa_user_sgpr_dispatch_id 0
		.amdhsa_user_sgpr_private_segment_size 0
		.amdhsa_wavefront_size32 1
		.amdhsa_uses_dynamic_stack 0
		.amdhsa_enable_private_segment 0
		.amdhsa_system_sgpr_workgroup_id_x 1
		.amdhsa_system_sgpr_workgroup_id_y 1
		.amdhsa_system_sgpr_workgroup_id_z 0
		.amdhsa_system_sgpr_workgroup_info 0
		.amdhsa_system_vgpr_workitem_id 1
		.amdhsa_next_free_vgpr 217
		.amdhsa_next_free_sgpr 21
		.amdhsa_reserve_vcc 1
		.amdhsa_float_round_mode_32 0
		.amdhsa_float_round_mode_16_64 0
		.amdhsa_float_denorm_mode_32 3
		.amdhsa_float_denorm_mode_16_64 3
		.amdhsa_fp16_overflow 0
		.amdhsa_workgroup_processor_mode 1
		.amdhsa_memory_ordered 1
		.amdhsa_forward_progress 1
		.amdhsa_inst_pref_size 70
		.amdhsa_round_robin_scheduling 0
		.amdhsa_exception_fp_ieee_invalid_op 0
		.amdhsa_exception_fp_denorm_src 0
		.amdhsa_exception_fp_ieee_div_zero 0
		.amdhsa_exception_fp_ieee_overflow 0
		.amdhsa_exception_fp_ieee_underflow 0
		.amdhsa_exception_fp_ieee_inexact 0
		.amdhsa_exception_int_div_zero 0
	.end_amdhsa_kernel
	.section	.text._ZL8moe_q5_1IN3c104HalfELb1EEvPKvS3_PT_PKiS7_S7_iiiiiii,"axG",@progbits,_ZL8moe_q5_1IN3c104HalfELb1EEvPKvS3_PT_PKiS7_S7_iiiiiii,comdat
.Lfunc_end204:
	.size	_ZL8moe_q5_1IN3c104HalfELb1EEvPKvS3_PT_PKiS7_S7_iiiiiii, .Lfunc_end204-_ZL8moe_q5_1IN3c104HalfELb1EEvPKvS3_PT_PKiS7_S7_iiiiiii
                                        ; -- End function
	.set _ZL8moe_q5_1IN3c104HalfELb1EEvPKvS3_PT_PKiS7_S7_iiiiiii.num_vgpr, 180
	.set _ZL8moe_q5_1IN3c104HalfELb1EEvPKvS3_PT_PKiS7_S7_iiiiiii.num_agpr, 0
	.set _ZL8moe_q5_1IN3c104HalfELb1EEvPKvS3_PT_PKiS7_S7_iiiiiii.numbered_sgpr, 21
	.set _ZL8moe_q5_1IN3c104HalfELb1EEvPKvS3_PT_PKiS7_S7_iiiiiii.num_named_barrier, 0
	.set _ZL8moe_q5_1IN3c104HalfELb1EEvPKvS3_PT_PKiS7_S7_iiiiiii.private_seg_size, 0
	.set _ZL8moe_q5_1IN3c104HalfELb1EEvPKvS3_PT_PKiS7_S7_iiiiiii.uses_vcc, 1
	.set _ZL8moe_q5_1IN3c104HalfELb1EEvPKvS3_PT_PKiS7_S7_iiiiiii.uses_flat_scratch, 0
	.set _ZL8moe_q5_1IN3c104HalfELb1EEvPKvS3_PT_PKiS7_S7_iiiiiii.has_dyn_sized_stack, 0
	.set _ZL8moe_q5_1IN3c104HalfELb1EEvPKvS3_PT_PKiS7_S7_iiiiiii.has_recursion, 0
	.set _ZL8moe_q5_1IN3c104HalfELb1EEvPKvS3_PT_PKiS7_S7_iiiiiii.has_indirect_call, 0
	.section	.AMDGPU.csdata,"",@progbits
; Kernel info:
; codeLenInByte = 8928
; TotalNumSgprs: 23
; NumVgprs: 180
; ScratchSize: 0
; MemoryBound: 0
; FloatMode: 240
; IeeeMode: 1
; LDSByteSize: 38656 bytes/workgroup (compile time only)
; SGPRBlocks: 0
; VGPRBlocks: 27
; NumSGPRsForWavesPerEU: 23
; NumVGPRsForWavesPerEU: 217
; Occupancy: 6
; WaveLimiterHint : 1
; COMPUTE_PGM_RSRC2:SCRATCH_EN: 0
; COMPUTE_PGM_RSRC2:USER_SGPR: 2
; COMPUTE_PGM_RSRC2:TRAP_HANDLER: 0
; COMPUTE_PGM_RSRC2:TGID_X_EN: 1
; COMPUTE_PGM_RSRC2:TGID_Y_EN: 1
; COMPUTE_PGM_RSRC2:TGID_Z_EN: 0
; COMPUTE_PGM_RSRC2:TIDIG_COMP_CNT: 1
	.section	.text._ZL8moe_q8_0IN3c104HalfELb0EEvPKvS3_PT_PKiS7_S7_iiiiiii,"axG",@progbits,_ZL8moe_q8_0IN3c104HalfELb0EEvPKvS3_PT_PKiS7_S7_iiiiiii,comdat
	.globl	_ZL8moe_q8_0IN3c104HalfELb0EEvPKvS3_PT_PKiS7_S7_iiiiiii ; -- Begin function _ZL8moe_q8_0IN3c104HalfELb0EEvPKvS3_PT_PKiS7_S7_iiiiiii
	.p2align	8
	.type	_ZL8moe_q8_0IN3c104HalfELb0EEvPKvS3_PT_PKiS7_S7_iiiiiii,@function
_ZL8moe_q8_0IN3c104HalfELb0EEvPKvS3_PT_PKiS7_S7_iiiiiii: ; @_ZL8moe_q8_0IN3c104HalfELb0EEvPKvS3_PT_PKiS7_S7_iiiiiii
; %bb.0:
	s_load_b128 s[4:7], s[0:1], 0x18
	s_mov_b32 s2, ttmp7
	s_mov_b32 s3, 0
	s_delay_alu instid0(SALU_CYCLE_1)
	s_lshl_b64 s[2:3], s[2:3], 2
	s_wait_kmcnt 0x0
	s_add_nc_u64 s[2:3], s[6:7], s[2:3]
	s_load_b32 s12, s[2:3], 0x0
	s_wait_kmcnt 0x0
	s_cmp_gt_u32 s12, 0xff
	s_cbranch_scc1 .LBB205_22
; %bb.1:
	s_load_b64 s[2:3], s[0:1], 0x28
	s_wait_kmcnt 0x0
	s_load_b32 s3, s[2:3], 0x0
	s_lshl_b32 s2, ttmp7, 3
	s_wait_kmcnt 0x0
	s_cmp_gt_u32 s2, s3
	s_cbranch_scc1 .LBB205_22
; %bb.2:
	v_bfe_u32 v40, v0, 10, 10
	v_mov_b32_e32 v2, 0
	s_lshl_b32 s18, ttmp9, 7
	s_delay_alu instid0(VALU_DEP_1) | instskip(SKIP_1) | instid1(VALU_DEP_2)
	v_dual_mov_b32 v18, v2 :: v_dual_add_nc_u32 v1, s2, v40
	v_dual_mov_b32 v32, v2 :: v_dual_mov_b32 v5, v2
	v_lshlrev_b64_e32 v[3:4], 2, v[1:2]
	s_delay_alu instid0(VALU_DEP_1) | instskip(NEXT) | instid1(VALU_DEP_1)
	v_add_co_u32 v3, vcc_lo, s4, v3
	v_add_co_ci_u32_e64 v4, null, s5, v4, vcc_lo
	global_load_b32 v3, v[3:4], off
	s_clause 0x2
	s_load_b64 s[10:11], s[0:1], 0x30
	s_load_b64 s[8:9], s[0:1], 0x10
	s_load_b128 s[4:7], s[0:1], 0x3c
	v_and_b32_e32 v4, 0x3ff, v0
	s_wait_kmcnt 0x0
	s_cmp_lt_i32 s11, 32
	s_cbranch_scc1 .LBB205_13
; %bb.3:
	s_ashr_i32 s13, s11, 31
	s_abs_i32 s16, s7
	s_lshr_b32 s13, s13, 27
	s_mul_i32 s12, s12, s10
	s_add_co_i32 s13, s11, s13
	s_ashr_i32 s14, s5, 31
	s_ashr_i32 s10, s13, 5
	s_cvt_f32_u32 s13, s16
	s_lshr_b32 s14, s14, 27
	s_wait_loadcnt 0x0
	v_sub_nc_u32_e32 v17, 0, v3
	s_add_co_i32 s5, s5, s14
	v_rcp_iflag_f32_e32 v14, s13
	s_sub_co_i32 s19, 0, s16
	v_bfe_u32 v15, v0, 2, 8
	v_max_i32_e32 v33, v3, v17
	v_xor_b32_e32 v16, s7, v3
	v_bfe_u32 v6, v0, 3, 7
	v_dual_mov_b32 v5, 0 :: v_dual_and_b32 v8, 3, v0
	v_mul_lo_u32 v7, s10, v40
	s_delay_alu instid0(VALU_DEP_4) | instskip(NEXT) | instid1(TRANS32_DEP_1)
	v_ashrrev_i32_e32 v41, 31, v16
	v_readfirstlane_b32 s14, v14
	s_lshl_b32 s17, s10, 3
	v_lshlrev_b32_e32 v32, 2, v8
	v_lshlrev_b32_e32 v45, 4, v4
	;; [unrolled: 1-line block ×3, first 2 shown]
	s_mul_f32 s15, s14, 0x4f7ffffe
	v_add_nc_u32_e32 v9, s17, v7
	s_load_b128 s[0:3], s[0:1], 0x0
	s_mul_i32 s14, s10, s18
	s_cvt_u32_f32 s20, s15
	s_ashr_i32 s13, s12, 31
	s_ashr_i32 s15, s14, 31
	;; [unrolled: 1-line block ×3, first 2 shown]
	s_mul_i32 s19, s19, s20
	v_lshlrev_b32_e32 v50, 4, v40
	s_mul_hi_u32 s19, s20, s19
	s_mul_u64 s[14:15], s[14:15], 34
	s_add_co_i32 s20, s20, s19
	s_delay_alu instid0(SALU_CYCLE_1) | instskip(SKIP_3) | instid1(VALU_DEP_1)
	v_mul_hi_u32 v35, v33, s20
	s_wait_kmcnt 0x0
	s_wait_alu 0xfffe
	s_add_nc_u64 s[0:1], s[0:1], s[12:13]
	v_mul_lo_u32 v34, v35, s16
	v_add_nc_u32_e32 v38, 1, v35
	s_add_nc_u64 s[12:13], s[0:1], s[14:15]
	v_cmp_gt_u32_e64 s0, 4, v4
	s_mov_b32 s15, 0
	s_delay_alu instid0(SALU_CYCLE_1) | instskip(SKIP_1) | instid1(VALU_DEP_1)
	s_mov_b32 s14, s15
	v_sub_nc_u32_e32 v36, v33, v34
	v_subrev_nc_u32_e32 v39, s16, v36
	v_cmp_le_u32_e32 vcc_lo, s16, v36
	v_lshlrev_b32_e32 v1, 2, v4
	s_wait_alu 0xfffd
	s_delay_alu instid0(VALU_DEP_3) | instskip(SKIP_1) | instid1(VALU_DEP_2)
	v_dual_cndmask_b32 v39, v36, v39 :: v_dual_lshlrev_b32 v2, 3, v40
	v_cndmask_b32_e32 v38, v35, v38, vcc_lo
	v_add_nc_u32_e32 v18, v15, v2
	v_add_nc_u16 v2, v15, v2
	v_and_b32_e32 v12, 28, v1
	v_cmp_le_u32_e32 vcc_lo, s16, v39
	v_add_nc_u32_e32 v42, 1, v38
	v_and_b32_e32 v0, 31, v0
	v_mul_lo_u32 v29, s10, v18
	v_lshlrev_b32_e32 v47, 4, v18
	v_add_nc_u32_e32 v18, 64, v18
	s_wait_alu 0xfffd
	v_cndmask_b32_e32 v39, v38, v42, vcc_lo
	v_lshrrev_b16 v2, 1, v2
	v_lshl_add_u32 v38, v40, 7, 0x4a40
	v_mad_u32_u24 v13, 0x84, v40, v1
	v_lshrrev_b32_e32 v37, 1, v18
	v_xor_b32_e32 v42, v39, v41
	v_and_b32_e32 v2, 0x1ffc, v2
	v_add_nc_u32_e32 v49, 0x4e40, v1
	v_lshl_add_u32 v39, v0, 2, v38
	v_and_b32_e32 v43, 0x3ffc, v37
	v_sub_nc_u32_e32 v0, v42, v41
	v_add_nc_u32_e32 v1, 0x60, v4
	v_add_nc_u32_e32 v41, 64, v4
	;; [unrolled: 1-line block ×3, first 2 shown]
	v_add3_u32 v2, v2, v32, 0x4200
	v_add3_u32 v32, v43, v32, 0x4200
	v_lshrrev_b32_e32 v1, 1, v1
	v_lshrrev_b32_e32 v43, 1, v41
	;; [unrolled: 1-line block ×3, first 2 shown]
	v_lshlrev_b32_e32 v18, 4, v18
	v_add_nc_u32_e32 v47, v2, v47
	v_and_b32_e32 v44, 0xfc, v1
	v_and_b32_e32 v43, 0xfc, v43
	;; [unrolled: 1-line block ×3, first 2 shown]
	v_mul_lo_u32 v41, v0, s5
	v_cmp_gt_i32_e32 vcc_lo, s4, v0
	v_add3_u32 v42, v45, v44, 0x4800
	v_add3_u32 v43, v45, v43, 0x4600
	;; [unrolled: 1-line block ×4, first 2 shown]
	v_add_nc_u32_e32 v48, v32, v18
	v_mov_b32_e32 v32, 0
	v_add_nc_u32_e32 v10, s17, v9
	v_mov_b32_e32 v18, 0
	v_add_co_u32 v0, s1, s2, v12
	s_delay_alu instid0(VALU_DEP_3)
	v_dual_mov_b32 v2, 0 :: v_dual_add_nc_u32 v11, s17, v10
	v_add_nc_u32_e32 v17, 0x2100, v13
	v_add_nc_u32_e32 v20, 0x2520, v13
	;; [unrolled: 1-line block ×10, first 2 shown]
	v_lshl_add_u32 v34, s10, 6, v29
	v_mul_u32_u24_e32 v40, 0x84, v4
	v_add_co_ci_u32_e64 v1, null, s3, 0, s1
	s_delay_alu instid0(VALU_DEP_4) | instskip(SKIP_3) | instid1(VALU_DEP_3)
	v_add_nc_u32_e32 v16, s17, v15
	v_add_nc_u32_e32 v46, 0x4e40, v50
	;; [unrolled: 1-line block ×3, first 2 shown]
	s_and_b32 s1, s0, vcc_lo
	v_add_nc_u32_e32 v19, s17, v16
	s_delay_alu instid0(VALU_DEP_1) | instskip(NEXT) | instid1(VALU_DEP_1)
	v_add_nc_u32_e32 v22, s17, v19
	v_add_nc_u32_e32 v26, s17, v22
	s_delay_alu instid0(VALU_DEP_1) | instskip(NEXT) | instid1(VALU_DEP_1)
	v_add_nc_u32_e32 v30, s17, v26
	;; [unrolled: 3-line block ×4, first 2 shown]
	v_add_nc_u32_e32 v37, s17, v36
	s_branch .LBB205_5
.LBB205_4:                              ;   in Loop: Header=BB205_5 Depth=1
	s_add_co_i32 s14, s14, 4
	s_wait_alu 0xfffe
	s_cmp_ge_i32 s14, s10
	s_cbranch_scc1 .LBB205_13
.LBB205_5:                              ; =>This Loop Header: Depth=1
                                        ;     Child Loop BB205_11 Depth 2
	s_mul_u64 s[16:17], s[14:15], 34
	s_wait_alu 0xfffe
	s_add_nc_u64 s[16:17], s[12:13], s[16:17]
	s_wait_alu 0xfffe
	v_mad_co_u64_u32 v[50:51], null, v6, 34, s[16:17]
	s_delay_alu instid0(VALU_DEP_1) | instskip(SKIP_3) | instid1(VALU_DEP_4)
	v_mad_co_u64_u32 v[52:53], null, v7, 34, v[50:51]
	v_mad_co_u64_u32 v[54:55], null, v9, 34, v[50:51]
	;; [unrolled: 1-line block ×4, first 2 shown]
	v_add_co_u32 v52, s0, v52, v12
	v_mad_co_u64_u32 v[60:61], null, v14, 34, v[50:51]
	s_wait_alu 0xf1ff
	v_add_co_ci_u32_e64 v53, null, 0, v53, s0
	v_add_co_u32 v54, s0, v54, v12
	v_mad_co_u64_u32 v[62:63], null, v15, 34, v[50:51]
	s_wait_alu 0xf1ff
	v_add_co_ci_u32_e64 v55, null, 0, v55, s0
	;; [unrolled: 4-line block ×4, first 2 shown]
	v_add_co_u32 v60, s0, v60, v12
	s_wait_alu 0xf1ff
	v_add_co_ci_u32_e64 v61, null, 0, v61, s0
	v_add_co_u32 v62, s0, v62, v12
	s_wait_alu 0xf1ff
	v_add_co_ci_u32_e64 v63, null, 0, v63, s0
	;; [unrolled: 3-line block ×3, first 2 shown]
	v_add_co_u32 v66, s0, v66, v12
	v_mad_co_u64_u32 v[68:69], null, v22, 34, v[50:51]
	s_wait_alu 0xf1ff
	v_add_co_ci_u32_e64 v67, null, 0, v67, s0
	s_clause 0x7
	global_load_b32 v70, v[52:53], off offset:2
	global_load_b32 v71, v[54:55], off offset:2
	global_load_b32 v72, v[56:57], off offset:2
	global_load_b32 v73, v[58:59], off offset:2
	global_load_b32 v74, v[60:61], off offset:2
	global_load_b32 v75, v[62:63], off offset:2
	global_load_b32 v76, v[64:65], off offset:2
	global_load_b32 v77, v[66:67], off offset:2
	v_mad_co_u64_u32 v[52:53], null, v26, 34, v[50:51]
	v_mad_co_u64_u32 v[56:57], null, v30, 34, v[50:51]
	;; [unrolled: 1-line block ×4, first 2 shown]
	v_add_co_u32 v54, s0, v68, v12
	v_mad_co_u64_u32 v[60:61], null, v33, 34, v[50:51]
	s_wait_alu 0xf1ff
	v_add_co_ci_u32_e64 v55, null, 0, v69, s0
	v_add_co_u32 v52, s0, v52, v12
	v_mad_co_u64_u32 v[64:65], null, v35, 34, v[50:51]
	s_wait_alu 0xf1ff
	v_add_co_ci_u32_e64 v53, null, 0, v53, s0
	v_add_co_u32 v56, s0, v56, v12
	v_mad_co_u64_u32 v[66:67], null, v36, 34, v[50:51]
	v_mad_co_u64_u32 v[68:69], null, v29, 34, v[62:63]
	;; [unrolled: 1-line block ×3, first 2 shown]
	s_wait_alu 0xf1ff
	v_add_co_ci_u32_e64 v57, null, 0, v57, s0
	v_add_co_u32 v58, s0, v58, v12
	v_mad_co_u64_u32 v[50:51], null, v37, 34, v[50:51]
	s_wait_alu 0xf1ff
	v_add_co_ci_u32_e64 v59, null, 0, v59, s0
	v_add_co_u32 v60, s0, v60, v12
	s_wait_alu 0xf1ff
	v_add_co_ci_u32_e64 v61, null, 0, v61, s0
	v_add_co_u32 v64, s0, v64, v12
	s_wait_alu 0xf1ff
	v_add_co_ci_u32_e64 v65, null, 0, v65, s0
	s_clause 0x1
	global_load_u16 v68, v[68:69], off
	global_load_u16 v69, v[62:63], off
	v_add_co_u32 v62, s0, v66, v12
	s_wait_alu 0xf1ff
	v_add_co_ci_u32_e64 v63, null, 0, v67, s0
	v_add_co_u32 v50, s0, v50, v12
	s_wait_alu 0xf1ff
	v_add_co_ci_u32_e64 v51, null, 0, v51, s0
	s_clause 0x7
	global_load_b32 v54, v[54:55], off offset:2
	global_load_b32 v52, v[52:53], off offset:2
	;; [unrolled: 1-line block ×8, first 2 shown]
	s_lshl_b32 s0, s14, 5
	v_add_nc_u32_e32 v51, 0x420, v13
	v_add_nc_u32_e32 v59, 0x840, v13
	;; [unrolled: 1-line block ×3, first 2 shown]
	s_wait_alu 0xfffe
	s_cmp_ge_i32 s0, s11
	v_add_nc_u32_e32 v61, 0x1080, v13
	v_add_nc_u32_e32 v62, 0x14a0, v13
	;; [unrolled: 1-line block ×4, first 2 shown]
	s_wait_loadcnt 0x9
	v_cvt_f32_f16_e32 v65, v68
	s_wait_loadcnt 0x8
	v_cvt_f32_f16_e32 v66, v69
	ds_store_b32 v13, v70
	ds_store_b32 v51, v71
	ds_store_b32 v59, v72
	ds_store_b32 v60, v73
	ds_store_b32 v61, v74
	ds_store_b32 v62, v75
	ds_store_b32 v63, v76
	ds_store_b32 v64, v77
	s_wait_loadcnt 0x7
	ds_store_b32 v17, v54
	s_wait_loadcnt 0x6
	ds_store_b32 v20, v52
	;; [unrolled: 2-line block ×8, first 2 shown]
	ds_store_b32 v47, v65
	ds_store_b32 v48, v66
	s_cbranch_scc1 .LBB205_4
; %bb.6:                                ;   in Loop: Header=BB205_5 Depth=1
	v_add_nc_u32_e32 v50, s14, v6
	s_delay_alu instid0(VALU_DEP_1)
	v_cmp_gt_i32_e64 s0, s5, v50
	s_and_b32 s16, vcc_lo, s0
	s_wait_alu 0xfffe
	s_and_saveexec_b32 s0, s16
	s_cbranch_execz .LBB205_8
; %bb.7:                                ;   in Loop: Header=BB205_5 Depth=1
	v_add_nc_u32_e32 v50, v41, v50
	s_delay_alu instid0(VALU_DEP_1)
	v_mad_co_i64_i32 v[50:51], null, v50, 36, v[0:1]
	global_load_b32 v50, v[50:51], off offset:4
	s_wait_loadcnt 0x0
	ds_store_b32 v39, v50
.LBB205_8:                              ;   in Loop: Header=BB205_5 Depth=1
	s_wait_alu 0xfffe
	s_or_b32 exec_lo, exec_lo, s0
	v_or_b32_e32 v50, s14, v4
	s_delay_alu instid0(VALU_DEP_1)
	v_cmp_gt_i32_e64 s0, s5, v50
	s_and_b32 s16, s1, s0
	s_wait_alu 0xfffe
	s_and_saveexec_b32 s0, s16
	s_cbranch_execz .LBB205_10
; %bb.9:                                ;   in Loop: Header=BB205_5 Depth=1
	v_add_nc_u32_e32 v50, v41, v50
	s_delay_alu instid0(VALU_DEP_1)
	v_mad_co_i64_i32 v[50:51], null, v50, 36, s[2:3]
	global_load_b32 v50, v[50:51], off
	s_wait_loadcnt 0x0
	v_cvt_f32_f16_e32 v50, v50
	ds_store_b32 v49, v50
.LBB205_10:                             ;   in Loop: Header=BB205_5 Depth=1
	s_wait_alu 0xfffe
	s_or_b32 exec_lo, exec_lo, s0
	v_dual_mov_b32 v50, v38 :: v_dual_mov_b32 v51, v46
	v_dual_mov_b32 v52, v45 :: v_dual_mov_b32 v53, v44
	;; [unrolled: 1-line block ×3, first 2 shown]
	v_mov_b32_e32 v56, v40
	s_mov_b32 s0, -8
	s_wait_dscnt 0x0
	s_barrier_signal -1
	s_barrier_wait -1
	global_inv scope:SCOPE_SE
.LBB205_11:                             ;   Parent Loop BB205_5 Depth=1
                                        ; =>  This Inner Loop Header: Depth=2
	ds_load_2addr_b32 v[65:66], v56 offset0:2 offset1:3
	ds_load_2addr_b32 v[67:68], v56 offset0:4 offset1:5
	;; [unrolled: 1-line block ×3, first 2 shown]
	ds_load_b32 v97, v51
	ds_load_b32 v98, v52
	ds_load_2addr_b32 v[71:72], v56 offset1:1
	ds_load_b32 v99, v53
	ds_load_b32 v100, v54
	;; [unrolled: 1-line block ×3, first 2 shown]
	ds_load_b128 v[57:60], v50
	ds_load_b128 v[61:64], v50 offset:16
	v_add_nc_u32_e32 v73, 0x1080, v56
	v_add_nc_u32_e32 v75, 0x1088, v56
	;; [unrolled: 1-line block ×13, first 2 shown]
	s_wait_dscnt 0x6
	v_mul_f32_e32 v98, v97, v98
	ds_load_2addr_b32 v[73:74], v73 offset1:1
	ds_load_2addr_b32 v[75:76], v75 offset1:1
	;; [unrolled: 1-line block ×12, first 2 shown]
	v_add_nc_u32_e32 v55, 4, v55
	s_wait_dscnt 0x10
	v_dual_mul_f32 v99, v97, v99 :: v_dual_add_nc_u32 v54, 4, v54
	s_wait_dscnt 0xd
	v_dot4_i32_iu8 v71, v57, v71, 0 neg_lo:[1,1,0]
	v_perm_b32 v102, v57, v58, 0xc0c0501
	v_perm_b32 v103, v60, v59, 0x5010c0c
	;; [unrolled: 1-line block ×6, first 2 shown]
	s_wait_dscnt 0xb
	v_dot4_i32_iu8 v73, v57, v73, 0 neg_lo:[1,1,0]
	v_dot4_i32_iu8 v71, v58, v72, v71 neg_lo:[1,1,0]
	s_wait_dscnt 0x7
	v_dot4_i32_iu8 v57, v57, v81, 0 neg_lo:[1,1,0]
	v_or_b32_e32 v72, v103, v102
	v_or_b32_e32 v103, v105, v104
	v_dot4_i32_iu8 v73, v58, v74, v73 neg_lo:[1,1,0]
	s_wait_dscnt 0x3
	v_perm_b32 v81, v89, v90, 0xc0c0501
	s_wait_dscnt 0x2
	v_perm_b32 v102, v92, v91, 0x5010c0c
	v_perm_b32 v104, v89, v90, 0xc0c0703
	;; [unrolled: 1-line block ×3, first 2 shown]
	v_dot4_i32_iu8 v57, v58, v82, v57 neg_lo:[1,1,0]
	v_perm_b32 v107, v60, v59, 0x4000c0c
	v_perm_b32 v109, v60, v59, 0x6020c0c
	;; [unrolled: 1-line block ×8, first 2 shown]
	v_dot4_i32_iu8 v58, v59, v65, v71 neg_lo:[1,1,0]
	v_or_b32_e32 v65, v102, v81
	v_or_b32_e32 v71, v105, v104
	v_dot4_i32_iu8 v73, v59, v75, v73 neg_lo:[1,1,0]
	v_dot4_i32_iu8 v57, v59, v83, v57 neg_lo:[1,1,0]
	v_perm_b32 v116, v62, v61, 0xc0c0501
	v_perm_b32 v117, v64, v63, 0x5010c0c
	v_or_b32_e32 v106, v107, v106
	v_perm_b32 v107, v89, v90, 0xc0c0400
	v_perm_b32 v118, v92, v91, 0x4000c0c
	v_or_b32_e32 v108, v109, v108
	;; [unrolled: 3-line block ×3, first 2 shown]
	s_wait_dscnt 0x1
	v_perm_b32 v92, v94, v93, 0xc0c0602
	s_wait_dscnt 0x0
	v_perm_b32 v109, v96, v95, 0x6020c0c
	v_or_b32_e32 v110, v113, v112
	v_perm_b32 v111, v94, v93, 0xc0c0400
	v_or_b32_e32 v113, v115, v114
	v_perm_b32 v114, v94, v93, 0xc0c0703
	v_perm_b32 v115, v96, v95, 0x7030c0c
	v_perm_b32 v93, v94, v93, 0xc0c0501
	v_perm_b32 v94, v96, v95, 0x5010c0c
	v_dot4_i32_iu8 v58, v60, v66, v58 neg_lo:[1,1,0]
	v_dot4_i32_iu8 v59, v65, v72, 0 neg_lo:[1,1,0]
	;; [unrolled: 1-line block ×5, first 2 shown]
	v_perm_b32 v112, v96, v95, 0x4000c0c
	v_or_b32_e32 v116, v117, v116
	v_or_b32_e32 v74, v118, v107
	;; [unrolled: 1-line block ×6, first 2 shown]
	v_dot4_i32_iu8 v58, v61, v67, v58 neg_lo:[1,1,0]
	v_dot4_i32_iu8 v67, v61, v77, v71 neg_lo:[1,1,0]
	;; [unrolled: 1-line block ×3, first 2 shown]
	v_or_b32_e32 v89, v112, v111
	v_dot4_i32_iu8 v66, v81, v108, 0 neg_lo:[1,1,0]
	v_dot4_i32_iu8 v60, v74, v106, 0 neg_lo:[1,1,0]
	;; [unrolled: 1-line block ×9, first 2 shown]
	v_add_nc_u32_e32 v59, v59, v61
	v_dot4_i32_iu8 v58, v63, v69, v58 neg_lo:[1,1,0]
	v_dot4_i32_iu8 v61, v63, v79, v65 neg_lo:[1,1,0]
	;; [unrolled: 1-line block ×3, first 2 shown]
	v_mul_f32_e32 v62, v97, v100
	v_add3_u32 v59, v60, v66, v59
	v_dot4_i32_iu8 v58, v64, v70, v58 neg_lo:[1,1,0]
	v_dot4_i32_iu8 v60, v64, v80, v61 neg_lo:[1,1,0]
	;; [unrolled: 1-line block ×3, first 2 shown]
	v_mul_f32_e32 v61, v97, v101
	v_cvt_f32_i32_e32 v59, v59
	v_cvt_f32_i32_e32 v58, v58
	;; [unrolled: 1-line block ×4, first 2 shown]
	v_add_nc_u32_e32 v53, 4, v53
	s_delay_alu instid0(VALU_DEP_4)
	v_dual_fmac_f32 v5, v98, v58 :: v_dual_add_nc_u32 v52, 4, v52
	v_add_nc_u32_e32 v51, 4, v51
	v_add_nc_u32_e32 v50, 32, v50
	v_fmac_f32_e32 v2, v61, v59
	v_fmac_f32_e32 v32, v99, v60
	;; [unrolled: 1-line block ×3, first 2 shown]
	s_wait_alu 0xfffe
	s_add_co_i32 s0, s0, 8
	s_wait_alu 0xfffe
	s_cmp_lt_u32 s0, 24
	s_cbranch_scc1 .LBB205_11
; %bb.12:                               ;   in Loop: Header=BB205_5 Depth=1
	s_wait_loadcnt 0x0
	s_barrier_signal -1
	s_barrier_wait -1
	global_inv scope:SCOPE_SE
	s_branch .LBB205_4
.LBB205_13:
	s_mul_i32 s0, s7, s4
	s_wait_loadcnt 0x0
	s_wait_alu 0xfffe
	v_cmp_gt_i32_e32 vcc_lo, s0, v3
	s_and_saveexec_b32 s0, vcc_lo
	s_cbranch_execz .LBB205_22
; %bb.14:
	v_mul_lo_u32 v0, v3, s6
	v_add_nc_u32_e32 v1, s18, v4
	s_mov_b32 s0, exec_lo
	s_delay_alu instid0(VALU_DEP_1)
	v_cmpx_gt_u32_e64 s6, v1
	s_cbranch_execz .LBB205_16
; %bb.15:
	s_delay_alu instid0(VALU_DEP_3) | instskip(SKIP_1) | instid1(VALU_DEP_2)
	v_dual_mov_b32 v4, 0 :: v_dual_add_nc_u32 v3, v0, v1
	v_cvt_f16_f32_e32 v5, v5
	v_lshlrev_b64_e32 v[3:4], 1, v[3:4]
	s_delay_alu instid0(VALU_DEP_1) | instskip(SKIP_1) | instid1(VALU_DEP_2)
	v_add_co_u32 v3, vcc_lo, s8, v3
	s_wait_alu 0xfffd
	v_add_co_ci_u32_e64 v4, null, s9, v4, vcc_lo
	global_store_b16 v[3:4], v5, off
.LBB205_16:
	s_wait_alu 0xfffe
	s_or_b32 exec_lo, exec_lo, s0
	v_add_nc_u32_e32 v3, 32, v1
	s_mov_b32 s0, exec_lo
	s_delay_alu instid0(VALU_DEP_1)
	v_cmpx_gt_u32_e64 s6, v3
	s_cbranch_execz .LBB205_18
; %bb.17:
	v_dual_mov_b32 v4, 0 :: v_dual_add_nc_u32 v3, v0, v3
	v_cvt_f16_f32_e32 v5, v32
	s_delay_alu instid0(VALU_DEP_2) | instskip(NEXT) | instid1(VALU_DEP_1)
	v_lshlrev_b64_e32 v[3:4], 1, v[3:4]
	v_add_co_u32 v3, vcc_lo, s8, v3
	s_wait_alu 0xfffd
	s_delay_alu instid0(VALU_DEP_2)
	v_add_co_ci_u32_e64 v4, null, s9, v4, vcc_lo
	global_store_b16 v[3:4], v5, off
.LBB205_18:
	s_wait_alu 0xfffe
	s_or_b32 exec_lo, exec_lo, s0
	v_add_nc_u32_e32 v3, 64, v1
	s_mov_b32 s0, exec_lo
	s_delay_alu instid0(VALU_DEP_1)
	v_cmpx_gt_u32_e64 s6, v3
	s_cbranch_execz .LBB205_20
; %bb.19:
	v_dual_mov_b32 v4, 0 :: v_dual_add_nc_u32 v3, v0, v3
	v_cvt_f16_f32_e32 v5, v18
	s_delay_alu instid0(VALU_DEP_2) | instskip(NEXT) | instid1(VALU_DEP_1)
	v_lshlrev_b64_e32 v[3:4], 1, v[3:4]
	v_add_co_u32 v3, vcc_lo, s8, v3
	s_wait_alu 0xfffd
	s_delay_alu instid0(VALU_DEP_2)
	v_add_co_ci_u32_e64 v4, null, s9, v4, vcc_lo
	global_store_b16 v[3:4], v5, off
.LBB205_20:
	s_wait_alu 0xfffe
	s_or_b32 exec_lo, exec_lo, s0
	v_add_nc_u32_e32 v1, 0x60, v1
	s_delay_alu instid0(VALU_DEP_1)
	v_cmp_gt_u32_e32 vcc_lo, s6, v1
	s_and_b32 exec_lo, exec_lo, vcc_lo
	s_cbranch_execz .LBB205_22
; %bb.21:
	v_dual_mov_b32 v1, 0 :: v_dual_add_nc_u32 v0, v0, v1
	v_cvt_f16_f32_e32 v2, v2
	s_delay_alu instid0(VALU_DEP_2) | instskip(NEXT) | instid1(VALU_DEP_1)
	v_lshlrev_b64_e32 v[0:1], 1, v[0:1]
	v_add_co_u32 v0, vcc_lo, s8, v0
	s_wait_alu 0xfffd
	s_delay_alu instid0(VALU_DEP_2)
	v_add_co_ci_u32_e64 v1, null, s9, v1, vcc_lo
	global_store_b16 v[0:1], v2, off
.LBB205_22:
	s_nop 0
	s_sendmsg sendmsg(MSG_DEALLOC_VGPRS)
	s_endpgm
	.section	.rodata,"a",@progbits
	.p2align	6, 0x0
	.amdhsa_kernel _ZL8moe_q8_0IN3c104HalfELb0EEvPKvS3_PT_PKiS7_S7_iiiiiii
		.amdhsa_group_segment_fixed_size 20160
		.amdhsa_private_segment_fixed_size 0
		.amdhsa_kernarg_size 76
		.amdhsa_user_sgpr_count 2
		.amdhsa_user_sgpr_dispatch_ptr 0
		.amdhsa_user_sgpr_queue_ptr 0
		.amdhsa_user_sgpr_kernarg_segment_ptr 1
		.amdhsa_user_sgpr_dispatch_id 0
		.amdhsa_user_sgpr_private_segment_size 0
		.amdhsa_wavefront_size32 1
		.amdhsa_uses_dynamic_stack 0
		.amdhsa_enable_private_segment 0
		.amdhsa_system_sgpr_workgroup_id_x 1
		.amdhsa_system_sgpr_workgroup_id_y 1
		.amdhsa_system_sgpr_workgroup_id_z 0
		.amdhsa_system_sgpr_workgroup_info 0
		.amdhsa_system_vgpr_workitem_id 1
		.amdhsa_next_free_vgpr 119
		.amdhsa_next_free_sgpr 21
		.amdhsa_reserve_vcc 1
		.amdhsa_float_round_mode_32 0
		.amdhsa_float_round_mode_16_64 0
		.amdhsa_float_denorm_mode_32 3
		.amdhsa_float_denorm_mode_16_64 3
		.amdhsa_fp16_overflow 0
		.amdhsa_workgroup_processor_mode 1
		.amdhsa_memory_ordered 1
		.amdhsa_forward_progress 1
		.amdhsa_inst_pref_size 30
		.amdhsa_round_robin_scheduling 0
		.amdhsa_exception_fp_ieee_invalid_op 0
		.amdhsa_exception_fp_denorm_src 0
		.amdhsa_exception_fp_ieee_div_zero 0
		.amdhsa_exception_fp_ieee_overflow 0
		.amdhsa_exception_fp_ieee_underflow 0
		.amdhsa_exception_fp_ieee_inexact 0
		.amdhsa_exception_int_div_zero 0
	.end_amdhsa_kernel
	.section	.text._ZL8moe_q8_0IN3c104HalfELb0EEvPKvS3_PT_PKiS7_S7_iiiiiii,"axG",@progbits,_ZL8moe_q8_0IN3c104HalfELb0EEvPKvS3_PT_PKiS7_S7_iiiiiii,comdat
.Lfunc_end205:
	.size	_ZL8moe_q8_0IN3c104HalfELb0EEvPKvS3_PT_PKiS7_S7_iiiiiii, .Lfunc_end205-_ZL8moe_q8_0IN3c104HalfELb0EEvPKvS3_PT_PKiS7_S7_iiiiiii
                                        ; -- End function
	.set _ZL8moe_q8_0IN3c104HalfELb0EEvPKvS3_PT_PKiS7_S7_iiiiiii.num_vgpr, 119
	.set _ZL8moe_q8_0IN3c104HalfELb0EEvPKvS3_PT_PKiS7_S7_iiiiiii.num_agpr, 0
	.set _ZL8moe_q8_0IN3c104HalfELb0EEvPKvS3_PT_PKiS7_S7_iiiiiii.numbered_sgpr, 21
	.set _ZL8moe_q8_0IN3c104HalfELb0EEvPKvS3_PT_PKiS7_S7_iiiiiii.num_named_barrier, 0
	.set _ZL8moe_q8_0IN3c104HalfELb0EEvPKvS3_PT_PKiS7_S7_iiiiiii.private_seg_size, 0
	.set _ZL8moe_q8_0IN3c104HalfELb0EEvPKvS3_PT_PKiS7_S7_iiiiiii.uses_vcc, 1
	.set _ZL8moe_q8_0IN3c104HalfELb0EEvPKvS3_PT_PKiS7_S7_iiiiiii.uses_flat_scratch, 0
	.set _ZL8moe_q8_0IN3c104HalfELb0EEvPKvS3_PT_PKiS7_S7_iiiiiii.has_dyn_sized_stack, 0
	.set _ZL8moe_q8_0IN3c104HalfELb0EEvPKvS3_PT_PKiS7_S7_iiiiiii.has_recursion, 0
	.set _ZL8moe_q8_0IN3c104HalfELb0EEvPKvS3_PT_PKiS7_S7_iiiiiii.has_indirect_call, 0
	.section	.AMDGPU.csdata,"",@progbits
; Kernel info:
; codeLenInByte = 3752
; TotalNumSgprs: 23
; NumVgprs: 119
; ScratchSize: 0
; MemoryBound: 0
; FloatMode: 240
; IeeeMode: 1
; LDSByteSize: 20160 bytes/workgroup (compile time only)
; SGPRBlocks: 0
; VGPRBlocks: 14
; NumSGPRsForWavesPerEU: 23
; NumVGPRsForWavesPerEU: 119
; Occupancy: 12
; WaveLimiterHint : 1
; COMPUTE_PGM_RSRC2:SCRATCH_EN: 0
; COMPUTE_PGM_RSRC2:USER_SGPR: 2
; COMPUTE_PGM_RSRC2:TRAP_HANDLER: 0
; COMPUTE_PGM_RSRC2:TGID_X_EN: 1
; COMPUTE_PGM_RSRC2:TGID_Y_EN: 1
; COMPUTE_PGM_RSRC2:TGID_Z_EN: 0
; COMPUTE_PGM_RSRC2:TIDIG_COMP_CNT: 1
	.section	.text._ZL8moe_q8_0IN3c104HalfELb1EEvPKvS3_PT_PKiS7_S7_iiiiiii,"axG",@progbits,_ZL8moe_q8_0IN3c104HalfELb1EEvPKvS3_PT_PKiS7_S7_iiiiiii,comdat
	.globl	_ZL8moe_q8_0IN3c104HalfELb1EEvPKvS3_PT_PKiS7_S7_iiiiiii ; -- Begin function _ZL8moe_q8_0IN3c104HalfELb1EEvPKvS3_PT_PKiS7_S7_iiiiiii
	.p2align	8
	.type	_ZL8moe_q8_0IN3c104HalfELb1EEvPKvS3_PT_PKiS7_S7_iiiiiii,@function
_ZL8moe_q8_0IN3c104HalfELb1EEvPKvS3_PT_PKiS7_S7_iiiiiii: ; @_ZL8moe_q8_0IN3c104HalfELb1EEvPKvS3_PT_PKiS7_S7_iiiiiii
; %bb.0:
	s_load_b128 s[4:7], s[0:1], 0x18
	s_mov_b32 s2, ttmp7
	s_mov_b32 s3, 0
	s_delay_alu instid0(SALU_CYCLE_1)
	s_lshl_b64 s[2:3], s[2:3], 2
	s_wait_kmcnt 0x0
	s_add_nc_u64 s[2:3], s[6:7], s[2:3]
	s_load_b32 s14, s[2:3], 0x0
	s_wait_kmcnt 0x0
	s_cmp_gt_u32 s14, 0xff
	s_cbranch_scc1 .LBB206_22
; %bb.1:
	s_load_b64 s[2:3], s[0:1], 0x28
	s_wait_kmcnt 0x0
	s_load_b32 s3, s[2:3], 0x0
	s_lshl_b32 s2, ttmp7, 3
	s_wait_kmcnt 0x0
	s_cmp_gt_u32 s2, s3
	s_cbranch_scc1 .LBB206_22
; %bb.2:
	v_bfe_u32 v19, v0, 10, 10
	v_mov_b32_e32 v11, 0
	s_lshl_b32 s11, ttmp9, 7
	s_delay_alu instid0(VALU_DEP_2) | instskip(NEXT) | instid1(VALU_DEP_2)
	v_add_nc_u32_e32 v10, s2, v19
	v_dual_mov_b32 v40, v11 :: v_dual_and_b32 v21, 0x3ff, v0
	v_mov_b32_e32 v44, v11
	v_mov_b32_e32 v22, v11
	s_delay_alu instid0(VALU_DEP_4) | instskip(NEXT) | instid1(VALU_DEP_1)
	v_lshlrev_b64_e32 v[1:2], 2, v[10:11]
	v_add_co_u32 v1, vcc_lo, s4, v1
	s_delay_alu instid0(VALU_DEP_1)
	v_add_co_ci_u32_e64 v2, null, s5, v2, vcc_lo
	global_load_b32 v20, v[1:2], off
	s_clause 0x2
	s_load_b128 s[4:7], s[0:1], 0x30
	s_load_b64 s[12:13], s[0:1], 0x10
	s_load_b96 s[8:10], s[0:1], 0x40
	s_wait_kmcnt 0x0
	s_cmp_lt_i32 s5, 32
	s_cbranch_scc1 .LBB206_13
; %bb.3:
	s_load_b128 s[0:3], s[0:1], 0x0
	s_ashr_i32 s15, s5, 31
	s_ashr_i32 s16, s8, 31
	s_mul_i32 s14, s14, s4
	s_not_b32 s18, s11
	v_dual_mov_b32 v22, 0 :: v_dual_add_nc_u32 v1, 8, v19
	v_add_nc_u32_e32 v4, 16, v19
	s_lshr_b32 s4, s15, 27
	s_lshr_b32 s19, s16, 27
	s_ashr_i32 s15, s14, 31
	s_add_co_i32 s6, s6, s18
	v_add_nc_u32_e32 v5, 24, v19
	v_add_nc_u32_e32 v6, 32, v19
	v_lshlrev_b32_e32 v40, 2, v21
	s_add_co_i32 s8, s8, s19
	v_min_i32_e32 v2, s6, v19
	v_add_nc_u32_e32 v7, 40, v19
	s_wait_alu 0xfffe
	s_add_co_i32 s4, s5, s4
	v_min_i32_e32 v3, s6, v1
	s_wait_kmcnt 0x0
	s_add_nc_u64 s[14:15], s[0:1], s[14:15]
	s_abs_i32 s0, s10
	v_add_nc_u32_e32 v8, 48, v19
	s_ashr_i32 s1, s8, 5
	v_min_i32_e32 v4, s6, v4
	v_add_nc_u32_e32 v9, 56, v19
	s_cvt_f32_u32 s8, s0
	s_wait_alu 0xfffe
	s_ashr_i32 s4, s4, 5
	v_min_i32_e32 v5, s6, v5
	v_add_nc_u32_e32 v10, 64, v19
	v_min_i32_e32 v6, s6, v6
	v_add_nc_u32_e32 v11, 0x48, v19
	s_wait_alu 0xfffe
	v_mul_lo_u32 v25, v2, s4
	v_mad_co_u64_u32 v[1:2], null, 0x84, v2, v[40:41]
	v_min_i32_e32 v7, s6, v7
	v_mul_lo_u32 v26, v3, s4
	v_mad_co_u64_u32 v[2:3], null, 0x84, v3, v[40:41]
	v_min_i32_e32 v8, s6, v8
	v_rcp_iflag_f32_e32 v15, s8
	v_mul_lo_u32 v27, v4, s4
	v_mad_co_u64_u32 v[3:4], null, 0x84, v4, v[40:41]
	v_min_i32_e32 v9, s6, v9
	v_mul_lo_u32 v28, v5, s4
	v_mad_co_u64_u32 v[4:5], null, 0x84, v5, v[40:41]
	v_min_i32_e32 v10, s6, v10
	v_mul_lo_u32 v29, v6, s4
	v_mad_co_u64_u32 v[5:6], null, 0x84, v6, v[40:41]
	v_add_nc_u32_e32 v12, 0x50, v19
	v_min_i32_e32 v11, s6, v11
	v_mul_lo_u32 v30, v7, s4
	v_mad_co_u64_u32 v[6:7], null, 0x84, v7, v[40:41]
	v_add_nc_u32_e32 v13, 0x58, v19
	v_mul_lo_u32 v31, v8, s4
	v_mad_co_u64_u32 v[7:8], null, 0x84, v8, v[40:41]
	v_mul_lo_u32 v32, v9, s4
	v_mad_co_u64_u32 v[8:9], null, 0x84, v9, v[40:41]
	;; [unrolled: 2-line block ×3, first 2 shown]
	v_min_i32_e32 v12, s6, v12
	v_mul_lo_u32 v34, v11, s4
	v_mad_co_u64_u32 v[10:11], null, 0x84, v11, v[40:41]
	v_add_nc_u32_e32 v14, 0x60, v19
	v_min_i32_e32 v11, s6, v13
	v_add_nc_u32_e32 v17, 0x68, v19
	v_bfe_u32 v18, v0, 2, 8
	v_readfirstlane_b32 s8, v15
	v_mul_lo_u32 v35, v12, s4
	v_mad_co_u64_u32 v[12:13], null, 0x84, v12, v[40:41]
	v_min_i32_e32 v16, s6, v14
	v_mul_lo_u32 v36, v11, s4
	v_mad_co_u64_u32 v[13:14], null, 0x84, v11, v[40:41]
	v_min_i32_e32 v11, s6, v17
	s_mul_i32 s16, s4, s11
	v_lshl_add_u32 v18, v19, 3, v18
	s_mul_f32 s8, s8, 0x4f7ffffe
	s_ashr_i32 s17, s16, 31
	v_mad_co_u64_u32 v[14:15], null, 0x84, v16, v[40:41]
	s_mul_u64 s[16:17], s[16:17], 34
	v_mul_lo_u32 v37, v16, s4
	v_mul_lo_u32 v38, v11, s4
	v_mad_co_u64_u32 v[15:16], null, 0x84, v11, v[40:41]
	s_wait_loadcnt 0x0
	v_sub_nc_u32_e32 v11, 0, v20
	s_wait_alu 0xfffe
	s_cvt_u32_f32 s8, s8
	v_min_i32_e32 v44, s6, v18
	s_add_nc_u64 s[14:15], s[14:15], s[16:17]
	s_sub_co_i32 s16, 0, s0
	v_max_i32_e32 v11, v20, v11
	s_wait_alu 0xfffe
	s_mul_i32 s16, s16, s8
	v_ashrrev_i32_e32 v16, 31, v44
	s_mul_hi_u32 s16, s8, s16
	v_add_nc_u32_e32 v17, 0x70, v19
	v_add_nc_u32_e32 v41, 0x78, v19
	s_add_co_i32 s8, s8, s16
	v_lshrrev_b32_e32 v16, 29, v16
	s_wait_alu 0xfffe
	v_mul_hi_u32 v45, v11, s8
	v_add_nc_u32_e32 v18, 64, v18
	v_min_i32_e32 v17, s6, v17
	v_min_i32_e32 v43, s6, v41
	v_add_nc_u32_e32 v42, v44, v16
	v_xor_b32_e32 v50, s10, v20
	v_min_i32_e32 v46, s6, v18
	v_mul_lo_u32 v39, v17, s4
	v_mad_co_u64_u32 v[16:17], null, 0x84, v17, v[40:41]
	v_mul_lo_u32 v41, v43, s4
	v_mul_lo_u32 v48, v45, s0
	v_ashrrev_i32_e32 v47, 3, v42
	v_and_b32_e32 v42, 3, v0
	v_ashrrev_i32_e32 v49, 31, v46
	v_bfe_u32 v23, v0, 3, 7
	v_ashrrev_i32_e32 v50, 31, v50
	v_lshlrev_b32_e32 v56, 4, v46
	v_mad_co_u64_u32 v[17:18], null, 0x84, v43, v[40:41]
	v_lshlrev_b32_e32 v18, 2, v47
	v_lshlrev_b32_e32 v47, 2, v42
	v_lshrrev_b32_e32 v49, 29, v49
	v_sub_nc_u32_e32 v11, v11, v48
	v_add_nc_u32_e32 v48, 1, v45
	v_lshlrev_b32_e32 v57, 4, v19
	v_add3_u32 v54, v18, v47, 0x4200
	v_add_nc_u32_e32 v18, v46, v49
	v_subrev_nc_u32_e32 v49, s0, v11
	v_cmp_le_u32_e32 vcc_lo, s0, v11
	v_lshlrev_b32_e32 v53, 2, v23
	v_mul_lo_u32 v43, v44, s4
	v_ashrrev_i32_e32 v18, 3, v18
	v_lshlrev_b32_e32 v44, 4, v44
	s_wait_alu 0xfffd
	v_dual_cndmask_b32 v48, v45, v48 :: v_dual_cndmask_b32 v11, v11, v49
	v_mul_lo_u32 v45, v46, s4
	v_lshlrev_b32_e32 v18, 2, v18
	v_add_nc_u32_e32 v54, v54, v44
	s_delay_alu instid0(VALU_DEP_4)
	v_add_nc_u32_e32 v49, 1, v48
	v_cmp_le_u32_e32 vcc_lo, s0, v11
	v_cmp_gt_u32_e64 s0, 4, v21
	v_add3_u32 v55, v18, v47, 0x4200
	v_add_nc_u32_e32 v18, 0x60, v21
	v_mul_u32_u24_e32 v47, 0x84, v21
	s_wait_alu 0xfffd
	v_dual_cndmask_b32 v11, v48, v49 :: v_dual_and_b32 v48, 31, v0
	v_lshl_add_u32 v0, v19, 7, 0x4a40
	v_add_nc_u32_e32 v19, 64, v21
	v_lshrrev_b32_e32 v18, 1, v18
	s_delay_alu instid0(VALU_DEP_4)
	v_xor_b32_e32 v11, v11, v50
	v_add_nc_u32_e32 v55, v55, v56
	v_lshl_add_u32 v46, v48, 2, v0
	v_add_nc_u32_e32 v48, 32, v21
	v_lshrrev_b32_e32 v19, 1, v19
	v_sub_nc_u32_e32 v11, v11, v50
	v_and_b32_e32 v50, 0xfc, v18
	v_mov_b32_e32 v44, 0
	v_lshrrev_b32_e32 v49, 1, v48
	v_and_b32_e32 v51, 0xfc, v19
	v_cmp_gt_i32_e32 vcc_lo, s7, v11
	v_mul_lo_u32 v48, v11, s1
	v_lshlrev_b32_e32 v11, 4, v21
	v_and_b32_e32 v52, 0xfc, v49
	s_mov_b32 s17, 0
	s_delay_alu instid0(SALU_CYCLE_1) | instskip(NEXT) | instid1(VALU_DEP_2)
	s_mov_b32 s16, s17
	v_add3_u32 v49, v11, v50, 0x4800
	v_add3_u32 v50, v11, v51, 0x4600
	;; [unrolled: 1-line block ×4, first 2 shown]
	v_dual_mov_b32 v11, 0 :: v_dual_and_b32 v24, 28, v40
	v_add_nc_u32_e32 v40, 0x4e40, v40
	v_add_nc_u32_e32 v53, 0x4e40, v57
	s_delay_alu instid0(VALU_DEP_3)
	v_add_co_u32 v18, s6, s2, v24
	s_wait_alu 0xf1ff
	v_add_co_ci_u32_e64 v19, null, s3, 0, s6
	v_add_nc_u32_e32 v56, v40, v57
	v_mov_b32_e32 v40, 0
	s_and_b32 s6, s0, vcc_lo
	s_branch .LBB206_5
.LBB206_4:                              ;   in Loop: Header=BB206_5 Depth=1
	s_add_co_i32 s16, s16, 4
	s_wait_alu 0xfffe
	s_cmp_ge_i32 s16, s4
	s_cbranch_scc1 .LBB206_13
.LBB206_5:                              ; =>This Loop Header: Depth=1
                                        ;     Child Loop BB206_11 Depth 2
	s_mul_u64 s[18:19], s[16:17], 34
	s_wait_alu 0xfffe
	s_add_nc_u64 s[18:19], s[14:15], s[18:19]
	s_wait_alu 0xfffe
	v_mad_co_u64_u32 v[57:58], null, v23, 34, s[18:19]
	s_delay_alu instid0(VALU_DEP_1) | instskip(SKIP_3) | instid1(VALU_DEP_4)
	v_mad_co_i64_i32 v[59:60], null, v25, 34, v[57:58]
	v_mad_co_i64_i32 v[61:62], null, v26, 34, v[57:58]
	;; [unrolled: 1-line block ×4, first 2 shown]
	v_add_co_u32 v59, s0, v59, v24
	v_mad_co_i64_i32 v[67:68], null, v29, 34, v[57:58]
	s_wait_alu 0xf1ff
	v_add_co_ci_u32_e64 v60, null, 0, v60, s0
	v_add_co_u32 v61, s0, v61, v24
	v_mad_co_i64_i32 v[69:70], null, v30, 34, v[57:58]
	s_wait_alu 0xf1ff
	v_add_co_ci_u32_e64 v62, null, 0, v62, s0
	;; [unrolled: 4-line block ×4, first 2 shown]
	v_add_co_u32 v67, s0, v67, v24
	s_wait_alu 0xf1ff
	v_add_co_ci_u32_e64 v68, null, 0, v68, s0
	v_add_co_u32 v69, s0, v69, v24
	s_wait_alu 0xf1ff
	v_add_co_ci_u32_e64 v70, null, 0, v70, s0
	;; [unrolled: 3-line block ×3, first 2 shown]
	v_add_co_u32 v73, s0, v73, v24
	v_mad_co_i64_i32 v[75:76], null, v33, 34, v[57:58]
	s_wait_alu 0xf1ff
	v_add_co_ci_u32_e64 v74, null, 0, v74, s0
	s_clause 0x7
	global_load_b32 v77, v[59:60], off offset:2
	global_load_b32 v78, v[61:62], off offset:2
	;; [unrolled: 1-line block ×8, first 2 shown]
	v_mad_co_i64_i32 v[59:60], null, v34, 34, v[57:58]
	v_mad_co_u64_u32 v[69:70], null, v42, 34, s[18:19]
	v_mad_co_i64_i32 v[63:64], null, v35, 34, v[57:58]
	v_mad_co_i64_i32 v[65:66], null, v36, 34, v[57:58]
	v_add_co_u32 v61, s0, v75, v24
	v_mad_co_i64_i32 v[67:68], null, v37, 34, v[57:58]
	s_wait_alu 0xf1ff
	v_add_co_ci_u32_e64 v62, null, 0, v76, s0
	v_add_co_u32 v59, s0, v59, v24
	v_mad_co_i64_i32 v[71:72], null, v43, 34, v[69:70]
	v_mad_co_i64_i32 v[73:74], null, v38, 34, v[57:58]
	;; [unrolled: 1-line block ×3, first 2 shown]
	s_wait_alu 0xf1ff
	v_add_co_ci_u32_e64 v60, null, 0, v60, s0
	v_add_co_u32 v63, s0, v63, v24
	v_mad_co_i64_i32 v[75:76], null, v39, 34, v[57:58]
	s_wait_alu 0xf1ff
	v_add_co_ci_u32_e64 v64, null, 0, v64, s0
	v_add_co_u32 v65, s0, v65, v24
	v_mad_co_i64_i32 v[57:58], null, v41, 34, v[57:58]
	s_wait_alu 0xf1ff
	v_add_co_ci_u32_e64 v66, null, 0, v66, s0
	v_add_co_u32 v67, s0, v67, v24
	s_wait_alu 0xf1ff
	v_add_co_ci_u32_e64 v68, null, 0, v68, s0
	s_clause 0x1
	global_load_u16 v85, v[71:72], off
	global_load_u16 v86, v[69:70], off
	v_add_co_u32 v69, s0, v73, v24
	s_wait_alu 0xf1ff
	v_add_co_ci_u32_e64 v70, null, 0, v74, s0
	v_add_co_u32 v71, s0, v75, v24
	s_wait_alu 0xf1ff
	v_add_co_ci_u32_e64 v72, null, 0, v76, s0
	;; [unrolled: 3-line block ×3, first 2 shown]
	s_clause 0x7
	global_load_b32 v61, v[61:62], off offset:2
	global_load_b32 v59, v[59:60], off offset:2
	;; [unrolled: 1-line block ×8, first 2 shown]
	s_lshl_b32 s0, s16, 5
	s_wait_alu 0xfffe
	s_cmp_ge_i32 s0, s5
	s_wait_loadcnt 0x9
	v_cvt_f32_f16_e32 v58, v85
	s_wait_loadcnt 0x8
	v_cvt_f32_f16_e32 v66, v86
	ds_store_b32 v1, v77
	ds_store_b32 v54, v58
	;; [unrolled: 1-line block ×9, first 2 shown]
	s_wait_loadcnt 0x7
	ds_store_b32 v9, v61
	s_wait_loadcnt 0x6
	ds_store_b32 v10, v59
	;; [unrolled: 2-line block ×8, first 2 shown]
	ds_store_b32 v55, v66
	s_cbranch_scc1 .LBB206_4
; %bb.6:                                ;   in Loop: Header=BB206_5 Depth=1
	v_add_nc_u32_e32 v57, s16, v23
	s_delay_alu instid0(VALU_DEP_1)
	v_cmp_gt_i32_e64 s0, s1, v57
	s_and_b32 s8, vcc_lo, s0
	s_wait_alu 0xfffe
	s_and_saveexec_b32 s0, s8
	s_cbranch_execz .LBB206_8
; %bb.7:                                ;   in Loop: Header=BB206_5 Depth=1
	v_add_nc_u32_e32 v57, v48, v57
	s_delay_alu instid0(VALU_DEP_1)
	v_mad_co_i64_i32 v[57:58], null, v57, 36, v[18:19]
	global_load_b32 v57, v[57:58], off offset:4
	s_wait_loadcnt 0x0
	ds_store_b32 v46, v57
.LBB206_8:                              ;   in Loop: Header=BB206_5 Depth=1
	s_wait_alu 0xfffe
	s_or_b32 exec_lo, exec_lo, s0
	v_or_b32_e32 v57, s16, v21
	s_delay_alu instid0(VALU_DEP_1)
	v_cmp_gt_i32_e64 s0, s1, v57
	s_and_b32 s8, s6, s0
	s_wait_alu 0xfffe
	s_and_saveexec_b32 s0, s8
	s_cbranch_execz .LBB206_10
; %bb.9:                                ;   in Loop: Header=BB206_5 Depth=1
	v_add_nc_u32_e32 v57, v48, v57
	s_delay_alu instid0(VALU_DEP_1)
	v_mad_co_i64_i32 v[57:58], null, v57, 36, s[2:3]
	global_load_b32 v57, v[57:58], off
	s_wait_loadcnt 0x0
	v_cvt_f32_f16_e32 v57, v57
	ds_store_b32 v56, v57
.LBB206_10:                             ;   in Loop: Header=BB206_5 Depth=1
	s_wait_alu 0xfffe
	s_or_b32 exec_lo, exec_lo, s0
	v_dual_mov_b32 v57, v0 :: v_dual_mov_b32 v58, v53
	v_dual_mov_b32 v59, v52 :: v_dual_mov_b32 v60, v51
	;; [unrolled: 1-line block ×3, first 2 shown]
	v_mov_b32_e32 v63, v47
	s_mov_b32 s0, -8
	s_wait_dscnt 0x0
	s_barrier_signal -1
	s_barrier_wait -1
	global_inv scope:SCOPE_SE
.LBB206_11:                             ;   Parent Loop BB206_5 Depth=1
                                        ; =>  This Inner Loop Header: Depth=2
	ds_load_2addr_b32 v[72:73], v63 offset0:2 offset1:3
	ds_load_2addr_b32 v[74:75], v63 offset0:4 offset1:5
	;; [unrolled: 1-line block ×3, first 2 shown]
	ds_load_b32 v104, v58
	ds_load_b32 v105, v59
	ds_load_2addr_b32 v[78:79], v63 offset1:1
	ds_load_b32 v106, v60
	ds_load_b32 v107, v61
	;; [unrolled: 1-line block ×3, first 2 shown]
	ds_load_b128 v[64:67], v57
	ds_load_b128 v[68:71], v57 offset:16
	v_add_nc_u32_e32 v80, 0x1080, v63
	v_add_nc_u32_e32 v82, 0x1088, v63
	;; [unrolled: 1-line block ×13, first 2 shown]
	s_wait_dscnt 0x6
	v_mul_f32_e32 v105, v104, v105
	ds_load_2addr_b32 v[80:81], v80 offset1:1
	ds_load_2addr_b32 v[82:83], v82 offset1:1
	;; [unrolled: 1-line block ×12, first 2 shown]
	v_add_nc_u32_e32 v62, 4, v62
	s_wait_dscnt 0x10
	v_dual_mul_f32 v106, v104, v106 :: v_dual_add_nc_u32 v61, 4, v61
	s_wait_dscnt 0xd
	v_dot4_i32_iu8 v78, v64, v78, 0 neg_lo:[1,1,0]
	v_perm_b32 v109, v64, v65, 0xc0c0501
	v_perm_b32 v110, v67, v66, 0x5010c0c
	;; [unrolled: 1-line block ×6, first 2 shown]
	s_wait_dscnt 0xb
	v_dot4_i32_iu8 v80, v64, v80, 0 neg_lo:[1,1,0]
	v_dot4_i32_iu8 v78, v65, v79, v78 neg_lo:[1,1,0]
	s_wait_dscnt 0x7
	v_dot4_i32_iu8 v64, v64, v88, 0 neg_lo:[1,1,0]
	v_or_b32_e32 v79, v110, v109
	v_or_b32_e32 v110, v112, v111
	v_dot4_i32_iu8 v80, v65, v81, v80 neg_lo:[1,1,0]
	s_wait_dscnt 0x3
	v_perm_b32 v88, v96, v97, 0xc0c0501
	s_wait_dscnt 0x2
	v_perm_b32 v109, v99, v98, 0x5010c0c
	v_perm_b32 v111, v96, v97, 0xc0c0703
	;; [unrolled: 1-line block ×3, first 2 shown]
	v_dot4_i32_iu8 v64, v65, v89, v64 neg_lo:[1,1,0]
	v_perm_b32 v114, v67, v66, 0x4000c0c
	v_perm_b32 v116, v67, v66, 0x6020c0c
	;; [unrolled: 1-line block ×8, first 2 shown]
	v_dot4_i32_iu8 v65, v66, v72, v78 neg_lo:[1,1,0]
	v_or_b32_e32 v72, v109, v88
	v_or_b32_e32 v78, v112, v111
	v_dot4_i32_iu8 v80, v66, v82, v80 neg_lo:[1,1,0]
	v_dot4_i32_iu8 v64, v66, v90, v64 neg_lo:[1,1,0]
	v_perm_b32 v123, v69, v68, 0xc0c0501
	v_perm_b32 v124, v71, v70, 0x5010c0c
	v_or_b32_e32 v113, v114, v113
	v_perm_b32 v114, v96, v97, 0xc0c0400
	v_perm_b32 v125, v99, v98, 0x4000c0c
	v_or_b32_e32 v115, v116, v115
	;; [unrolled: 3-line block ×3, first 2 shown]
	s_wait_dscnt 0x1
	v_perm_b32 v99, v101, v100, 0xc0c0602
	s_wait_dscnt 0x0
	v_perm_b32 v116, v103, v102, 0x6020c0c
	v_or_b32_e32 v117, v120, v119
	v_perm_b32 v118, v101, v100, 0xc0c0400
	v_or_b32_e32 v120, v122, v121
	v_perm_b32 v121, v101, v100, 0xc0c0703
	v_perm_b32 v122, v103, v102, 0x7030c0c
	;; [unrolled: 1-line block ×4, first 2 shown]
	v_dot4_i32_iu8 v65, v67, v73, v65 neg_lo:[1,1,0]
	v_dot4_i32_iu8 v66, v72, v79, 0 neg_lo:[1,1,0]
	;; [unrolled: 1-line block ×5, first 2 shown]
	v_perm_b32 v119, v103, v102, 0x4000c0c
	v_or_b32_e32 v123, v124, v123
	v_or_b32_e32 v81, v125, v114
	;; [unrolled: 1-line block ×6, first 2 shown]
	v_dot4_i32_iu8 v65, v68, v74, v65 neg_lo:[1,1,0]
	v_dot4_i32_iu8 v74, v68, v84, v78 neg_lo:[1,1,0]
	;; [unrolled: 1-line block ×3, first 2 shown]
	v_or_b32_e32 v96, v119, v118
	v_dot4_i32_iu8 v73, v88, v115, 0 neg_lo:[1,1,0]
	v_dot4_i32_iu8 v67, v81, v113, 0 neg_lo:[1,1,0]
	;; [unrolled: 1-line block ×9, first 2 shown]
	v_add_nc_u32_e32 v66, v66, v68
	v_dot4_i32_iu8 v65, v70, v76, v65 neg_lo:[1,1,0]
	v_dot4_i32_iu8 v68, v70, v86, v72 neg_lo:[1,1,0]
	;; [unrolled: 1-line block ×3, first 2 shown]
	v_mul_f32_e32 v69, v104, v107
	v_add3_u32 v66, v67, v73, v66
	v_dot4_i32_iu8 v65, v71, v77, v65 neg_lo:[1,1,0]
	v_dot4_i32_iu8 v67, v71, v87, v68 neg_lo:[1,1,0]
	;; [unrolled: 1-line block ×3, first 2 shown]
	v_mul_f32_e32 v68, v104, v108
	v_cvt_f32_i32_e32 v66, v66
	v_cvt_f32_i32_e32 v65, v65
	v_cvt_f32_i32_e32 v67, v67
	v_cvt_f32_i32_e32 v64, v64
	v_add_nc_u32_e32 v60, 4, v60
	s_delay_alu instid0(VALU_DEP_4)
	v_dual_fmac_f32 v22, v105, v65 :: v_dual_add_nc_u32 v59, 4, v59
	v_add_nc_u32_e32 v58, 4, v58
	v_dual_fmac_f32 v44, v106, v67 :: v_dual_add_nc_u32 v57, 32, v57
	v_dual_fmac_f32 v11, v68, v66 :: v_dual_fmac_f32 v40, v69, v64
	s_wait_alu 0xfffe
	s_add_co_i32 s0, s0, 8
	s_wait_alu 0xfffe
	s_cmp_lt_u32 s0, 24
	s_cbranch_scc1 .LBB206_11
; %bb.12:                               ;   in Loop: Header=BB206_5 Depth=1
	s_wait_loadcnt 0x0
	s_barrier_signal -1
	s_barrier_wait -1
	global_inv scope:SCOPE_SE
	s_branch .LBB206_4
.LBB206_13:
	s_mul_i32 s0, s10, s7
	s_wait_loadcnt 0x0
	s_wait_alu 0xfffe
	v_cmp_gt_i32_e32 vcc_lo, s0, v20
	s_and_saveexec_b32 s0, vcc_lo
	s_cbranch_execz .LBB206_22
; %bb.14:
	v_mul_lo_u32 v0, v20, s9
	v_add_nc_u32_e32 v1, s11, v21
	s_mov_b32 s0, exec_lo
	s_delay_alu instid0(VALU_DEP_1)
	v_cmpx_gt_u32_e64 s9, v1
	s_cbranch_execz .LBB206_16
; %bb.15:
	s_delay_alu instid0(VALU_DEP_3) | instskip(SKIP_1) | instid1(VALU_DEP_2)
	v_dual_mov_b32 v3, 0 :: v_dual_add_nc_u32 v2, v0, v1
	v_cvt_f16_f32_e32 v4, v22
	v_lshlrev_b64_e32 v[2:3], 1, v[2:3]
	s_delay_alu instid0(VALU_DEP_1) | instskip(SKIP_1) | instid1(VALU_DEP_2)
	v_add_co_u32 v2, vcc_lo, s12, v2
	s_wait_alu 0xfffd
	v_add_co_ci_u32_e64 v3, null, s13, v3, vcc_lo
	global_store_b16 v[2:3], v4, off
.LBB206_16:
	s_wait_alu 0xfffe
	s_or_b32 exec_lo, exec_lo, s0
	v_add_nc_u32_e32 v2, 32, v1
	s_mov_b32 s0, exec_lo
	s_delay_alu instid0(VALU_DEP_1)
	v_cmpx_gt_u32_e64 s9, v2
	s_cbranch_execz .LBB206_18
; %bb.17:
	v_dual_mov_b32 v3, 0 :: v_dual_add_nc_u32 v2, v0, v2
	v_cvt_f16_f32_e32 v4, v44
	s_delay_alu instid0(VALU_DEP_2) | instskip(NEXT) | instid1(VALU_DEP_1)
	v_lshlrev_b64_e32 v[2:3], 1, v[2:3]
	v_add_co_u32 v2, vcc_lo, s12, v2
	s_wait_alu 0xfffd
	s_delay_alu instid0(VALU_DEP_2)
	v_add_co_ci_u32_e64 v3, null, s13, v3, vcc_lo
	global_store_b16 v[2:3], v4, off
.LBB206_18:
	s_wait_alu 0xfffe
	s_or_b32 exec_lo, exec_lo, s0
	v_add_nc_u32_e32 v2, 64, v1
	s_mov_b32 s0, exec_lo
	s_delay_alu instid0(VALU_DEP_1)
	v_cmpx_gt_u32_e64 s9, v2
	s_cbranch_execz .LBB206_20
; %bb.19:
	v_dual_mov_b32 v3, 0 :: v_dual_add_nc_u32 v2, v0, v2
	v_cvt_f16_f32_e32 v4, v40
	s_delay_alu instid0(VALU_DEP_2) | instskip(NEXT) | instid1(VALU_DEP_1)
	v_lshlrev_b64_e32 v[2:3], 1, v[2:3]
	v_add_co_u32 v2, vcc_lo, s12, v2
	s_wait_alu 0xfffd
	s_delay_alu instid0(VALU_DEP_2)
	v_add_co_ci_u32_e64 v3, null, s13, v3, vcc_lo
	global_store_b16 v[2:3], v4, off
.LBB206_20:
	s_wait_alu 0xfffe
	s_or_b32 exec_lo, exec_lo, s0
	v_add_nc_u32_e32 v1, 0x60, v1
	s_delay_alu instid0(VALU_DEP_1)
	v_cmp_gt_u32_e32 vcc_lo, s9, v1
	s_and_b32 exec_lo, exec_lo, vcc_lo
	s_cbranch_execz .LBB206_22
; %bb.21:
	v_dual_mov_b32 v1, 0 :: v_dual_add_nc_u32 v0, v0, v1
	v_cvt_f16_f32_e32 v2, v11
	s_delay_alu instid0(VALU_DEP_2) | instskip(NEXT) | instid1(VALU_DEP_1)
	v_lshlrev_b64_e32 v[0:1], 1, v[0:1]
	v_add_co_u32 v0, vcc_lo, s12, v0
	s_wait_alu 0xfffd
	s_delay_alu instid0(VALU_DEP_2)
	v_add_co_ci_u32_e64 v1, null, s13, v1, vcc_lo
	global_store_b16 v[0:1], v2, off
.LBB206_22:
	s_nop 0
	s_sendmsg sendmsg(MSG_DEALLOC_VGPRS)
	s_endpgm
	.section	.rodata,"a",@progbits
	.p2align	6, 0x0
	.amdhsa_kernel _ZL8moe_q8_0IN3c104HalfELb1EEvPKvS3_PT_PKiS7_S7_iiiiiii
		.amdhsa_group_segment_fixed_size 20160
		.amdhsa_private_segment_fixed_size 0
		.amdhsa_kernarg_size 76
		.amdhsa_user_sgpr_count 2
		.amdhsa_user_sgpr_dispatch_ptr 0
		.amdhsa_user_sgpr_queue_ptr 0
		.amdhsa_user_sgpr_kernarg_segment_ptr 1
		.amdhsa_user_sgpr_dispatch_id 0
		.amdhsa_user_sgpr_private_segment_size 0
		.amdhsa_wavefront_size32 1
		.amdhsa_uses_dynamic_stack 0
		.amdhsa_enable_private_segment 0
		.amdhsa_system_sgpr_workgroup_id_x 1
		.amdhsa_system_sgpr_workgroup_id_y 1
		.amdhsa_system_sgpr_workgroup_id_z 0
		.amdhsa_system_sgpr_workgroup_info 0
		.amdhsa_system_vgpr_workitem_id 1
		.amdhsa_next_free_vgpr 126
		.amdhsa_next_free_sgpr 20
		.amdhsa_reserve_vcc 1
		.amdhsa_float_round_mode_32 0
		.amdhsa_float_round_mode_16_64 0
		.amdhsa_float_denorm_mode_32 3
		.amdhsa_float_denorm_mode_16_64 3
		.amdhsa_fp16_overflow 0
		.amdhsa_workgroup_processor_mode 1
		.amdhsa_memory_ordered 1
		.amdhsa_forward_progress 1
		.amdhsa_inst_pref_size 32
		.amdhsa_round_robin_scheduling 0
		.amdhsa_exception_fp_ieee_invalid_op 0
		.amdhsa_exception_fp_denorm_src 0
		.amdhsa_exception_fp_ieee_div_zero 0
		.amdhsa_exception_fp_ieee_overflow 0
		.amdhsa_exception_fp_ieee_underflow 0
		.amdhsa_exception_fp_ieee_inexact 0
		.amdhsa_exception_int_div_zero 0
	.end_amdhsa_kernel
	.section	.text._ZL8moe_q8_0IN3c104HalfELb1EEvPKvS3_PT_PKiS7_S7_iiiiiii,"axG",@progbits,_ZL8moe_q8_0IN3c104HalfELb1EEvPKvS3_PT_PKiS7_S7_iiiiiii,comdat
.Lfunc_end206:
	.size	_ZL8moe_q8_0IN3c104HalfELb1EEvPKvS3_PT_PKiS7_S7_iiiiiii, .Lfunc_end206-_ZL8moe_q8_0IN3c104HalfELb1EEvPKvS3_PT_PKiS7_S7_iiiiiii
                                        ; -- End function
	.set _ZL8moe_q8_0IN3c104HalfELb1EEvPKvS3_PT_PKiS7_S7_iiiiiii.num_vgpr, 126
	.set _ZL8moe_q8_0IN3c104HalfELb1EEvPKvS3_PT_PKiS7_S7_iiiiiii.num_agpr, 0
	.set _ZL8moe_q8_0IN3c104HalfELb1EEvPKvS3_PT_PKiS7_S7_iiiiiii.numbered_sgpr, 20
	.set _ZL8moe_q8_0IN3c104HalfELb1EEvPKvS3_PT_PKiS7_S7_iiiiiii.num_named_barrier, 0
	.set _ZL8moe_q8_0IN3c104HalfELb1EEvPKvS3_PT_PKiS7_S7_iiiiiii.private_seg_size, 0
	.set _ZL8moe_q8_0IN3c104HalfELb1EEvPKvS3_PT_PKiS7_S7_iiiiiii.uses_vcc, 1
	.set _ZL8moe_q8_0IN3c104HalfELb1EEvPKvS3_PT_PKiS7_S7_iiiiiii.uses_flat_scratch, 0
	.set _ZL8moe_q8_0IN3c104HalfELb1EEvPKvS3_PT_PKiS7_S7_iiiiiii.has_dyn_sized_stack, 0
	.set _ZL8moe_q8_0IN3c104HalfELb1EEvPKvS3_PT_PKiS7_S7_iiiiiii.has_recursion, 0
	.set _ZL8moe_q8_0IN3c104HalfELb1EEvPKvS3_PT_PKiS7_S7_iiiiiii.has_indirect_call, 0
	.section	.AMDGPU.csdata,"",@progbits
; Kernel info:
; codeLenInByte = 4044
; TotalNumSgprs: 22
; NumVgprs: 126
; ScratchSize: 0
; MemoryBound: 0
; FloatMode: 240
; IeeeMode: 1
; LDSByteSize: 20160 bytes/workgroup (compile time only)
; SGPRBlocks: 0
; VGPRBlocks: 15
; NumSGPRsForWavesPerEU: 22
; NumVGPRsForWavesPerEU: 126
; Occupancy: 10
; WaveLimiterHint : 1
; COMPUTE_PGM_RSRC2:SCRATCH_EN: 0
; COMPUTE_PGM_RSRC2:USER_SGPR: 2
; COMPUTE_PGM_RSRC2:TRAP_HANDLER: 0
; COMPUTE_PGM_RSRC2:TGID_X_EN: 1
; COMPUTE_PGM_RSRC2:TGID_Y_EN: 1
; COMPUTE_PGM_RSRC2:TGID_Z_EN: 0
; COMPUTE_PGM_RSRC2:TIDIG_COMP_CNT: 1
	.section	.text._ZL8moe_q2_KIN3c104HalfELb0EEvPKvS3_PT_PKiS7_S7_iiiiiii,"axG",@progbits,_ZL8moe_q2_KIN3c104HalfELb0EEvPKvS3_PT_PKiS7_S7_iiiiiii,comdat
	.globl	_ZL8moe_q2_KIN3c104HalfELb0EEvPKvS3_PT_PKiS7_S7_iiiiiii ; -- Begin function _ZL8moe_q2_KIN3c104HalfELb0EEvPKvS3_PT_PKiS7_S7_iiiiiii
	.p2align	8
	.type	_ZL8moe_q2_KIN3c104HalfELb0EEvPKvS3_PT_PKiS7_S7_iiiiiii,@function
_ZL8moe_q2_KIN3c104HalfELb0EEvPKvS3_PT_PKiS7_S7_iiiiiii: ; @_ZL8moe_q2_KIN3c104HalfELb0EEvPKvS3_PT_PKiS7_S7_iiiiiii
; %bb.0:
	s_load_b128 s[4:7], s[0:1], 0x18
	s_mov_b32 s2, ttmp7
	s_mov_b32 s3, 0
	s_delay_alu instid0(SALU_CYCLE_1)
	s_lshl_b64 s[2:3], s[2:3], 2
	s_wait_kmcnt 0x0
	s_add_nc_u64 s[2:3], s[6:7], s[2:3]
	s_load_b32 s12, s[2:3], 0x0
	s_wait_kmcnt 0x0
	s_cmp_gt_u32 s12, 0xff
	s_cbranch_scc1 .LBB207_46
; %bb.1:
	s_load_b64 s[2:3], s[0:1], 0x28
	s_wait_kmcnt 0x0
	s_load_b32 s3, s[2:3], 0x0
	s_lshl_b32 s2, ttmp7, 3
	s_wait_kmcnt 0x0
	s_cmp_gt_u32 s2, s3
	s_cbranch_scc1 .LBB207_46
; %bb.2:
	v_bfe_u32 v3, v0, 10, 10
	v_mov_b32_e32 v2, 0
	s_lshl_b32 s18, ttmp9, 7
	s_delay_alu instid0(VALU_DEP_2) | instskip(NEXT) | instid1(VALU_DEP_2)
	v_add_nc_u32_e32 v1, s2, v3
	v_dual_mov_b32 v43, v2 :: v_dual_and_b32 v12, 0x3ff, v0
	v_dual_mov_b32 v48, v2 :: v_dual_mov_b32 v13, v2
	s_delay_alu instid0(VALU_DEP_3) | instskip(NEXT) | instid1(VALU_DEP_1)
	v_lshlrev_b64_e32 v[4:5], 2, v[1:2]
	v_add_co_u32 v4, vcc_lo, s4, v4
	s_delay_alu instid0(VALU_DEP_1)
	v_add_co_ci_u32_e64 v5, null, s5, v5, vcc_lo
	global_load_b32 v11, v[4:5], off
	s_clause 0x2
	s_load_b64 s[10:11], s[0:1], 0x30
	s_load_b64 s[8:9], s[0:1], 0x10
	s_load_b128 s[4:7], s[0:1], 0x3c
	s_wait_kmcnt 0x0
	s_cmp_lt_i32 s11, 0x100
	s_cbranch_scc1 .LBB207_37
; %bb.3:
	s_abs_i32 s19, s7
	s_wait_loadcnt 0x0
	v_sub_nc_u32_e32 v6, 0, v11
	s_cvt_f32_u32 s16, s19
	s_sub_co_i32 s20, 0, s19
	s_ashr_i32 s13, s11, 31
	v_lshlrev_b32_e32 v2, 4, v3
	v_rcp_iflag_f32_e32 v9, s16
	v_max_i32_e32 v6, v11, v6
	v_bfe_u32 v4, v0, 1, 9
	v_bfe_u32 v18, v0, 3, 7
	s_lshr_b32 s13, s13, 24
	s_load_b128 s[0:3], s[0:1], 0x0
	s_ashr_i32 s15, s5, 31
	s_add_co_i32 s13, s11, s13
	v_dual_mov_b32 v13, 0 :: v_dual_and_b32 v16, 1, v0
	s_delay_alu instid0(TRANS32_DEP_1)
	v_readfirstlane_b32 s21, v9
	v_add_nc_u32_e32 v4, v4, v2
	v_lshl_add_u32 v8, v3, 2, v18
	s_mul_i32 s12, s12, s10
	s_ashr_i32 s10, s13, 8
	s_mul_f32 s21, s21, 0x4f7ffffe
	s_lshr_b32 s15, s15, 27
	v_and_b32_e32 v5, 7, v0
	s_add_co_i32 s5, s5, s15
	s_cvt_u32_f32 s21, s21
	s_lshl_b32 s15, s10, 5
	v_lshlrev_b32_e32 v7, 2, v16
	v_and_b32_e32 v10, 0x7f, v4
	s_mul_i32 s20, s20, s21
	v_lshrrev_b32_e32 v4, 2, v4
	s_mul_hi_u32 s20, s21, s20
	v_mul_i32_i24_e32 v30, s10, v8
	s_add_co_i32 s21, s21, s20
	v_and_b32_e32 v37, 0x1ffc, v8
	v_mul_hi_u32 v47, v6, s21
	v_lshlrev_b32_e32 v43, 5, v8
	v_add_nc_u32_e32 v41, 32, v8
	v_add_nc_u32_e32 v9, 64, v8
	v_mad_i32_i24 v33, s10, v8, s15
	v_add_nc_u32_e32 v8, 0x60, v8
	v_cmp_lt_u32_e32 vcc_lo, 3, v5
	v_lshlrev_b32_e32 v5, 2, v5
	v_mul_lo_u32 v45, v47, s19
	v_lshl_or_b32 v7, v10, 3, v7
	v_and_b32_e32 v4, 28, v4
	v_and_b32_e32 v40, 0x3ffc, v41
	;; [unrolled: 1-line block ×4, first 2 shown]
	s_mul_i32 s16, s10, s18
	v_mul_i32_i24_e32 v35, s10, v10
	v_add3_u32 v10, v37, v5, 0x4200
	v_add3_u32 v39, v7, v4, 0x5280
	;; [unrolled: 1-line block ×5, first 2 shown]
	v_and_b32_e32 v46, 31, v0
	v_lshl_add_u32 v44, v3, 7, 0x56a0
	v_sub_nc_u32_e32 v6, v6, v45
	s_ashr_i32 s13, s12, 31
	s_wait_alu 0xfffe
	s_ashr_i32 s17, s16, 31
	s_wait_kmcnt 0x0
	s_add_nc_u64 s[0:1], s[0:1], s[12:13]
	s_wait_alu 0xfffe
	s_mul_u64 s[16:17], s[16:17], 0x54
	v_add_nc_u32_e32 v49, 1, v47
	s_wait_alu 0xfffe
	s_add_nc_u64 s[12:13], s[0:1], s[16:17]
	v_lshl_add_u32 v45, v46, 2, v44
	v_add_nc_u32_e32 v46, 0x5aa0, v2
	v_subrev_nc_u32_e32 v2, s19, v6
	v_cmp_le_u32_e64 s0, s19, v6
	v_lshlrev_b32_e32 v1, 2, v12
	v_lshlrev_b32_e32 v9, 5, v9
	s_lshl_b32 s14, s10, 3
	v_mul_i32_i24_e32 v28, s10, v3
	v_cndmask_b32_e64 v49, v47, v49, s0
	v_cndmask_b32_e64 v2, v6, v2, s0
	s_wait_alu 0xfffe
	v_mad_i32_i24 v15, s10, v3, s14
	v_dual_mov_b32 v48, 0 :: v_dual_add_nc_u32 v61, v48, v9
	v_and_b32_e32 v21, 60, v1
	v_mad_u32_u24 v22, 0x84, v3, v1
	v_and_b32_e32 v26, 12, v1
	v_lshlrev_b32_e32 v3, 5, v8
	v_and_b32_e32 v8, 28, v1
	v_add_nc_u32_e32 v47, v46, v1
	v_xor_b32_e32 v1, s7, v11
	v_add_nc_u32_e32 v6, 1, v49
	v_cmp_le_u32_e64 s0, s19, v2
	v_add_nc_u32_e32 v56, 0x60, v12
	v_add_nc_u32_e32 v17, s14, v15
	v_ashrrev_i32_e32 v1, 31, v1
	s_ashr_i32 s5, s5, 5
	v_cndmask_b32_e64 v2, v49, v6, s0
	v_add_nc_u32_e32 v54, 32, v12
	v_add_nc_u32_e32 v55, 64, v12
	v_bfe_u32 v14, v0, 4, 6
	v_lshlrev_b32_e32 v7, 5, v41
	v_xor_b32_e32 v2, v2, v1
	v_add_nc_u32_e32 v41, s15, v33
	v_mul_u32_u24_e32 v53, 33, v12
	v_lshlrev_b32_e32 v6, 1, v12
	v_lshlrev_b32_e32 v66, 1, v54
	v_sub_nc_u32_e32 v1, v2, v1
	v_lshrrev_b32_e32 v2, 4, v56
	v_lshrrev_b32_e32 v65, 4, v54
	v_lshlrev_b32_e32 v68, 1, v55
	v_lshrrev_b32_e32 v67, 4, v55
	s_wait_alu 0xfffe
	v_mul_lo_u32 v52, v1, s5
	v_dual_mov_b32 v2, 0 :: v_dual_lshlrev_b32 v69, 2, v2
	v_add_nc_u32_e32 v19, s14, v17
	v_lshlrev_b32_e32 v70, 1, v56
	v_lshlrev_b32_e32 v58, 5, v12
	v_and_b32_e32 v57, 0xfc, v0
	v_add_co_u32 v0, s1, s2, v8
	v_add_nc_u32_e32 v20, s14, v19
	v_and_b32_e32 v8, 0x1fc, v56
	v_and_b32_e32 v59, 0x1fc, v54
	;; [unrolled: 1-line block ×3, first 2 shown]
	s_wait_alu 0xfffd
	v_cndmask_b32_e64 v24, 0, 1, vcc_lo
	v_add_nc_u32_e32 v23, s14, v20
	v_cmp_gt_u32_e32 vcc_lo, 4, v12
	v_cmp_gt_i32_e64 s0, s4, v1
	v_add_nc_u32_e32 v42, s15, v41
	v_lshrrev_b32_e32 v49, 3, v54
	v_add_nc_u32_e32 v25, s14, v23
	v_lshrrev_b32_e32 v50, 3, v55
	v_lshrrev_b32_e32 v51, 3, v56
	s_wait_alu 0xf1ff
	v_add_co_ci_u32_e64 v1, null, s3, 0, s1
	v_add_nc_u32_e32 v27, s14, v25
	v_lshlrev_b32_e32 v53, 2, v53
	v_add_nc_u32_e32 v54, v58, v57
	v_ashrrev_i32_e32 v55, 31, v52
	v_add_nc_u32_e32 v56, v58, v8
	v_add_nc_u32_e32 v29, s14, v27
	;; [unrolled: 1-line block ×8, first 2 shown]
	v_lshlrev_b32_e32 v63, 2, v14
	v_lshlrev_b32_e32 v64, 2, v6
	;; [unrolled: 1-line block ×3, first 2 shown]
	v_add_nc_u32_e32 v32, s14, v31
	v_lshlrev_b32_e32 v66, 2, v66
	v_lshlrev_b32_e32 v67, 2, v67
	;; [unrolled: 1-line block ×4, first 2 shown]
	v_dual_mov_b32 v43, 0 :: v_dual_add_nc_u32 v34, s14, v32
	s_mov_b32 s15, 0
	s_and_b32 s19, vcc_lo, s0
	s_delay_alu instid0(VALU_DEP_1) | instskip(NEXT) | instid1(VALU_DEP_1)
	v_add_nc_u32_e32 v36, s14, v34
	v_add_nc_u32_e32 v37, s14, v36
	s_delay_alu instid0(VALU_DEP_1) | instskip(NEXT) | instid1(VALU_DEP_1)
	v_add_nc_u32_e32 v38, s14, v37
	v_add_nc_u32_e32 v40, s14, v38
	s_wait_alu 0xfffe
	s_mov_b32 s14, s15
	s_branch .LBB207_5
.LBB207_4:                              ;   in Loop: Header=BB207_5 Depth=1
	s_add_co_i32 s14, s14, 2
	s_wait_alu 0xfffe
	s_cmp_ge_i32 s14, s10
	s_cbranch_scc1 .LBB207_37
.LBB207_5:                              ; =>This Loop Header: Depth=1
                                        ;     Child Loop BB207_11 Depth 2
                                        ;     Child Loop BB207_19 Depth 2
	;; [unrolled: 1-line block ×4, first 2 shown]
	s_wait_alu 0xfffe
	s_mul_u64 s[16:17], s[14:15], 0x54
	v_add_nc_u32_e32 v97, 0x39c0, v22
	s_wait_alu 0xfffe
	s_add_nc_u64 s[16:17], s[12:13], s[16:17]
	v_add_nc_u32_e32 v98, 0x3de0, v22
	s_wait_alu 0xfffe
	v_mad_co_u64_u32 v[3:4], null, 0x54, v14, s[16:17]
	s_delay_alu instid0(VALU_DEP_1) | instskip(SKIP_3) | instid1(VALU_DEP_4)
	v_mad_co_u64_u32 v[5:6], null, 0x54, v28, v[3:4]
	v_mad_co_u64_u32 v[7:8], null, 0x54, v15, v[3:4]
	;; [unrolled: 1-line block ×4, first 2 shown]
	v_add_co_u32 v5, s1, v5, v21
	v_mad_co_u64_u32 v[73:74], null, 0x54, v20, v[3:4]
	s_wait_alu 0xf1ff
	v_add_co_ci_u32_e64 v6, null, 0, v6, s1
	v_add_co_u32 v7, s1, v7, v21
	v_mad_co_u64_u32 v[75:76], null, 0x54, v23, v[3:4]
	s_wait_alu 0xf1ff
	v_add_co_ci_u32_e64 v8, null, 0, v8, s1
	;; [unrolled: 4-line block ×4, first 2 shown]
	v_add_co_u32 v73, s1, v73, v21
	s_wait_alu 0xf1ff
	v_add_co_ci_u32_e64 v74, null, 0, v74, s1
	v_add_co_u32 v75, s1, v75, v21
	s_wait_alu 0xf1ff
	v_add_co_ci_u32_e64 v76, null, 0, v76, s1
	;; [unrolled: 3-line block ×3, first 2 shown]
	v_add_co_u32 v79, s1, v79, v21
	v_mad_co_u64_u32 v[81:82], null, 0x54, v29, v[3:4]
	s_wait_alu 0xf1ff
	v_add_co_ci_u32_e64 v80, null, 0, v80, s1
	s_clause 0x7
	global_load_b32 v89, v[5:6], off offset:16
	global_load_b32 v90, v[7:8], off offset:16
	;; [unrolled: 1-line block ×8, first 2 shown]
	v_mad_co_u64_u32 v[5:6], null, 0x54, v31, v[3:4]
	v_mad_co_u64_u32 v[9:10], null, 0x54, v32, v[3:4]
	;; [unrolled: 1-line block ×3, first 2 shown]
	v_add_co_u32 v7, s1, v81, v21
	v_mad_co_u64_u32 v[73:74], null, 0x54, v36, v[3:4]
	s_wait_alu 0xf1ff
	v_add_co_ci_u32_e64 v8, null, 0, v82, s1
	v_add_co_u32 v5, s1, v5, v21
	v_mad_co_u64_u32 v[75:76], null, 0x54, v37, v[3:4]
	s_wait_alu 0xf1ff
	v_add_co_ci_u32_e64 v6, null, 0, v6, s1
	;; [unrolled: 4-line block ×4, first 2 shown]
	v_add_co_u32 v73, s1, v73, v21
	s_wait_alu 0xf1ff
	v_add_co_ci_u32_e64 v74, null, 0, v74, s1
	v_add_co_u32 v75, s1, v75, v21
	v_mad_co_u64_u32 v[3:4], null, 0x54, v40, v[3:4]
	s_wait_alu 0xf1ff
	v_add_co_ci_u32_e64 v76, null, 0, v76, s1
	v_add_co_u32 v77, s1, v77, v21
	v_mad_co_u64_u32 v[81:82], null, 0x54, v35, s[16:17]
	s_wait_alu 0xf1ff
	v_add_co_ci_u32_e64 v78, null, 0, v78, s1
	v_add_co_u32 v79, s1, v79, v26
	s_wait_alu 0xf1ff
	v_add_co_ci_u32_e64 v80, null, 0, v80, s1
	v_add_co_u32 v3, s1, v3, v21
	s_wait_alu 0xf1ff
	v_add_co_ci_u32_e64 v4, null, 0, v4, s1
	v_mad_co_u64_u32 v[81:82], null, 0x54, v16, v[81:82]
	v_mad_co_u64_u32 v[83:84], null, 0x54, v30, v[79:80]
	;; [unrolled: 1-line block ×5, first 2 shown]
	s_clause 0xc
	global_load_b32 v7, v[7:8], off offset:16
	global_load_b32 v5, v[5:6], off offset:16
	;; [unrolled: 1-line block ×9, first 2 shown]
	global_load_b32 v72, v[83:84], off
	global_load_b32 v73, v[85:86], off
	;; [unrolled: 1-line block ×4, first 2 shown]
	s_lshl_b32 s16, s14, 8
	v_add_nc_u32_e32 v76, 0x420, v22
	v_add_nc_u32_e32 v77, 0x840, v22
	;; [unrolled: 1-line block ×3, first 2 shown]
	s_wait_alu 0xfffe
	s_cmp_lt_i32 s16, s11
	v_add_nc_u32_e32 v79, 0x1080, v22
	v_add_nc_u32_e32 v80, 0x14a0, v22
	v_add_nc_u32_e32 v81, 0x18c0, v22
	v_add_nc_u32_e32 v82, 0x1ce0, v22
	v_add_nc_u32_e32 v83, 0x2100, v22
	v_add_nc_u32_e32 v84, 0x2520, v22
	v_add_nc_u32_e32 v85, 0x2940, v22
	v_add_nc_u32_e32 v86, 0x2d60, v22
	v_add_nc_u32_e32 v87, 0x3180, v22
	v_add_nc_u32_e32 v88, 0x35a0, v22
	s_wait_loadcnt 0x14
	ds_store_b32 v22, v89
	s_wait_loadcnt 0x13
	ds_store_b32 v76, v90
	;; [unrolled: 2-line block ×21, first 2 shown]
	s_cbranch_scc0 .LBB207_4
; %bb.6:                                ;   in Loop: Header=BB207_5 Depth=1
	s_lshl_b32 s17, s14, 3
	s_wait_alu 0xfffe
	v_add_nc_u32_e32 v3, s17, v18
	s_delay_alu instid0(VALU_DEP_1)
	v_cmp_gt_i32_e64 s1, s5, v3
	s_and_b32 s20, s0, s1
	s_wait_alu 0xfffe
	s_and_saveexec_b32 s1, s20
	s_cbranch_execz .LBB207_8
; %bb.7:                                ;   in Loop: Header=BB207_5 Depth=1
	v_add_nc_u32_e32 v3, v52, v3
	s_delay_alu instid0(VALU_DEP_1)
	v_mad_co_i64_i32 v[3:4], null, v3, 36, v[0:1]
	global_load_b32 v3, v[3:4], off offset:4
	s_wait_loadcnt 0x0
	ds_store_b32 v45, v3
.LBB207_8:                              ;   in Loop: Header=BB207_5 Depth=1
	s_wait_alu 0xfffe
	s_or_b32 exec_lo, exec_lo, s1
	v_add_nc_u32_e32 v71, s17, v12
	s_delay_alu instid0(VALU_DEP_1)
	v_cmp_gt_i32_e64 s1, s5, v71
	s_and_b32 s20, s19, s1
	s_wait_alu 0xfffe
	s_and_saveexec_b32 s1, s20
	s_cbranch_execz .LBB207_10
; %bb.9:                                ;   in Loop: Header=BB207_5 Depth=1
	v_add_nc_u32_e32 v3, v52, v71
	s_delay_alu instid0(VALU_DEP_1)
	v_mad_co_i64_i32 v[3:4], null, v3, 36, s[2:3]
	global_load_b32 v3, v[3:4], off
	s_wait_loadcnt 0x0
	v_cvt_f32_f16_e32 v3, v3
	ds_store_b32 v47, v3
.LBB207_10:                             ;   in Loop: Header=BB207_5 Depth=1
	s_wait_alu 0xfffe
	s_or_b32 exec_lo, exec_lo, s1
	v_dual_mov_b32 v72, v46 :: v_dual_mov_b32 v73, v44
	s_mov_b32 s1, 0
	s_wait_dscnt 0x0
	s_barrier_signal -1
	s_barrier_wait -1
	global_inv scope:SCOPE_SE
.LBB207_11:                             ;   Parent Loop BB207_5 Depth=1
                                        ; =>  This Inner Loop Header: Depth=2
	ds_load_b128 v[3:6], v73 offset:16
	ds_load_b128 v[7:10], v73
	s_wait_alu 0xfffe
	s_and_b32 s20, s1, 0x3ffffff8
	v_add_nc_u32_e32 v73, 32, v73
	s_wait_alu 0xfffe
	v_lshl_add_u32 v104, s20, 2, v53
	s_and_b32 s20, s1, -16
	s_wait_alu 0xfffe
	s_add_co_i32 s20, s1, s20
	s_delay_alu instid0(VALU_DEP_1)
	v_add_nc_u32_e32 v111, 0x2108, v104
	v_add_nc_u32_e32 v113, 0x2110, v104
	;; [unrolled: 1-line block ×4, first 2 shown]
	s_wait_dscnt 0x1
	v_lshrrev_b16 v106, 8, v3
	s_wait_dscnt 0x0
	v_ashrrev_i32_e32 v85, 24, v7
	v_bfe_i32 v97, v8, 8, 8
	v_bfe_i32 v99, v7, 0, 8
	;; [unrolled: 1-line block ×3, first 2 shown]
	v_ashrrev_i32_e32 v96, 24, v8
	v_bfe_i32 v93, v7, 8, 8
	v_bfe_i32 v101, v8, 0, 8
	;; [unrolled: 1-line block ×3, first 2 shown]
	v_lshrrev_b16 v100, 8, v9
	v_ashrrev_i32_e32 v81, 24, v9
	v_bfe_i32 v82, v9, 16, 8
	v_bfe_i32 v103, v9, 0, 8
	v_lshrrev_b16 v102, 8, v10
	v_ashrrev_i32_e32 v74, 24, v10
	v_bfe_i32 v75, v10, 16, 8
	v_bfe_i32 v78, v10, 0, 8
	v_ashrrev_i32_e32 v90, 24, v3
	v_bfe_i32 v94, v3, 0, 8
	v_bfe_i32 v88, v3, 16, 8
	v_lshrrev_b16 v105, 8, v4
	v_ashrrev_i32_e32 v91, 24, v4
	v_bfe_i32 v95, v4, 0, 8
	v_bfe_i32 v89, v4, 16, 8
	v_ashrrev_i32_e32 v83, 24, v5
	v_bfe_i32 v84, v5, 16, 8
	v_bfe_i32 v87, v5, 0, 8
	;; [unrolled: 1-line block ×3, first 2 shown]
	v_ashrrev_i32_e32 v76, 24, v6
	v_bfe_i32 v77, v6, 16, 8
	v_bfe_i32 v80, v6, 0, 8
	;; [unrolled: 1-line block ×3, first 2 shown]
	ds_load_2addr_b32 v[9:10], v104 offset1:1
	ds_load_2addr_b32 v[5:6], v104 offset0:2 offset1:3
	ds_load_2addr_b32 v[7:8], v104 offset0:4 offset1:5
	;; [unrolled: 1-line block ×3, first 2 shown]
	v_bfe_i32 v123, v106, 0, 8
	v_bfe_i32 v127, v105, 0, 8
	;; [unrolled: 1-line block ×4, first 2 shown]
	s_wait_dscnt 0x3
	v_ashrrev_i32_e32 v10, s1, v10
	v_ashrrev_i32_e32 v124, s1, v9
	s_wait_dscnt 0x1
	v_ashrrev_i32_e32 v7, s1, v7
	v_ashrrev_i32_e32 v5, s1, v5
	;; [unrolled: 1-line block ×3, first 2 shown]
	v_and_b32_e32 v107, 3, v10
	v_bfe_u32 v108, v10, 8, 2
	v_and_b32_e32 v106, 3, v7
	v_and_b32_e32 v9, 3, v124
	;; [unrolled: 1-line block ×3, first 2 shown]
	v_mul_i32_i24_e32 v107, v107, v101
	s_wait_dscnt 0x0
	v_ashrrev_i32_e32 v3, s1, v3
	v_mul_i32_i24_e32 v106, v106, v94
	v_mul_i32_i24_e32 v9, v99, v9
	;; [unrolled: 1-line block ×3, first 2 shown]
	v_mad_i32_i24 v107, v108, v97, v107
	v_bfe_u32 v108, v10, 16, 2
	v_bfe_u32 v10, v10, 24, 2
	v_ashrrev_i32_e32 v6, s1, v6
	v_ashrrev_i32_e32 v4, s1, v4
	s_delay_alu instid0(VALU_DEP_4) | instskip(NEXT) | instid1(VALU_DEP_4)
	v_mul_i32_i24_e32 v108, v108, v98
	v_mul_i32_i24_e32 v10, v10, v96
	s_delay_alu instid0(VALU_DEP_1) | instskip(SKIP_1) | instid1(VALU_DEP_1)
	v_add3_u32 v10, v107, v108, v10
	v_bfe_u32 v107, v7, 8, 2
	v_mad_i32_i24 v106, v107, v123, v106
	v_bfe_u32 v107, v7, 16, 2
	v_bfe_u32 v7, v7, 24, 2
	s_delay_alu instid0(VALU_DEP_2) | instskip(NEXT) | instid1(VALU_DEP_2)
	v_mul_i32_i24_e32 v107, v107, v88
	v_mul_i32_i24_e32 v7, v7, v90
	s_delay_alu instid0(VALU_DEP_1) | instskip(SKIP_2) | instid1(VALU_DEP_2)
	v_add3_u32 v7, v106, v107, v7
	v_and_b32_e32 v106, 3, v5
	v_add_nc_u32_e32 v107, 0x1098, v104
	v_mul_i32_i24_e32 v106, v106, v103
	s_delay_alu instid0(VALU_DEP_1) | instskip(SKIP_1) | instid1(VALU_DEP_1)
	v_add3_u32 v125, v10, v106, v9
	v_bfe_u32 v9, v126, 8, 2
	v_mul_i32_i24_e32 v9, v9, v127
	s_delay_alu instid0(VALU_DEP_1)
	v_add3_u32 v128, v7, v8, v9
	v_add_nc_u32_e32 v7, 0x1080, v104
	v_add_nc_u32_e32 v9, 0x1088, v104
	ds_load_2addr_b32 v[7:8], v7 offset1:1
	ds_load_2addr_b32 v[9:10], v9 offset1:1
	s_wait_dscnt 0x1
	v_ashrrev_i32_e32 v8, s1, v8
	v_ashrrev_i32_e32 v7, s1, v7
	s_wait_dscnt 0x0
	v_ashrrev_i32_e32 v9, s1, v9
	s_delay_alu instid0(VALU_DEP_3) | instskip(SKIP_1) | instid1(VALU_DEP_2)
	v_and_b32_e32 v105, 3, v8
	v_bfe_u32 v106, v8, 8, 2
	v_mul_i32_i24_e32 v105, v105, v101
	s_delay_alu instid0(VALU_DEP_1) | instskip(SKIP_2) | instid1(VALU_DEP_2)
	v_mad_i32_i24 v105, v106, v97, v105
	v_bfe_u32 v106, v8, 16, 2
	v_bfe_u32 v8, v8, 24, 2
	v_mul_i32_i24_e32 v106, v106, v98
	s_delay_alu instid0(VALU_DEP_2) | instskip(NEXT) | instid1(VALU_DEP_1)
	v_mul_i32_i24_e32 v8, v8, v96
	v_add3_u32 v8, v105, v106, v8
	s_wait_alu 0xfffe
	v_add_nc_u32_e32 v105, s20, v57
	ds_load_u16 v129, v105 offset:17920
	v_add_nc_u32_e32 v105, 0x1090, v104
	ds_load_2addr_b32 v[105:106], v105 offset1:1
	ds_load_2addr_b32 v[107:108], v107 offset1:1
	s_wait_dscnt 0x1
	v_ashrrev_i32_e32 v105, s1, v105
	v_ashrrev_i32_e32 v106, s1, v106
	s_delay_alu instid0(VALU_DEP_2) | instskip(SKIP_1) | instid1(VALU_DEP_2)
	v_and_b32_e32 v109, 3, v105
	v_bfe_u32 v110, v105, 8, 2
	v_mul_i32_i24_e32 v109, v109, v94
	s_delay_alu instid0(VALU_DEP_1) | instskip(SKIP_2) | instid1(VALU_DEP_2)
	v_mad_i32_i24 v109, v110, v123, v109
	v_bfe_u32 v110, v105, 16, 2
	v_bfe_u32 v105, v105, 24, 2
	v_mul_i32_i24_e32 v110, v110, v88
	s_delay_alu instid0(VALU_DEP_2) | instskip(NEXT) | instid1(VALU_DEP_1)
	v_mul_i32_i24_e32 v105, v105, v90
	v_add3_u32 v130, v109, v110, v105
	v_add_nc_u32_e32 v105, 0x2100, v104
	ds_load_2addr_b32 v[109:110], v105 offset1:1
	ds_load_2addr_b32 v[111:112], v111 offset1:1
	;; [unrolled: 1-line block ×4, first 2 shown]
	s_wait_dscnt 0x3
	v_ashrrev_i32_e32 v105, s1, v110
	v_ashrrev_i32_e32 v109, s1, v109
	s_wait_dscnt 0x2
	v_ashrrev_i32_e32 v111, s1, v111
	s_wait_dscnt 0x1
	v_ashrrev_i32_e32 v114, s1, v114
	v_and_b32_e32 v110, 3, v105
	v_bfe_u32 v117, v105, 8, 2
	s_delay_alu instid0(VALU_DEP_2) | instskip(NEXT) | instid1(VALU_DEP_1)
	v_mul_i32_i24_e32 v110, v110, v101
	v_mad_i32_i24 v110, v117, v97, v110
	v_bfe_u32 v117, v105, 16, 2
	v_bfe_u32 v105, v105, 24, 2
	s_delay_alu instid0(VALU_DEP_2) | instskip(NEXT) | instid1(VALU_DEP_2)
	v_mul_i32_i24_e32 v117, v117, v98
	v_mul_i32_i24_e32 v105, v105, v96
	s_delay_alu instid0(VALU_DEP_1) | instskip(SKIP_1) | instid1(VALU_DEP_1)
	v_add3_u32 v110, v110, v117, v105
	v_ashrrev_i32_e32 v105, s1, v113
	v_and_b32_e32 v113, 3, v105
	v_bfe_u32 v117, v105, 8, 2
	s_delay_alu instid0(VALU_DEP_2) | instskip(NEXT) | instid1(VALU_DEP_1)
	v_mul_i32_i24_e32 v113, v113, v94
	v_mad_i32_i24 v113, v117, v123, v113
	v_bfe_u32 v117, v105, 16, 2
	v_bfe_u32 v105, v105, 24, 2
	s_delay_alu instid0(VALU_DEP_2) | instskip(NEXT) | instid1(VALU_DEP_2)
	v_mul_i32_i24_e32 v117, v117, v88
	v_mul_i32_i24_e32 v105, v105, v90
	s_delay_alu instid0(VALU_DEP_1)
	v_add3_u32 v113, v113, v117, v105
	v_add_nc_u32_e32 v105, 0x3180, v104
	ds_load_2addr_b32 v[117:118], v105 offset1:1
	ds_load_2addr_b32 v[119:120], v119 offset1:1
	s_wait_dscnt 0x1
	v_ashrrev_i32_e32 v105, s1, v118
	v_ashrrev_i32_e32 v117, s1, v117
	s_wait_dscnt 0x0
	v_ashrrev_i32_e32 v119, s1, v119
	s_delay_alu instid0(VALU_DEP_3) | instskip(SKIP_1) | instid1(VALU_DEP_2)
	v_and_b32_e32 v118, 3, v105
	v_bfe_u32 v121, v105, 8, 2
	v_mul_i32_i24_e32 v118, v118, v101
	s_delay_alu instid0(VALU_DEP_1) | instskip(SKIP_3) | instid1(VALU_DEP_3)
	v_mad_i32_i24 v118, v121, v97, v118
	v_bfe_u32 v121, v105, 16, 2
	v_bfe_u32 v105, v105, 24, 2
	v_add_nc_u32_e32 v97, v93, v97
	v_mul_i32_i24_e32 v121, v121, v98
	s_delay_alu instid0(VALU_DEP_3) | instskip(NEXT) | instid1(VALU_DEP_3)
	v_mul_i32_i24_e32 v105, v105, v96
	v_add3_u32 v97, v97, v100, v102
	v_add_nc_u32_e32 v96, v96, v85
	v_add_nc_u32_e32 v98, v98, v92
	s_delay_alu instid0(VALU_DEP_4)
	v_add3_u32 v118, v118, v121, v105
	v_add_nc_u32_e32 v105, 0x3190, v104
	v_add_nc_u32_e32 v121, 0x3198, v104
	;; [unrolled: 1-line block ×3, first 2 shown]
	ds_load_u16 v131, v104 offset:19968
	ds_load_2addr_b32 v[104:105], v105 offset1:1
	ds_load_2addr_b32 v[121:122], v121 offset1:1
	v_add3_u32 v96, v96, v81, v74
	v_add3_u32 v98, v98, v82, v75
	s_wait_dscnt 0x1
	v_ashrrev_i32_e32 v104, s1, v104
	v_ashrrev_i32_e32 v105, s1, v105
	s_delay_alu instid0(VALU_DEP_2) | instskip(SKIP_1) | instid1(VALU_DEP_2)
	v_and_b32_e32 v132, 3, v104
	v_bfe_u32 v133, v104, 8, 2
	v_mul_i32_i24_e32 v132, v132, v94
	v_add_nc_u32_e32 v94, v95, v94
	s_delay_alu instid0(VALU_DEP_2) | instskip(SKIP_2) | instid1(VALU_DEP_4)
	v_mad_i32_i24 v132, v133, v123, v132
	v_bfe_u32 v133, v104, 16, 2
	v_bfe_u32 v104, v104, 24, 2
	v_add3_u32 v94, v94, v87, v80
	s_delay_alu instid0(VALU_DEP_3) | instskip(NEXT) | instid1(VALU_DEP_3)
	v_mul_i32_i24_e32 v133, v133, v88
	v_mul_i32_i24_e32 v104, v104, v90
	v_add_nc_u32_e32 v90, v91, v90
	v_add_nc_u32_e32 v88, v89, v88
	s_delay_alu instid0(VALU_DEP_3)
	v_add3_u32 v104, v132, v133, v104
	v_bfe_u32 v132, v124, 8, 2
	v_bfe_u32 v133, v124, 16, 2
	;; [unrolled: 1-line block ×3, first 2 shown]
	v_add3_u32 v90, v90, v83, v76
	v_add3_u32 v88, v88, v84, v77
	v_mul_i32_i24_e32 v132, v93, v132
	v_mul_i32_i24_e32 v133, v92, v133
	;; [unrolled: 1-line block ×3, first 2 shown]
	s_delay_alu instid0(VALU_DEP_2) | instskip(SKIP_2) | instid1(VALU_DEP_2)
	v_add3_u32 v125, v125, v132, v133
	v_bfe_u32 v132, v126, 16, 2
	v_bfe_u32 v126, v126, 24, 2
	v_mul_i32_i24_e32 v132, v132, v89
	s_delay_alu instid0(VALU_DEP_2) | instskip(NEXT) | instid1(VALU_DEP_1)
	v_mul_i32_i24_e32 v126, v126, v91
	v_add3_u32 v126, v128, v132, v126
	v_and_b32_e32 v128, 3, v7
	v_and_b32_e32 v132, 3, v9
	s_delay_alu instid0(VALU_DEP_2) | instskip(NEXT) | instid1(VALU_DEP_2)
	v_mul_i32_i24_e32 v128, v99, v128
	v_mul_i32_i24_e32 v132, v132, v103
	s_delay_alu instid0(VALU_DEP_1) | instskip(SKIP_2) | instid1(VALU_DEP_2)
	v_add3_u32 v8, v8, v132, v128
	v_and_b32_e32 v128, 3, v106
	v_bfe_u32 v132, v106, 8, 2
	v_mul_i32_i24_e32 v128, v128, v95
	s_delay_alu instid0(VALU_DEP_2) | instskip(NEXT) | instid1(VALU_DEP_1)
	v_mul_i32_i24_e32 v132, v132, v127
	v_add3_u32 v128, v130, v128, v132
	v_and_b32_e32 v130, 3, v109
	v_and_b32_e32 v132, 3, v111
	s_delay_alu instid0(VALU_DEP_2) | instskip(NEXT) | instid1(VALU_DEP_2)
	v_mul_i32_i24_e32 v130, v99, v130
	v_mul_i32_i24_e32 v132, v132, v103
	s_delay_alu instid0(VALU_DEP_1) | instskip(SKIP_2) | instid1(VALU_DEP_2)
	v_add3_u32 v110, v110, v132, v130
	v_and_b32_e32 v130, 3, v114
	v_bfe_u32 v132, v114, 8, 2
	v_mul_i32_i24_e32 v130, v130, v95
	s_delay_alu instid0(VALU_DEP_2) | instskip(NEXT) | instid1(VALU_DEP_1)
	v_mul_i32_i24_e32 v132, v132, v127
	v_add3_u32 v113, v113, v130, v132
	v_and_b32_e32 v130, 3, v117
	v_and_b32_e32 v132, 3, v119
	s_delay_alu instid0(VALU_DEP_2) | instskip(SKIP_2) | instid1(VALU_DEP_4)
	v_mul_i32_i24_e32 v130, v99, v130
	v_add_nc_u32_e32 v99, v101, v99
	v_add_nc_u32_e32 v101, 0x4200, v54
	v_mul_i32_i24_e32 v132, v132, v103
	s_delay_alu instid0(VALU_DEP_3) | instskip(NEXT) | instid1(VALU_DEP_3)
	v_add3_u32 v99, v99, v103, v78
	v_add_nc_u32_e32 v101, s20, v101
	s_delay_alu instid0(VALU_DEP_3)
	v_add3_u32 v118, v118, v132, v130
	v_and_b32_e32 v130, 3, v105
	v_bfe_u32 v132, v105, 8, 2
	ds_load_u16 v101, v101
	v_mul_i32_i24_e32 v130, v130, v95
	v_mul_i32_i24_e32 v132, v132, v127
	v_add_nc_u32_e32 v95, v127, v123
	s_delay_alu instid0(VALU_DEP_2) | instskip(NEXT) | instid1(VALU_DEP_2)
	v_add3_u32 v104, v104, v130, v132
	v_add3_u32 v95, v95, v86, v79
	s_wait_dscnt 0x0
	v_bfe_u32 v103, v101, 4, 4
	s_delay_alu instid0(VALU_DEP_1) | instskip(NEXT) | instid1(VALU_DEP_1)
	v_mul_lo_u32 v103, 0x1010101, v103
	v_bfe_i32 v130, v103, 0, 8
	v_bfe_i32 v132, v103, 8, 8
	s_delay_alu instid0(VALU_DEP_2) | instskip(NEXT) | instid1(VALU_DEP_1)
	v_mul_i32_i24_e32 v130, v99, v130
	v_mad_i32_i24 v130, v97, v132, v130
	v_lshrrev_b32_e32 v132, 24, v103
	v_bfe_i32 v103, v103, 16, 8
	s_delay_alu instid0(VALU_DEP_2) | instskip(NEXT) | instid1(VALU_DEP_2)
	v_mul_i32_i24_e32 v132, v96, v132
	v_mul_i32_i24_e32 v103, v98, v103
	s_delay_alu instid0(VALU_DEP_1) | instskip(SKIP_1) | instid1(VALU_DEP_1)
	v_add3_u32 v103, v130, v103, v132
	v_bfe_u32 v130, v129, 4, 4
	v_mul_lo_u32 v130, 0x1010101, v130
	s_delay_alu instid0(VALU_DEP_1) | instskip(SKIP_1) | instid1(VALU_DEP_2)
	v_bfe_i32 v132, v130, 0, 8
	v_bfe_i32 v133, v130, 8, 8
	v_mul_i32_i24_e32 v132, v99, v132
	s_delay_alu instid0(VALU_DEP_1) | instskip(SKIP_2) | instid1(VALU_DEP_2)
	v_mad_i32_i24 v132, v97, v133, v132
	v_lshrrev_b32_e32 v133, 24, v130
	v_bfe_i32 v130, v130, 16, 8
	v_mul_i32_i24_e32 v133, v96, v133
	s_delay_alu instid0(VALU_DEP_2) | instskip(NEXT) | instid1(VALU_DEP_1)
	v_mul_i32_i24_e32 v130, v98, v130
	v_add3_u32 v130, v132, v130, v133
	v_add_nc_u32_e32 v132, s20, v58
	s_lshr_b32 s20, s1, 2
	s_wait_alu 0xfffe
	s_and_b32 s20, s20, 0x3ffffffc
	ds_load_u16 v132, v132 offset:18944
	s_wait_alu 0xfffe
	s_addk_co_i32 s20, 0x5280
	s_wait_dscnt 0x0
	v_bfe_u32 v133, v132, 4, 4
	s_delay_alu instid0(VALU_DEP_1) | instskip(NEXT) | instid1(VALU_DEP_1)
	v_mul_lo_u32 v133, 0x1010101, v133
	v_bfe_i32 v134, v133, 0, 8
	v_bfe_i32 v135, v133, 8, 8
	s_delay_alu instid0(VALU_DEP_2) | instskip(NEXT) | instid1(VALU_DEP_1)
	v_mul_i32_i24_e32 v134, v99, v134
	v_mad_i32_i24 v134, v97, v135, v134
	v_lshrrev_b32_e32 v135, 24, v133
	v_bfe_i32 v133, v133, 16, 8
	s_delay_alu instid0(VALU_DEP_2) | instskip(NEXT) | instid1(VALU_DEP_2)
	v_mul_i32_i24_e32 v135, v96, v135
	v_mul_i32_i24_e32 v133, v98, v133
	s_delay_alu instid0(VALU_DEP_1) | instskip(SKIP_1) | instid1(VALU_DEP_1)
	v_add3_u32 v133, v134, v133, v135
	v_bfe_u32 v134, v5, 8, 2
	v_mul_i32_i24_e32 v134, v134, v100
	s_delay_alu instid0(VALU_DEP_1) | instskip(SKIP_2) | instid1(VALU_DEP_2)
	v_add3_u32 v124, v125, v124, v134
	v_and_b32_e32 v125, 3, v3
	v_bfe_u32 v134, v3, 8, 2
	v_mul_i32_i24_e32 v125, v125, v87
	s_delay_alu instid0(VALU_DEP_2) | instskip(NEXT) | instid1(VALU_DEP_1)
	v_mul_i32_i24_e32 v134, v134, v86
	v_add3_u32 v125, v126, v125, v134
	v_bfe_u32 v126, v7, 8, 2
	v_bfe_u32 v134, v7, 16, 2
	;; [unrolled: 1-line block ×3, first 2 shown]
	s_delay_alu instid0(VALU_DEP_3) | instskip(NEXT) | instid1(VALU_DEP_3)
	v_mul_i32_i24_e32 v126, v93, v126
	v_mul_i32_i24_e32 v134, v92, v134
	s_delay_alu instid0(VALU_DEP_3) | instskip(NEXT) | instid1(VALU_DEP_2)
	v_mul_i32_i24_e32 v7, v85, v7
	v_add3_u32 v8, v8, v126, v134
	v_bfe_u32 v126, v106, 16, 2
	v_bfe_u32 v106, v106, 24, 2
	s_delay_alu instid0(VALU_DEP_2) | instskip(NEXT) | instid1(VALU_DEP_2)
	v_mul_i32_i24_e32 v126, v126, v89
	v_mul_i32_i24_e32 v106, v106, v91
	s_delay_alu instid0(VALU_DEP_1) | instskip(SKIP_2) | instid1(VALU_DEP_2)
	v_add3_u32 v106, v128, v126, v106
	v_bfe_u32 v126, v109, 8, 2
	v_bfe_u32 v128, v109, 16, 2
	v_mul_i32_i24_e32 v126, v93, v126
	s_delay_alu instid0(VALU_DEP_2) | instskip(NEXT) | instid1(VALU_DEP_1)
	v_mul_i32_i24_e32 v128, v92, v128
	v_add3_u32 v110, v110, v126, v128
	v_bfe_u32 v126, v114, 16, 2
	v_bfe_u32 v114, v114, 24, 2
	s_delay_alu instid0(VALU_DEP_2) | instskip(NEXT) | instid1(VALU_DEP_2)
	v_mul_i32_i24_e32 v126, v126, v89
	v_mul_i32_i24_e32 v114, v114, v91
	s_delay_alu instid0(VALU_DEP_1) | instskip(SKIP_1) | instid1(VALU_DEP_1)
	v_add3_u32 v113, v113, v126, v114
	v_bfe_u32 v114, v117, 8, 2
	v_mul_i32_i24_e32 v93, v93, v114
	v_bfe_u32 v114, v117, 16, 2
	s_delay_alu instid0(VALU_DEP_1) | instskip(NEXT) | instid1(VALU_DEP_1)
	v_mul_i32_i24_e32 v92, v92, v114
	v_add3_u32 v92, v118, v93, v92
	v_bfe_u32 v93, v105, 16, 2
	v_bfe_u32 v105, v105, 24, 2
	s_delay_alu instid0(VALU_DEP_2) | instskip(NEXT) | instid1(VALU_DEP_2)
	v_mul_i32_i24_e32 v93, v93, v89
	v_mul_i32_i24_e32 v105, v105, v91
	v_lshrrev_b16 v91, 8, v131
	s_delay_alu instid0(VALU_DEP_2) | instskip(SKIP_1) | instid1(VALU_DEP_3)
	v_add3_u32 v93, v104, v93, v105
	v_lshrrev_b16 v104, 8, v101
	v_and_b32_e32 v91, 0xffff, v91
	s_delay_alu instid0(VALU_DEP_2) | instskip(NEXT) | instid1(VALU_DEP_1)
	v_and_b32_e32 v104, 0xffff, v104
	v_lshrrev_b32_e32 v105, 4, v104
	s_delay_alu instid0(VALU_DEP_1) | instskip(NEXT) | instid1(VALU_DEP_1)
	v_mul_lo_u32 v105, 0x1010101, v105
	v_bfe_i32 v114, v105, 0, 8
	v_bfe_i32 v118, v105, 8, 8
	s_delay_alu instid0(VALU_DEP_2) | instskip(NEXT) | instid1(VALU_DEP_2)
	v_mul_i32_i24_e32 v114, v94, v114
	v_mul_i32_i24_e32 v118, v95, v118
	s_delay_alu instid0(VALU_DEP_1) | instskip(SKIP_1) | instid1(VALU_DEP_1)
	v_add3_u32 v103, v103, v114, v118
	v_lshrrev_b16 v114, 8, v129
	v_and_b32_e32 v114, 0xffff, v114
	s_delay_alu instid0(VALU_DEP_1) | instskip(NEXT) | instid1(VALU_DEP_1)
	v_lshrrev_b32_e32 v118, 4, v114
	v_mul_lo_u32 v118, 0x1010101, v118
	s_delay_alu instid0(VALU_DEP_1) | instskip(SKIP_1) | instid1(VALU_DEP_2)
	v_bfe_i32 v123, v118, 0, 8
	v_bfe_i32 v126, v118, 8, 8
	v_mul_i32_i24_e32 v123, v94, v123
	s_delay_alu instid0(VALU_DEP_2) | instskip(NEXT) | instid1(VALU_DEP_1)
	v_mul_i32_i24_e32 v126, v95, v126
	v_add3_u32 v123, v130, v123, v126
	v_lshrrev_b16 v126, 8, v132
	s_delay_alu instid0(VALU_DEP_1) | instskip(NEXT) | instid1(VALU_DEP_1)
	v_and_b32_e32 v126, 0xffff, v126
	v_lshrrev_b32_e32 v127, 4, v126
	s_delay_alu instid0(VALU_DEP_1) | instskip(NEXT) | instid1(VALU_DEP_1)
	v_mul_lo_u32 v127, 0x1010101, v127
	v_bfe_i32 v128, v127, 0, 8
	v_bfe_i32 v130, v127, 8, 8
	s_delay_alu instid0(VALU_DEP_2) | instskip(NEXT) | instid1(VALU_DEP_2)
	v_mul_i32_i24_e32 v128, v94, v128
	v_mul_i32_i24_e32 v130, v95, v130
	s_delay_alu instid0(VALU_DEP_1) | instskip(SKIP_2) | instid1(VALU_DEP_2)
	v_add3_u32 v128, v133, v128, v130
	v_lshrrev_b32_e32 v133, 4, v91
	v_bfe_u32 v130, v131, 4, 4
	v_mul_lo_u32 v133, 0x1010101, v133
	s_delay_alu instid0(VALU_DEP_2) | instskip(NEXT) | instid1(VALU_DEP_2)
	v_mul_lo_u32 v130, 0x1010101, v130
	v_lshrrev_b32_e32 v134, 24, v133
	s_delay_alu instid0(VALU_DEP_2) | instskip(SKIP_1) | instid1(VALU_DEP_3)
	v_lshrrev_b32_e32 v135, 24, v130
	v_bfe_i32 v89, v133, 16, 8
	v_mul_i32_i24_e32 v134, v90, v134
	s_delay_alu instid0(VALU_DEP_2) | instskip(NEXT) | instid1(VALU_DEP_2)
	v_mul_i32_i24_e32 v89, v88, v89
	v_mad_i32_i24 v96, v96, v135, v134
	v_bfe_i32 v134, v130, 16, 8
	s_delay_alu instid0(VALU_DEP_1) | instskip(SKIP_1) | instid1(VALU_DEP_1)
	v_mad_i32_i24 v89, v98, v134, v89
	v_bfe_i32 v98, v133, 0, 8
	v_mul_i32_i24_e32 v94, v94, v98
	v_bfe_i32 v98, v130, 0, 8
	s_delay_alu instid0(VALU_DEP_1) | instskip(SKIP_2) | instid1(VALU_DEP_2)
	v_mad_i32_i24 v94, v99, v98, v94
	v_bfe_u32 v98, v5, 16, 2
	v_bfe_u32 v5, v5, 24, 2
	v_mul_i32_i24_e32 v98, v98, v82
	s_delay_alu instid0(VALU_DEP_2) | instskip(NEXT) | instid1(VALU_DEP_1)
	v_mul_i32_i24_e32 v5, v5, v81
	v_add3_u32 v5, v124, v98, v5
	v_bfe_u32 v98, v3, 16, 2
	v_bfe_u32 v3, v3, 24, 2
	s_delay_alu instid0(VALU_DEP_2) | instskip(NEXT) | instid1(VALU_DEP_2)
	v_mul_i32_i24_e32 v98, v98, v84
	v_mul_i32_i24_e32 v3, v3, v83
	s_delay_alu instid0(VALU_DEP_1) | instskip(SKIP_1) | instid1(VALU_DEP_1)
	v_add3_u32 v3, v125, v98, v3
	v_bfe_u32 v98, v9, 8, 2
	v_mul_i32_i24_e32 v98, v98, v100
	s_delay_alu instid0(VALU_DEP_1) | instskip(SKIP_1) | instid1(VALU_DEP_1)
	v_add3_u32 v7, v8, v7, v98
	v_ashrrev_i32_e32 v8, s1, v107
	v_and_b32_e32 v98, 3, v8
	v_bfe_u32 v99, v8, 8, 2
	s_delay_alu instid0(VALU_DEP_2) | instskip(NEXT) | instid1(VALU_DEP_2)
	v_mul_i32_i24_e32 v98, v98, v87
	v_mul_i32_i24_e32 v99, v99, v86
	s_delay_alu instid0(VALU_DEP_1) | instskip(SKIP_2) | instid1(VALU_DEP_2)
	v_add3_u32 v98, v106, v98, v99
	v_bfe_u32 v99, v109, 24, 2
	v_bfe_u32 v106, v111, 8, 2
	v_mul_i32_i24_e32 v99, v85, v99
	s_delay_alu instid0(VALU_DEP_2) | instskip(NEXT) | instid1(VALU_DEP_1)
	v_mul_i32_i24_e32 v106, v106, v100
	v_add3_u32 v99, v110, v99, v106
	v_ashrrev_i32_e32 v106, s1, v115
	s_delay_alu instid0(VALU_DEP_1) | instskip(SKIP_1) | instid1(VALU_DEP_2)
	v_and_b32_e32 v107, 3, v106
	v_bfe_u32 v109, v106, 8, 2
	v_mul_i32_i24_e32 v107, v107, v87
	s_delay_alu instid0(VALU_DEP_2) | instskip(NEXT) | instid1(VALU_DEP_1)
	v_mul_i32_i24_e32 v109, v109, v86
	v_add3_u32 v107, v113, v107, v109
	v_bfe_u32 v109, v117, 24, 2
	s_delay_alu instid0(VALU_DEP_1) | instskip(SKIP_1) | instid1(VALU_DEP_1)
	v_mul_i32_i24_e32 v85, v85, v109
	v_bfe_u32 v109, v119, 8, 2
	v_mul_i32_i24_e32 v100, v109, v100
	s_delay_alu instid0(VALU_DEP_1) | instskip(SKIP_1) | instid1(VALU_DEP_1)
	v_add3_u32 v85, v92, v85, v100
	v_ashrrev_i32_e32 v92, s1, v121
	v_and_b32_e32 v100, 3, v92
	s_delay_alu instid0(VALU_DEP_1) | instskip(SKIP_1) | instid1(VALU_DEP_1)
	v_mul_i32_i24_e32 v87, v100, v87
	v_bfe_u32 v100, v92, 8, 2
	v_mul_i32_i24_e32 v86, v100, v86
	v_lshrrev_b32_e32 v100, 24, v118
	s_delay_alu instid0(VALU_DEP_2) | instskip(SKIP_2) | instid1(VALU_DEP_4)
	v_add3_u32 v86, v93, v87, v86
	v_bfe_i32 v87, v105, 16, 8
	v_lshrrev_b32_e32 v93, 24, v105
	v_mul_i32_i24_e32 v100, v90, v100
	s_delay_alu instid0(VALU_DEP_3) | instskip(NEXT) | instid1(VALU_DEP_3)
	v_mul_i32_i24_e32 v87, v88, v87
	v_mul_i32_i24_e32 v93, v90, v93
	s_delay_alu instid0(VALU_DEP_1) | instskip(SKIP_1) | instid1(VALU_DEP_1)
	v_add3_u32 v87, v103, v87, v93
	v_bfe_i32 v93, v118, 16, 8
	v_mul_i32_i24_e32 v93, v88, v93
	s_delay_alu instid0(VALU_DEP_1) | instskip(SKIP_1) | instid1(VALU_DEP_1)
	v_add3_u32 v93, v123, v93, v100
	v_bfe_i32 v100, v127, 16, 8
	v_mul_i32_i24_e32 v88, v88, v100
	v_lshrrev_b32_e32 v100, 24, v127
	s_delay_alu instid0(VALU_DEP_1) | instskip(NEXT) | instid1(VALU_DEP_1)
	v_mul_i32_i24_e32 v90, v90, v100
	v_add3_u32 v88, v128, v88, v90
	v_lshrrev_b16 v90, 8, v130
	s_delay_alu instid0(VALU_DEP_1) | instskip(NEXT) | instid1(VALU_DEP_1)
	v_bfe_i32 v90, v90, 0, 8
	v_mul_i32_i24_e32 v90, v97, v90
	v_bfe_i32 v97, v133, 8, 8
	s_delay_alu instid0(VALU_DEP_1) | instskip(NEXT) | instid1(VALU_DEP_1)
	v_mul_i32_i24_e32 v95, v95, v97
	v_add3_u32 v90, v90, v95, v96
	v_and_b32_e32 v95, 3, v6
	v_bfe_u32 v96, v6, 8, 2
	s_delay_alu instid0(VALU_DEP_2) | instskip(NEXT) | instid1(VALU_DEP_2)
	v_mul_i32_i24_e32 v95, v95, v78
	v_mul_i32_i24_e32 v96, v96, v102
	s_delay_alu instid0(VALU_DEP_1) | instskip(SKIP_2) | instid1(VALU_DEP_2)
	v_add3_u32 v5, v5, v95, v96
	v_and_b32_e32 v95, 3, v4
	v_bfe_u32 v96, v4, 8, 2
	v_mul_i32_i24_e32 v95, v95, v80
	s_delay_alu instid0(VALU_DEP_2) | instskip(NEXT) | instid1(VALU_DEP_1)
	v_mul_i32_i24_e32 v96, v96, v79
	v_add3_u32 v3, v3, v95, v96
	v_bfe_u32 v95, v9, 16, 2
	v_bfe_u32 v9, v9, 24, 2
	;; [unrolled: 1-line block ×3, first 2 shown]
	s_delay_alu instid0(VALU_DEP_3) | instskip(NEXT) | instid1(VALU_DEP_3)
	v_mul_i32_i24_e32 v95, v95, v82
	v_mul_i32_i24_e32 v9, v9, v81
	s_delay_alu instid0(VALU_DEP_3) | instskip(NEXT) | instid1(VALU_DEP_2)
	v_mul_i32_i24_e32 v96, v96, v83
	v_add3_u32 v7, v7, v95, v9
	v_bfe_u32 v9, v8, 16, 2
	v_bfe_u32 v8, v8, 24, 2
	;; [unrolled: 1-line block ×3, first 2 shown]
	s_delay_alu instid0(VALU_DEP_3) | instskip(NEXT) | instid1(VALU_DEP_3)
	v_mul_i32_i24_e32 v9, v9, v84
	v_mul_i32_i24_e32 v8, v8, v83
	s_delay_alu instid0(VALU_DEP_3) | instskip(NEXT) | instid1(VALU_DEP_2)
	v_mul_i32_i24_e32 v95, v95, v81
	v_add3_u32 v8, v98, v9, v8
	v_bfe_u32 v9, v111, 16, 2
	s_delay_alu instid0(VALU_DEP_1) | instskip(NEXT) | instid1(VALU_DEP_1)
	v_mul_i32_i24_e32 v9, v9, v82
	v_add3_u32 v9, v99, v9, v95
	v_bfe_u32 v95, v106, 16, 2
	s_delay_alu instid0(VALU_DEP_1) | instskip(NEXT) | instid1(VALU_DEP_1)
	v_mul_i32_i24_e32 v95, v95, v84
	v_add3_u32 v95, v107, v95, v96
	v_bfe_u32 v96, v119, 16, 2
	s_delay_alu instid0(VALU_DEP_1) | instskip(SKIP_1) | instid1(VALU_DEP_1)
	v_mul_i32_i24_e32 v82, v96, v82
	v_bfe_u32 v96, v119, 24, 2
	v_mul_i32_i24_e32 v81, v96, v81
	s_delay_alu instid0(VALU_DEP_1) | instskip(SKIP_1) | instid1(VALU_DEP_1)
	v_add3_u32 v81, v85, v82, v81
	v_bfe_u32 v82, v92, 16, 2
	v_mul_i32_i24_e32 v82, v82, v84
	v_bfe_u32 v84, v92, 24, 2
	s_delay_alu instid0(VALU_DEP_1) | instskip(SKIP_2) | instid1(VALU_DEP_3)
	v_mul_i32_i24_e32 v83, v84, v83
	v_bfe_u32 v84, v6, 16, 2
	v_bfe_u32 v6, v6, 24, 2
	v_add3_u32 v82, v86, v82, v83
	s_delay_alu instid0(VALU_DEP_3) | instskip(NEXT) | instid1(VALU_DEP_3)
	v_mul_i32_i24_e32 v84, v84, v75
	v_mul_i32_i24_e32 v6, v6, v74
	v_add3_u32 v83, v94, v89, v90
	s_delay_alu instid0(VALU_DEP_2) | instskip(SKIP_2) | instid1(VALU_DEP_4)
	v_add3_u32 v5, v5, v84, v6
	v_bfe_u32 v6, v4, 16, 2
	v_bfe_u32 v4, v4, 24, 2
	v_cvt_f32_i32_e32 v83, v83
	s_delay_alu instid0(VALU_DEP_3) | instskip(NEXT) | instid1(VALU_DEP_3)
	v_mul_i32_i24_e32 v6, v6, v77
	v_mul_i32_i24_e32 v4, v4, v76
	s_delay_alu instid0(VALU_DEP_1) | instskip(SKIP_1) | instid1(VALU_DEP_1)
	v_add3_u32 v4, v3, v6, v4
	v_ashrrev_i32_e32 v3, s1, v10
	v_and_b32_e32 v6, 3, v3
	v_bfe_u32 v10, v3, 8, 2
	s_delay_alu instid0(VALU_DEP_2) | instskip(NEXT) | instid1(VALU_DEP_2)
	v_mul_i32_i24_e32 v6, v6, v78
	v_mul_i32_i24_e32 v10, v10, v102
	s_delay_alu instid0(VALU_DEP_1) | instskip(SKIP_1) | instid1(VALU_DEP_1)
	v_add3_u32 v6, v7, v6, v10
	v_ashrrev_i32_e32 v7, s1, v108
	v_and_b32_e32 v10, 3, v7
	v_bfe_u32 v84, v7, 8, 2
	s_delay_alu instid0(VALU_DEP_2) | instskip(NEXT) | instid1(VALU_DEP_2)
	;; [unrolled: 8-line block ×4, first 2 shown]
	v_mul_i32_i24_e32 v85, v85, v80
	v_mul_i32_i24_e32 v86, v86, v79
	s_delay_alu instid0(VALU_DEP_1) | instskip(SKIP_1) | instid1(VALU_DEP_1)
	v_add3_u32 v85, v95, v85, v86
	v_ashrrev_i32_e32 v86, s1, v120
	v_and_b32_e32 v89, 3, v86
	s_delay_alu instid0(VALU_DEP_1) | instskip(SKIP_1) | instid1(VALU_DEP_1)
	v_mul_i32_i24_e32 v78, v89, v78
	v_bfe_u32 v89, v86, 8, 2
	v_mul_i32_i24_e32 v89, v89, v102
	s_delay_alu instid0(VALU_DEP_1) | instskip(SKIP_1) | instid1(VALU_DEP_1)
	v_add3_u32 v78, v81, v78, v89
	v_ashrrev_i32_e32 v81, s1, v122
	v_and_b32_e32 v89, 3, v81
	s_delay_alu instid0(VALU_DEP_1) | instskip(SKIP_1) | instid1(VALU_DEP_1)
	v_mul_i32_i24_e32 v80, v89, v80
	v_bfe_u32 v89, v81, 8, 2
	v_mul_i32_i24_e32 v79, v89, v79
	s_delay_alu instid0(VALU_DEP_1) | instskip(SKIP_3) | instid1(VALU_DEP_3)
	v_add3_u32 v79, v82, v80, v79
	v_bfe_u32 v80, v3, 16, 2
	v_bfe_u32 v3, v3, 24, 2
	v_and_b32_e32 v82, 15, v131
	v_mul_i32_i24_e32 v80, v80, v75
	s_delay_alu instid0(VALU_DEP_3) | instskip(NEXT) | instid1(VALU_DEP_1)
	v_mul_i32_i24_e32 v3, v3, v74
	v_add3_u32 v6, v6, v80, v3
	v_bfe_u32 v3, v7, 16, 2
	v_bfe_u32 v7, v7, 24, 2
	s_delay_alu instid0(VALU_DEP_2) | instskip(NEXT) | instid1(VALU_DEP_2)
	v_mul_i32_i24_e32 v3, v3, v77
	v_mul_i32_i24_e32 v7, v7, v76
	s_delay_alu instid0(VALU_DEP_1) | instskip(SKIP_3) | instid1(VALU_DEP_3)
	v_add3_u32 v7, v8, v3, v7
	v_bfe_u32 v3, v10, 16, 2
	v_bfe_u32 v8, v10, 24, 2
	;; [unrolled: 1-line block ×3, first 2 shown]
	v_mul_i32_i24_e32 v3, v3, v75
	s_delay_alu instid0(VALU_DEP_3) | instskip(NEXT) | instid1(VALU_DEP_3)
	v_mul_i32_i24_e32 v8, v8, v74
	v_mul_i32_i24_e32 v10, v10, v74
	s_wait_alu 0xfffe
	v_add3_u32 v74, s20, v67, v68
	s_delay_alu instid0(VALU_DEP_3) | instskip(SKIP_3) | instid1(VALU_DEP_3)
	v_add3_u32 v8, v9, v3, v8
	v_bfe_u32 v3, v84, 16, 2
	v_bfe_u32 v9, v84, 24, 2
	v_cvt_f32_i32_e32 v84, v88
	v_mul_i32_i24_e32 v3, v3, v77
	s_delay_alu instid0(VALU_DEP_3) | instskip(NEXT) | instid1(VALU_DEP_1)
	v_mul_i32_i24_e32 v9, v9, v76
	v_add3_u32 v9, v85, v3, v9
	v_bfe_u32 v3, v86, 16, 2
	s_delay_alu instid0(VALU_DEP_1) | instskip(SKIP_1) | instid1(VALU_DEP_2)
	v_mul_i32_i24_e32 v3, v3, v75
	v_bfe_u32 v75, v81, 24, 2
	v_add3_u32 v10, v78, v3, v10
	v_bfe_u32 v3, v81, 16, 2
	s_delay_alu instid0(VALU_DEP_3)
	v_mul_i32_i24_e32 v75, v75, v76
	v_add3_u32 v78, s20, v69, v70
	v_add3_u32 v76, s20, v63, v64
	ds_load_b32 v74, v74
	ds_load_b32 v76, v76
	v_mul_i32_i24_e32 v3, v3, v77
	ds_load_b32 v77, v72
	v_add_nc_u32_e32 v72, 4, v72
	v_add3_u32 v75, v79, v3, v75
	v_and_b32_e32 v3, 15, v101
	v_and_b32_e32 v79, 15, v104
	s_delay_alu instid0(VALU_DEP_2) | instskip(SKIP_3) | instid1(VALU_DEP_3)
	v_mul_lo_u32 v3, v5, v3
	v_and_b32_e32 v5, 15, v114
	s_wait_dscnt 0x2
	v_lshrrev_b32_e32 v81, 16, v74
	v_mad_co_u64_u32 v[3:4], null, v4, v79, v[3:4]
	v_add3_u32 v4, s20, v65, v66
	ds_load_b32 v78, v78
	ds_load_b32 v79, v4
	v_and_b32_e32 v4, 15, v129
	s_wait_dscnt 0x3
	v_lshrrev_b32_e32 v80, 16, v76
	v_cvt_f32_f16_e32 v81, v81
	v_cvt_f32_i32_e32 v3, v3
	s_add_co_i32 s20, s1, 2
	v_mul_lo_u32 v4, v6, v4
	v_and_b32_e32 v6, 15, v126
	s_cmp_lt_u32 s1, 6
	s_wait_alu 0xfffe
	s_mov_b32 s1, s20
	s_delay_alu instid0(VALU_DEP_2) | instskip(SKIP_3) | instid1(VALU_DEP_2)
	v_mad_co_u64_u32 v[4:5], null, v7, v5, v[4:5]
	v_and_b32_e32 v5, 15, v132
	s_wait_dscnt 0x0
	v_lshrrev_b32_e32 v7, 16, v79
	v_mul_lo_u32 v5, v8, v5
	v_lshrrev_b32_e32 v8, 16, v78
	v_cvt_f32_i32_e32 v4, v4
	s_delay_alu instid0(VALU_DEP_2) | instskip(NEXT) | instid1(VALU_DEP_4)
	v_cvt_f32_f16_e32 v8, v8
	v_mad_co_u64_u32 v[5:6], null, v9, v6, v[5:6]
	v_mul_lo_u32 v6, v10, v82
	v_cvt_f32_f16_e32 v9, v80
	v_cvt_f32_f16_e32 v80, v7
	v_and_b32_e32 v7, 15, v91
	v_cvt_f32_i32_e32 v10, v87
	v_cvt_f32_i32_e32 v82, v93
	v_mul_f32_e32 v8, v8, v83
	v_cvt_f32_i32_e32 v5, v5
	v_mad_co_u64_u32 v[6:7], null, v75, v7, v[6:7]
	v_mul_f32_e32 v7, v9, v10
	v_dual_mul_f32 v9, v80, v82 :: v_dual_mul_f32 v10, v81, v84
	s_delay_alu instid0(VALU_DEP_2) | instskip(NEXT) | instid1(VALU_DEP_4)
	v_fma_mix_f32 v3, v76, v3, -v7 op_sel_hi:[1,0,0]
	v_cvt_f32_i32_e32 v6, v6
	s_delay_alu instid0(VALU_DEP_3) | instskip(NEXT) | instid1(VALU_DEP_4)
	v_fma_mix_f32 v4, v79, v4, -v9 op_sel_hi:[1,0,0]
	v_fma_mix_f32 v5, v74, v5, -v10 op_sel_hi:[1,0,0]
	s_delay_alu instid0(VALU_DEP_4) | instskip(NEXT) | instid1(VALU_DEP_4)
	v_fmac_f32_e32 v13, v77, v3
	v_fma_mix_f32 v6, v78, v6, -v8 op_sel_hi:[1,0,0]
	s_delay_alu instid0(VALU_DEP_4) | instskip(NEXT) | instid1(VALU_DEP_4)
	v_fmac_f32_e32 v48, v77, v4
	v_fmac_f32_e32 v43, v77, v5
	s_delay_alu instid0(VALU_DEP_3)
	v_fmac_f32_e32 v2, v77, v6
	s_cbranch_scc1 .LBB207_11
; %bb.12:                               ;   in Loop: Header=BB207_5 Depth=1
	s_or_b32 s1, s16, 0x80
	s_wait_loadcnt 0x0
	s_wait_alu 0xfffe
	s_cmp_ge_i32 s1, s11
	s_barrier_signal -1
	s_barrier_wait -1
	global_inv scope:SCOPE_SE
	s_cbranch_scc1 .LBB207_4
; %bb.13:                               ;   in Loop: Header=BB207_5 Depth=1
	v_add_nc_u32_e32 v3, s17, v49
	s_delay_alu instid0(VALU_DEP_1)
	v_cmp_gt_i32_e64 s1, s5, v3
	s_and_b32 s20, s0, s1
	s_wait_alu 0xfffe
	s_and_saveexec_b32 s1, s20
	s_cbranch_execz .LBB207_15
; %bb.14:                               ;   in Loop: Header=BB207_5 Depth=1
	v_add_nc_u32_e32 v3, v52, v3
	s_delay_alu instid0(VALU_DEP_1)
	v_mad_co_i64_i32 v[3:4], null, v3, 36, v[0:1]
	global_load_b32 v3, v[3:4], off offset:4
	s_wait_loadcnt 0x0
	ds_store_b32 v45, v3
.LBB207_15:                             ;   in Loop: Header=BB207_5 Depth=1
	s_wait_alu 0xfffe
	s_or_b32 exec_lo, exec_lo, s1
	s_and_saveexec_b32 s20, vcc_lo
	s_cbranch_execz .LBB207_18
; %bb.16:                               ;   in Loop: Header=BB207_5 Depth=1
	v_or_b32_e32 v3, 4, v71
	s_delay_alu instid0(VALU_DEP_1)
	v_cmp_gt_i32_e64 s1, s5, v3
	s_and_b32 s1, s0, s1
	s_wait_alu 0xfffe
	s_and_b32 exec_lo, exec_lo, s1
	s_cbranch_execz .LBB207_18
; %bb.17:                               ;   in Loop: Header=BB207_5 Depth=1
	v_ashrrev_i32_e32 v3, 31, v71
	v_add_co_u32 v4, s1, v52, v71
	s_wait_alu 0xf1ff
	s_delay_alu instid0(VALU_DEP_2) | instskip(NEXT) | instid1(VALU_DEP_2)
	v_add_co_ci_u32_e64 v5, null, v55, v3, s1
	v_mad_co_u64_u32 v[3:4], null, v4, 36, s[2:3]
	s_delay_alu instid0(VALU_DEP_1)
	v_mad_i32_i24 v4, v5, 36, v4
	global_load_b32 v3, v[3:4], off offset:144
	s_wait_loadcnt 0x0
	v_cvt_f32_f16_e32 v3, v3
	ds_store_b32 v47, v3
.LBB207_18:                             ;   in Loop: Header=BB207_5 Depth=1
	s_wait_alu 0xfffe
	s_or_b32 exec_lo, exec_lo, s20
	v_dual_mov_b32 v7, v44 :: v_dual_mov_b32 v8, v46
	s_mov_b32 s1, 8
	s_wait_loadcnt_dscnt 0x0
	s_barrier_signal -1
	s_barrier_wait -1
	global_inv scope:SCOPE_SE
.LBB207_19:                             ;   Parent Loop BB207_5 Depth=1
                                        ; =>  This Inner Loop Header: Depth=2
	ds_load_b128 v[3:6], v7
	ds_load_b128 v[102:105], v7 offset:16
	s_wait_alu 0xfffe
	s_and_b32 s21, s1, 0x3ffffff8
	s_add_co_i32 s20, s1, -8
	s_wait_alu 0xfffe
	v_lshl_add_u32 v84, s21, 2, v53
	s_and_b32 s21, s1, -16
	s_wait_alu 0xfffe
	s_add_co_i32 s21, s1, s21
	s_delay_alu instid0(VALU_DEP_1)
	v_add_nc_u32_e32 v109, 0x1098, v84
	v_add_nc_u32_e32 v113, 0x2108, v84
	;; [unrolled: 1-line block ×3, first 2 shown]
	s_wait_dscnt 0x1
	v_ashrrev_i32_e32 v81, 24, v3
	v_bfe_i32 v95, v4, 8, 8
	v_bfe_i32 v96, v3, 0, 8
	;; [unrolled: 1-line block ×3, first 2 shown]
	v_ashrrev_i32_e32 v93, 24, v4
	v_bfe_i32 v90, v3, 8, 8
	v_bfe_i32 v98, v4, 0, 8
	v_bfe_i32 v94, v4, 16, 8
	v_lshrrev_b16 v97, 8, v5
	v_ashrrev_i32_e32 v77, 24, v5
	v_bfe_i32 v78, v5, 16, 8
	v_bfe_i32 v100, v5, 0, 8
	v_lshrrev_b16 v99, 8, v6
	v_ashrrev_i32_e32 v9, 24, v6
	v_bfe_i32 v10, v6, 16, 8
	v_bfe_i32 v74, v6, 0, 8
	s_wait_dscnt 0x0
	v_ashrrev_i32_e32 v79, 24, v104
	v_bfe_i32 v80, v104, 16, 8
	v_bfe_i32 v83, v104, 0, 8
	;; [unrolled: 1-line block ×3, first 2 shown]
	v_ashrrev_i32_e32 v72, 24, v105
	v_bfe_i32 v73, v105, 16, 8
	v_bfe_i32 v76, v105, 0, 8
	;; [unrolled: 1-line block ×3, first 2 shown]
	ds_load_2addr_b32 v[5:6], v84 offset1:1
	ds_load_2addr_b32 v[3:4], v84 offset0:2 offset1:3
	ds_load_2addr_b32 v[104:105], v84 offset0:4 offset1:5
	v_lshrrev_b16 v101, 8, v102
	v_ashrrev_i32_e32 v87, 24, v102
	v_bfe_i32 v91, v102, 0, 8
	v_bfe_i32 v85, v102, 16, 8
	v_lshrrev_b16 v102, 8, v103
	v_ashrrev_i32_e32 v88, 24, v103
	v_bfe_i32 v92, v103, 0, 8
	v_bfe_i32 v86, v103, 16, 8
	v_bfe_i32 v97, v97, 0, 8
	v_bfe_i32 v99, v99, 0, 8
	s_wait_dscnt 0x2
	v_ashrrev_i32_e32 v6, s20, v6
	s_wait_dscnt 0x1
	v_ashrrev_i32_e32 v3, s20, v3
	v_ashrrev_i32_e32 v4, s20, v4
	s_delay_alu instid0(VALU_DEP_3) | instskip(SKIP_1) | instid1(VALU_DEP_2)
	v_and_b32_e32 v103, 3, v6
	v_bfe_u32 v106, v6, 8, 2
	v_mul_i32_i24_e32 v103, v103, v98
	s_delay_alu instid0(VALU_DEP_1) | instskip(SKIP_2) | instid1(VALU_DEP_2)
	v_mad_i32_i24 v103, v106, v95, v103
	v_bfe_u32 v106, v6, 16, 2
	v_bfe_u32 v6, v6, 24, 2
	v_mul_i32_i24_e32 v106, v106, v94
	s_delay_alu instid0(VALU_DEP_2) | instskip(NEXT) | instid1(VALU_DEP_1)
	v_mul_i32_i24_e32 v6, v6, v93
	v_add3_u32 v103, v103, v106, v6
	v_bfe_i32 v6, v101, 0, 8
	s_wait_dscnt 0x0
	v_ashrrev_i32_e32 v101, s20, v104
	s_delay_alu instid0(VALU_DEP_1) | instskip(SKIP_1) | instid1(VALU_DEP_2)
	v_and_b32_e32 v104, 3, v101
	v_bfe_u32 v106, v101, 8, 2
	v_mul_i32_i24_e32 v104, v104, v91
	s_delay_alu instid0(VALU_DEP_1) | instskip(SKIP_2) | instid1(VALU_DEP_2)
	v_mad_i32_i24 v104, v106, v6, v104
	v_bfe_u32 v106, v101, 16, 2
	v_bfe_u32 v101, v101, 24, 2
	v_mul_i32_i24_e32 v106, v106, v85
	s_delay_alu instid0(VALU_DEP_2) | instskip(NEXT) | instid1(VALU_DEP_1)
	v_mul_i32_i24_e32 v101, v101, v87
	v_add3_u32 v106, v104, v106, v101
	v_ashrrev_i32_e32 v101, s20, v5
	v_and_b32_e32 v104, 3, v3
	s_delay_alu instid0(VALU_DEP_2) | instskip(NEXT) | instid1(VALU_DEP_2)
	v_and_b32_e32 v5, 3, v101
	v_mul_i32_i24_e32 v104, v104, v100
	s_delay_alu instid0(VALU_DEP_2) | instskip(NEXT) | instid1(VALU_DEP_1)
	v_mul_i32_i24_e32 v5, v96, v5
	v_add3_u32 v104, v103, v104, v5
	v_ashrrev_i32_e32 v103, s20, v105
	v_bfe_i32 v5, v102, 0, 8
	s_delay_alu instid0(VALU_DEP_2) | instskip(SKIP_1) | instid1(VALU_DEP_2)
	v_and_b32_e32 v102, 3, v103
	v_bfe_u32 v105, v103, 8, 2
	v_mul_i32_i24_e32 v102, v102, v92
	s_delay_alu instid0(VALU_DEP_2) | instskip(NEXT) | instid1(VALU_DEP_1)
	v_mul_i32_i24_e32 v105, v105, v5
	v_add3_u32 v102, v106, v102, v105
	v_add_nc_u32_e32 v105, 0x1080, v84
	ds_load_2addr_b32 v[106:107], v105 offset1:1
	s_wait_dscnt 0x0
	v_ashrrev_i32_e32 v105, s20, v107
	s_delay_alu instid0(VALU_DEP_1) | instskip(SKIP_1) | instid1(VALU_DEP_2)
	v_and_b32_e32 v107, 3, v105
	v_bfe_u32 v108, v105, 8, 2
	v_mul_i32_i24_e32 v107, v107, v98
	s_delay_alu instid0(VALU_DEP_1) | instskip(SKIP_2) | instid1(VALU_DEP_2)
	v_mad_i32_i24 v107, v108, v95, v107
	v_bfe_u32 v108, v105, 16, 2
	v_bfe_u32 v105, v105, 24, 2
	v_mul_i32_i24_e32 v108, v108, v94
	s_delay_alu instid0(VALU_DEP_2) | instskip(NEXT) | instid1(VALU_DEP_1)
	v_mul_i32_i24_e32 v105, v105, v93
	v_add3_u32 v122, v107, v108, v105
	s_wait_alu 0xfffe
	v_add_nc_u32_e32 v105, s21, v57
	v_add_nc_u32_e32 v107, 0x1090, v84
	ds_load_u16 v105, v105 offset:17920
	ds_load_2addr_b32 v[107:108], v107 offset1:1
	ds_load_2addr_b32 v[109:110], v109 offset1:1
	s_wait_dscnt 0x1
	v_ashrrev_i32_e32 v107, s20, v107
	v_ashrrev_i32_e32 v108, s20, v108
	s_delay_alu instid0(VALU_DEP_2) | instskip(SKIP_1) | instid1(VALU_DEP_2)
	v_and_b32_e32 v111, 3, v107
	v_bfe_u32 v112, v107, 8, 2
	v_mul_i32_i24_e32 v111, v111, v91
	s_delay_alu instid0(VALU_DEP_1) | instskip(SKIP_2) | instid1(VALU_DEP_2)
	v_mad_i32_i24 v111, v112, v6, v111
	v_bfe_u32 v112, v107, 16, 2
	v_bfe_u32 v107, v107, 24, 2
	v_mul_i32_i24_e32 v112, v112, v85
	s_delay_alu instid0(VALU_DEP_2) | instskip(NEXT) | instid1(VALU_DEP_1)
	v_mul_i32_i24_e32 v107, v107, v87
	v_add3_u32 v107, v111, v112, v107
	v_add_nc_u32_e32 v111, 0x2100, v84
	ds_load_2addr_b32 v[111:112], v111 offset1:1
	ds_load_2addr_b32 v[113:114], v113 offset1:1
	;; [unrolled: 1-line block ×3, first 2 shown]
	s_wait_dscnt 0x2
	v_ashrrev_i32_e32 v112, s20, v112
	v_ashrrev_i32_e32 v111, s20, v111
	s_wait_dscnt 0x0
	v_ashrrev_i32_e32 v115, s20, v115
	v_ashrrev_i32_e32 v113, s20, v113
	;; [unrolled: 1-line block ×3, first 2 shown]
	v_and_b32_e32 v117, 3, v112
	v_bfe_u32 v118, v112, 8, 2
	s_delay_alu instid0(VALU_DEP_2) | instskip(NEXT) | instid1(VALU_DEP_1)
	v_mul_i32_i24_e32 v117, v117, v98
	v_mad_i32_i24 v117, v118, v95, v117
	v_bfe_u32 v118, v112, 16, 2
	v_bfe_u32 v112, v112, 24, 2
	s_delay_alu instid0(VALU_DEP_2) | instskip(NEXT) | instid1(VALU_DEP_2)
	v_mul_i32_i24_e32 v118, v118, v94
	v_mul_i32_i24_e32 v112, v112, v93
	s_delay_alu instid0(VALU_DEP_1) | instskip(SKIP_2) | instid1(VALU_DEP_2)
	v_add3_u32 v112, v117, v118, v112
	v_and_b32_e32 v117, 3, v115
	v_bfe_u32 v118, v115, 8, 2
	v_mul_i32_i24_e32 v117, v117, v91
	s_delay_alu instid0(VALU_DEP_1) | instskip(SKIP_2) | instid1(VALU_DEP_2)
	v_mad_i32_i24 v117, v118, v6, v117
	v_bfe_u32 v118, v115, 16, 2
	v_bfe_u32 v115, v115, 24, 2
	v_mul_i32_i24_e32 v118, v118, v85
	s_delay_alu instid0(VALU_DEP_2) | instskip(NEXT) | instid1(VALU_DEP_1)
	v_mul_i32_i24_e32 v115, v115, v87
	v_add3_u32 v115, v117, v118, v115
	v_add_nc_u32_e32 v117, 0x3180, v84
	ds_load_2addr_b32 v[117:118], v117 offset1:1
	s_wait_dscnt 0x0
	v_ashrrev_i32_e32 v118, s20, v118
	v_ashrrev_i32_e32 v117, s20, v117
	s_delay_alu instid0(VALU_DEP_2) | instskip(SKIP_1) | instid1(VALU_DEP_2)
	v_and_b32_e32 v119, 3, v118
	v_bfe_u32 v120, v118, 8, 2
	v_mul_i32_i24_e32 v119, v119, v98
	s_delay_alu instid0(VALU_DEP_1) | instskip(SKIP_3) | instid1(VALU_DEP_3)
	v_mad_i32_i24 v119, v120, v95, v119
	v_bfe_u32 v120, v118, 16, 2
	v_bfe_u32 v118, v118, 24, 2
	v_add_nc_u32_e32 v95, v90, v95
	v_mul_i32_i24_e32 v120, v120, v94
	s_delay_alu instid0(VALU_DEP_3) | instskip(NEXT) | instid1(VALU_DEP_3)
	v_mul_i32_i24_e32 v118, v118, v93
	v_add3_u32 v95, v95, v97, v99
	v_add_nc_u32_e32 v93, v93, v81
	v_add_nc_u32_e32 v94, v94, v89
	s_delay_alu instid0(VALU_DEP_4) | instskip(SKIP_2) | instid1(VALU_DEP_4)
	v_add3_u32 v123, v119, v120, v118
	v_add_nc_u32_e32 v118, s21, v56
	v_add_nc_u32_e32 v120, 0x3198, v84
	v_add3_u32 v130, v94, v78, v10
	ds_load_u16 v124, v118 offset:19968
	v_add_nc_u32_e32 v118, 0x3190, v84
	ds_load_2addr_b32 v[118:119], v118 offset1:1
	ds_load_2addr_b32 v[120:121], v120 offset1:1
	s_wait_dscnt 0x1
	v_ashrrev_i32_e32 v118, s20, v118
	v_ashrrev_i32_e32 v119, s20, v119
	s_delay_alu instid0(VALU_DEP_2) | instskip(SKIP_1) | instid1(VALU_DEP_2)
	v_and_b32_e32 v125, 3, v118
	v_bfe_u32 v126, v118, 8, 2
	v_mul_i32_i24_e32 v125, v125, v91
	v_add_nc_u32_e32 v91, v92, v91
	s_delay_alu instid0(VALU_DEP_2) | instskip(SKIP_2) | instid1(VALU_DEP_2)
	v_mad_i32_i24 v125, v126, v6, v125
	v_bfe_u32 v126, v118, 16, 2
	v_bfe_u32 v118, v118, 24, 2
	v_mul_i32_i24_e32 v126, v126, v85
	s_delay_alu instid0(VALU_DEP_2) | instskip(NEXT) | instid1(VALU_DEP_1)
	v_mul_i32_i24_e32 v118, v118, v87
	v_add3_u32 v118, v125, v126, v118
	v_bfe_u32 v125, v101, 8, 2
	v_bfe_u32 v126, v101, 16, 2
	s_delay_alu instid0(VALU_DEP_2) | instskip(NEXT) | instid1(VALU_DEP_2)
	v_mul_i32_i24_e32 v125, v90, v125
	v_mul_i32_i24_e32 v126, v89, v126
	s_delay_alu instid0(VALU_DEP_1) | instskip(SKIP_3) | instid1(VALU_DEP_3)
	v_add3_u32 v104, v104, v125, v126
	v_bfe_u32 v125, v103, 16, 2
	v_bfe_u32 v103, v103, 24, 2
	v_ashrrev_i32_e32 v126, s20, v106
	v_mul_i32_i24_e32 v125, v125, v86
	s_delay_alu instid0(VALU_DEP_3) | instskip(NEXT) | instid1(VALU_DEP_1)
	v_mul_i32_i24_e32 v103, v103, v88
	v_add3_u32 v125, v102, v125, v103
	s_delay_alu instid0(VALU_DEP_4) | instskip(NEXT) | instid1(VALU_DEP_1)
	v_and_b32_e32 v102, 3, v126
	v_mul_i32_i24_e32 v106, v96, v102
	v_add_nc_u32_e32 v102, 0x1088, v84
	ds_load_2addr_b32 v[102:103], v102 offset1:1
	s_wait_dscnt 0x0
	v_ashrrev_i32_e32 v102, s20, v102
	s_delay_alu instid0(VALU_DEP_1) | instskip(NEXT) | instid1(VALU_DEP_1)
	v_and_b32_e32 v127, 3, v102
	v_mul_i32_i24_e32 v127, v127, v100
	s_delay_alu instid0(VALU_DEP_1) | instskip(SKIP_2) | instid1(VALU_DEP_2)
	v_add3_u32 v122, v122, v127, v106
	v_and_b32_e32 v106, 3, v108
	v_bfe_u32 v127, v108, 8, 2
	v_mul_i32_i24_e32 v106, v106, v92
	s_delay_alu instid0(VALU_DEP_2) | instskip(NEXT) | instid1(VALU_DEP_1)
	v_mul_i32_i24_e32 v127, v127, v5
	v_add3_u32 v127, v107, v106, v127
	v_and_b32_e32 v106, 3, v111
	v_and_b32_e32 v107, 3, v113
	s_delay_alu instid0(VALU_DEP_2) | instskip(NEXT) | instid1(VALU_DEP_2)
	v_mul_i32_i24_e32 v106, v96, v106
	v_mul_i32_i24_e32 v107, v107, v100
	s_delay_alu instid0(VALU_DEP_1) | instskip(SKIP_2) | instid1(VALU_DEP_2)
	v_add3_u32 v112, v112, v107, v106
	v_and_b32_e32 v106, 3, v116
	v_bfe_u32 v107, v116, 8, 2
	v_mul_i32_i24_e32 v106, v106, v92
	s_delay_alu instid0(VALU_DEP_2) | instskip(NEXT) | instid1(VALU_DEP_1)
	v_mul_i32_i24_e32 v107, v107, v5
	v_add3_u32 v115, v115, v106, v107
	v_and_b32_e32 v106, 3, v117
	s_delay_alu instid0(VALU_DEP_1)
	v_mul_i32_i24_e32 v128, v96, v106
	v_add_nc_u32_e32 v106, 0x3188, v84
	v_add_nc_u32_e32 v96, v98, v96
	;; [unrolled: 1-line block ×3, first 2 shown]
	ds_load_2addr_b32 v[106:107], v106 offset1:1
	v_add3_u32 v96, v96, v100, v74
	ds_load_u16 v98, v98 offset:16896
	s_wait_dscnt 0x1
	v_ashrrev_i32_e32 v106, s20, v106
	s_delay_alu instid0(VALU_DEP_1) | instskip(NEXT) | instid1(VALU_DEP_1)
	v_and_b32_e32 v129, 3, v106
	v_mul_i32_i24_e32 v129, v129, v100
	s_wait_dscnt 0x0
	v_bfe_u32 v100, v98, 4, 4
	s_delay_alu instid0(VALU_DEP_2) | instskip(SKIP_2) | instid1(VALU_DEP_4)
	v_add3_u32 v123, v123, v129, v128
	v_and_b32_e32 v128, 3, v119
	v_bfe_u32 v129, v119, 8, 2
	v_mul_lo_u32 v100, 0x1010101, v100
	s_delay_alu instid0(VALU_DEP_3) | instskip(NEXT) | instid1(VALU_DEP_3)
	v_mul_i32_i24_e32 v128, v128, v92
	v_mul_i32_i24_e32 v129, v129, v5
	v_add_nc_u32_e32 v5, v5, v6
	v_add3_u32 v6, v91, v83, v76
	v_bfe_i32 v94, v100, 16, 8
	s_delay_alu instid0(VALU_DEP_4)
	v_add3_u32 v118, v118, v128, v129
	v_bfe_i32 v128, v100, 0, 8
	v_bfe_i32 v129, v100, 8, 8
	v_add3_u32 v91, v5, v82, v75
	v_mul_i32_i24_e32 v94, v130, v94
	v_lshrrev_b16 v5, 8, v98
	v_mul_i32_i24_e32 v128, v96, v128
	s_delay_alu instid0(VALU_DEP_2) | instskip(NEXT) | instid1(VALU_DEP_2)
	v_and_b32_e32 v92, 0xffff, v5
	v_mad_i32_i24 v128, v95, v129, v128
	v_add3_u32 v129, v93, v77, v9
	v_lshrrev_b32_e32 v93, 24, v100
	s_delay_alu instid0(VALU_DEP_4) | instskip(NEXT) | instid1(VALU_DEP_2)
	v_lshrrev_b32_e32 v5, 4, v92
	v_mul_i32_i24_e32 v93, v129, v93
	s_delay_alu instid0(VALU_DEP_1) | instskip(SKIP_1) | instid1(VALU_DEP_1)
	v_add3_u32 v100, v128, v94, v93
	v_bfe_u32 v93, v105, 4, 4
	v_mul_lo_u32 v93, 0x1010101, v93
	s_delay_alu instid0(VALU_DEP_1) | instskip(SKIP_1) | instid1(VALU_DEP_2)
	v_bfe_i32 v94, v93, 0, 8
	v_bfe_i32 v128, v93, 8, 8
	v_mul_i32_i24_e32 v94, v96, v94
	s_delay_alu instid0(VALU_DEP_1) | instskip(SKIP_2) | instid1(VALU_DEP_2)
	v_mad_i32_i24 v94, v95, v128, v94
	v_lshrrev_b32_e32 v128, 24, v93
	v_bfe_i32 v93, v93, 16, 8
	v_mul_i32_i24_e32 v128, v129, v128
	s_delay_alu instid0(VALU_DEP_2) | instskip(NEXT) | instid1(VALU_DEP_1)
	v_mul_i32_i24_e32 v93, v130, v93
	v_add3_u32 v128, v94, v93, v128
	v_add_nc_u32_e32 v93, s21, v58
	ds_load_u16 v131, v93 offset:18944
	s_wait_dscnt 0x0
	v_bfe_u32 v93, v131, 4, 4
	s_delay_alu instid0(VALU_DEP_1) | instskip(NEXT) | instid1(VALU_DEP_1)
	v_mul_lo_u32 v93, 0x1010101, v93
	v_bfe_i32 v94, v93, 0, 8
	v_bfe_i32 v132, v93, 8, 8
	s_delay_alu instid0(VALU_DEP_2) | instskip(NEXT) | instid1(VALU_DEP_1)
	v_mul_i32_i24_e32 v94, v96, v94
	v_mad_i32_i24 v94, v95, v132, v94
	v_lshrrev_b32_e32 v132, 24, v93
	v_bfe_i32 v93, v93, 16, 8
	s_delay_alu instid0(VALU_DEP_2) | instskip(NEXT) | instid1(VALU_DEP_2)
	v_mul_i32_i24_e32 v132, v129, v132
	v_mul_i32_i24_e32 v93, v130, v93
	s_delay_alu instid0(VALU_DEP_1) | instskip(SKIP_2) | instid1(VALU_DEP_2)
	v_add3_u32 v132, v94, v93, v132
	v_bfe_u32 v93, v101, 24, 2
	v_bfe_u32 v94, v3, 8, 2
	v_mul_i32_i24_e32 v93, v81, v93
	s_delay_alu instid0(VALU_DEP_2) | instskip(NEXT) | instid1(VALU_DEP_1)
	v_mul_i32_i24_e32 v94, v94, v97
	v_add3_u32 v101, v104, v93, v94
	ds_load_2addr_b32 v[93:94], v84 offset0:6 offset1:7
	s_wait_dscnt 0x0
	v_ashrrev_i32_e32 v93, s20, v93
	s_delay_alu instid0(VALU_DEP_1) | instskip(SKIP_1) | instid1(VALU_DEP_2)
	v_and_b32_e32 v104, 3, v93
	v_bfe_u32 v133, v93, 8, 2
	v_mul_i32_i24_e32 v104, v104, v83
	s_delay_alu instid0(VALU_DEP_2) | instskip(NEXT) | instid1(VALU_DEP_1)
	v_mul_i32_i24_e32 v133, v133, v82
	v_add3_u32 v104, v125, v104, v133
	v_bfe_u32 v125, v126, 8, 2
	v_bfe_u32 v133, v126, 16, 2
	s_delay_alu instid0(VALU_DEP_2) | instskip(NEXT) | instid1(VALU_DEP_2)
	v_mul_i32_i24_e32 v125, v90, v125
	v_mul_i32_i24_e32 v133, v89, v133
	s_delay_alu instid0(VALU_DEP_1) | instskip(SKIP_2) | instid1(VALU_DEP_2)
	v_add3_u32 v122, v122, v125, v133
	v_bfe_u32 v125, v108, 16, 2
	v_bfe_u32 v108, v108, 24, 2
	v_mul_i32_i24_e32 v125, v125, v86
	s_delay_alu instid0(VALU_DEP_2) | instskip(NEXT) | instid1(VALU_DEP_1)
	v_mul_i32_i24_e32 v108, v108, v88
	v_add3_u32 v108, v127, v125, v108
	v_bfe_u32 v125, v111, 8, 2
	v_bfe_u32 v127, v111, 16, 2
	s_delay_alu instid0(VALU_DEP_2) | instskip(NEXT) | instid1(VALU_DEP_2)
	v_mul_i32_i24_e32 v125, v90, v125
	v_mul_i32_i24_e32 v127, v89, v127
	s_delay_alu instid0(VALU_DEP_1) | instskip(SKIP_2) | instid1(VALU_DEP_2)
	v_add3_u32 v112, v112, v125, v127
	v_bfe_u32 v125, v116, 16, 2
	v_bfe_u32 v116, v116, 24, 2
	v_mul_i32_i24_e32 v125, v125, v86
	s_delay_alu instid0(VALU_DEP_2) | instskip(NEXT) | instid1(VALU_DEP_1)
	v_mul_i32_i24_e32 v116, v116, v88
	v_add3_u32 v115, v115, v125, v116
	v_bfe_u32 v116, v117, 8, 2
	s_delay_alu instid0(VALU_DEP_1) | instskip(SKIP_1) | instid1(VALU_DEP_1)
	v_mul_i32_i24_e32 v90, v90, v116
	v_bfe_u32 v116, v117, 16, 2
	v_mul_i32_i24_e32 v89, v89, v116
	v_bfe_u32 v116, v119, 24, 2
	s_delay_alu instid0(VALU_DEP_2) | instskip(SKIP_1) | instid1(VALU_DEP_3)
	v_add3_u32 v89, v123, v90, v89
	v_bfe_u32 v90, v119, 16, 2
	v_mul_i32_i24_e32 v116, v116, v88
	s_delay_alu instid0(VALU_DEP_2) | instskip(NEXT) | instid1(VALU_DEP_1)
	v_mul_i32_i24_e32 v90, v90, v86
	v_add3_u32 v90, v118, v90, v116
	v_mul_lo_u32 v116, 0x1010101, v5
	s_delay_alu instid0(VALU_DEP_1) | instskip(SKIP_1) | instid1(VALU_DEP_2)
	v_bfe_i32 v5, v116, 0, 8
	v_bfe_i32 v118, v116, 8, 8
	v_mul_i32_i24_e32 v5, v6, v5
	s_delay_alu instid0(VALU_DEP_2) | instskip(NEXT) | instid1(VALU_DEP_1)
	v_mul_i32_i24_e32 v118, v91, v118
	v_add3_u32 v100, v100, v5, v118
	v_lshrrev_b16 v5, 8, v105
	s_delay_alu instid0(VALU_DEP_1) | instskip(NEXT) | instid1(VALU_DEP_1)
	v_and_b32_e32 v118, 0xffff, v5
	v_lshrrev_b32_e32 v5, 4, v118
	s_delay_alu instid0(VALU_DEP_1) | instskip(NEXT) | instid1(VALU_DEP_1)
	v_mul_lo_u32 v119, 0x1010101, v5
	v_bfe_i32 v5, v119, 0, 8
	v_bfe_i32 v123, v119, 8, 8
	s_delay_alu instid0(VALU_DEP_2) | instskip(NEXT) | instid1(VALU_DEP_2)
	v_mul_i32_i24_e32 v5, v6, v5
	v_mul_i32_i24_e32 v123, v91, v123
	s_delay_alu instid0(VALU_DEP_1) | instskip(SKIP_1) | instid1(VALU_DEP_1)
	v_add3_u32 v123, v128, v5, v123
	v_lshrrev_b16 v5, 8, v131
	v_and_b32_e32 v125, 0xffff, v5
	s_delay_alu instid0(VALU_DEP_1) | instskip(NEXT) | instid1(VALU_DEP_1)
	v_lshrrev_b32_e32 v5, 4, v125
	v_mul_lo_u32 v127, 0x1010101, v5
	s_delay_alu instid0(VALU_DEP_1) | instskip(SKIP_1) | instid1(VALU_DEP_2)
	v_bfe_i32 v5, v127, 0, 8
	v_bfe_i32 v128, v127, 8, 8
	v_mul_i32_i24_e32 v5, v6, v5
	s_delay_alu instid0(VALU_DEP_2) | instskip(NEXT) | instid1(VALU_DEP_1)
	v_mul_i32_i24_e32 v128, v91, v128
	v_add3_u32 v128, v132, v5, v128
	v_add_nc_u32_e32 v5, v88, v87
	s_delay_alu instid0(VALU_DEP_1) | instskip(SKIP_1) | instid1(VALU_DEP_1)
	v_add3_u32 v87, v5, v79, v72
	v_lshrrev_b16 v5, 8, v124
	v_and_b32_e32 v88, 0xffff, v5
	v_bfe_u32 v5, v124, 4, 4
	s_delay_alu instid0(VALU_DEP_1) | instskip(NEXT) | instid1(VALU_DEP_3)
	v_mul_lo_u32 v132, 0x1010101, v5
	v_lshrrev_b32_e32 v5, 4, v88
	s_delay_alu instid0(VALU_DEP_1) | instskip(NEXT) | instid1(VALU_DEP_3)
	v_mul_lo_u32 v133, 0x1010101, v5
	v_lshrrev_b32_e32 v134, 24, v132
	s_delay_alu instid0(VALU_DEP_2) | instskip(NEXT) | instid1(VALU_DEP_1)
	v_lshrrev_b32_e32 v5, 24, v133
	v_mul_i32_i24_e32 v5, v87, v5
	s_delay_alu instid0(VALU_DEP_1) | instskip(SKIP_2) | instid1(VALU_DEP_2)
	v_mad_i32_i24 v129, v129, v134, v5
	v_add_nc_u32_e32 v5, v86, v85
	v_bfe_i32 v86, v132, 16, 8
	v_add3_u32 v85, v5, v80, v73
	v_bfe_i32 v5, v133, 16, 8
	s_delay_alu instid0(VALU_DEP_1) | instskip(NEXT) | instid1(VALU_DEP_1)
	v_mul_i32_i24_e32 v5, v85, v5
	v_mad_i32_i24 v86, v130, v86, v5
	v_bfe_i32 v5, v133, 0, 8
	s_delay_alu instid0(VALU_DEP_1) | instskip(SKIP_1) | instid1(VALU_DEP_1)
	v_mul_i32_i24_e32 v5, v6, v5
	v_bfe_i32 v6, v132, 0, 8
	v_mad_i32_i24 v96, v96, v6, v5
	v_bfe_u32 v5, v3, 16, 2
	v_bfe_u32 v3, v3, 24, 2
	;; [unrolled: 1-line block ×3, first 2 shown]
	s_delay_alu instid0(VALU_DEP_3) | instskip(NEXT) | instid1(VALU_DEP_3)
	v_mul_i32_i24_e32 v5, v5, v78
	v_mul_i32_i24_e32 v3, v3, v77
	s_delay_alu instid0(VALU_DEP_3) | instskip(NEXT) | instid1(VALU_DEP_2)
	v_mul_i32_i24_e32 v6, v6, v79
	v_add3_u32 v3, v101, v5, v3
	v_bfe_u32 v5, v93, 16, 2
	s_delay_alu instid0(VALU_DEP_1) | instskip(NEXT) | instid1(VALU_DEP_1)
	v_mul_i32_i24_e32 v5, v5, v80
	v_add3_u32 v93, v104, v5, v6
	v_bfe_u32 v5, v126, 24, 2
	v_bfe_u32 v6, v102, 8, 2
	v_ashrrev_i32_e32 v104, s20, v109
	s_delay_alu instid0(VALU_DEP_3) | instskip(NEXT) | instid1(VALU_DEP_3)
	v_mul_i32_i24_e32 v5, v81, v5
	v_mul_i32_i24_e32 v6, v6, v97
	s_delay_alu instid0(VALU_DEP_1) | instskip(NEXT) | instid1(VALU_DEP_4)
	v_add3_u32 v101, v122, v5, v6
	v_and_b32_e32 v5, 3, v104
	v_bfe_u32 v6, v104, 8, 2
	s_delay_alu instid0(VALU_DEP_2) | instskip(NEXT) | instid1(VALU_DEP_2)
	v_mul_i32_i24_e32 v5, v5, v83
	v_mul_i32_i24_e32 v6, v6, v82
	s_delay_alu instid0(VALU_DEP_1) | instskip(SKIP_2) | instid1(VALU_DEP_2)
	v_add3_u32 v108, v108, v5, v6
	v_bfe_u32 v5, v111, 24, 2
	v_bfe_u32 v6, v113, 8, 2
	v_mul_i32_i24_e32 v5, v81, v5
	s_delay_alu instid0(VALU_DEP_2) | instskip(NEXT) | instid1(VALU_DEP_1)
	v_mul_i32_i24_e32 v6, v6, v97
	v_add3_u32 v109, v112, v5, v6
	v_add_nc_u32_e32 v5, 0x2118, v84
	ds_load_2addr_b32 v[5:6], v5 offset1:1
	s_wait_dscnt 0x0
	v_ashrrev_i32_e32 v5, s20, v5
	v_ashrrev_i32_e32 v6, s20, v6
	s_delay_alu instid0(VALU_DEP_2) | instskip(SKIP_1) | instid1(VALU_DEP_2)
	v_and_b32_e32 v84, 3, v5
	v_bfe_u32 v111, v5, 8, 2
	v_mul_i32_i24_e32 v84, v84, v83
	s_delay_alu instid0(VALU_DEP_2) | instskip(NEXT) | instid1(VALU_DEP_1)
	v_mul_i32_i24_e32 v111, v111, v82
	v_add3_u32 v84, v115, v84, v111
	v_bfe_u32 v111, v117, 24, 2
	s_delay_alu instid0(VALU_DEP_1) | instskip(SKIP_1) | instid1(VALU_DEP_1)
	v_mul_i32_i24_e32 v81, v81, v111
	v_bfe_u32 v111, v106, 8, 2
	v_mul_i32_i24_e32 v97, v111, v97
	s_delay_alu instid0(VALU_DEP_1) | instskip(SKIP_1) | instid1(VALU_DEP_1)
	v_add3_u32 v81, v89, v81, v97
	v_ashrrev_i32_e32 v89, s20, v120
	v_and_b32_e32 v97, 3, v89
	s_delay_alu instid0(VALU_DEP_1) | instskip(SKIP_1) | instid1(VALU_DEP_1)
	v_mul_i32_i24_e32 v83, v97, v83
	v_bfe_u32 v97, v89, 8, 2
	v_mul_i32_i24_e32 v82, v97, v82
	v_bfe_i32 v97, v119, 16, 8
	s_delay_alu instid0(VALU_DEP_2) | instskip(SKIP_2) | instid1(VALU_DEP_4)
	v_add3_u32 v82, v90, v83, v82
	v_lshrrev_b32_e32 v83, 24, v116
	v_bfe_i32 v90, v116, 16, 8
	v_mul_i32_i24_e32 v97, v85, v97
	s_delay_alu instid0(VALU_DEP_3) | instskip(NEXT) | instid1(VALU_DEP_3)
	v_mul_i32_i24_e32 v83, v87, v83
	v_mul_i32_i24_e32 v90, v85, v90
	s_delay_alu instid0(VALU_DEP_1) | instskip(SKIP_2) | instid1(VALU_DEP_2)
	v_add3_u32 v83, v100, v90, v83
	v_lshrrev_b32_e32 v90, 24, v119
	v_bfe_u32 v100, v113, 24, 2
	v_mul_i32_i24_e32 v90, v87, v90
	s_delay_alu instid0(VALU_DEP_2) | instskip(NEXT) | instid1(VALU_DEP_2)
	v_mul_i32_i24_e32 v100, v100, v77
	v_add3_u32 v90, v123, v97, v90
	v_lshrrev_b32_e32 v97, 24, v127
	s_delay_alu instid0(VALU_DEP_1) | instskip(SKIP_1) | instid1(VALU_DEP_1)
	v_mul_i32_i24_e32 v87, v87, v97
	v_bfe_i32 v97, v127, 16, 8
	v_mul_i32_i24_e32 v85, v85, v97
	v_bfe_u32 v97, v104, 24, 2
	s_delay_alu instid0(VALU_DEP_2) | instskip(SKIP_1) | instid1(VALU_DEP_3)
	v_add3_u32 v85, v128, v85, v87
	v_lshrrev_b16 v87, 8, v132
	v_mul_i32_i24_e32 v97, v97, v79
	s_delay_alu instid0(VALU_DEP_2) | instskip(NEXT) | instid1(VALU_DEP_1)
	v_bfe_i32 v87, v87, 0, 8
	v_mul_i32_i24_e32 v87, v95, v87
	v_bfe_i32 v95, v133, 8, 8
	s_delay_alu instid0(VALU_DEP_1) | instskip(SKIP_1) | instid1(VALU_DEP_2)
	v_mul_i32_i24_e32 v91, v91, v95
	v_bfe_u32 v95, v4, 8, 2
	v_add3_u32 v87, v87, v91, v129
	v_and_b32_e32 v91, 3, v4
	s_delay_alu instid0(VALU_DEP_3) | instskip(NEXT) | instid1(VALU_DEP_2)
	v_mul_i32_i24_e32 v95, v95, v99
	v_mul_i32_i24_e32 v91, v91, v74
	s_delay_alu instid0(VALU_DEP_1) | instskip(SKIP_1) | instid1(VALU_DEP_1)
	v_add3_u32 v3, v3, v91, v95
	v_ashrrev_i32_e32 v91, s20, v94
	v_and_b32_e32 v94, 3, v91
	v_bfe_u32 v95, v91, 8, 2
	s_delay_alu instid0(VALU_DEP_2) | instskip(NEXT) | instid1(VALU_DEP_2)
	v_mul_i32_i24_e32 v94, v94, v76
	v_mul_i32_i24_e32 v95, v95, v75
	s_delay_alu instid0(VALU_DEP_1) | instskip(SKIP_2) | instid1(VALU_DEP_2)
	v_add3_u32 v93, v93, v94, v95
	v_bfe_u32 v94, v102, 16, 2
	v_bfe_u32 v95, v102, 24, 2
	v_mul_i32_i24_e32 v94, v94, v78
	s_delay_alu instid0(VALU_DEP_2) | instskip(NEXT) | instid1(VALU_DEP_1)
	v_mul_i32_i24_e32 v95, v95, v77
	v_add3_u32 v94, v101, v94, v95
	v_bfe_u32 v95, v104, 16, 2
	s_delay_alu instid0(VALU_DEP_1) | instskip(NEXT) | instid1(VALU_DEP_1)
	v_mul_i32_i24_e32 v95, v95, v80
	v_add3_u32 v95, v108, v95, v97
	v_bfe_u32 v97, v113, 16, 2
	s_delay_alu instid0(VALU_DEP_1) | instskip(NEXT) | instid1(VALU_DEP_1)
	v_mul_i32_i24_e32 v97, v97, v78
	v_add3_u32 v97, v109, v97, v100
	v_bfe_u32 v100, v5, 16, 2
	v_bfe_u32 v5, v5, 24, 2
	s_delay_alu instid0(VALU_DEP_2) | instskip(NEXT) | instid1(VALU_DEP_2)
	v_mul_i32_i24_e32 v100, v100, v80
	v_mul_i32_i24_e32 v5, v5, v79
	s_delay_alu instid0(VALU_DEP_1) | instskip(SKIP_1) | instid1(VALU_DEP_1)
	v_add3_u32 v5, v84, v100, v5
	v_bfe_u32 v84, v106, 16, 2
	v_mul_i32_i24_e32 v78, v84, v78
	v_bfe_u32 v84, v106, 24, 2
	s_delay_alu instid0(VALU_DEP_1) | instskip(NEXT) | instid1(VALU_DEP_1)
	v_mul_i32_i24_e32 v77, v84, v77
	v_add3_u32 v77, v81, v78, v77
	v_bfe_u32 v78, v89, 16, 2
	s_delay_alu instid0(VALU_DEP_1) | instskip(SKIP_1) | instid1(VALU_DEP_1)
	v_mul_i32_i24_e32 v78, v78, v80
	v_bfe_u32 v80, v89, 24, 2
	v_mul_i32_i24_e32 v79, v80, v79
	v_bfe_u32 v80, v4, 16, 2
	v_bfe_u32 v4, v4, 24, 2
	s_delay_alu instid0(VALU_DEP_3) | instskip(NEXT) | instid1(VALU_DEP_3)
	v_add3_u32 v78, v82, v78, v79
	v_mul_i32_i24_e32 v80, v80, v10
	s_delay_alu instid0(VALU_DEP_3) | instskip(SKIP_1) | instid1(VALU_DEP_2)
	v_mul_i32_i24_e32 v4, v4, v9
	v_add3_u32 v79, v96, v86, v87
	v_add3_u32 v3, v3, v80, v4
	v_bfe_u32 v4, v91, 16, 2
	v_bfe_u32 v80, v91, 24, 2
	v_bfe_u32 v91, v6, 8, 2
	v_cvt_f32_i32_e32 v79, v79
	s_delay_alu instid0(VALU_DEP_4) | instskip(NEXT) | instid1(VALU_DEP_4)
	v_mul_i32_i24_e32 v4, v4, v73
	v_mul_i32_i24_e32 v80, v80, v72
	s_delay_alu instid0(VALU_DEP_4) | instskip(NEXT) | instid1(VALU_DEP_2)
	v_mul_i32_i24_e32 v91, v91, v75
	v_add3_u32 v4, v93, v4, v80
	v_ashrrev_i32_e32 v80, s20, v103
	s_delay_alu instid0(VALU_DEP_1) | instskip(SKIP_1) | instid1(VALU_DEP_2)
	v_and_b32_e32 v81, 3, v80
	v_bfe_u32 v82, v80, 8, 2
	v_mul_i32_i24_e32 v81, v81, v74
	s_delay_alu instid0(VALU_DEP_2) | instskip(NEXT) | instid1(VALU_DEP_1)
	v_mul_i32_i24_e32 v82, v82, v99
	v_add3_u32 v81, v94, v81, v82
	v_ashrrev_i32_e32 v82, s20, v110
	s_delay_alu instid0(VALU_DEP_1) | instskip(SKIP_1) | instid1(VALU_DEP_2)
	v_and_b32_e32 v84, 3, v82
	v_bfe_u32 v86, v82, 8, 2
	v_mul_i32_i24_e32 v84, v84, v76
	s_delay_alu instid0(VALU_DEP_2) | instskip(NEXT) | instid1(VALU_DEP_1)
	v_mul_i32_i24_e32 v86, v86, v75
	v_add3_u32 v84, v95, v84, v86
	v_ashrrev_i32_e32 v86, s20, v114
	s_delay_alu instid0(VALU_DEP_1) | instskip(SKIP_1) | instid1(VALU_DEP_2)
	v_and_b32_e32 v87, 3, v86
	v_bfe_u32 v89, v86, 8, 2
	v_mul_i32_i24_e32 v87, v87, v74
	s_delay_alu instid0(VALU_DEP_2) | instskip(NEXT) | instid1(VALU_DEP_1)
	v_mul_i32_i24_e32 v89, v89, v99
	v_add3_u32 v87, v97, v87, v89
	v_and_b32_e32 v89, 3, v6
	s_delay_alu instid0(VALU_DEP_1) | instskip(NEXT) | instid1(VALU_DEP_1)
	v_mul_i32_i24_e32 v89, v89, v76
	v_add3_u32 v5, v5, v89, v91
	v_ashrrev_i32_e32 v89, s20, v107
	s_delay_alu instid0(VALU_DEP_1) | instskip(NEXT) | instid1(VALU_DEP_1)
	v_and_b32_e32 v91, 3, v89
	v_mul_i32_i24_e32 v74, v91, v74
	v_bfe_u32 v91, v89, 8, 2
	s_delay_alu instid0(VALU_DEP_1) | instskip(NEXT) | instid1(VALU_DEP_1)
	v_mul_i32_i24_e32 v91, v91, v99
	v_add3_u32 v74, v77, v74, v91
	v_ashrrev_i32_e32 v77, s20, v121
	s_lshr_b32 s20, s1, 2
	s_wait_alu 0xfffe
	s_and_b32 s20, s20, 0x3ffffffc
	s_delay_alu instid0(VALU_DEP_1) | instskip(SKIP_2) | instid1(VALU_DEP_1)
	v_and_b32_e32 v91, 3, v77
	s_wait_alu 0xfffe
	s_addk_co_i32 s20, 0x5280
	v_mul_i32_i24_e32 v76, v91, v76
	v_bfe_u32 v91, v77, 8, 2
	s_delay_alu instid0(VALU_DEP_1) | instskip(NEXT) | instid1(VALU_DEP_1)
	v_mul_i32_i24_e32 v75, v91, v75
	v_add3_u32 v75, v78, v76, v75
	v_bfe_u32 v76, v80, 16, 2
	v_bfe_u32 v78, v80, 24, 2
	;; [unrolled: 1-line block ×3, first 2 shown]
	s_delay_alu instid0(VALU_DEP_3) | instskip(NEXT) | instid1(VALU_DEP_3)
	v_mul_i32_i24_e32 v76, v76, v10
	v_mul_i32_i24_e32 v78, v78, v9
	s_delay_alu instid0(VALU_DEP_3) | instskip(NEXT) | instid1(VALU_DEP_2)
	v_mul_i32_i24_e32 v80, v80, v72
	v_add3_u32 v76, v81, v76, v78
	v_bfe_u32 v78, v82, 16, 2
	v_bfe_u32 v81, v86, 24, 2
	v_and_b32_e32 v82, 15, v124
	s_delay_alu instid0(VALU_DEP_3) | instskip(NEXT) | instid1(VALU_DEP_3)
	v_mul_i32_i24_e32 v78, v78, v73
	v_mul_i32_i24_e32 v81, v81, v9
	s_delay_alu instid0(VALU_DEP_2) | instskip(SKIP_2) | instid1(VALU_DEP_2)
	v_add3_u32 v78, v84, v78, v80
	v_bfe_u32 v80, v86, 16, 2
	v_and_b32_e32 v84, 15, v125
	v_mul_i32_i24_e32 v80, v80, v10
	s_delay_alu instid0(VALU_DEP_1) | instskip(SKIP_2) | instid1(VALU_DEP_2)
	v_add3_u32 v80, v87, v80, v81
	v_bfe_u32 v81, v6, 16, 2
	v_bfe_u32 v6, v6, 24, 2
	v_mul_i32_i24_e32 v81, v81, v73
	s_delay_alu instid0(VALU_DEP_2) | instskip(NEXT) | instid1(VALU_DEP_1)
	v_mul_i32_i24_e32 v6, v6, v72
	v_add3_u32 v6, v5, v81, v6
	v_bfe_u32 v5, v89, 16, 2
	s_delay_alu instid0(VALU_DEP_1) | instskip(SKIP_1) | instid1(VALU_DEP_1)
	v_mul_i32_i24_e32 v5, v5, v10
	v_bfe_u32 v10, v89, 24, 2
	v_mul_i32_i24_e32 v9, v10, v9
	s_wait_alu 0xfffe
	v_add3_u32 v10, s20, v63, v64
	s_delay_alu instid0(VALU_DEP_2) | instskip(SKIP_1) | instid1(VALU_DEP_1)
	v_add3_u32 v9, v74, v5, v9
	v_bfe_u32 v5, v77, 16, 2
	v_mul_i32_i24_e32 v5, v5, v73
	v_bfe_u32 v73, v77, 24, 2
	v_and_b32_e32 v77, 15, v92
	s_delay_alu instid0(VALU_DEP_2)
	v_mul_i32_i24_e32 v72, v73, v72
	v_add3_u32 v73, s20, v67, v68
	ds_load_b32 v74, v10
	ds_load_b32 v73, v73
	v_add3_u32 v10, v75, v5, v72
	v_add3_u32 v5, s20, v69, v70
	v_add3_u32 v72, s20, v65, v66
	ds_load_b32 v75, v5
	ds_load_b32 v72, v72
	v_and_b32_e32 v5, 15, v98
	s_add_co_i32 s20, s1, 2
	s_cmp_lt_u32 s1, 14
	s_wait_alu 0xfffe
	s_mov_b32 s1, s20
	v_mul_lo_u32 v3, v3, v5
	v_and_b32_e32 v5, 15, v118
	s_delay_alu instid0(VALU_DEP_2)
	v_mad_co_u64_u32 v[3:4], null, v4, v77, v[3:4]
	v_and_b32_e32 v4, 15, v105
	ds_load_b32 v77, v8
	v_add_nc_u32_e32 v8, 4, v8
	s_wait_dscnt 0x1
	v_lshrrev_b32_e32 v81, 16, v72
	v_mul_lo_u32 v4, v76, v4
	v_lshrrev_b32_e32 v76, 16, v75
	v_cvt_f32_i32_e32 v3, v3
	s_delay_alu instid0(VALU_DEP_4) | instskip(NEXT) | instid1(VALU_DEP_3)
	v_cvt_f32_f16_e32 v81, v81
	v_cvt_f32_f16_e32 v76, v76
	v_mad_co_u64_u32 v[4:5], null, v78, v5, v[4:5]
	v_and_b32_e32 v5, 15, v131
	v_lshrrev_b32_e32 v78, 16, v74
	s_delay_alu instid0(VALU_DEP_4) | instskip(NEXT) | instid1(VALU_DEP_3)
	v_mul_f32_e32 v76, v76, v79
	v_mul_lo_u32 v5, v80, v5
	v_lshrrev_b32_e32 v80, 16, v73
	s_delay_alu instid0(VALU_DEP_4) | instskip(SKIP_1) | instid1(VALU_DEP_3)
	v_cvt_f32_f16_e32 v78, v78
	v_cvt_f32_i32_e32 v4, v4
	v_cvt_f32_f16_e32 v80, v80
	v_mad_co_u64_u32 v[5:6], null, v6, v84, v[5:6]
	v_mul_lo_u32 v6, v9, v82
	v_and_b32_e32 v9, 15, v88
	v_cvt_f32_i32_e32 v82, v83
	v_cvt_f32_i32_e32 v83, v90
	;; [unrolled: 1-line block ×4, first 2 shown]
	v_mad_co_u64_u32 v[9:10], null, v10, v9, v[6:7]
	v_mul_f32_e32 v6, v78, v82
	v_mul_f32_e32 v10, v81, v83
	v_dual_mul_f32 v78, v80, v84 :: v_dual_add_nc_u32 v7, 32, v7
	s_delay_alu instid0(VALU_DEP_3) | instskip(SKIP_1) | instid1(VALU_DEP_4)
	v_fma_mix_f32 v3, v74, v3, -v6 op_sel_hi:[1,0,0]
	v_cvt_f32_i32_e32 v9, v9
	v_fma_mix_f32 v4, v72, v4, -v10 op_sel_hi:[1,0,0]
	s_delay_alu instid0(VALU_DEP_4)
	v_fma_mix_f32 v5, v73, v5, -v78 op_sel_hi:[1,0,0]
	s_wait_dscnt 0x0
	v_fmac_f32_e32 v13, v77, v3
	v_fma_mix_f32 v6, v75, v9, -v76 op_sel_hi:[1,0,0]
	v_fmac_f32_e32 v48, v77, v4
	v_fmac_f32_e32 v43, v77, v5
	s_delay_alu instid0(VALU_DEP_3)
	v_fmac_f32_e32 v2, v77, v6
	s_cbranch_scc1 .LBB207_19
; %bb.20:                               ;   in Loop: Header=BB207_5 Depth=1
	s_or_b32 s1, s16, 0x100
	s_wait_loadcnt 0x0
	s_wait_alu 0xfffe
	s_cmp_ge_i32 s1, s11
	s_barrier_signal -1
	s_barrier_wait -1
	global_inv scope:SCOPE_SE
	s_cbranch_scc1 .LBB207_4
; %bb.21:                               ;   in Loop: Header=BB207_5 Depth=1
	v_add_nc_u32_e32 v3, s17, v50
	s_delay_alu instid0(VALU_DEP_1)
	v_cmp_gt_i32_e64 s1, s5, v3
	s_and_b32 s20, s0, s1
	s_wait_alu 0xfffe
	s_and_saveexec_b32 s1, s20
	s_cbranch_execz .LBB207_23
; %bb.22:                               ;   in Loop: Header=BB207_5 Depth=1
	v_add_nc_u32_e32 v3, v52, v3
	s_delay_alu instid0(VALU_DEP_1)
	v_mad_co_i64_i32 v[3:4], null, v3, 36, v[0:1]
	global_load_b32 v3, v[3:4], off offset:4
	s_wait_loadcnt 0x0
	ds_store_b32 v45, v3
.LBB207_23:                             ;   in Loop: Header=BB207_5 Depth=1
	s_wait_alu 0xfffe
	s_or_b32 exec_lo, exec_lo, s1
	s_and_saveexec_b32 s20, vcc_lo
	s_cbranch_execz .LBB207_26
; %bb.24:                               ;   in Loop: Header=BB207_5 Depth=1
	v_or_b32_e32 v3, 8, v71
	s_delay_alu instid0(VALU_DEP_1)
	v_cmp_gt_i32_e64 s1, s5, v3
	s_and_b32 s1, s0, s1
	s_wait_alu 0xfffe
	s_and_b32 exec_lo, exec_lo, s1
	s_cbranch_execz .LBB207_26
; %bb.25:                               ;   in Loop: Header=BB207_5 Depth=1
	v_ashrrev_i32_e32 v3, 31, v71
	v_add_co_u32 v4, s1, v52, v71
	s_wait_alu 0xf1ff
	s_delay_alu instid0(VALU_DEP_2) | instskip(NEXT) | instid1(VALU_DEP_2)
	v_add_co_ci_u32_e64 v5, null, v55, v3, s1
	v_mad_co_u64_u32 v[3:4], null, v4, 36, s[2:3]
	s_delay_alu instid0(VALU_DEP_1)
	v_mad_i32_i24 v4, v5, 36, v4
	global_load_b32 v3, v[3:4], off offset:288
	s_wait_loadcnt 0x0
	v_cvt_f32_f16_e32 v3, v3
	ds_store_b32 v47, v3
.LBB207_26:                             ;   in Loop: Header=BB207_5 Depth=1
	s_wait_alu 0xfffe
	s_or_b32 exec_lo, exec_lo, s20
	v_dual_mov_b32 v7, v44 :: v_dual_mov_b32 v8, v46
	s_mov_b32 s1, 16
	s_wait_loadcnt_dscnt 0x0
	s_barrier_signal -1
	s_barrier_wait -1
	global_inv scope:SCOPE_SE
.LBB207_27:                             ;   Parent Loop BB207_5 Depth=1
                                        ; =>  This Inner Loop Header: Depth=2
	ds_load_b128 v[3:6], v7
	ds_load_b128 v[102:105], v7 offset:16
	s_wait_alu 0xfffe
	s_and_b32 s21, s1, 0x3ffffff8
	s_add_co_i32 s20, s1, -16
	s_wait_alu 0xfffe
	v_lshl_add_u32 v84, s21, 2, v53
	s_and_b32 s21, s1, -16
	s_wait_alu 0xfffe
	s_add_co_i32 s21, s1, s21
	s_delay_alu instid0(VALU_DEP_1)
	v_add_nc_u32_e32 v109, 0x1098, v84
	v_add_nc_u32_e32 v113, 0x2108, v84
	;; [unrolled: 1-line block ×3, first 2 shown]
	s_wait_dscnt 0x1
	v_ashrrev_i32_e32 v81, 24, v3
	v_bfe_i32 v95, v4, 8, 8
	v_bfe_i32 v96, v3, 0, 8
	;; [unrolled: 1-line block ×3, first 2 shown]
	v_ashrrev_i32_e32 v93, 24, v4
	v_bfe_i32 v90, v3, 8, 8
	v_bfe_i32 v98, v4, 0, 8
	;; [unrolled: 1-line block ×3, first 2 shown]
	v_lshrrev_b16 v97, 8, v5
	v_ashrrev_i32_e32 v77, 24, v5
	v_bfe_i32 v78, v5, 16, 8
	v_bfe_i32 v100, v5, 0, 8
	v_lshrrev_b16 v99, 8, v6
	v_ashrrev_i32_e32 v9, 24, v6
	v_bfe_i32 v10, v6, 16, 8
	v_bfe_i32 v74, v6, 0, 8
	s_wait_dscnt 0x0
	v_ashrrev_i32_e32 v79, 24, v104
	v_bfe_i32 v80, v104, 16, 8
	v_bfe_i32 v83, v104, 0, 8
	;; [unrolled: 1-line block ×3, first 2 shown]
	v_ashrrev_i32_e32 v72, 24, v105
	v_bfe_i32 v73, v105, 16, 8
	v_bfe_i32 v76, v105, 0, 8
	;; [unrolled: 1-line block ×3, first 2 shown]
	ds_load_2addr_b32 v[5:6], v84 offset1:1
	ds_load_2addr_b32 v[3:4], v84 offset0:2 offset1:3
	ds_load_2addr_b32 v[104:105], v84 offset0:4 offset1:5
	v_lshrrev_b16 v101, 8, v102
	v_ashrrev_i32_e32 v87, 24, v102
	v_bfe_i32 v91, v102, 0, 8
	v_bfe_i32 v85, v102, 16, 8
	v_lshrrev_b16 v102, 8, v103
	v_ashrrev_i32_e32 v88, 24, v103
	v_bfe_i32 v92, v103, 0, 8
	v_bfe_i32 v86, v103, 16, 8
	v_bfe_i32 v97, v97, 0, 8
	v_bfe_i32 v99, v99, 0, 8
	s_wait_dscnt 0x2
	v_ashrrev_i32_e32 v6, s20, v6
	s_wait_dscnt 0x1
	v_ashrrev_i32_e32 v3, s20, v3
	v_ashrrev_i32_e32 v4, s20, v4
	s_delay_alu instid0(VALU_DEP_3) | instskip(SKIP_1) | instid1(VALU_DEP_2)
	v_and_b32_e32 v103, 3, v6
	v_bfe_u32 v106, v6, 8, 2
	v_mul_i32_i24_e32 v103, v103, v98
	s_delay_alu instid0(VALU_DEP_1) | instskip(SKIP_2) | instid1(VALU_DEP_2)
	v_mad_i32_i24 v103, v106, v95, v103
	v_bfe_u32 v106, v6, 16, 2
	v_bfe_u32 v6, v6, 24, 2
	v_mul_i32_i24_e32 v106, v106, v94
	s_delay_alu instid0(VALU_DEP_2) | instskip(NEXT) | instid1(VALU_DEP_1)
	v_mul_i32_i24_e32 v6, v6, v93
	v_add3_u32 v103, v103, v106, v6
	v_bfe_i32 v6, v101, 0, 8
	s_wait_dscnt 0x0
	v_ashrrev_i32_e32 v101, s20, v104
	s_delay_alu instid0(VALU_DEP_1) | instskip(SKIP_1) | instid1(VALU_DEP_2)
	v_and_b32_e32 v104, 3, v101
	v_bfe_u32 v106, v101, 8, 2
	v_mul_i32_i24_e32 v104, v104, v91
	s_delay_alu instid0(VALU_DEP_1) | instskip(SKIP_2) | instid1(VALU_DEP_2)
	v_mad_i32_i24 v104, v106, v6, v104
	v_bfe_u32 v106, v101, 16, 2
	v_bfe_u32 v101, v101, 24, 2
	v_mul_i32_i24_e32 v106, v106, v85
	s_delay_alu instid0(VALU_DEP_2) | instskip(NEXT) | instid1(VALU_DEP_1)
	v_mul_i32_i24_e32 v101, v101, v87
	v_add3_u32 v106, v104, v106, v101
	v_ashrrev_i32_e32 v101, s20, v5
	v_and_b32_e32 v104, 3, v3
	s_delay_alu instid0(VALU_DEP_2) | instskip(NEXT) | instid1(VALU_DEP_2)
	v_and_b32_e32 v5, 3, v101
	v_mul_i32_i24_e32 v104, v104, v100
	s_delay_alu instid0(VALU_DEP_2) | instskip(NEXT) | instid1(VALU_DEP_1)
	v_mul_i32_i24_e32 v5, v96, v5
	v_add3_u32 v104, v103, v104, v5
	v_ashrrev_i32_e32 v103, s20, v105
	v_bfe_i32 v5, v102, 0, 8
	s_delay_alu instid0(VALU_DEP_2) | instskip(SKIP_1) | instid1(VALU_DEP_2)
	v_and_b32_e32 v102, 3, v103
	v_bfe_u32 v105, v103, 8, 2
	v_mul_i32_i24_e32 v102, v102, v92
	s_delay_alu instid0(VALU_DEP_2) | instskip(NEXT) | instid1(VALU_DEP_1)
	v_mul_i32_i24_e32 v105, v105, v5
	v_add3_u32 v102, v106, v102, v105
	v_add_nc_u32_e32 v105, 0x1080, v84
	ds_load_2addr_b32 v[106:107], v105 offset1:1
	s_wait_dscnt 0x0
	v_ashrrev_i32_e32 v105, s20, v107
	s_delay_alu instid0(VALU_DEP_1) | instskip(SKIP_1) | instid1(VALU_DEP_2)
	v_and_b32_e32 v107, 3, v105
	v_bfe_u32 v108, v105, 8, 2
	v_mul_i32_i24_e32 v107, v107, v98
	s_delay_alu instid0(VALU_DEP_1) | instskip(SKIP_2) | instid1(VALU_DEP_2)
	v_mad_i32_i24 v107, v108, v95, v107
	v_bfe_u32 v108, v105, 16, 2
	v_bfe_u32 v105, v105, 24, 2
	v_mul_i32_i24_e32 v108, v108, v94
	s_delay_alu instid0(VALU_DEP_2) | instskip(NEXT) | instid1(VALU_DEP_1)
	v_mul_i32_i24_e32 v105, v105, v93
	v_add3_u32 v122, v107, v108, v105
	s_wait_alu 0xfffe
	v_add_nc_u32_e32 v105, s21, v57
	v_add_nc_u32_e32 v107, 0x1090, v84
	ds_load_u16 v105, v105 offset:17904
	ds_load_2addr_b32 v[107:108], v107 offset1:1
	ds_load_2addr_b32 v[109:110], v109 offset1:1
	s_wait_dscnt 0x1
	v_ashrrev_i32_e32 v107, s20, v107
	v_ashrrev_i32_e32 v108, s20, v108
	s_delay_alu instid0(VALU_DEP_2) | instskip(SKIP_1) | instid1(VALU_DEP_2)
	v_and_b32_e32 v111, 3, v107
	v_bfe_u32 v112, v107, 8, 2
	v_mul_i32_i24_e32 v111, v111, v91
	s_delay_alu instid0(VALU_DEP_1) | instskip(SKIP_2) | instid1(VALU_DEP_2)
	v_mad_i32_i24 v111, v112, v6, v111
	v_bfe_u32 v112, v107, 16, 2
	v_bfe_u32 v107, v107, 24, 2
	v_mul_i32_i24_e32 v112, v112, v85
	s_delay_alu instid0(VALU_DEP_2) | instskip(NEXT) | instid1(VALU_DEP_1)
	v_mul_i32_i24_e32 v107, v107, v87
	v_add3_u32 v107, v111, v112, v107
	v_add_nc_u32_e32 v111, 0x2100, v84
	ds_load_2addr_b32 v[111:112], v111 offset1:1
	ds_load_2addr_b32 v[113:114], v113 offset1:1
	;; [unrolled: 1-line block ×3, first 2 shown]
	s_wait_dscnt 0x2
	v_ashrrev_i32_e32 v112, s20, v112
	v_ashrrev_i32_e32 v111, s20, v111
	s_wait_dscnt 0x0
	v_ashrrev_i32_e32 v115, s20, v115
	v_ashrrev_i32_e32 v113, s20, v113
	;; [unrolled: 1-line block ×3, first 2 shown]
	v_and_b32_e32 v117, 3, v112
	v_bfe_u32 v118, v112, 8, 2
	s_delay_alu instid0(VALU_DEP_2) | instskip(NEXT) | instid1(VALU_DEP_1)
	v_mul_i32_i24_e32 v117, v117, v98
	v_mad_i32_i24 v117, v118, v95, v117
	v_bfe_u32 v118, v112, 16, 2
	v_bfe_u32 v112, v112, 24, 2
	s_delay_alu instid0(VALU_DEP_2) | instskip(NEXT) | instid1(VALU_DEP_2)
	v_mul_i32_i24_e32 v118, v118, v94
	v_mul_i32_i24_e32 v112, v112, v93
	s_delay_alu instid0(VALU_DEP_1) | instskip(SKIP_2) | instid1(VALU_DEP_2)
	v_add3_u32 v112, v117, v118, v112
	v_and_b32_e32 v117, 3, v115
	v_bfe_u32 v118, v115, 8, 2
	v_mul_i32_i24_e32 v117, v117, v91
	s_delay_alu instid0(VALU_DEP_1) | instskip(SKIP_2) | instid1(VALU_DEP_2)
	v_mad_i32_i24 v117, v118, v6, v117
	v_bfe_u32 v118, v115, 16, 2
	v_bfe_u32 v115, v115, 24, 2
	v_mul_i32_i24_e32 v118, v118, v85
	s_delay_alu instid0(VALU_DEP_2) | instskip(NEXT) | instid1(VALU_DEP_1)
	v_mul_i32_i24_e32 v115, v115, v87
	v_add3_u32 v115, v117, v118, v115
	v_add_nc_u32_e32 v117, 0x3180, v84
	ds_load_2addr_b32 v[117:118], v117 offset1:1
	s_wait_dscnt 0x0
	v_ashrrev_i32_e32 v118, s20, v118
	v_ashrrev_i32_e32 v117, s20, v117
	s_delay_alu instid0(VALU_DEP_2) | instskip(SKIP_1) | instid1(VALU_DEP_2)
	v_and_b32_e32 v119, 3, v118
	v_bfe_u32 v120, v118, 8, 2
	v_mul_i32_i24_e32 v119, v119, v98
	s_delay_alu instid0(VALU_DEP_1) | instskip(SKIP_3) | instid1(VALU_DEP_3)
	v_mad_i32_i24 v119, v120, v95, v119
	v_bfe_u32 v120, v118, 16, 2
	v_bfe_u32 v118, v118, 24, 2
	v_add_nc_u32_e32 v95, v90, v95
	v_mul_i32_i24_e32 v120, v120, v94
	s_delay_alu instid0(VALU_DEP_3) | instskip(NEXT) | instid1(VALU_DEP_3)
	v_mul_i32_i24_e32 v118, v118, v93
	v_add3_u32 v95, v95, v97, v99
	v_add_nc_u32_e32 v93, v93, v81
	v_add_nc_u32_e32 v94, v94, v89
	s_delay_alu instid0(VALU_DEP_4) | instskip(SKIP_2) | instid1(VALU_DEP_4)
	v_add3_u32 v123, v119, v120, v118
	v_add_nc_u32_e32 v118, s21, v56
	v_add_nc_u32_e32 v120, 0x3198, v84
	v_add3_u32 v130, v94, v78, v10
	ds_load_u16 v124, v118 offset:19952
	v_add_nc_u32_e32 v118, 0x3190, v84
	ds_load_2addr_b32 v[118:119], v118 offset1:1
	ds_load_2addr_b32 v[120:121], v120 offset1:1
	s_wait_dscnt 0x1
	v_ashrrev_i32_e32 v118, s20, v118
	v_ashrrev_i32_e32 v119, s20, v119
	s_delay_alu instid0(VALU_DEP_2) | instskip(SKIP_1) | instid1(VALU_DEP_2)
	v_and_b32_e32 v125, 3, v118
	v_bfe_u32 v126, v118, 8, 2
	v_mul_i32_i24_e32 v125, v125, v91
	v_add_nc_u32_e32 v91, v92, v91
	s_delay_alu instid0(VALU_DEP_2) | instskip(SKIP_2) | instid1(VALU_DEP_2)
	v_mad_i32_i24 v125, v126, v6, v125
	v_bfe_u32 v126, v118, 16, 2
	v_bfe_u32 v118, v118, 24, 2
	v_mul_i32_i24_e32 v126, v126, v85
	s_delay_alu instid0(VALU_DEP_2) | instskip(NEXT) | instid1(VALU_DEP_1)
	v_mul_i32_i24_e32 v118, v118, v87
	v_add3_u32 v118, v125, v126, v118
	v_bfe_u32 v125, v101, 8, 2
	v_bfe_u32 v126, v101, 16, 2
	s_delay_alu instid0(VALU_DEP_2) | instskip(NEXT) | instid1(VALU_DEP_2)
	v_mul_i32_i24_e32 v125, v90, v125
	v_mul_i32_i24_e32 v126, v89, v126
	s_delay_alu instid0(VALU_DEP_1) | instskip(SKIP_3) | instid1(VALU_DEP_3)
	v_add3_u32 v104, v104, v125, v126
	v_bfe_u32 v125, v103, 16, 2
	v_bfe_u32 v103, v103, 24, 2
	v_ashrrev_i32_e32 v126, s20, v106
	v_mul_i32_i24_e32 v125, v125, v86
	s_delay_alu instid0(VALU_DEP_3) | instskip(NEXT) | instid1(VALU_DEP_1)
	v_mul_i32_i24_e32 v103, v103, v88
	v_add3_u32 v125, v102, v125, v103
	s_delay_alu instid0(VALU_DEP_4) | instskip(NEXT) | instid1(VALU_DEP_1)
	v_and_b32_e32 v102, 3, v126
	v_mul_i32_i24_e32 v106, v96, v102
	v_add_nc_u32_e32 v102, 0x1088, v84
	ds_load_2addr_b32 v[102:103], v102 offset1:1
	s_wait_dscnt 0x0
	v_ashrrev_i32_e32 v102, s20, v102
	s_delay_alu instid0(VALU_DEP_1) | instskip(NEXT) | instid1(VALU_DEP_1)
	v_and_b32_e32 v127, 3, v102
	v_mul_i32_i24_e32 v127, v127, v100
	s_delay_alu instid0(VALU_DEP_1) | instskip(SKIP_2) | instid1(VALU_DEP_2)
	v_add3_u32 v122, v122, v127, v106
	v_and_b32_e32 v106, 3, v108
	v_bfe_u32 v127, v108, 8, 2
	v_mul_i32_i24_e32 v106, v106, v92
	s_delay_alu instid0(VALU_DEP_2) | instskip(NEXT) | instid1(VALU_DEP_1)
	v_mul_i32_i24_e32 v127, v127, v5
	v_add3_u32 v127, v107, v106, v127
	v_and_b32_e32 v106, 3, v111
	v_and_b32_e32 v107, 3, v113
	s_delay_alu instid0(VALU_DEP_2) | instskip(NEXT) | instid1(VALU_DEP_2)
	v_mul_i32_i24_e32 v106, v96, v106
	v_mul_i32_i24_e32 v107, v107, v100
	s_delay_alu instid0(VALU_DEP_1) | instskip(SKIP_2) | instid1(VALU_DEP_2)
	v_add3_u32 v112, v112, v107, v106
	v_and_b32_e32 v106, 3, v116
	v_bfe_u32 v107, v116, 8, 2
	v_mul_i32_i24_e32 v106, v106, v92
	s_delay_alu instid0(VALU_DEP_2) | instskip(NEXT) | instid1(VALU_DEP_1)
	v_mul_i32_i24_e32 v107, v107, v5
	v_add3_u32 v115, v115, v106, v107
	v_and_b32_e32 v106, 3, v117
	s_delay_alu instid0(VALU_DEP_1)
	v_mul_i32_i24_e32 v128, v96, v106
	v_add_nc_u32_e32 v106, 0x3188, v84
	v_add_nc_u32_e32 v96, v98, v96
	;; [unrolled: 1-line block ×3, first 2 shown]
	ds_load_2addr_b32 v[106:107], v106 offset1:1
	v_add3_u32 v96, v96, v100, v74
	ds_load_u16 v98, v98 offset:16880
	s_wait_dscnt 0x1
	v_ashrrev_i32_e32 v106, s20, v106
	s_delay_alu instid0(VALU_DEP_1) | instskip(NEXT) | instid1(VALU_DEP_1)
	v_and_b32_e32 v129, 3, v106
	v_mul_i32_i24_e32 v129, v129, v100
	s_wait_dscnt 0x0
	v_bfe_u32 v100, v98, 4, 4
	s_delay_alu instid0(VALU_DEP_2) | instskip(SKIP_2) | instid1(VALU_DEP_4)
	v_add3_u32 v123, v123, v129, v128
	v_and_b32_e32 v128, 3, v119
	v_bfe_u32 v129, v119, 8, 2
	v_mul_lo_u32 v100, 0x1010101, v100
	s_delay_alu instid0(VALU_DEP_3) | instskip(NEXT) | instid1(VALU_DEP_3)
	v_mul_i32_i24_e32 v128, v128, v92
	v_mul_i32_i24_e32 v129, v129, v5
	v_add_nc_u32_e32 v5, v5, v6
	v_add3_u32 v6, v91, v83, v76
	v_bfe_i32 v94, v100, 16, 8
	s_delay_alu instid0(VALU_DEP_4)
	v_add3_u32 v118, v118, v128, v129
	v_bfe_i32 v128, v100, 0, 8
	v_bfe_i32 v129, v100, 8, 8
	v_add3_u32 v91, v5, v82, v75
	v_mul_i32_i24_e32 v94, v130, v94
	v_lshrrev_b16 v5, 8, v98
	v_mul_i32_i24_e32 v128, v96, v128
	s_delay_alu instid0(VALU_DEP_2) | instskip(NEXT) | instid1(VALU_DEP_2)
	v_and_b32_e32 v92, 0xffff, v5
	v_mad_i32_i24 v128, v95, v129, v128
	v_add3_u32 v129, v93, v77, v9
	v_lshrrev_b32_e32 v93, 24, v100
	s_delay_alu instid0(VALU_DEP_4) | instskip(NEXT) | instid1(VALU_DEP_2)
	v_lshrrev_b32_e32 v5, 4, v92
	v_mul_i32_i24_e32 v93, v129, v93
	s_delay_alu instid0(VALU_DEP_1) | instskip(SKIP_1) | instid1(VALU_DEP_1)
	v_add3_u32 v100, v128, v94, v93
	v_bfe_u32 v93, v105, 4, 4
	v_mul_lo_u32 v93, 0x1010101, v93
	s_delay_alu instid0(VALU_DEP_1) | instskip(SKIP_1) | instid1(VALU_DEP_2)
	v_bfe_i32 v94, v93, 0, 8
	v_bfe_i32 v128, v93, 8, 8
	v_mul_i32_i24_e32 v94, v96, v94
	s_delay_alu instid0(VALU_DEP_1) | instskip(SKIP_2) | instid1(VALU_DEP_2)
	v_mad_i32_i24 v94, v95, v128, v94
	v_lshrrev_b32_e32 v128, 24, v93
	v_bfe_i32 v93, v93, 16, 8
	v_mul_i32_i24_e32 v128, v129, v128
	s_delay_alu instid0(VALU_DEP_2) | instskip(NEXT) | instid1(VALU_DEP_1)
	v_mul_i32_i24_e32 v93, v130, v93
	v_add3_u32 v128, v94, v93, v128
	v_add_nc_u32_e32 v93, s21, v58
	ds_load_u16 v131, v93 offset:18928
	s_wait_dscnt 0x0
	v_bfe_u32 v93, v131, 4, 4
	s_delay_alu instid0(VALU_DEP_1) | instskip(NEXT) | instid1(VALU_DEP_1)
	v_mul_lo_u32 v93, 0x1010101, v93
	v_bfe_i32 v94, v93, 0, 8
	v_bfe_i32 v132, v93, 8, 8
	s_delay_alu instid0(VALU_DEP_2) | instskip(NEXT) | instid1(VALU_DEP_1)
	v_mul_i32_i24_e32 v94, v96, v94
	v_mad_i32_i24 v94, v95, v132, v94
	v_lshrrev_b32_e32 v132, 24, v93
	v_bfe_i32 v93, v93, 16, 8
	s_delay_alu instid0(VALU_DEP_2) | instskip(NEXT) | instid1(VALU_DEP_2)
	v_mul_i32_i24_e32 v132, v129, v132
	v_mul_i32_i24_e32 v93, v130, v93
	s_delay_alu instid0(VALU_DEP_1) | instskip(SKIP_2) | instid1(VALU_DEP_2)
	v_add3_u32 v132, v94, v93, v132
	v_bfe_u32 v93, v101, 24, 2
	v_bfe_u32 v94, v3, 8, 2
	v_mul_i32_i24_e32 v93, v81, v93
	s_delay_alu instid0(VALU_DEP_2) | instskip(NEXT) | instid1(VALU_DEP_1)
	v_mul_i32_i24_e32 v94, v94, v97
	v_add3_u32 v101, v104, v93, v94
	ds_load_2addr_b32 v[93:94], v84 offset0:6 offset1:7
	s_wait_dscnt 0x0
	v_ashrrev_i32_e32 v93, s20, v93
	s_delay_alu instid0(VALU_DEP_1) | instskip(SKIP_1) | instid1(VALU_DEP_2)
	v_and_b32_e32 v104, 3, v93
	v_bfe_u32 v133, v93, 8, 2
	v_mul_i32_i24_e32 v104, v104, v83
	s_delay_alu instid0(VALU_DEP_2) | instskip(NEXT) | instid1(VALU_DEP_1)
	v_mul_i32_i24_e32 v133, v133, v82
	v_add3_u32 v104, v125, v104, v133
	v_bfe_u32 v125, v126, 8, 2
	v_bfe_u32 v133, v126, 16, 2
	s_delay_alu instid0(VALU_DEP_2) | instskip(NEXT) | instid1(VALU_DEP_2)
	v_mul_i32_i24_e32 v125, v90, v125
	v_mul_i32_i24_e32 v133, v89, v133
	s_delay_alu instid0(VALU_DEP_1) | instskip(SKIP_2) | instid1(VALU_DEP_2)
	v_add3_u32 v122, v122, v125, v133
	v_bfe_u32 v125, v108, 16, 2
	v_bfe_u32 v108, v108, 24, 2
	v_mul_i32_i24_e32 v125, v125, v86
	s_delay_alu instid0(VALU_DEP_2) | instskip(NEXT) | instid1(VALU_DEP_1)
	v_mul_i32_i24_e32 v108, v108, v88
	v_add3_u32 v108, v127, v125, v108
	v_bfe_u32 v125, v111, 8, 2
	v_bfe_u32 v127, v111, 16, 2
	s_delay_alu instid0(VALU_DEP_2) | instskip(NEXT) | instid1(VALU_DEP_2)
	v_mul_i32_i24_e32 v125, v90, v125
	v_mul_i32_i24_e32 v127, v89, v127
	s_delay_alu instid0(VALU_DEP_1) | instskip(SKIP_2) | instid1(VALU_DEP_2)
	v_add3_u32 v112, v112, v125, v127
	v_bfe_u32 v125, v116, 16, 2
	v_bfe_u32 v116, v116, 24, 2
	v_mul_i32_i24_e32 v125, v125, v86
	s_delay_alu instid0(VALU_DEP_2) | instskip(NEXT) | instid1(VALU_DEP_1)
	v_mul_i32_i24_e32 v116, v116, v88
	v_add3_u32 v115, v115, v125, v116
	v_bfe_u32 v116, v117, 8, 2
	s_delay_alu instid0(VALU_DEP_1) | instskip(SKIP_1) | instid1(VALU_DEP_1)
	v_mul_i32_i24_e32 v90, v90, v116
	v_bfe_u32 v116, v117, 16, 2
	v_mul_i32_i24_e32 v89, v89, v116
	v_bfe_u32 v116, v119, 24, 2
	s_delay_alu instid0(VALU_DEP_2) | instskip(SKIP_1) | instid1(VALU_DEP_3)
	v_add3_u32 v89, v123, v90, v89
	v_bfe_u32 v90, v119, 16, 2
	v_mul_i32_i24_e32 v116, v116, v88
	s_delay_alu instid0(VALU_DEP_2) | instskip(NEXT) | instid1(VALU_DEP_1)
	v_mul_i32_i24_e32 v90, v90, v86
	v_add3_u32 v90, v118, v90, v116
	v_mul_lo_u32 v116, 0x1010101, v5
	s_delay_alu instid0(VALU_DEP_1) | instskip(SKIP_1) | instid1(VALU_DEP_2)
	v_bfe_i32 v5, v116, 0, 8
	v_bfe_i32 v118, v116, 8, 8
	v_mul_i32_i24_e32 v5, v6, v5
	s_delay_alu instid0(VALU_DEP_2) | instskip(NEXT) | instid1(VALU_DEP_1)
	v_mul_i32_i24_e32 v118, v91, v118
	v_add3_u32 v100, v100, v5, v118
	v_lshrrev_b16 v5, 8, v105
	s_delay_alu instid0(VALU_DEP_1) | instskip(NEXT) | instid1(VALU_DEP_1)
	v_and_b32_e32 v118, 0xffff, v5
	v_lshrrev_b32_e32 v5, 4, v118
	s_delay_alu instid0(VALU_DEP_1) | instskip(NEXT) | instid1(VALU_DEP_1)
	v_mul_lo_u32 v119, 0x1010101, v5
	v_bfe_i32 v5, v119, 0, 8
	v_bfe_i32 v123, v119, 8, 8
	s_delay_alu instid0(VALU_DEP_2) | instskip(NEXT) | instid1(VALU_DEP_2)
	v_mul_i32_i24_e32 v5, v6, v5
	v_mul_i32_i24_e32 v123, v91, v123
	s_delay_alu instid0(VALU_DEP_1) | instskip(SKIP_1) | instid1(VALU_DEP_1)
	v_add3_u32 v123, v128, v5, v123
	v_lshrrev_b16 v5, 8, v131
	v_and_b32_e32 v125, 0xffff, v5
	s_delay_alu instid0(VALU_DEP_1) | instskip(NEXT) | instid1(VALU_DEP_1)
	v_lshrrev_b32_e32 v5, 4, v125
	v_mul_lo_u32 v127, 0x1010101, v5
	s_delay_alu instid0(VALU_DEP_1) | instskip(SKIP_1) | instid1(VALU_DEP_2)
	v_bfe_i32 v5, v127, 0, 8
	v_bfe_i32 v128, v127, 8, 8
	v_mul_i32_i24_e32 v5, v6, v5
	s_delay_alu instid0(VALU_DEP_2) | instskip(NEXT) | instid1(VALU_DEP_1)
	v_mul_i32_i24_e32 v128, v91, v128
	v_add3_u32 v128, v132, v5, v128
	v_add_nc_u32_e32 v5, v88, v87
	s_delay_alu instid0(VALU_DEP_1) | instskip(SKIP_1) | instid1(VALU_DEP_1)
	v_add3_u32 v87, v5, v79, v72
	v_lshrrev_b16 v5, 8, v124
	v_and_b32_e32 v88, 0xffff, v5
	v_bfe_u32 v5, v124, 4, 4
	s_delay_alu instid0(VALU_DEP_1) | instskip(NEXT) | instid1(VALU_DEP_3)
	v_mul_lo_u32 v132, 0x1010101, v5
	v_lshrrev_b32_e32 v5, 4, v88
	s_delay_alu instid0(VALU_DEP_1) | instskip(NEXT) | instid1(VALU_DEP_3)
	v_mul_lo_u32 v133, 0x1010101, v5
	v_lshrrev_b32_e32 v134, 24, v132
	s_delay_alu instid0(VALU_DEP_2) | instskip(NEXT) | instid1(VALU_DEP_1)
	v_lshrrev_b32_e32 v5, 24, v133
	v_mul_i32_i24_e32 v5, v87, v5
	s_delay_alu instid0(VALU_DEP_1) | instskip(SKIP_2) | instid1(VALU_DEP_2)
	v_mad_i32_i24 v129, v129, v134, v5
	v_add_nc_u32_e32 v5, v86, v85
	v_bfe_i32 v86, v132, 16, 8
	v_add3_u32 v85, v5, v80, v73
	v_bfe_i32 v5, v133, 16, 8
	s_delay_alu instid0(VALU_DEP_1) | instskip(NEXT) | instid1(VALU_DEP_1)
	v_mul_i32_i24_e32 v5, v85, v5
	v_mad_i32_i24 v86, v130, v86, v5
	v_bfe_i32 v5, v133, 0, 8
	s_delay_alu instid0(VALU_DEP_1) | instskip(SKIP_1) | instid1(VALU_DEP_1)
	v_mul_i32_i24_e32 v5, v6, v5
	v_bfe_i32 v6, v132, 0, 8
	v_mad_i32_i24 v96, v96, v6, v5
	v_bfe_u32 v5, v3, 16, 2
	v_bfe_u32 v3, v3, 24, 2
	;; [unrolled: 1-line block ×3, first 2 shown]
	s_delay_alu instid0(VALU_DEP_3) | instskip(NEXT) | instid1(VALU_DEP_3)
	v_mul_i32_i24_e32 v5, v5, v78
	v_mul_i32_i24_e32 v3, v3, v77
	s_delay_alu instid0(VALU_DEP_3) | instskip(NEXT) | instid1(VALU_DEP_2)
	v_mul_i32_i24_e32 v6, v6, v79
	v_add3_u32 v3, v101, v5, v3
	v_bfe_u32 v5, v93, 16, 2
	s_delay_alu instid0(VALU_DEP_1) | instskip(NEXT) | instid1(VALU_DEP_1)
	v_mul_i32_i24_e32 v5, v5, v80
	v_add3_u32 v93, v104, v5, v6
	v_bfe_u32 v5, v126, 24, 2
	v_bfe_u32 v6, v102, 8, 2
	v_ashrrev_i32_e32 v104, s20, v109
	s_delay_alu instid0(VALU_DEP_3) | instskip(NEXT) | instid1(VALU_DEP_3)
	v_mul_i32_i24_e32 v5, v81, v5
	v_mul_i32_i24_e32 v6, v6, v97
	s_delay_alu instid0(VALU_DEP_1) | instskip(NEXT) | instid1(VALU_DEP_4)
	v_add3_u32 v101, v122, v5, v6
	v_and_b32_e32 v5, 3, v104
	v_bfe_u32 v6, v104, 8, 2
	s_delay_alu instid0(VALU_DEP_2) | instskip(NEXT) | instid1(VALU_DEP_2)
	v_mul_i32_i24_e32 v5, v5, v83
	v_mul_i32_i24_e32 v6, v6, v82
	s_delay_alu instid0(VALU_DEP_1) | instskip(SKIP_2) | instid1(VALU_DEP_2)
	v_add3_u32 v108, v108, v5, v6
	v_bfe_u32 v5, v111, 24, 2
	v_bfe_u32 v6, v113, 8, 2
	v_mul_i32_i24_e32 v5, v81, v5
	s_delay_alu instid0(VALU_DEP_2) | instskip(NEXT) | instid1(VALU_DEP_1)
	v_mul_i32_i24_e32 v6, v6, v97
	v_add3_u32 v109, v112, v5, v6
	v_add_nc_u32_e32 v5, 0x2118, v84
	ds_load_2addr_b32 v[5:6], v5 offset1:1
	s_wait_dscnt 0x0
	v_ashrrev_i32_e32 v5, s20, v5
	v_ashrrev_i32_e32 v6, s20, v6
	s_delay_alu instid0(VALU_DEP_2) | instskip(SKIP_1) | instid1(VALU_DEP_2)
	v_and_b32_e32 v84, 3, v5
	v_bfe_u32 v111, v5, 8, 2
	v_mul_i32_i24_e32 v84, v84, v83
	s_delay_alu instid0(VALU_DEP_2) | instskip(NEXT) | instid1(VALU_DEP_1)
	v_mul_i32_i24_e32 v111, v111, v82
	v_add3_u32 v84, v115, v84, v111
	v_bfe_u32 v111, v117, 24, 2
	s_delay_alu instid0(VALU_DEP_1) | instskip(SKIP_1) | instid1(VALU_DEP_1)
	v_mul_i32_i24_e32 v81, v81, v111
	v_bfe_u32 v111, v106, 8, 2
	v_mul_i32_i24_e32 v97, v111, v97
	s_delay_alu instid0(VALU_DEP_1) | instskip(SKIP_1) | instid1(VALU_DEP_1)
	v_add3_u32 v81, v89, v81, v97
	v_ashrrev_i32_e32 v89, s20, v120
	v_and_b32_e32 v97, 3, v89
	s_delay_alu instid0(VALU_DEP_1) | instskip(SKIP_1) | instid1(VALU_DEP_1)
	v_mul_i32_i24_e32 v83, v97, v83
	v_bfe_u32 v97, v89, 8, 2
	v_mul_i32_i24_e32 v82, v97, v82
	v_bfe_i32 v97, v119, 16, 8
	s_delay_alu instid0(VALU_DEP_2) | instskip(SKIP_2) | instid1(VALU_DEP_4)
	v_add3_u32 v82, v90, v83, v82
	v_lshrrev_b32_e32 v83, 24, v116
	v_bfe_i32 v90, v116, 16, 8
	v_mul_i32_i24_e32 v97, v85, v97
	s_delay_alu instid0(VALU_DEP_3) | instskip(NEXT) | instid1(VALU_DEP_3)
	v_mul_i32_i24_e32 v83, v87, v83
	v_mul_i32_i24_e32 v90, v85, v90
	s_delay_alu instid0(VALU_DEP_1) | instskip(SKIP_2) | instid1(VALU_DEP_2)
	v_add3_u32 v83, v100, v90, v83
	v_lshrrev_b32_e32 v90, 24, v119
	v_bfe_u32 v100, v113, 24, 2
	v_mul_i32_i24_e32 v90, v87, v90
	s_delay_alu instid0(VALU_DEP_2) | instskip(NEXT) | instid1(VALU_DEP_2)
	v_mul_i32_i24_e32 v100, v100, v77
	v_add3_u32 v90, v123, v97, v90
	v_lshrrev_b32_e32 v97, 24, v127
	s_delay_alu instid0(VALU_DEP_1) | instskip(SKIP_1) | instid1(VALU_DEP_1)
	v_mul_i32_i24_e32 v87, v87, v97
	v_bfe_i32 v97, v127, 16, 8
	v_mul_i32_i24_e32 v85, v85, v97
	v_bfe_u32 v97, v104, 24, 2
	s_delay_alu instid0(VALU_DEP_2) | instskip(SKIP_1) | instid1(VALU_DEP_3)
	v_add3_u32 v85, v128, v85, v87
	v_lshrrev_b16 v87, 8, v132
	v_mul_i32_i24_e32 v97, v97, v79
	s_delay_alu instid0(VALU_DEP_2) | instskip(NEXT) | instid1(VALU_DEP_1)
	v_bfe_i32 v87, v87, 0, 8
	v_mul_i32_i24_e32 v87, v95, v87
	v_bfe_i32 v95, v133, 8, 8
	s_delay_alu instid0(VALU_DEP_1) | instskip(SKIP_1) | instid1(VALU_DEP_2)
	v_mul_i32_i24_e32 v91, v91, v95
	v_bfe_u32 v95, v4, 8, 2
	v_add3_u32 v87, v87, v91, v129
	v_and_b32_e32 v91, 3, v4
	s_delay_alu instid0(VALU_DEP_3) | instskip(NEXT) | instid1(VALU_DEP_2)
	v_mul_i32_i24_e32 v95, v95, v99
	v_mul_i32_i24_e32 v91, v91, v74
	s_delay_alu instid0(VALU_DEP_1) | instskip(SKIP_1) | instid1(VALU_DEP_1)
	v_add3_u32 v3, v3, v91, v95
	v_ashrrev_i32_e32 v91, s20, v94
	v_and_b32_e32 v94, 3, v91
	v_bfe_u32 v95, v91, 8, 2
	s_delay_alu instid0(VALU_DEP_2) | instskip(NEXT) | instid1(VALU_DEP_2)
	v_mul_i32_i24_e32 v94, v94, v76
	v_mul_i32_i24_e32 v95, v95, v75
	s_delay_alu instid0(VALU_DEP_1) | instskip(SKIP_2) | instid1(VALU_DEP_2)
	v_add3_u32 v93, v93, v94, v95
	v_bfe_u32 v94, v102, 16, 2
	v_bfe_u32 v95, v102, 24, 2
	v_mul_i32_i24_e32 v94, v94, v78
	s_delay_alu instid0(VALU_DEP_2) | instskip(NEXT) | instid1(VALU_DEP_1)
	v_mul_i32_i24_e32 v95, v95, v77
	v_add3_u32 v94, v101, v94, v95
	v_bfe_u32 v95, v104, 16, 2
	s_delay_alu instid0(VALU_DEP_1) | instskip(NEXT) | instid1(VALU_DEP_1)
	v_mul_i32_i24_e32 v95, v95, v80
	v_add3_u32 v95, v108, v95, v97
	v_bfe_u32 v97, v113, 16, 2
	s_delay_alu instid0(VALU_DEP_1) | instskip(NEXT) | instid1(VALU_DEP_1)
	v_mul_i32_i24_e32 v97, v97, v78
	v_add3_u32 v97, v109, v97, v100
	v_bfe_u32 v100, v5, 16, 2
	v_bfe_u32 v5, v5, 24, 2
	s_delay_alu instid0(VALU_DEP_2) | instskip(NEXT) | instid1(VALU_DEP_2)
	v_mul_i32_i24_e32 v100, v100, v80
	v_mul_i32_i24_e32 v5, v5, v79
	s_delay_alu instid0(VALU_DEP_1) | instskip(SKIP_1) | instid1(VALU_DEP_1)
	v_add3_u32 v5, v84, v100, v5
	v_bfe_u32 v84, v106, 16, 2
	v_mul_i32_i24_e32 v78, v84, v78
	v_bfe_u32 v84, v106, 24, 2
	s_delay_alu instid0(VALU_DEP_1) | instskip(NEXT) | instid1(VALU_DEP_1)
	v_mul_i32_i24_e32 v77, v84, v77
	v_add3_u32 v77, v81, v78, v77
	v_bfe_u32 v78, v89, 16, 2
	s_delay_alu instid0(VALU_DEP_1) | instskip(SKIP_1) | instid1(VALU_DEP_1)
	v_mul_i32_i24_e32 v78, v78, v80
	v_bfe_u32 v80, v89, 24, 2
	v_mul_i32_i24_e32 v79, v80, v79
	v_bfe_u32 v80, v4, 16, 2
	v_bfe_u32 v4, v4, 24, 2
	s_delay_alu instid0(VALU_DEP_3) | instskip(NEXT) | instid1(VALU_DEP_3)
	v_add3_u32 v78, v82, v78, v79
	v_mul_i32_i24_e32 v80, v80, v10
	s_delay_alu instid0(VALU_DEP_3) | instskip(SKIP_1) | instid1(VALU_DEP_2)
	v_mul_i32_i24_e32 v4, v4, v9
	v_add3_u32 v79, v96, v86, v87
	v_add3_u32 v3, v3, v80, v4
	v_bfe_u32 v4, v91, 16, 2
	v_bfe_u32 v80, v91, 24, 2
	;; [unrolled: 1-line block ×3, first 2 shown]
	v_cvt_f32_i32_e32 v79, v79
	s_delay_alu instid0(VALU_DEP_4) | instskip(NEXT) | instid1(VALU_DEP_4)
	v_mul_i32_i24_e32 v4, v4, v73
	v_mul_i32_i24_e32 v80, v80, v72
	s_delay_alu instid0(VALU_DEP_4) | instskip(NEXT) | instid1(VALU_DEP_2)
	v_mul_i32_i24_e32 v91, v91, v75
	v_add3_u32 v4, v93, v4, v80
	v_ashrrev_i32_e32 v80, s20, v103
	s_delay_alu instid0(VALU_DEP_1) | instskip(SKIP_1) | instid1(VALU_DEP_2)
	v_and_b32_e32 v81, 3, v80
	v_bfe_u32 v82, v80, 8, 2
	v_mul_i32_i24_e32 v81, v81, v74
	s_delay_alu instid0(VALU_DEP_2) | instskip(NEXT) | instid1(VALU_DEP_1)
	v_mul_i32_i24_e32 v82, v82, v99
	v_add3_u32 v81, v94, v81, v82
	v_ashrrev_i32_e32 v82, s20, v110
	s_delay_alu instid0(VALU_DEP_1) | instskip(SKIP_1) | instid1(VALU_DEP_2)
	v_and_b32_e32 v84, 3, v82
	v_bfe_u32 v86, v82, 8, 2
	v_mul_i32_i24_e32 v84, v84, v76
	s_delay_alu instid0(VALU_DEP_2) | instskip(NEXT) | instid1(VALU_DEP_1)
	;; [unrolled: 8-line block ×3, first 2 shown]
	v_mul_i32_i24_e32 v89, v89, v99
	v_add3_u32 v87, v97, v87, v89
	v_and_b32_e32 v89, 3, v6
	s_delay_alu instid0(VALU_DEP_1) | instskip(NEXT) | instid1(VALU_DEP_1)
	v_mul_i32_i24_e32 v89, v89, v76
	v_add3_u32 v5, v5, v89, v91
	v_ashrrev_i32_e32 v89, s20, v107
	s_delay_alu instid0(VALU_DEP_1) | instskip(NEXT) | instid1(VALU_DEP_1)
	v_and_b32_e32 v91, 3, v89
	v_mul_i32_i24_e32 v74, v91, v74
	v_bfe_u32 v91, v89, 8, 2
	s_delay_alu instid0(VALU_DEP_1) | instskip(NEXT) | instid1(VALU_DEP_1)
	v_mul_i32_i24_e32 v91, v91, v99
	v_add3_u32 v74, v77, v74, v91
	v_ashrrev_i32_e32 v77, s20, v121
	s_lshr_b32 s20, s1, 2
	s_wait_alu 0xfffe
	s_and_b32 s20, s20, 0x3ffffffc
	s_delay_alu instid0(VALU_DEP_1) | instskip(SKIP_2) | instid1(VALU_DEP_1)
	v_and_b32_e32 v91, 3, v77
	s_wait_alu 0xfffe
	s_addk_co_i32 s20, 0x5280
	v_mul_i32_i24_e32 v76, v91, v76
	v_bfe_u32 v91, v77, 8, 2
	s_delay_alu instid0(VALU_DEP_1) | instskip(NEXT) | instid1(VALU_DEP_1)
	v_mul_i32_i24_e32 v75, v91, v75
	v_add3_u32 v75, v78, v76, v75
	v_bfe_u32 v76, v80, 16, 2
	v_bfe_u32 v78, v80, 24, 2
	;; [unrolled: 1-line block ×3, first 2 shown]
	s_delay_alu instid0(VALU_DEP_3) | instskip(NEXT) | instid1(VALU_DEP_3)
	v_mul_i32_i24_e32 v76, v76, v10
	v_mul_i32_i24_e32 v78, v78, v9
	s_delay_alu instid0(VALU_DEP_3) | instskip(NEXT) | instid1(VALU_DEP_2)
	v_mul_i32_i24_e32 v80, v80, v72
	v_add3_u32 v76, v81, v76, v78
	v_bfe_u32 v78, v82, 16, 2
	v_bfe_u32 v81, v86, 24, 2
	v_and_b32_e32 v82, 15, v124
	s_delay_alu instid0(VALU_DEP_3) | instskip(NEXT) | instid1(VALU_DEP_3)
	v_mul_i32_i24_e32 v78, v78, v73
	v_mul_i32_i24_e32 v81, v81, v9
	s_delay_alu instid0(VALU_DEP_2) | instskip(SKIP_2) | instid1(VALU_DEP_2)
	v_add3_u32 v78, v84, v78, v80
	v_bfe_u32 v80, v86, 16, 2
	v_and_b32_e32 v84, 15, v125
	v_mul_i32_i24_e32 v80, v80, v10
	s_delay_alu instid0(VALU_DEP_1) | instskip(SKIP_2) | instid1(VALU_DEP_2)
	v_add3_u32 v80, v87, v80, v81
	v_bfe_u32 v81, v6, 16, 2
	v_bfe_u32 v6, v6, 24, 2
	v_mul_i32_i24_e32 v81, v81, v73
	s_delay_alu instid0(VALU_DEP_2) | instskip(NEXT) | instid1(VALU_DEP_1)
	v_mul_i32_i24_e32 v6, v6, v72
	v_add3_u32 v6, v5, v81, v6
	v_bfe_u32 v5, v89, 16, 2
	s_delay_alu instid0(VALU_DEP_1) | instskip(SKIP_1) | instid1(VALU_DEP_1)
	v_mul_i32_i24_e32 v5, v5, v10
	v_bfe_u32 v10, v89, 24, 2
	v_mul_i32_i24_e32 v9, v10, v9
	s_wait_alu 0xfffe
	v_add3_u32 v10, s20, v63, v64
	s_delay_alu instid0(VALU_DEP_2) | instskip(SKIP_1) | instid1(VALU_DEP_1)
	v_add3_u32 v9, v74, v5, v9
	v_bfe_u32 v5, v77, 16, 2
	v_mul_i32_i24_e32 v5, v5, v73
	v_bfe_u32 v73, v77, 24, 2
	v_and_b32_e32 v77, 15, v92
	s_delay_alu instid0(VALU_DEP_2)
	v_mul_i32_i24_e32 v72, v73, v72
	v_add3_u32 v73, s20, v67, v68
	ds_load_b32 v74, v10
	ds_load_b32 v73, v73
	v_add3_u32 v10, v75, v5, v72
	v_add3_u32 v5, s20, v69, v70
	;; [unrolled: 1-line block ×3, first 2 shown]
	ds_load_b32 v75, v5
	ds_load_b32 v72, v72
	v_and_b32_e32 v5, 15, v98
	s_add_co_i32 s20, s1, 2
	s_cmp_lt_u32 s1, 22
	s_wait_alu 0xfffe
	s_mov_b32 s1, s20
	v_mul_lo_u32 v3, v3, v5
	v_and_b32_e32 v5, 15, v118
	s_delay_alu instid0(VALU_DEP_2)
	v_mad_co_u64_u32 v[3:4], null, v4, v77, v[3:4]
	v_and_b32_e32 v4, 15, v105
	ds_load_b32 v77, v8
	v_add_nc_u32_e32 v8, 4, v8
	s_wait_dscnt 0x1
	v_lshrrev_b32_e32 v81, 16, v72
	v_mul_lo_u32 v4, v76, v4
	v_lshrrev_b32_e32 v76, 16, v75
	v_cvt_f32_i32_e32 v3, v3
	s_delay_alu instid0(VALU_DEP_4) | instskip(NEXT) | instid1(VALU_DEP_3)
	v_cvt_f32_f16_e32 v81, v81
	v_cvt_f32_f16_e32 v76, v76
	v_mad_co_u64_u32 v[4:5], null, v78, v5, v[4:5]
	v_and_b32_e32 v5, 15, v131
	v_lshrrev_b32_e32 v78, 16, v74
	s_delay_alu instid0(VALU_DEP_4) | instskip(NEXT) | instid1(VALU_DEP_3)
	v_mul_f32_e32 v76, v76, v79
	v_mul_lo_u32 v5, v80, v5
	v_lshrrev_b32_e32 v80, 16, v73
	s_delay_alu instid0(VALU_DEP_4) | instskip(SKIP_1) | instid1(VALU_DEP_3)
	v_cvt_f32_f16_e32 v78, v78
	v_cvt_f32_i32_e32 v4, v4
	v_cvt_f32_f16_e32 v80, v80
	v_mad_co_u64_u32 v[5:6], null, v6, v84, v[5:6]
	v_mul_lo_u32 v6, v9, v82
	v_and_b32_e32 v9, 15, v88
	v_cvt_f32_i32_e32 v82, v83
	v_cvt_f32_i32_e32 v83, v90
	;; [unrolled: 1-line block ×4, first 2 shown]
	v_mad_co_u64_u32 v[9:10], null, v10, v9, v[6:7]
	v_mul_f32_e32 v6, v78, v82
	v_mul_f32_e32 v10, v81, v83
	v_dual_mul_f32 v78, v80, v84 :: v_dual_add_nc_u32 v7, 32, v7
	s_delay_alu instid0(VALU_DEP_3) | instskip(SKIP_1) | instid1(VALU_DEP_4)
	v_fma_mix_f32 v3, v74, v3, -v6 op_sel_hi:[1,0,0]
	v_cvt_f32_i32_e32 v9, v9
	v_fma_mix_f32 v4, v72, v4, -v10 op_sel_hi:[1,0,0]
	s_delay_alu instid0(VALU_DEP_4)
	v_fma_mix_f32 v5, v73, v5, -v78 op_sel_hi:[1,0,0]
	s_wait_dscnt 0x0
	v_fmac_f32_e32 v13, v77, v3
	v_fma_mix_f32 v6, v75, v9, -v76 op_sel_hi:[1,0,0]
	v_fmac_f32_e32 v48, v77, v4
	v_fmac_f32_e32 v43, v77, v5
	s_delay_alu instid0(VALU_DEP_3)
	v_fmac_f32_e32 v2, v77, v6
	s_cbranch_scc1 .LBB207_27
; %bb.28:                               ;   in Loop: Header=BB207_5 Depth=1
	s_or_b32 s1, s16, 0x180
	s_wait_loadcnt 0x0
	s_wait_alu 0xfffe
	s_cmp_ge_i32 s1, s11
	s_barrier_signal -1
	s_barrier_wait -1
	global_inv scope:SCOPE_SE
	s_cbranch_scc1 .LBB207_4
; %bb.29:                               ;   in Loop: Header=BB207_5 Depth=1
	v_add_nc_u32_e32 v3, s17, v51
	s_delay_alu instid0(VALU_DEP_1)
	v_cmp_gt_i32_e64 s1, s5, v3
	s_and_b32 s16, s0, s1
	s_wait_alu 0xfffe
	s_and_saveexec_b32 s1, s16
	s_cbranch_execz .LBB207_31
; %bb.30:                               ;   in Loop: Header=BB207_5 Depth=1
	v_add_nc_u32_e32 v3, v52, v3
	s_delay_alu instid0(VALU_DEP_1)
	v_mad_co_i64_i32 v[3:4], null, v3, 36, v[0:1]
	global_load_b32 v3, v[3:4], off offset:4
	s_wait_loadcnt 0x0
	ds_store_b32 v45, v3
.LBB207_31:                             ;   in Loop: Header=BB207_5 Depth=1
	s_wait_alu 0xfffe
	s_or_b32 exec_lo, exec_lo, s1
	s_and_saveexec_b32 s16, vcc_lo
	s_cbranch_execz .LBB207_34
; %bb.32:                               ;   in Loop: Header=BB207_5 Depth=1
	v_or_b32_e32 v3, 12, v71
	s_delay_alu instid0(VALU_DEP_1)
	v_cmp_gt_i32_e64 s1, s5, v3
	s_and_b32 s1, s0, s1
	s_wait_alu 0xfffe
	s_and_b32 exec_lo, exec_lo, s1
	s_cbranch_execz .LBB207_34
; %bb.33:                               ;   in Loop: Header=BB207_5 Depth=1
	v_ashrrev_i32_e32 v3, 31, v71
	v_add_co_u32 v4, s1, v52, v71
	s_wait_alu 0xf1ff
	s_delay_alu instid0(VALU_DEP_2) | instskip(NEXT) | instid1(VALU_DEP_2)
	v_add_co_ci_u32_e64 v5, null, v55, v3, s1
	v_mad_co_u64_u32 v[3:4], null, v4, 36, s[2:3]
	s_delay_alu instid0(VALU_DEP_1)
	v_mad_i32_i24 v4, v5, 36, v4
	global_load_b32 v3, v[3:4], off offset:432
	s_wait_loadcnt 0x0
	v_cvt_f32_f16_e32 v3, v3
	ds_store_b32 v47, v3
.LBB207_34:                             ;   in Loop: Header=BB207_5 Depth=1
	s_wait_alu 0xfffe
	s_or_b32 exec_lo, exec_lo, s16
	v_dual_mov_b32 v7, v44 :: v_dual_mov_b32 v8, v46
	s_mov_b32 s1, 24
	s_wait_loadcnt_dscnt 0x0
	s_barrier_signal -1
	s_barrier_wait -1
	global_inv scope:SCOPE_SE
.LBB207_35:                             ;   Parent Loop BB207_5 Depth=1
                                        ; =>  This Inner Loop Header: Depth=2
	ds_load_b128 v[3:6], v7
	ds_load_b128 v[101:104], v7 offset:16
	s_wait_alu 0xfffe
	s_and_b32 s17, s1, 0x3ffffff8
	s_sub_co_i32 s16, s1, 24
	s_wait_alu 0xfffe
	v_lshl_add_u32 v83, s17, 2, v53
	s_and_b32 s17, s1, -16
	s_wait_alu 0xfffe
	s_add_co_i32 s17, s1, s17
	s_delay_alu instid0(VALU_DEP_1)
	v_add_nc_u32_e32 v108, 0x1098, v83
	v_add_nc_u32_e32 v112, 0x2108, v83
	;; [unrolled: 1-line block ×3, first 2 shown]
	s_wait_dscnt 0x1
	v_ashrrev_i32_e32 v80, 24, v3
	v_bfe_i32 v94, v4, 8, 8
	v_bfe_i32 v95, v3, 0, 8
	;; [unrolled: 1-line block ×3, first 2 shown]
	v_ashrrev_i32_e32 v92, 24, v4
	v_bfe_i32 v89, v3, 8, 8
	v_bfe_i32 v97, v4, 0, 8
	;; [unrolled: 1-line block ×3, first 2 shown]
	v_lshrrev_b16 v96, 8, v5
	v_ashrrev_i32_e32 v76, 24, v5
	v_bfe_i32 v77, v5, 16, 8
	v_bfe_i32 v99, v5, 0, 8
	v_lshrrev_b16 v98, 8, v6
	v_ashrrev_i32_e32 v9, 24, v6
	v_bfe_i32 v10, v6, 16, 8
	v_bfe_i32 v73, v6, 0, 8
	s_wait_dscnt 0x0
	v_ashrrev_i32_e32 v78, 24, v103
	v_bfe_i32 v79, v103, 16, 8
	v_bfe_i32 v82, v103, 0, 8
	;; [unrolled: 1-line block ×3, first 2 shown]
	v_ashrrev_i32_e32 v71, 24, v104
	v_bfe_i32 v72, v104, 16, 8
	v_bfe_i32 v75, v104, 0, 8
	;; [unrolled: 1-line block ×3, first 2 shown]
	ds_load_2addr_b32 v[5:6], v83 offset1:1
	ds_load_2addr_b32 v[3:4], v83 offset0:2 offset1:3
	ds_load_2addr_b32 v[103:104], v83 offset0:4 offset1:5
	v_lshrrev_b16 v100, 8, v101
	v_ashrrev_i32_e32 v86, 24, v101
	v_bfe_i32 v90, v101, 0, 8
	v_bfe_i32 v84, v101, 16, 8
	v_lshrrev_b16 v101, 8, v102
	v_ashrrev_i32_e32 v87, 24, v102
	v_bfe_i32 v91, v102, 0, 8
	v_bfe_i32 v85, v102, 16, 8
	;; [unrolled: 1-line block ×4, first 2 shown]
	s_wait_dscnt 0x2
	v_ashrrev_i32_e32 v6, s16, v6
	s_wait_dscnt 0x1
	v_ashrrev_i32_e32 v3, s16, v3
	v_ashrrev_i32_e32 v4, s16, v4
	s_delay_alu instid0(VALU_DEP_3) | instskip(SKIP_1) | instid1(VALU_DEP_2)
	v_and_b32_e32 v102, 3, v6
	v_bfe_u32 v105, v6, 8, 2
	v_mul_i32_i24_e32 v102, v102, v97
	s_delay_alu instid0(VALU_DEP_1) | instskip(SKIP_2) | instid1(VALU_DEP_2)
	v_mad_i32_i24 v102, v105, v94, v102
	v_bfe_u32 v105, v6, 16, 2
	v_bfe_u32 v6, v6, 24, 2
	v_mul_i32_i24_e32 v105, v105, v93
	s_delay_alu instid0(VALU_DEP_2) | instskip(NEXT) | instid1(VALU_DEP_1)
	v_mul_i32_i24_e32 v6, v6, v92
	v_add3_u32 v102, v102, v105, v6
	v_bfe_i32 v6, v100, 0, 8
	s_wait_dscnt 0x0
	v_ashrrev_i32_e32 v100, s16, v103
	s_delay_alu instid0(VALU_DEP_1) | instskip(SKIP_1) | instid1(VALU_DEP_2)
	v_and_b32_e32 v103, 3, v100
	v_bfe_u32 v105, v100, 8, 2
	v_mul_i32_i24_e32 v103, v103, v90
	s_delay_alu instid0(VALU_DEP_1) | instskip(SKIP_2) | instid1(VALU_DEP_2)
	v_mad_i32_i24 v103, v105, v6, v103
	v_bfe_u32 v105, v100, 16, 2
	v_bfe_u32 v100, v100, 24, 2
	v_mul_i32_i24_e32 v105, v105, v84
	s_delay_alu instid0(VALU_DEP_2) | instskip(NEXT) | instid1(VALU_DEP_1)
	v_mul_i32_i24_e32 v100, v100, v86
	v_add3_u32 v105, v103, v105, v100
	v_ashrrev_i32_e32 v100, s16, v5
	v_and_b32_e32 v103, 3, v3
	s_delay_alu instid0(VALU_DEP_2) | instskip(NEXT) | instid1(VALU_DEP_2)
	v_and_b32_e32 v5, 3, v100
	v_mul_i32_i24_e32 v103, v103, v99
	s_delay_alu instid0(VALU_DEP_2) | instskip(NEXT) | instid1(VALU_DEP_1)
	v_mul_i32_i24_e32 v5, v95, v5
	v_add3_u32 v103, v102, v103, v5
	v_ashrrev_i32_e32 v102, s16, v104
	v_bfe_i32 v5, v101, 0, 8
	s_delay_alu instid0(VALU_DEP_2) | instskip(SKIP_1) | instid1(VALU_DEP_2)
	v_and_b32_e32 v101, 3, v102
	v_bfe_u32 v104, v102, 8, 2
	v_mul_i32_i24_e32 v101, v101, v91
	s_delay_alu instid0(VALU_DEP_2) | instskip(NEXT) | instid1(VALU_DEP_1)
	v_mul_i32_i24_e32 v104, v104, v5
	v_add3_u32 v101, v105, v101, v104
	v_add_nc_u32_e32 v104, 0x1080, v83
	ds_load_2addr_b32 v[105:106], v104 offset1:1
	s_wait_dscnt 0x0
	v_ashrrev_i32_e32 v104, s16, v106
	s_delay_alu instid0(VALU_DEP_1) | instskip(SKIP_1) | instid1(VALU_DEP_2)
	v_and_b32_e32 v106, 3, v104
	v_bfe_u32 v107, v104, 8, 2
	v_mul_i32_i24_e32 v106, v106, v97
	s_delay_alu instid0(VALU_DEP_1) | instskip(SKIP_2) | instid1(VALU_DEP_2)
	v_mad_i32_i24 v106, v107, v94, v106
	v_bfe_u32 v107, v104, 16, 2
	v_bfe_u32 v104, v104, 24, 2
	v_mul_i32_i24_e32 v107, v107, v93
	s_delay_alu instid0(VALU_DEP_2) | instskip(NEXT) | instid1(VALU_DEP_1)
	v_mul_i32_i24_e32 v104, v104, v92
	v_add3_u32 v121, v106, v107, v104
	s_wait_alu 0xfffe
	v_add_nc_u32_e32 v104, s17, v57
	v_add_nc_u32_e32 v106, 0x1090, v83
	ds_load_u16 v104, v104 offset:17904
	ds_load_2addr_b32 v[106:107], v106 offset1:1
	ds_load_2addr_b32 v[108:109], v108 offset1:1
	s_wait_dscnt 0x1
	v_ashrrev_i32_e32 v106, s16, v106
	v_ashrrev_i32_e32 v107, s16, v107
	s_delay_alu instid0(VALU_DEP_2) | instskip(SKIP_1) | instid1(VALU_DEP_2)
	v_and_b32_e32 v110, 3, v106
	v_bfe_u32 v111, v106, 8, 2
	v_mul_i32_i24_e32 v110, v110, v90
	s_delay_alu instid0(VALU_DEP_1) | instskip(SKIP_2) | instid1(VALU_DEP_2)
	v_mad_i32_i24 v110, v111, v6, v110
	v_bfe_u32 v111, v106, 16, 2
	v_bfe_u32 v106, v106, 24, 2
	v_mul_i32_i24_e32 v111, v111, v84
	s_delay_alu instid0(VALU_DEP_2) | instskip(NEXT) | instid1(VALU_DEP_1)
	v_mul_i32_i24_e32 v106, v106, v86
	v_add3_u32 v106, v110, v111, v106
	v_add_nc_u32_e32 v110, 0x2100, v83
	ds_load_2addr_b32 v[110:111], v110 offset1:1
	ds_load_2addr_b32 v[112:113], v112 offset1:1
	ds_load_2addr_b32 v[114:115], v114 offset1:1
	s_wait_dscnt 0x2
	v_ashrrev_i32_e32 v111, s16, v111
	v_ashrrev_i32_e32 v110, s16, v110
	s_wait_dscnt 0x0
	v_ashrrev_i32_e32 v114, s16, v114
	v_ashrrev_i32_e32 v112, s16, v112
	;; [unrolled: 1-line block ×3, first 2 shown]
	v_and_b32_e32 v116, 3, v111
	v_bfe_u32 v117, v111, 8, 2
	s_delay_alu instid0(VALU_DEP_2) | instskip(NEXT) | instid1(VALU_DEP_1)
	v_mul_i32_i24_e32 v116, v116, v97
	v_mad_i32_i24 v116, v117, v94, v116
	v_bfe_u32 v117, v111, 16, 2
	v_bfe_u32 v111, v111, 24, 2
	s_delay_alu instid0(VALU_DEP_2) | instskip(NEXT) | instid1(VALU_DEP_2)
	v_mul_i32_i24_e32 v117, v117, v93
	v_mul_i32_i24_e32 v111, v111, v92
	s_delay_alu instid0(VALU_DEP_1) | instskip(SKIP_2) | instid1(VALU_DEP_2)
	v_add3_u32 v111, v116, v117, v111
	v_and_b32_e32 v116, 3, v114
	v_bfe_u32 v117, v114, 8, 2
	v_mul_i32_i24_e32 v116, v116, v90
	s_delay_alu instid0(VALU_DEP_1) | instskip(SKIP_2) | instid1(VALU_DEP_2)
	v_mad_i32_i24 v116, v117, v6, v116
	v_bfe_u32 v117, v114, 16, 2
	v_bfe_u32 v114, v114, 24, 2
	v_mul_i32_i24_e32 v117, v117, v84
	s_delay_alu instid0(VALU_DEP_2) | instskip(NEXT) | instid1(VALU_DEP_1)
	v_mul_i32_i24_e32 v114, v114, v86
	v_add3_u32 v114, v116, v117, v114
	v_add_nc_u32_e32 v116, 0x3180, v83
	ds_load_2addr_b32 v[116:117], v116 offset1:1
	s_wait_dscnt 0x0
	v_ashrrev_i32_e32 v117, s16, v117
	v_ashrrev_i32_e32 v116, s16, v116
	s_delay_alu instid0(VALU_DEP_2) | instskip(SKIP_1) | instid1(VALU_DEP_2)
	v_and_b32_e32 v118, 3, v117
	v_bfe_u32 v119, v117, 8, 2
	v_mul_i32_i24_e32 v118, v118, v97
	s_delay_alu instid0(VALU_DEP_1) | instskip(SKIP_3) | instid1(VALU_DEP_3)
	v_mad_i32_i24 v118, v119, v94, v118
	v_bfe_u32 v119, v117, 16, 2
	v_bfe_u32 v117, v117, 24, 2
	v_add_nc_u32_e32 v94, v89, v94
	v_mul_i32_i24_e32 v119, v119, v93
	s_delay_alu instid0(VALU_DEP_3) | instskip(NEXT) | instid1(VALU_DEP_3)
	v_mul_i32_i24_e32 v117, v117, v92
	v_add3_u32 v94, v94, v96, v98
	v_add_nc_u32_e32 v92, v92, v80
	v_add_nc_u32_e32 v93, v93, v88
	s_delay_alu instid0(VALU_DEP_4) | instskip(SKIP_2) | instid1(VALU_DEP_4)
	v_add3_u32 v122, v118, v119, v117
	v_add_nc_u32_e32 v117, s17, v56
	v_add_nc_u32_e32 v119, 0x3198, v83
	v_add3_u32 v129, v93, v77, v10
	ds_load_u16 v123, v117 offset:19952
	v_add_nc_u32_e32 v117, 0x3190, v83
	ds_load_2addr_b32 v[117:118], v117 offset1:1
	ds_load_2addr_b32 v[119:120], v119 offset1:1
	s_wait_dscnt 0x1
	v_ashrrev_i32_e32 v117, s16, v117
	v_ashrrev_i32_e32 v118, s16, v118
	s_delay_alu instid0(VALU_DEP_2) | instskip(SKIP_1) | instid1(VALU_DEP_2)
	v_and_b32_e32 v124, 3, v117
	v_bfe_u32 v125, v117, 8, 2
	v_mul_i32_i24_e32 v124, v124, v90
	v_add_nc_u32_e32 v90, v91, v90
	s_delay_alu instid0(VALU_DEP_2) | instskip(SKIP_2) | instid1(VALU_DEP_2)
	v_mad_i32_i24 v124, v125, v6, v124
	v_bfe_u32 v125, v117, 16, 2
	v_bfe_u32 v117, v117, 24, 2
	v_mul_i32_i24_e32 v125, v125, v84
	s_delay_alu instid0(VALU_DEP_2) | instskip(NEXT) | instid1(VALU_DEP_1)
	v_mul_i32_i24_e32 v117, v117, v86
	v_add3_u32 v117, v124, v125, v117
	v_bfe_u32 v124, v100, 8, 2
	v_bfe_u32 v125, v100, 16, 2
	s_delay_alu instid0(VALU_DEP_2) | instskip(NEXT) | instid1(VALU_DEP_2)
	v_mul_i32_i24_e32 v124, v89, v124
	v_mul_i32_i24_e32 v125, v88, v125
	s_delay_alu instid0(VALU_DEP_1) | instskip(SKIP_3) | instid1(VALU_DEP_3)
	v_add3_u32 v103, v103, v124, v125
	v_bfe_u32 v124, v102, 16, 2
	v_bfe_u32 v102, v102, 24, 2
	v_ashrrev_i32_e32 v125, s16, v105
	v_mul_i32_i24_e32 v124, v124, v85
	s_delay_alu instid0(VALU_DEP_3) | instskip(NEXT) | instid1(VALU_DEP_1)
	v_mul_i32_i24_e32 v102, v102, v87
	v_add3_u32 v124, v101, v124, v102
	s_delay_alu instid0(VALU_DEP_4) | instskip(NEXT) | instid1(VALU_DEP_1)
	v_and_b32_e32 v101, 3, v125
	v_mul_i32_i24_e32 v105, v95, v101
	v_add_nc_u32_e32 v101, 0x1088, v83
	ds_load_2addr_b32 v[101:102], v101 offset1:1
	s_wait_dscnt 0x0
	v_ashrrev_i32_e32 v101, s16, v101
	s_delay_alu instid0(VALU_DEP_1) | instskip(NEXT) | instid1(VALU_DEP_1)
	v_and_b32_e32 v126, 3, v101
	v_mul_i32_i24_e32 v126, v126, v99
	s_delay_alu instid0(VALU_DEP_1) | instskip(SKIP_2) | instid1(VALU_DEP_2)
	v_add3_u32 v121, v121, v126, v105
	v_and_b32_e32 v105, 3, v107
	v_bfe_u32 v126, v107, 8, 2
	v_mul_i32_i24_e32 v105, v105, v91
	s_delay_alu instid0(VALU_DEP_2) | instskip(NEXT) | instid1(VALU_DEP_1)
	v_mul_i32_i24_e32 v126, v126, v5
	v_add3_u32 v126, v106, v105, v126
	v_and_b32_e32 v105, 3, v110
	v_and_b32_e32 v106, 3, v112
	s_delay_alu instid0(VALU_DEP_2) | instskip(NEXT) | instid1(VALU_DEP_2)
	v_mul_i32_i24_e32 v105, v95, v105
	v_mul_i32_i24_e32 v106, v106, v99
	s_delay_alu instid0(VALU_DEP_1) | instskip(SKIP_2) | instid1(VALU_DEP_2)
	v_add3_u32 v111, v111, v106, v105
	v_and_b32_e32 v105, 3, v115
	v_bfe_u32 v106, v115, 8, 2
	v_mul_i32_i24_e32 v105, v105, v91
	s_delay_alu instid0(VALU_DEP_2) | instskip(NEXT) | instid1(VALU_DEP_1)
	v_mul_i32_i24_e32 v106, v106, v5
	v_add3_u32 v114, v114, v105, v106
	v_and_b32_e32 v105, 3, v116
	s_delay_alu instid0(VALU_DEP_1)
	v_mul_i32_i24_e32 v127, v95, v105
	v_add_nc_u32_e32 v105, 0x3188, v83
	v_add_nc_u32_e32 v95, v97, v95
	;; [unrolled: 1-line block ×3, first 2 shown]
	ds_load_2addr_b32 v[105:106], v105 offset1:1
	v_add3_u32 v95, v95, v99, v73
	ds_load_u16 v97, v97 offset:16880
	s_wait_dscnt 0x1
	v_ashrrev_i32_e32 v105, s16, v105
	s_delay_alu instid0(VALU_DEP_1) | instskip(NEXT) | instid1(VALU_DEP_1)
	v_and_b32_e32 v128, 3, v105
	v_mul_i32_i24_e32 v128, v128, v99
	s_wait_dscnt 0x0
	v_bfe_u32 v99, v97, 4, 4
	s_delay_alu instid0(VALU_DEP_2) | instskip(SKIP_2) | instid1(VALU_DEP_4)
	v_add3_u32 v122, v122, v128, v127
	v_and_b32_e32 v127, 3, v118
	v_bfe_u32 v128, v118, 8, 2
	v_mul_lo_u32 v99, 0x1010101, v99
	s_delay_alu instid0(VALU_DEP_3) | instskip(NEXT) | instid1(VALU_DEP_3)
	v_mul_i32_i24_e32 v127, v127, v91
	v_mul_i32_i24_e32 v128, v128, v5
	v_add_nc_u32_e32 v5, v5, v6
	v_add3_u32 v6, v90, v82, v75
	v_bfe_i32 v93, v99, 16, 8
	s_delay_alu instid0(VALU_DEP_4)
	v_add3_u32 v117, v117, v127, v128
	v_bfe_i32 v127, v99, 0, 8
	v_bfe_i32 v128, v99, 8, 8
	v_add3_u32 v90, v5, v81, v74
	v_mul_i32_i24_e32 v93, v129, v93
	v_lshrrev_b16 v5, 8, v97
	v_mul_i32_i24_e32 v127, v95, v127
	s_delay_alu instid0(VALU_DEP_2) | instskip(NEXT) | instid1(VALU_DEP_2)
	v_and_b32_e32 v91, 0xffff, v5
	v_mad_i32_i24 v127, v94, v128, v127
	v_add3_u32 v128, v92, v76, v9
	v_lshrrev_b32_e32 v92, 24, v99
	s_delay_alu instid0(VALU_DEP_4) | instskip(NEXT) | instid1(VALU_DEP_2)
	v_lshrrev_b32_e32 v5, 4, v91
	v_mul_i32_i24_e32 v92, v128, v92
	s_delay_alu instid0(VALU_DEP_1) | instskip(SKIP_1) | instid1(VALU_DEP_1)
	v_add3_u32 v99, v127, v93, v92
	v_bfe_u32 v92, v104, 4, 4
	v_mul_lo_u32 v92, 0x1010101, v92
	s_delay_alu instid0(VALU_DEP_1) | instskip(SKIP_1) | instid1(VALU_DEP_2)
	v_bfe_i32 v93, v92, 0, 8
	v_bfe_i32 v127, v92, 8, 8
	v_mul_i32_i24_e32 v93, v95, v93
	s_delay_alu instid0(VALU_DEP_1) | instskip(SKIP_2) | instid1(VALU_DEP_2)
	v_mad_i32_i24 v93, v94, v127, v93
	v_lshrrev_b32_e32 v127, 24, v92
	v_bfe_i32 v92, v92, 16, 8
	v_mul_i32_i24_e32 v127, v128, v127
	s_delay_alu instid0(VALU_DEP_2) | instskip(NEXT) | instid1(VALU_DEP_1)
	v_mul_i32_i24_e32 v92, v129, v92
	v_add3_u32 v127, v93, v92, v127
	v_add_nc_u32_e32 v92, s17, v58
	ds_load_u16 v130, v92 offset:18928
	s_wait_dscnt 0x0
	v_bfe_u32 v92, v130, 4, 4
	s_delay_alu instid0(VALU_DEP_1) | instskip(NEXT) | instid1(VALU_DEP_1)
	v_mul_lo_u32 v92, 0x1010101, v92
	v_bfe_i32 v93, v92, 0, 8
	v_bfe_i32 v131, v92, 8, 8
	s_delay_alu instid0(VALU_DEP_2) | instskip(NEXT) | instid1(VALU_DEP_1)
	v_mul_i32_i24_e32 v93, v95, v93
	v_mad_i32_i24 v93, v94, v131, v93
	v_lshrrev_b32_e32 v131, 24, v92
	v_bfe_i32 v92, v92, 16, 8
	s_delay_alu instid0(VALU_DEP_2) | instskip(NEXT) | instid1(VALU_DEP_2)
	v_mul_i32_i24_e32 v131, v128, v131
	v_mul_i32_i24_e32 v92, v129, v92
	s_delay_alu instid0(VALU_DEP_1) | instskip(SKIP_2) | instid1(VALU_DEP_2)
	v_add3_u32 v131, v93, v92, v131
	v_bfe_u32 v92, v100, 24, 2
	v_bfe_u32 v93, v3, 8, 2
	v_mul_i32_i24_e32 v92, v80, v92
	s_delay_alu instid0(VALU_DEP_2) | instskip(NEXT) | instid1(VALU_DEP_1)
	v_mul_i32_i24_e32 v93, v93, v96
	v_add3_u32 v100, v103, v92, v93
	ds_load_2addr_b32 v[92:93], v83 offset0:6 offset1:7
	s_wait_dscnt 0x0
	v_ashrrev_i32_e32 v92, s16, v92
	s_delay_alu instid0(VALU_DEP_1) | instskip(SKIP_1) | instid1(VALU_DEP_2)
	v_and_b32_e32 v103, 3, v92
	v_bfe_u32 v132, v92, 8, 2
	v_mul_i32_i24_e32 v103, v103, v82
	s_delay_alu instid0(VALU_DEP_2) | instskip(NEXT) | instid1(VALU_DEP_1)
	v_mul_i32_i24_e32 v132, v132, v81
	v_add3_u32 v103, v124, v103, v132
	v_bfe_u32 v124, v125, 8, 2
	v_bfe_u32 v132, v125, 16, 2
	s_delay_alu instid0(VALU_DEP_2) | instskip(NEXT) | instid1(VALU_DEP_2)
	v_mul_i32_i24_e32 v124, v89, v124
	v_mul_i32_i24_e32 v132, v88, v132
	s_delay_alu instid0(VALU_DEP_1) | instskip(SKIP_2) | instid1(VALU_DEP_2)
	v_add3_u32 v121, v121, v124, v132
	v_bfe_u32 v124, v107, 16, 2
	v_bfe_u32 v107, v107, 24, 2
	v_mul_i32_i24_e32 v124, v124, v85
	s_delay_alu instid0(VALU_DEP_2) | instskip(NEXT) | instid1(VALU_DEP_1)
	v_mul_i32_i24_e32 v107, v107, v87
	v_add3_u32 v107, v126, v124, v107
	v_bfe_u32 v124, v110, 8, 2
	v_bfe_u32 v126, v110, 16, 2
	s_delay_alu instid0(VALU_DEP_2) | instskip(NEXT) | instid1(VALU_DEP_2)
	v_mul_i32_i24_e32 v124, v89, v124
	v_mul_i32_i24_e32 v126, v88, v126
	s_delay_alu instid0(VALU_DEP_1) | instskip(SKIP_2) | instid1(VALU_DEP_2)
	v_add3_u32 v111, v111, v124, v126
	v_bfe_u32 v124, v115, 16, 2
	v_bfe_u32 v115, v115, 24, 2
	v_mul_i32_i24_e32 v124, v124, v85
	s_delay_alu instid0(VALU_DEP_2) | instskip(NEXT) | instid1(VALU_DEP_1)
	v_mul_i32_i24_e32 v115, v115, v87
	v_add3_u32 v114, v114, v124, v115
	v_bfe_u32 v115, v116, 8, 2
	s_delay_alu instid0(VALU_DEP_1) | instskip(SKIP_1) | instid1(VALU_DEP_1)
	v_mul_i32_i24_e32 v89, v89, v115
	v_bfe_u32 v115, v116, 16, 2
	v_mul_i32_i24_e32 v88, v88, v115
	v_bfe_u32 v115, v118, 24, 2
	s_delay_alu instid0(VALU_DEP_2) | instskip(SKIP_1) | instid1(VALU_DEP_3)
	v_add3_u32 v88, v122, v89, v88
	v_bfe_u32 v89, v118, 16, 2
	v_mul_i32_i24_e32 v115, v115, v87
	s_delay_alu instid0(VALU_DEP_2) | instskip(NEXT) | instid1(VALU_DEP_1)
	v_mul_i32_i24_e32 v89, v89, v85
	v_add3_u32 v89, v117, v89, v115
	v_mul_lo_u32 v115, 0x1010101, v5
	s_delay_alu instid0(VALU_DEP_1) | instskip(SKIP_1) | instid1(VALU_DEP_2)
	v_bfe_i32 v5, v115, 0, 8
	v_bfe_i32 v117, v115, 8, 8
	v_mul_i32_i24_e32 v5, v6, v5
	s_delay_alu instid0(VALU_DEP_2) | instskip(NEXT) | instid1(VALU_DEP_1)
	v_mul_i32_i24_e32 v117, v90, v117
	v_add3_u32 v99, v99, v5, v117
	v_lshrrev_b16 v5, 8, v104
	s_delay_alu instid0(VALU_DEP_1) | instskip(NEXT) | instid1(VALU_DEP_1)
	v_and_b32_e32 v117, 0xffff, v5
	v_lshrrev_b32_e32 v5, 4, v117
	s_delay_alu instid0(VALU_DEP_1) | instskip(NEXT) | instid1(VALU_DEP_1)
	v_mul_lo_u32 v118, 0x1010101, v5
	v_bfe_i32 v5, v118, 0, 8
	v_bfe_i32 v122, v118, 8, 8
	s_delay_alu instid0(VALU_DEP_2) | instskip(NEXT) | instid1(VALU_DEP_2)
	v_mul_i32_i24_e32 v5, v6, v5
	v_mul_i32_i24_e32 v122, v90, v122
	s_delay_alu instid0(VALU_DEP_1) | instskip(SKIP_1) | instid1(VALU_DEP_1)
	v_add3_u32 v122, v127, v5, v122
	v_lshrrev_b16 v5, 8, v130
	v_and_b32_e32 v124, 0xffff, v5
	s_delay_alu instid0(VALU_DEP_1) | instskip(NEXT) | instid1(VALU_DEP_1)
	v_lshrrev_b32_e32 v5, 4, v124
	v_mul_lo_u32 v126, 0x1010101, v5
	s_delay_alu instid0(VALU_DEP_1) | instskip(SKIP_1) | instid1(VALU_DEP_2)
	v_bfe_i32 v5, v126, 0, 8
	v_bfe_i32 v127, v126, 8, 8
	v_mul_i32_i24_e32 v5, v6, v5
	s_delay_alu instid0(VALU_DEP_2) | instskip(NEXT) | instid1(VALU_DEP_1)
	v_mul_i32_i24_e32 v127, v90, v127
	v_add3_u32 v127, v131, v5, v127
	v_add_nc_u32_e32 v5, v87, v86
	s_delay_alu instid0(VALU_DEP_1) | instskip(SKIP_1) | instid1(VALU_DEP_1)
	v_add3_u32 v86, v5, v78, v71
	v_lshrrev_b16 v5, 8, v123
	v_and_b32_e32 v87, 0xffff, v5
	v_bfe_u32 v5, v123, 4, 4
	s_delay_alu instid0(VALU_DEP_1) | instskip(NEXT) | instid1(VALU_DEP_3)
	v_mul_lo_u32 v131, 0x1010101, v5
	v_lshrrev_b32_e32 v5, 4, v87
	s_delay_alu instid0(VALU_DEP_1) | instskip(NEXT) | instid1(VALU_DEP_3)
	v_mul_lo_u32 v132, 0x1010101, v5
	v_lshrrev_b32_e32 v133, 24, v131
	s_delay_alu instid0(VALU_DEP_2) | instskip(NEXT) | instid1(VALU_DEP_1)
	v_lshrrev_b32_e32 v5, 24, v132
	v_mul_i32_i24_e32 v5, v86, v5
	s_delay_alu instid0(VALU_DEP_1) | instskip(SKIP_2) | instid1(VALU_DEP_2)
	v_mad_i32_i24 v128, v128, v133, v5
	v_add_nc_u32_e32 v5, v85, v84
	v_bfe_i32 v85, v131, 16, 8
	v_add3_u32 v84, v5, v79, v72
	v_bfe_i32 v5, v132, 16, 8
	s_delay_alu instid0(VALU_DEP_1) | instskip(NEXT) | instid1(VALU_DEP_1)
	v_mul_i32_i24_e32 v5, v84, v5
	v_mad_i32_i24 v85, v129, v85, v5
	v_bfe_i32 v5, v132, 0, 8
	s_delay_alu instid0(VALU_DEP_1) | instskip(SKIP_1) | instid1(VALU_DEP_1)
	v_mul_i32_i24_e32 v5, v6, v5
	v_bfe_i32 v6, v131, 0, 8
	v_mad_i32_i24 v95, v95, v6, v5
	v_bfe_u32 v5, v3, 16, 2
	v_bfe_u32 v3, v3, 24, 2
	;; [unrolled: 1-line block ×3, first 2 shown]
	s_delay_alu instid0(VALU_DEP_3) | instskip(NEXT) | instid1(VALU_DEP_3)
	v_mul_i32_i24_e32 v5, v5, v77
	v_mul_i32_i24_e32 v3, v3, v76
	s_delay_alu instid0(VALU_DEP_3) | instskip(NEXT) | instid1(VALU_DEP_2)
	v_mul_i32_i24_e32 v6, v6, v78
	v_add3_u32 v3, v100, v5, v3
	v_bfe_u32 v5, v92, 16, 2
	s_delay_alu instid0(VALU_DEP_1) | instskip(NEXT) | instid1(VALU_DEP_1)
	v_mul_i32_i24_e32 v5, v5, v79
	v_add3_u32 v92, v103, v5, v6
	v_bfe_u32 v5, v125, 24, 2
	v_bfe_u32 v6, v101, 8, 2
	v_ashrrev_i32_e32 v103, s16, v108
	s_delay_alu instid0(VALU_DEP_3) | instskip(NEXT) | instid1(VALU_DEP_3)
	v_mul_i32_i24_e32 v5, v80, v5
	v_mul_i32_i24_e32 v6, v6, v96
	s_delay_alu instid0(VALU_DEP_1) | instskip(NEXT) | instid1(VALU_DEP_4)
	v_add3_u32 v100, v121, v5, v6
	v_and_b32_e32 v5, 3, v103
	v_bfe_u32 v6, v103, 8, 2
	s_delay_alu instid0(VALU_DEP_2) | instskip(NEXT) | instid1(VALU_DEP_2)
	v_mul_i32_i24_e32 v5, v5, v82
	v_mul_i32_i24_e32 v6, v6, v81
	s_delay_alu instid0(VALU_DEP_1) | instskip(SKIP_2) | instid1(VALU_DEP_2)
	v_add3_u32 v107, v107, v5, v6
	v_bfe_u32 v5, v110, 24, 2
	v_bfe_u32 v6, v112, 8, 2
	v_mul_i32_i24_e32 v5, v80, v5
	s_delay_alu instid0(VALU_DEP_2) | instskip(NEXT) | instid1(VALU_DEP_1)
	v_mul_i32_i24_e32 v6, v6, v96
	v_add3_u32 v108, v111, v5, v6
	v_add_nc_u32_e32 v5, 0x2118, v83
	ds_load_2addr_b32 v[5:6], v5 offset1:1
	s_wait_dscnt 0x0
	v_ashrrev_i32_e32 v5, s16, v5
	v_ashrrev_i32_e32 v6, s16, v6
	s_delay_alu instid0(VALU_DEP_2) | instskip(SKIP_1) | instid1(VALU_DEP_2)
	v_and_b32_e32 v83, 3, v5
	v_bfe_u32 v110, v5, 8, 2
	v_mul_i32_i24_e32 v83, v83, v82
	s_delay_alu instid0(VALU_DEP_2) | instskip(NEXT) | instid1(VALU_DEP_1)
	v_mul_i32_i24_e32 v110, v110, v81
	v_add3_u32 v83, v114, v83, v110
	v_bfe_u32 v110, v116, 24, 2
	s_delay_alu instid0(VALU_DEP_1) | instskip(SKIP_1) | instid1(VALU_DEP_1)
	v_mul_i32_i24_e32 v80, v80, v110
	v_bfe_u32 v110, v105, 8, 2
	v_mul_i32_i24_e32 v96, v110, v96
	s_delay_alu instid0(VALU_DEP_1) | instskip(SKIP_1) | instid1(VALU_DEP_1)
	v_add3_u32 v80, v88, v80, v96
	v_ashrrev_i32_e32 v88, s16, v119
	v_and_b32_e32 v96, 3, v88
	s_delay_alu instid0(VALU_DEP_1) | instskip(SKIP_1) | instid1(VALU_DEP_1)
	v_mul_i32_i24_e32 v82, v96, v82
	v_bfe_u32 v96, v88, 8, 2
	v_mul_i32_i24_e32 v81, v96, v81
	v_bfe_i32 v96, v118, 16, 8
	s_delay_alu instid0(VALU_DEP_2) | instskip(SKIP_2) | instid1(VALU_DEP_4)
	v_add3_u32 v81, v89, v82, v81
	v_lshrrev_b32_e32 v82, 24, v115
	v_bfe_i32 v89, v115, 16, 8
	v_mul_i32_i24_e32 v96, v84, v96
	s_delay_alu instid0(VALU_DEP_3) | instskip(NEXT) | instid1(VALU_DEP_3)
	v_mul_i32_i24_e32 v82, v86, v82
	v_mul_i32_i24_e32 v89, v84, v89
	s_delay_alu instid0(VALU_DEP_1) | instskip(SKIP_2) | instid1(VALU_DEP_2)
	v_add3_u32 v82, v99, v89, v82
	v_lshrrev_b32_e32 v89, 24, v118
	v_bfe_u32 v99, v112, 24, 2
	v_mul_i32_i24_e32 v89, v86, v89
	s_delay_alu instid0(VALU_DEP_2) | instskip(NEXT) | instid1(VALU_DEP_2)
	v_mul_i32_i24_e32 v99, v99, v76
	v_add3_u32 v89, v122, v96, v89
	v_lshrrev_b32_e32 v96, 24, v126
	s_delay_alu instid0(VALU_DEP_1) | instskip(SKIP_1) | instid1(VALU_DEP_1)
	v_mul_i32_i24_e32 v86, v86, v96
	v_bfe_i32 v96, v126, 16, 8
	v_mul_i32_i24_e32 v84, v84, v96
	v_bfe_u32 v96, v103, 24, 2
	s_delay_alu instid0(VALU_DEP_2) | instskip(SKIP_1) | instid1(VALU_DEP_3)
	v_add3_u32 v84, v127, v84, v86
	v_lshrrev_b16 v86, 8, v131
	v_mul_i32_i24_e32 v96, v96, v78
	s_delay_alu instid0(VALU_DEP_2) | instskip(NEXT) | instid1(VALU_DEP_1)
	v_bfe_i32 v86, v86, 0, 8
	v_mul_i32_i24_e32 v86, v94, v86
	v_bfe_i32 v94, v132, 8, 8
	s_delay_alu instid0(VALU_DEP_1) | instskip(SKIP_1) | instid1(VALU_DEP_2)
	v_mul_i32_i24_e32 v90, v90, v94
	v_bfe_u32 v94, v4, 8, 2
	v_add3_u32 v86, v86, v90, v128
	v_and_b32_e32 v90, 3, v4
	s_delay_alu instid0(VALU_DEP_3) | instskip(NEXT) | instid1(VALU_DEP_2)
	v_mul_i32_i24_e32 v94, v94, v98
	v_mul_i32_i24_e32 v90, v90, v73
	s_delay_alu instid0(VALU_DEP_1) | instskip(SKIP_1) | instid1(VALU_DEP_1)
	v_add3_u32 v3, v3, v90, v94
	v_ashrrev_i32_e32 v90, s16, v93
	v_and_b32_e32 v93, 3, v90
	v_bfe_u32 v94, v90, 8, 2
	s_delay_alu instid0(VALU_DEP_2) | instskip(NEXT) | instid1(VALU_DEP_2)
	v_mul_i32_i24_e32 v93, v93, v75
	v_mul_i32_i24_e32 v94, v94, v74
	s_delay_alu instid0(VALU_DEP_1) | instskip(SKIP_2) | instid1(VALU_DEP_2)
	v_add3_u32 v92, v92, v93, v94
	v_bfe_u32 v93, v101, 16, 2
	v_bfe_u32 v94, v101, 24, 2
	v_mul_i32_i24_e32 v93, v93, v77
	s_delay_alu instid0(VALU_DEP_2) | instskip(NEXT) | instid1(VALU_DEP_1)
	v_mul_i32_i24_e32 v94, v94, v76
	v_add3_u32 v93, v100, v93, v94
	v_bfe_u32 v94, v103, 16, 2
	s_delay_alu instid0(VALU_DEP_1) | instskip(NEXT) | instid1(VALU_DEP_1)
	v_mul_i32_i24_e32 v94, v94, v79
	v_add3_u32 v94, v107, v94, v96
	v_bfe_u32 v96, v112, 16, 2
	s_delay_alu instid0(VALU_DEP_1) | instskip(NEXT) | instid1(VALU_DEP_1)
	v_mul_i32_i24_e32 v96, v96, v77
	v_add3_u32 v96, v108, v96, v99
	v_bfe_u32 v99, v5, 16, 2
	v_bfe_u32 v5, v5, 24, 2
	s_delay_alu instid0(VALU_DEP_2) | instskip(NEXT) | instid1(VALU_DEP_2)
	v_mul_i32_i24_e32 v99, v99, v79
	v_mul_i32_i24_e32 v5, v5, v78
	s_delay_alu instid0(VALU_DEP_1) | instskip(SKIP_1) | instid1(VALU_DEP_1)
	v_add3_u32 v5, v83, v99, v5
	v_bfe_u32 v83, v105, 16, 2
	v_mul_i32_i24_e32 v77, v83, v77
	v_bfe_u32 v83, v105, 24, 2
	s_delay_alu instid0(VALU_DEP_1) | instskip(NEXT) | instid1(VALU_DEP_1)
	v_mul_i32_i24_e32 v76, v83, v76
	v_add3_u32 v76, v80, v77, v76
	v_bfe_u32 v77, v88, 16, 2
	s_delay_alu instid0(VALU_DEP_1) | instskip(SKIP_1) | instid1(VALU_DEP_1)
	v_mul_i32_i24_e32 v77, v77, v79
	v_bfe_u32 v79, v88, 24, 2
	v_mul_i32_i24_e32 v78, v79, v78
	v_bfe_u32 v79, v4, 16, 2
	v_bfe_u32 v4, v4, 24, 2
	s_delay_alu instid0(VALU_DEP_3) | instskip(NEXT) | instid1(VALU_DEP_3)
	v_add3_u32 v77, v81, v77, v78
	v_mul_i32_i24_e32 v79, v79, v10
	s_delay_alu instid0(VALU_DEP_3) | instskip(SKIP_1) | instid1(VALU_DEP_2)
	v_mul_i32_i24_e32 v4, v4, v9
	v_add3_u32 v78, v95, v85, v86
	v_add3_u32 v3, v3, v79, v4
	v_bfe_u32 v4, v90, 16, 2
	v_bfe_u32 v79, v90, 24, 2
	;; [unrolled: 1-line block ×3, first 2 shown]
	v_cvt_f32_i32_e32 v78, v78
	s_delay_alu instid0(VALU_DEP_4) | instskip(NEXT) | instid1(VALU_DEP_4)
	v_mul_i32_i24_e32 v4, v4, v72
	v_mul_i32_i24_e32 v79, v79, v71
	s_delay_alu instid0(VALU_DEP_4) | instskip(NEXT) | instid1(VALU_DEP_2)
	v_mul_i32_i24_e32 v90, v90, v74
	v_add3_u32 v4, v92, v4, v79
	v_ashrrev_i32_e32 v79, s16, v102
	s_delay_alu instid0(VALU_DEP_1) | instskip(SKIP_1) | instid1(VALU_DEP_2)
	v_and_b32_e32 v80, 3, v79
	v_bfe_u32 v81, v79, 8, 2
	v_mul_i32_i24_e32 v80, v80, v73
	s_delay_alu instid0(VALU_DEP_2) | instskip(NEXT) | instid1(VALU_DEP_1)
	v_mul_i32_i24_e32 v81, v81, v98
	v_add3_u32 v80, v93, v80, v81
	v_ashrrev_i32_e32 v81, s16, v109
	s_delay_alu instid0(VALU_DEP_1) | instskip(SKIP_1) | instid1(VALU_DEP_2)
	v_and_b32_e32 v83, 3, v81
	v_bfe_u32 v85, v81, 8, 2
	v_mul_i32_i24_e32 v83, v83, v75
	s_delay_alu instid0(VALU_DEP_2) | instskip(NEXT) | instid1(VALU_DEP_1)
	;; [unrolled: 8-line block ×3, first 2 shown]
	v_mul_i32_i24_e32 v88, v88, v98
	v_add3_u32 v86, v96, v86, v88
	v_and_b32_e32 v88, 3, v6
	s_delay_alu instid0(VALU_DEP_1) | instskip(NEXT) | instid1(VALU_DEP_1)
	v_mul_i32_i24_e32 v88, v88, v75
	v_add3_u32 v5, v5, v88, v90
	v_ashrrev_i32_e32 v88, s16, v106
	s_delay_alu instid0(VALU_DEP_1) | instskip(NEXT) | instid1(VALU_DEP_1)
	v_and_b32_e32 v90, 3, v88
	v_mul_i32_i24_e32 v73, v90, v73
	v_bfe_u32 v90, v88, 8, 2
	s_delay_alu instid0(VALU_DEP_1) | instskip(NEXT) | instid1(VALU_DEP_1)
	v_mul_i32_i24_e32 v90, v90, v98
	v_add3_u32 v73, v76, v73, v90
	v_ashrrev_i32_e32 v76, s16, v120
	s_lshr_b32 s16, s1, 2
	s_wait_alu 0xfffe
	s_and_b32 s16, s16, 0x3ffffffc
	s_delay_alu instid0(VALU_DEP_1) | instskip(SKIP_2) | instid1(VALU_DEP_1)
	v_and_b32_e32 v90, 3, v76
	s_wait_alu 0xfffe
	s_addk_co_i32 s16, 0x5280
	v_mul_i32_i24_e32 v75, v90, v75
	v_bfe_u32 v90, v76, 8, 2
	s_delay_alu instid0(VALU_DEP_1) | instskip(NEXT) | instid1(VALU_DEP_1)
	v_mul_i32_i24_e32 v74, v90, v74
	v_add3_u32 v74, v77, v75, v74
	v_bfe_u32 v75, v79, 16, 2
	v_bfe_u32 v77, v79, 24, 2
	;; [unrolled: 1-line block ×3, first 2 shown]
	s_delay_alu instid0(VALU_DEP_3) | instskip(NEXT) | instid1(VALU_DEP_3)
	v_mul_i32_i24_e32 v75, v75, v10
	v_mul_i32_i24_e32 v77, v77, v9
	s_delay_alu instid0(VALU_DEP_3) | instskip(NEXT) | instid1(VALU_DEP_2)
	v_mul_i32_i24_e32 v79, v79, v71
	v_add3_u32 v75, v80, v75, v77
	v_bfe_u32 v77, v81, 16, 2
	v_bfe_u32 v80, v85, 24, 2
	v_and_b32_e32 v81, 15, v123
	s_delay_alu instid0(VALU_DEP_3) | instskip(NEXT) | instid1(VALU_DEP_3)
	v_mul_i32_i24_e32 v77, v77, v72
	v_mul_i32_i24_e32 v80, v80, v9
	s_delay_alu instid0(VALU_DEP_2) | instskip(SKIP_2) | instid1(VALU_DEP_2)
	v_add3_u32 v77, v83, v77, v79
	v_bfe_u32 v79, v85, 16, 2
	v_and_b32_e32 v83, 15, v124
	v_mul_i32_i24_e32 v79, v79, v10
	s_delay_alu instid0(VALU_DEP_1) | instskip(SKIP_2) | instid1(VALU_DEP_2)
	v_add3_u32 v79, v86, v79, v80
	v_bfe_u32 v80, v6, 16, 2
	v_bfe_u32 v6, v6, 24, 2
	v_mul_i32_i24_e32 v80, v80, v72
	s_delay_alu instid0(VALU_DEP_2) | instskip(NEXT) | instid1(VALU_DEP_1)
	v_mul_i32_i24_e32 v6, v6, v71
	v_add3_u32 v6, v5, v80, v6
	v_bfe_u32 v5, v88, 16, 2
	s_delay_alu instid0(VALU_DEP_1) | instskip(SKIP_1) | instid1(VALU_DEP_1)
	v_mul_i32_i24_e32 v5, v5, v10
	v_bfe_u32 v10, v88, 24, 2
	v_mul_i32_i24_e32 v9, v10, v9
	s_wait_alu 0xfffe
	v_add3_u32 v10, s16, v63, v64
	s_delay_alu instid0(VALU_DEP_2) | instskip(SKIP_1) | instid1(VALU_DEP_1)
	v_add3_u32 v9, v73, v5, v9
	v_bfe_u32 v5, v76, 16, 2
	v_mul_i32_i24_e32 v5, v5, v72
	v_bfe_u32 v72, v76, 24, 2
	v_and_b32_e32 v76, 15, v91
	s_delay_alu instid0(VALU_DEP_2)
	v_mul_i32_i24_e32 v71, v72, v71
	v_add3_u32 v72, s16, v67, v68
	ds_load_b32 v73, v10
	ds_load_b32 v72, v72
	v_add3_u32 v10, v74, v5, v71
	v_add3_u32 v5, s16, v69, v70
	;; [unrolled: 1-line block ×3, first 2 shown]
	ds_load_b32 v74, v5
	ds_load_b32 v71, v71
	v_and_b32_e32 v5, 15, v97
	s_add_co_i32 s16, s1, 2
	s_cmp_lt_u32 s1, 30
	s_wait_alu 0xfffe
	s_mov_b32 s1, s16
	v_mul_lo_u32 v3, v3, v5
	v_and_b32_e32 v5, 15, v117
	s_delay_alu instid0(VALU_DEP_2)
	v_mad_co_u64_u32 v[3:4], null, v4, v76, v[3:4]
	v_and_b32_e32 v4, 15, v104
	ds_load_b32 v76, v8
	v_add_nc_u32_e32 v8, 4, v8
	s_wait_dscnt 0x1
	v_lshrrev_b32_e32 v80, 16, v71
	v_mul_lo_u32 v4, v75, v4
	v_lshrrev_b32_e32 v75, 16, v74
	v_cvt_f32_i32_e32 v3, v3
	s_delay_alu instid0(VALU_DEP_4) | instskip(NEXT) | instid1(VALU_DEP_3)
	v_cvt_f32_f16_e32 v80, v80
	v_cvt_f32_f16_e32 v75, v75
	v_mad_co_u64_u32 v[4:5], null, v77, v5, v[4:5]
	v_and_b32_e32 v5, 15, v130
	v_lshrrev_b32_e32 v77, 16, v73
	s_delay_alu instid0(VALU_DEP_4) | instskip(NEXT) | instid1(VALU_DEP_3)
	v_mul_f32_e32 v75, v75, v78
	v_mul_lo_u32 v5, v79, v5
	v_lshrrev_b32_e32 v79, 16, v72
	s_delay_alu instid0(VALU_DEP_4) | instskip(SKIP_1) | instid1(VALU_DEP_3)
	v_cvt_f32_f16_e32 v77, v77
	v_cvt_f32_i32_e32 v4, v4
	v_cvt_f32_f16_e32 v79, v79
	v_mad_co_u64_u32 v[5:6], null, v6, v83, v[5:6]
	v_mul_lo_u32 v6, v9, v81
	v_and_b32_e32 v9, 15, v87
	v_cvt_f32_i32_e32 v81, v82
	v_cvt_f32_i32_e32 v82, v89
	;; [unrolled: 1-line block ×4, first 2 shown]
	v_mad_co_u64_u32 v[9:10], null, v10, v9, v[6:7]
	v_mul_f32_e32 v6, v77, v81
	s_delay_alu instid0(VALU_DEP_4) | instskip(SKIP_1) | instid1(VALU_DEP_3)
	v_dual_mul_f32 v10, v80, v82 :: v_dual_mul_f32 v77, v79, v83
	v_add_nc_u32_e32 v7, 32, v7
	v_fma_mix_f32 v3, v73, v3, -v6 op_sel_hi:[1,0,0]
	v_cvt_f32_i32_e32 v9, v9
	s_delay_alu instid0(VALU_DEP_4)
	v_fma_mix_f32 v4, v71, v4, -v10 op_sel_hi:[1,0,0]
	v_fma_mix_f32 v5, v72, v5, -v77 op_sel_hi:[1,0,0]
	s_wait_dscnt 0x0
	v_fmac_f32_e32 v13, v76, v3
	v_fma_mix_f32 v6, v74, v9, -v75 op_sel_hi:[1,0,0]
	v_fmac_f32_e32 v48, v76, v4
	v_fmac_f32_e32 v43, v76, v5
	s_delay_alu instid0(VALU_DEP_3)
	v_fmac_f32_e32 v2, v76, v6
	s_cbranch_scc1 .LBB207_35
; %bb.36:                               ;   in Loop: Header=BB207_5 Depth=1
	s_wait_loadcnt 0x0
	s_barrier_signal -1
	s_barrier_wait -1
	global_inv scope:SCOPE_SE
	s_branch .LBB207_4
.LBB207_37:
	s_mul_i32 s0, s7, s4
	s_wait_loadcnt 0x0
	s_wait_alu 0xfffe
	v_cmp_gt_i32_e32 vcc_lo, s0, v11
	s_and_saveexec_b32 s0, vcc_lo
	s_cbranch_execz .LBB207_46
; %bb.38:
	v_mul_lo_u32 v0, v11, s6
	v_add_nc_u32_e32 v1, s18, v12
	s_mov_b32 s0, exec_lo
	s_delay_alu instid0(VALU_DEP_1)
	v_cmpx_gt_u32_e64 s6, v1
	s_cbranch_execz .LBB207_40
; %bb.39:
	s_delay_alu instid0(VALU_DEP_3) | instskip(SKIP_1) | instid1(VALU_DEP_2)
	v_dual_mov_b32 v4, 0 :: v_dual_add_nc_u32 v3, v0, v1
	v_cvt_f16_f32_e32 v5, v13
	v_lshlrev_b64_e32 v[3:4], 1, v[3:4]
	s_delay_alu instid0(VALU_DEP_1) | instskip(SKIP_1) | instid1(VALU_DEP_2)
	v_add_co_u32 v3, vcc_lo, s8, v3
	s_wait_alu 0xfffd
	v_add_co_ci_u32_e64 v4, null, s9, v4, vcc_lo
	global_store_b16 v[3:4], v5, off
.LBB207_40:
	s_wait_alu 0xfffe
	s_or_b32 exec_lo, exec_lo, s0
	v_add_nc_u32_e32 v3, 32, v1
	s_mov_b32 s0, exec_lo
	s_delay_alu instid0(VALU_DEP_1)
	v_cmpx_gt_u32_e64 s6, v3
	s_cbranch_execz .LBB207_42
; %bb.41:
	v_dual_mov_b32 v4, 0 :: v_dual_add_nc_u32 v3, v0, v3
	v_cvt_f16_f32_e32 v5, v48
	s_delay_alu instid0(VALU_DEP_2) | instskip(NEXT) | instid1(VALU_DEP_1)
	v_lshlrev_b64_e32 v[3:4], 1, v[3:4]
	v_add_co_u32 v3, vcc_lo, s8, v3
	s_wait_alu 0xfffd
	s_delay_alu instid0(VALU_DEP_2)
	v_add_co_ci_u32_e64 v4, null, s9, v4, vcc_lo
	global_store_b16 v[3:4], v5, off
.LBB207_42:
	s_wait_alu 0xfffe
	s_or_b32 exec_lo, exec_lo, s0
	v_add_nc_u32_e32 v3, 64, v1
	s_mov_b32 s0, exec_lo
	s_delay_alu instid0(VALU_DEP_1)
	v_cmpx_gt_u32_e64 s6, v3
	s_cbranch_execz .LBB207_44
; %bb.43:
	v_dual_mov_b32 v4, 0 :: v_dual_add_nc_u32 v3, v0, v3
	v_cvt_f16_f32_e32 v5, v43
	s_delay_alu instid0(VALU_DEP_2) | instskip(NEXT) | instid1(VALU_DEP_1)
	v_lshlrev_b64_e32 v[3:4], 1, v[3:4]
	v_add_co_u32 v3, vcc_lo, s8, v3
	s_wait_alu 0xfffd
	s_delay_alu instid0(VALU_DEP_2)
	v_add_co_ci_u32_e64 v4, null, s9, v4, vcc_lo
	global_store_b16 v[3:4], v5, off
.LBB207_44:
	s_wait_alu 0xfffe
	s_or_b32 exec_lo, exec_lo, s0
	v_add_nc_u32_e32 v1, 0x60, v1
	s_delay_alu instid0(VALU_DEP_1)
	v_cmp_gt_u32_e32 vcc_lo, s6, v1
	s_and_b32 exec_lo, exec_lo, vcc_lo
	s_cbranch_execz .LBB207_46
; %bb.45:
	v_dual_mov_b32 v1, 0 :: v_dual_add_nc_u32 v0, v0, v1
	v_cvt_f16_f32_e32 v2, v2
	s_delay_alu instid0(VALU_DEP_2) | instskip(NEXT) | instid1(VALU_DEP_1)
	v_lshlrev_b64_e32 v[0:1], 1, v[0:1]
	v_add_co_u32 v0, vcc_lo, s8, v0
	s_wait_alu 0xfffd
	s_delay_alu instid0(VALU_DEP_2)
	v_add_co_ci_u32_e64 v1, null, s9, v1, vcc_lo
	global_store_b16 v[0:1], v2, off
.LBB207_46:
	s_nop 0
	s_sendmsg sendmsg(MSG_DEALLOC_VGPRS)
	s_endpgm
	.section	.rodata,"a",@progbits
	.p2align	6, 0x0
	.amdhsa_kernel _ZL8moe_q2_KIN3c104HalfELb0EEvPKvS3_PT_PKiS7_S7_iiiiiii
		.amdhsa_group_segment_fixed_size 23328
		.amdhsa_private_segment_fixed_size 0
		.amdhsa_kernarg_size 76
		.amdhsa_user_sgpr_count 2
		.amdhsa_user_sgpr_dispatch_ptr 0
		.amdhsa_user_sgpr_queue_ptr 0
		.amdhsa_user_sgpr_kernarg_segment_ptr 1
		.amdhsa_user_sgpr_dispatch_id 0
		.amdhsa_user_sgpr_private_segment_size 0
		.amdhsa_wavefront_size32 1
		.amdhsa_uses_dynamic_stack 0
		.amdhsa_enable_private_segment 0
		.amdhsa_system_sgpr_workgroup_id_x 1
		.amdhsa_system_sgpr_workgroup_id_y 1
		.amdhsa_system_sgpr_workgroup_id_z 0
		.amdhsa_system_sgpr_workgroup_info 0
		.amdhsa_system_vgpr_workitem_id 1
		.amdhsa_next_free_vgpr 136
		.amdhsa_next_free_sgpr 22
		.amdhsa_reserve_vcc 1
		.amdhsa_float_round_mode_32 0
		.amdhsa_float_round_mode_16_64 0
		.amdhsa_float_denorm_mode_32 3
		.amdhsa_float_denorm_mode_16_64 3
		.amdhsa_fp16_overflow 0
		.amdhsa_workgroup_processor_mode 1
		.amdhsa_memory_ordered 1
		.amdhsa_forward_progress 1
		.amdhsa_inst_pref_size 168
		.amdhsa_round_robin_scheduling 0
		.amdhsa_exception_fp_ieee_invalid_op 0
		.amdhsa_exception_fp_denorm_src 0
		.amdhsa_exception_fp_ieee_div_zero 0
		.amdhsa_exception_fp_ieee_overflow 0
		.amdhsa_exception_fp_ieee_underflow 0
		.amdhsa_exception_fp_ieee_inexact 0
		.amdhsa_exception_int_div_zero 0
	.end_amdhsa_kernel
	.section	.text._ZL8moe_q2_KIN3c104HalfELb0EEvPKvS3_PT_PKiS7_S7_iiiiiii,"axG",@progbits,_ZL8moe_q2_KIN3c104HalfELb0EEvPKvS3_PT_PKiS7_S7_iiiiiii,comdat
.Lfunc_end207:
	.size	_ZL8moe_q2_KIN3c104HalfELb0EEvPKvS3_PT_PKiS7_S7_iiiiiii, .Lfunc_end207-_ZL8moe_q2_KIN3c104HalfELb0EEvPKvS3_PT_PKiS7_S7_iiiiiii
                                        ; -- End function
	.set _ZL8moe_q2_KIN3c104HalfELb0EEvPKvS3_PT_PKiS7_S7_iiiiiii.num_vgpr, 136
	.set _ZL8moe_q2_KIN3c104HalfELb0EEvPKvS3_PT_PKiS7_S7_iiiiiii.num_agpr, 0
	.set _ZL8moe_q2_KIN3c104HalfELb0EEvPKvS3_PT_PKiS7_S7_iiiiiii.numbered_sgpr, 22
	.set _ZL8moe_q2_KIN3c104HalfELb0EEvPKvS3_PT_PKiS7_S7_iiiiiii.num_named_barrier, 0
	.set _ZL8moe_q2_KIN3c104HalfELb0EEvPKvS3_PT_PKiS7_S7_iiiiiii.private_seg_size, 0
	.set _ZL8moe_q2_KIN3c104HalfELb0EEvPKvS3_PT_PKiS7_S7_iiiiiii.uses_vcc, 1
	.set _ZL8moe_q2_KIN3c104HalfELb0EEvPKvS3_PT_PKiS7_S7_iiiiiii.uses_flat_scratch, 0
	.set _ZL8moe_q2_KIN3c104HalfELb0EEvPKvS3_PT_PKiS7_S7_iiiiiii.has_dyn_sized_stack, 0
	.set _ZL8moe_q2_KIN3c104HalfELb0EEvPKvS3_PT_PKiS7_S7_iiiiiii.has_recursion, 0
	.set _ZL8moe_q2_KIN3c104HalfELb0EEvPKvS3_PT_PKiS7_S7_iiiiiii.has_indirect_call, 0
	.section	.AMDGPU.csdata,"",@progbits
; Kernel info:
; codeLenInByte = 21436
; TotalNumSgprs: 24
; NumVgprs: 136
; ScratchSize: 0
; MemoryBound: 0
; FloatMode: 240
; IeeeMode: 1
; LDSByteSize: 23328 bytes/workgroup (compile time only)
; SGPRBlocks: 0
; VGPRBlocks: 16
; NumSGPRsForWavesPerEU: 24
; NumVGPRsForWavesPerEU: 136
; Occupancy: 10
; WaveLimiterHint : 1
; COMPUTE_PGM_RSRC2:SCRATCH_EN: 0
; COMPUTE_PGM_RSRC2:USER_SGPR: 2
; COMPUTE_PGM_RSRC2:TRAP_HANDLER: 0
; COMPUTE_PGM_RSRC2:TGID_X_EN: 1
; COMPUTE_PGM_RSRC2:TGID_Y_EN: 1
; COMPUTE_PGM_RSRC2:TGID_Z_EN: 0
; COMPUTE_PGM_RSRC2:TIDIG_COMP_CNT: 1
	.section	.text._ZL8moe_q2_KIN3c104HalfELb1EEvPKvS3_PT_PKiS7_S7_iiiiiii,"axG",@progbits,_ZL8moe_q2_KIN3c104HalfELb1EEvPKvS3_PT_PKiS7_S7_iiiiiii,comdat
	.globl	_ZL8moe_q2_KIN3c104HalfELb1EEvPKvS3_PT_PKiS7_S7_iiiiiii ; -- Begin function _ZL8moe_q2_KIN3c104HalfELb1EEvPKvS3_PT_PKiS7_S7_iiiiiii
	.p2align	8
	.type	_ZL8moe_q2_KIN3c104HalfELb1EEvPKvS3_PT_PKiS7_S7_iiiiiii,@function
_ZL8moe_q2_KIN3c104HalfELb1EEvPKvS3_PT_PKiS7_S7_iiiiiii: ; @_ZL8moe_q2_KIN3c104HalfELb1EEvPKvS3_PT_PKiS7_S7_iiiiiii
; %bb.0:
	s_load_b128 s[4:7], s[0:1], 0x18
	s_mov_b32 s2, ttmp7
	s_mov_b32 s3, 0
	s_delay_alu instid0(SALU_CYCLE_1)
	s_lshl_b64 s[2:3], s[2:3], 2
	s_wait_kmcnt 0x0
	s_add_nc_u64 s[2:3], s[6:7], s[2:3]
	s_load_b32 s14, s[2:3], 0x0
	s_wait_kmcnt 0x0
	s_cmp_gt_u32 s14, 0xff
	s_cbranch_scc1 .LBB208_46
; %bb.1:
	s_load_b64 s[2:3], s[0:1], 0x28
	s_wait_kmcnt 0x0
	s_load_b32 s3, s[2:3], 0x0
	s_lshl_b32 s2, ttmp7, 3
	s_wait_kmcnt 0x0
	s_cmp_gt_u32 s2, s3
	s_cbranch_scc1 .LBB208_46
; %bb.2:
	v_bfe_u32 v18, v0, 10, 10
	v_mov_b32_e32 v17, 0
	s_lshl_b32 s11, ttmp9, 7
	s_delay_alu instid0(VALU_DEP_2) | instskip(NEXT) | instid1(VALU_DEP_2)
	v_add_nc_u32_e32 v16, s2, v18
	v_dual_mov_b32 v30, v17 :: v_dual_and_b32 v29, 0x3ff, v0
	v_mov_b32_e32 v59, v17
	v_mov_b32_e32 v63, v17
	s_delay_alu instid0(VALU_DEP_4) | instskip(NEXT) | instid1(VALU_DEP_1)
	v_lshlrev_b64_e32 v[1:2], 2, v[16:17]
	v_add_co_u32 v1, vcc_lo, s4, v1
	s_delay_alu instid0(VALU_DEP_1)
	v_add_co_ci_u32_e64 v2, null, s5, v2, vcc_lo
	global_load_b32 v28, v[1:2], off
	s_clause 0x2
	s_load_b128 s[4:7], s[0:1], 0x30
	s_load_b64 s[12:13], s[0:1], 0x10
	s_load_b96 s[8:10], s[0:1], 0x40
	s_wait_kmcnt 0x0
	s_cmp_lt_i32 s5, 0x100
	s_cbranch_scc1 .LBB208_37
; %bb.3:
	s_ashr_i32 s16, s8, 31
	s_not_b32 s17, s11
	v_add_nc_u32_e32 v1, 8, v18
	s_ashr_i32 s15, s5, 31
	v_add_nc_u32_e32 v3, 16, v18
	s_lshr_b32 s20, s16, 27
	s_add_co_i32 s16, s6, s17
	v_add_nc_u32_e32 v6, 24, v18
	s_mul_i32 s14, s14, s4
	s_lshr_b32 s4, s15, 24
	v_dual_mov_b32 v30, 0 :: v_dual_add_nc_u32 v7, 32, v18
	v_lshlrev_b32_e32 v19, 2, v29
	v_min_i32_e32 v2, s16, v18
	v_add_nc_u32_e32 v8, 40, v18
	s_wait_alu 0xfffe
	s_add_co_i32 s4, s5, s4
	v_min_i32_e32 v4, s16, v1
	v_add_nc_u32_e32 v9, 48, v18
	v_min_i32_e32 v5, s16, v3
	v_add_nc_u32_e32 v10, 56, v18
	s_wait_alu 0xfffe
	s_ashr_i32 s4, s4, 8
	v_min_i32_e32 v6, s16, v6
	v_min_i32_e32 v7, s16, v7
	s_wait_alu 0xfffe
	v_mul_lo_u32 v33, v2, s4
	v_mad_co_u64_u32 v[1:2], null, 0x84, v2, v[19:20]
	v_min_i32_e32 v8, s16, v8
	v_mad_co_u64_u32 v[2:3], null, 0x84, v4, v[19:20]
	v_min_i32_e32 v9, s16, v9
	v_mul_lo_u32 v34, v4, s4
	v_mad_co_u64_u32 v[3:4], null, 0x84, v5, v[19:20]
	v_min_i32_e32 v10, s16, v10
	v_mul_lo_u32 v35, v5, s4
	v_mad_co_u64_u32 v[4:5], null, 0x84, v6, v[19:20]
	v_mul_lo_u32 v36, v6, s4
	v_mad_co_u64_u32 v[5:6], null, 0x84, v7, v[19:20]
	;; [unrolled: 2-line block ×5, first 2 shown]
	v_lshlrev_b32_e32 v20, 4, v18
	v_bfe_u32 v14, v0, 1, 9
	v_add_nc_u32_e32 v11, 64, v18
	v_add_nc_u32_e32 v12, 0x48, v18
	;; [unrolled: 1-line block ×5, first 2 shown]
	s_load_b128 s[0:3], s[0:1], 0x0
	v_min_i32_e32 v11, s16, v11
	v_min_i32_e32 v12, s16, v12
	;; [unrolled: 1-line block ×3, first 2 shown]
	v_and_b32_e32 v14, 0x7f, v14
	v_min_i32_e32 v15, s16, v15
	v_add_nc_u32_e32 v16, 0x60, v18
	v_add_nc_u32_e32 v17, 0x68, v18
	v_mul_lo_u32 v40, v10, s4
	v_min_i32_e32 v21, s16, v14
	v_mad_co_u64_u32 v[9:10], null, 0x84, v11, v[19:20]
	v_mul_lo_u32 v41, v11, s4
	v_mad_co_u64_u32 v[10:11], null, 0x84, v12, v[19:20]
	v_mul_lo_u32 v42, v12, s4
	;; [unrolled: 2-line block ×3, first 2 shown]
	v_mul_lo_u32 v44, v15, s4
	v_min_i32_e32 v16, s16, v16
	v_mad_co_u64_u32 v[12:13], null, 0x84, v15, v[19:20]
	v_min_i32_e32 v15, s16, v17
	v_add_nc_u32_e32 v17, 0x70, v18
	v_ashrrev_i32_e32 v22, 31, v21
	v_mul_lo_u32 v45, v16, s4
	v_mad_co_u64_u32 v[13:14], null, 0x84, v16, v[19:20]
	s_delay_alu instid0(VALU_DEP_4) | instskip(NEXT) | instid1(VALU_DEP_4)
	v_min_i32_e32 v16, s16, v17
	v_lshrrev_b32_e32 v17, 28, v22
	s_mul_i32 s18, s4, s11
	v_mul_lo_u32 v46, v15, s4
	v_mad_co_u64_u32 v[14:15], null, 0x84, v15, v[19:20]
	s_ashr_i32 s15, s14, 31
	s_ashr_i32 s19, s18, 31
	v_add_nc_u32_e32 v15, v21, v17
	s_mul_u64 s[18:19], s[18:19], 0x54
	s_wait_kmcnt 0x0
	s_add_nc_u64 s[0:1], s[0:1], s[14:15]
	v_add_nc_u32_e32 v22, 0x78, v18
	s_add_nc_u64 s[14:15], s[0:1], s[18:19]
	s_abs_i32 s1, s10
	v_bfe_u32 v47, v0, 3, 7
	v_and_b32_e32 v49, 1, v0
	v_ashrrev_i32_e32 v23, 4, v15
	s_cvt_f32_u32 s0, s1
	v_min_i32_e32 v17, s16, v22
	v_lshl_add_u32 v22, v18, 2, v47
	v_lshlrev_b32_e32 v25, 2, v49
	v_lshlrev_b32_e32 v23, 2, v23
	v_rcp_iflag_f32_e32 v27, s0
	s_add_co_i32 s6, s8, s20
	v_add_nc_u32_e32 v56, 64, v22
	v_min_i32_e32 v24, s16, v22
	v_add3_u32 v23, v23, v25, 0x5280
	v_add_nc_u32_e32 v25, 32, v22
	v_add_nc_u32_e32 v22, 0x60, v22
	v_min_i32_e32 v57, s16, v56
	s_wait_loadcnt 0x0
	v_sub_nc_u32_e32 v56, 0, v28
	s_sub_co_i32 s8, 0, s1
	v_min_i32_e32 v25, s16, v25
	v_readfirstlane_b32 s0, v27
	v_min_i32_e32 v22, s16, v22
	v_max_i32_e32 v59, v28, v56
	v_and_b32_e32 v26, 7, v0
	v_ashrrev_i32_e32 v55, 31, v25
	s_mul_f32 s0, s0, 0x4f7ffffe
	v_ashrrev_i32_e32 v58, 31, v22
	v_mul_lo_u32 v48, v16, s4
	v_cmp_lt_u32_e32 vcc_lo, 3, v26
	s_wait_alu 0xfffe
	s_cvt_u32_f32 s0, s0
	v_lshrrev_b32_e32 v55, 30, v55
	v_lshrrev_b32_e32 v56, 30, v58
	v_lshlrev_b32_e32 v26, 2, v26
	s_wait_alu 0xfffe
	s_mul_i32 s8, s8, s0
	v_mad_co_u64_u32 v[15:16], null, 0x84, v16, v[19:20]
	v_add_nc_u32_e32 v27, v25, v55
	v_ashrrev_i32_e32 v55, 31, v57
	s_mul_hi_u32 s8, s0, s8
	v_mul_lo_u32 v50, v17, s4
	s_add_co_i32 s0, s0, s8
	v_mad_co_u64_u32 v[16:17], null, 0x84, v17, v[19:20]
	s_wait_alu 0xfffe
	v_mul_hi_u32 v62, v59, s0
	v_lshrrev_b32_e32 v55, 30, v55
	v_and_b32_e32 v32, 60, v19
	v_and_b32_e32 v53, 12, v19
	v_ashrrev_i32_e32 v17, 31, v24
	v_add_nc_u32_e32 v60, v22, v56
	v_add_nc_u32_e32 v58, v57, v55
	s_ashr_i32 s6, s6, 5
	v_mul_lo_u32 v61, v62, s1
	v_add_nc_u32_e32 v64, 1, v62
	v_lshrrev_b32_e32 v17, 30, v17
	v_and_b32_e32 v58, -4, v58
	v_and_b32_e32 v27, -4, v27
	;; [unrolled: 1-line block ×3, first 2 shown]
	v_add_nc_u32_e32 v69, 32, v29
	v_add_nc_u32_e32 v17, v24, v17
	v_add3_u32 v63, v58, v26, 0x4200
	v_lshl_add_u32 v58, v18, 7, 0x56a0
	v_sub_nc_u32_e32 v18, v59, v61
	v_add_nc_u32_e32 v61, 0x5aa0, v20
	v_and_b32_e32 v59, 28, v19
	v_and_b32_e32 v17, -4, v17
	v_add_nc_u32_e32 v70, 64, v29
	v_subrev_nc_u32_e32 v20, s1, v18
	v_cmp_le_u32_e64 s0, s1, v18
	v_add_nc_u32_e32 v71, 0x60, v29
	v_bfe_u32 v31, v0, 4, 6
	v_mul_lo_u32 v51, v21, s4
	v_lshlrev_b32_e32 v21, 3, v21
	s_wait_alu 0xf1ff
	v_cndmask_b32_e64 v64, v62, v64, s0
	v_cndmask_b32_e64 v18, v18, v20, s0
	v_add_nc_u32_e32 v62, v61, v19
	v_xor_b32_e32 v19, s10, v28
	v_mul_lo_u32 v54, v24, s4
	v_add_nc_u32_e32 v20, 1, v64
	v_cmp_le_u32_e64 s0, s1, v18
	v_add3_u32 v17, v17, v26, 0x4200
	v_ashrrev_i32_e32 v19, 31, v19
	v_lshlrev_b32_e32 v24, 5, v24
	v_mul_lo_u32 v55, v25, s4
	s_wait_alu 0xf1ff
	v_cndmask_b32_e64 v18, v64, v20, s0
	v_add3_u32 v27, v27, v26, 0x4200
	v_lshlrev_b32_e32 v25, 5, v25
	v_mul_lo_u32 v56, v57, s4
	v_lshlrev_b32_e32 v76, 5, v57
	v_xor_b32_e32 v18, v18, v19
	v_mul_lo_u32 v57, v22, s4
	v_add3_u32 v26, v60, v26, 0x4200
	v_and_b32_e32 v60, 31, v0
	v_lshlrev_b32_e32 v22, 5, v22
	v_sub_nc_u32_e32 v18, v18, v19
	v_mul_u32_u24_e32 v68, 33, v29
	v_lshlrev_b32_e32 v20, 1, v29
	v_lshlrev_b32_e32 v81, 1, v69
	v_lshrrev_b32_e32 v80, 4, v69
	v_mul_lo_u32 v67, v18, s6
	v_lshlrev_b32_e32 v83, 1, v70
	v_lshrrev_b32_e32 v82, 4, v70
	v_lshlrev_b32_e32 v85, 1, v71
	v_lshrrev_b32_e32 v84, 4, v71
	v_lshrrev_b32_e32 v66, 3, v71
	v_cmp_gt_i32_e64 s0, s7, v18
	v_lshlrev_b32_e32 v72, 5, v29
	v_and_b32_e32 v73, 0xfc, v0
	v_add_co_u32 v18, s1, s2, v59
	v_and_b32_e32 v59, 0x1fc, v71
	v_and_b32_e32 v71, 0x1fc, v69
	;; [unrolled: 1-line block ×3, first 2 shown]
	s_wait_alu 0xfffd
	v_cndmask_b32_e64 v52, 0, 1, vcc_lo
	v_cmp_gt_u32_e32 vcc_lo, 4, v29
	v_lshl_add_u32 v60, v60, 2, v58
	v_lshrrev_b32_e32 v64, 3, v69
	v_lshrrev_b32_e32 v65, 3, v70
	s_wait_alu 0xf1ff
	v_add_co_ci_u32_e64 v19, null, s3, 0, s1
	v_lshlrev_b32_e32 v0, 2, v68
	v_add_nc_u32_e32 v68, v72, v73
	v_ashrrev_i32_e32 v69, 31, v67
	v_add_nc_u32_e32 v70, v72, v59
	v_add_nc_u32_e32 v71, v72, v71
	;; [unrolled: 1-line block ×8, first 2 shown]
	v_lshlrev_b32_e32 v78, 2, v31
	v_lshlrev_b32_e32 v79, 2, v20
	;; [unrolled: 1-line block ×8, first 2 shown]
	v_mov_b32_e32 v63, 0
	v_mov_b32_e32 v59, 0
	;; [unrolled: 1-line block ×3, first 2 shown]
	s_mov_b32 s17, 0
	s_and_b32 s8, vcc_lo, s0
	s_wait_alu 0xfffe
	s_mov_b32 s16, s17
	s_branch .LBB208_5
.LBB208_4:                              ;   in Loop: Header=BB208_5 Depth=1
	s_add_co_i32 s16, s16, 2
	s_wait_alu 0xfffe
	s_cmp_ge_i32 s16, s4
	s_cbranch_scc1 .LBB208_37
.LBB208_5:                              ; =>This Loop Header: Depth=1
                                        ;     Child Loop BB208_11 Depth 2
                                        ;     Child Loop BB208_19 Depth 2
	;; [unrolled: 1-line block ×4, first 2 shown]
	s_wait_alu 0xfffe
	s_mul_u64 s[18:19], s[16:17], 0x54
	s_wait_alu 0xfffe
	s_add_nc_u64 s[18:19], s[14:15], s[18:19]
	s_wait_alu 0xfffe
	v_mad_co_u64_u32 v[20:21], null, 0x54, v31, s[18:19]
	s_delay_alu instid0(VALU_DEP_1) | instskip(SKIP_3) | instid1(VALU_DEP_4)
	v_mad_co_i64_i32 v[22:23], null, 0x54, v33, v[20:21]
	v_mad_co_i64_i32 v[24:25], null, 0x54, v34, v[20:21]
	;; [unrolled: 1-line block ×4, first 2 shown]
	v_add_co_u32 v22, s1, v22, v32
	v_mad_co_i64_i32 v[88:89], null, 0x54, v37, v[20:21]
	s_wait_alu 0xf1ff
	v_add_co_ci_u32_e64 v23, null, 0, v23, s1
	v_add_co_u32 v24, s1, v24, v32
	v_mad_co_i64_i32 v[90:91], null, 0x54, v38, v[20:21]
	s_wait_alu 0xf1ff
	v_add_co_ci_u32_e64 v25, null, 0, v25, s1
	;; [unrolled: 4-line block ×4, first 2 shown]
	v_add_co_u32 v88, s1, v88, v32
	s_wait_alu 0xf1ff
	v_add_co_ci_u32_e64 v89, null, 0, v89, s1
	v_add_co_u32 v90, s1, v90, v32
	s_wait_alu 0xf1ff
	v_add_co_ci_u32_e64 v91, null, 0, v91, s1
	;; [unrolled: 3-line block ×3, first 2 shown]
	v_add_co_u32 v94, s1, v94, v32
	v_mad_co_i64_i32 v[96:97], null, 0x54, v41, v[20:21]
	s_wait_alu 0xf1ff
	v_add_co_ci_u32_e64 v95, null, 0, v95, s1
	s_clause 0x7
	global_load_b32 v104, v[22:23], off offset:16
	global_load_b32 v105, v[24:25], off offset:16
	;; [unrolled: 1-line block ×8, first 2 shown]
	v_mad_co_i64_i32 v[22:23], null, 0x54, v42, v[20:21]
	v_mad_co_i64_i32 v[26:27], null, 0x54, v43, v[20:21]
	;; [unrolled: 1-line block ×3, first 2 shown]
	v_add_co_u32 v24, s1, v96, v32
	v_mad_co_i64_i32 v[88:89], null, 0x54, v45, v[20:21]
	s_wait_alu 0xf1ff
	v_add_co_ci_u32_e64 v25, null, 0, v97, s1
	v_add_co_u32 v22, s1, v22, v32
	v_mad_co_i64_i32 v[90:91], null, 0x54, v46, v[20:21]
	s_wait_alu 0xf1ff
	v_add_co_ci_u32_e64 v23, null, 0, v23, s1
	;; [unrolled: 4-line block ×3, first 2 shown]
	v_add_co_u32 v86, s1, v86, v32
	v_mad_co_u64_u32 v[94:95], null, 0x54, v52, s[18:19]
	s_wait_alu 0xf1ff
	v_add_co_ci_u32_e64 v87, null, 0, v87, s1
	v_add_co_u32 v88, s1, v88, v32
	s_wait_alu 0xf1ff
	v_add_co_ci_u32_e64 v89, null, 0, v89, s1
	v_add_co_u32 v90, s1, v90, v32
	v_mad_co_i64_i32 v[20:21], null, 0x54, v50, v[20:21]
	s_wait_alu 0xf1ff
	v_add_co_ci_u32_e64 v91, null, 0, v91, s1
	v_add_co_u32 v92, s1, v92, v32
	v_mad_co_i64_i32 v[96:97], null, 0x54, v51, s[18:19]
	s_wait_alu 0xf1ff
	v_add_co_ci_u32_e64 v93, null, 0, v93, s1
	v_add_co_u32 v94, s1, v94, v53
	s_wait_alu 0xf1ff
	v_add_co_ci_u32_e64 v95, null, 0, v95, s1
	v_add_co_u32 v20, s1, v20, v32
	s_wait_alu 0xf1ff
	v_add_co_ci_u32_e64 v21, null, 0, v21, s1
	v_mad_co_u64_u32 v[96:97], null, 0x54, v49, v[96:97]
	v_mad_co_i64_i32 v[98:99], null, 0x54, v54, v[94:95]
	v_mad_co_i64_i32 v[100:101], null, 0x54, v55, v[94:95]
	;; [unrolled: 1-line block ×4, first 2 shown]
	s_clause 0xc
	global_load_b32 v24, v[24:25], off offset:16
	global_load_b32 v22, v[22:23], off offset:16
	;; [unrolled: 1-line block ×9, first 2 shown]
	global_load_b32 v87, v[98:99], off
	global_load_b32 v88, v[100:101], off
	;; [unrolled: 1-line block ×4, first 2 shown]
	s_lshl_b32 s18, s16, 8
	s_wait_loadcnt 0x14
	ds_store_b32 v1, v104
	s_wait_loadcnt 0x13
	ds_store_b32 v2, v105
	;; [unrolled: 2-line block ×21, first 2 shown]
	s_wait_alu 0xfffe
	s_cmp_lt_i32 s18, s5
	s_cbranch_scc0 .LBB208_4
; %bb.6:                                ;   in Loop: Header=BB208_5 Depth=1
	s_lshl_b32 s19, s16, 3
	s_wait_alu 0xfffe
	v_add_nc_u32_e32 v20, s19, v47
	s_delay_alu instid0(VALU_DEP_1)
	v_cmp_gt_i32_e64 s1, s6, v20
	s_and_b32 s20, s0, s1
	s_wait_alu 0xfffe
	s_and_saveexec_b32 s1, s20
	s_cbranch_execz .LBB208_8
; %bb.7:                                ;   in Loop: Header=BB208_5 Depth=1
	v_add_nc_u32_e32 v20, v67, v20
	s_delay_alu instid0(VALU_DEP_1)
	v_mad_co_i64_i32 v[20:21], null, v20, 36, v[18:19]
	global_load_b32 v20, v[20:21], off offset:4
	s_wait_loadcnt 0x0
	ds_store_b32 v60, v20
.LBB208_8:                              ;   in Loop: Header=BB208_5 Depth=1
	s_wait_alu 0xfffe
	s_or_b32 exec_lo, exec_lo, s1
	v_add_nc_u32_e32 v86, s19, v29
	s_delay_alu instid0(VALU_DEP_1)
	v_cmp_gt_i32_e64 s1, s6, v86
	s_and_b32 s20, s8, s1
	s_wait_alu 0xfffe
	s_and_saveexec_b32 s1, s20
	s_cbranch_execz .LBB208_10
; %bb.9:                                ;   in Loop: Header=BB208_5 Depth=1
	v_add_nc_u32_e32 v20, v67, v86
	s_delay_alu instid0(VALU_DEP_1)
	v_mad_co_i64_i32 v[20:21], null, v20, 36, s[2:3]
	global_load_b32 v20, v[20:21], off
	s_wait_loadcnt 0x0
	v_cvt_f32_f16_e32 v20, v20
	ds_store_b32 v62, v20
.LBB208_10:                             ;   in Loop: Header=BB208_5 Depth=1
	s_wait_alu 0xfffe
	s_or_b32 exec_lo, exec_lo, s1
	v_dual_mov_b32 v87, v61 :: v_dual_mov_b32 v88, v58
	s_mov_b32 s1, 0
	s_wait_dscnt 0x0
	s_barrier_signal -1
	s_barrier_wait -1
	global_inv scope:SCOPE_SE
.LBB208_11:                             ;   Parent Loop BB208_5 Depth=1
                                        ; =>  This Inner Loop Header: Depth=2
	ds_load_b128 v[20:23], v88 offset:16
	ds_load_b128 v[24:27], v88
	s_wait_alu 0xfffe
	s_and_b32 s20, s1, 0x3ffffff8
	v_add_nc_u32_e32 v88, 32, v88
	s_wait_alu 0xfffe
	v_lshl_add_u32 v119, s20, 2, v0
	s_and_b32 s20, s1, -16
	s_wait_alu 0xfffe
	s_add_co_i32 s20, s1, s20
	s_delay_alu instid0(VALU_DEP_1)
	v_add_nc_u32_e32 v126, 0x2108, v119
	v_add_nc_u32_e32 v128, 0x2110, v119
	;; [unrolled: 1-line block ×4, first 2 shown]
	s_wait_dscnt 0x1
	v_lshrrev_b16 v121, 8, v20
	s_wait_dscnt 0x0
	v_ashrrev_i32_e32 v100, 24, v24
	v_bfe_i32 v112, v25, 8, 8
	v_bfe_i32 v114, v24, 0, 8
	;; [unrolled: 1-line block ×3, first 2 shown]
	v_ashrrev_i32_e32 v111, 24, v25
	v_bfe_i32 v108, v24, 8, 8
	v_bfe_i32 v116, v25, 0, 8
	;; [unrolled: 1-line block ×3, first 2 shown]
	v_lshrrev_b16 v115, 8, v26
	v_ashrrev_i32_e32 v96, 24, v26
	v_bfe_i32 v97, v26, 16, 8
	v_bfe_i32 v118, v26, 0, 8
	v_lshrrev_b16 v117, 8, v27
	v_ashrrev_i32_e32 v89, 24, v27
	v_bfe_i32 v90, v27, 16, 8
	v_bfe_i32 v93, v27, 0, 8
	v_ashrrev_i32_e32 v105, 24, v20
	v_bfe_i32 v109, v20, 0, 8
	v_bfe_i32 v103, v20, 16, 8
	v_lshrrev_b16 v120, 8, v21
	v_ashrrev_i32_e32 v106, 24, v21
	v_bfe_i32 v110, v21, 0, 8
	v_bfe_i32 v104, v21, 16, 8
	v_ashrrev_i32_e32 v98, 24, v22
	v_bfe_i32 v99, v22, 16, 8
	v_bfe_i32 v102, v22, 0, 8
	;; [unrolled: 1-line block ×3, first 2 shown]
	v_ashrrev_i32_e32 v91, 24, v23
	v_bfe_i32 v92, v23, 16, 8
	v_bfe_i32 v95, v23, 0, 8
	;; [unrolled: 1-line block ×3, first 2 shown]
	ds_load_2addr_b32 v[26:27], v119 offset1:1
	ds_load_2addr_b32 v[22:23], v119 offset0:2 offset1:3
	ds_load_2addr_b32 v[24:25], v119 offset0:4 offset1:5
	;; [unrolled: 1-line block ×3, first 2 shown]
	v_bfe_i32 v138, v121, 0, 8
	v_bfe_i32 v142, v120, 0, 8
	;; [unrolled: 1-line block ×4, first 2 shown]
	s_wait_dscnt 0x3
	v_ashrrev_i32_e32 v27, s1, v27
	v_ashrrev_i32_e32 v139, s1, v26
	s_wait_dscnt 0x1
	v_ashrrev_i32_e32 v24, s1, v24
	v_ashrrev_i32_e32 v22, s1, v22
	;; [unrolled: 1-line block ×3, first 2 shown]
	v_and_b32_e32 v122, 3, v27
	v_bfe_u32 v123, v27, 8, 2
	v_and_b32_e32 v121, 3, v24
	v_and_b32_e32 v26, 3, v139
	;; [unrolled: 1-line block ×3, first 2 shown]
	v_mul_i32_i24_e32 v122, v122, v116
	s_wait_dscnt 0x0
	v_ashrrev_i32_e32 v20, s1, v20
	v_mul_i32_i24_e32 v121, v121, v109
	v_mul_i32_i24_e32 v26, v114, v26
	;; [unrolled: 1-line block ×3, first 2 shown]
	v_mad_i32_i24 v122, v123, v112, v122
	v_bfe_u32 v123, v27, 16, 2
	v_bfe_u32 v27, v27, 24, 2
	v_ashrrev_i32_e32 v23, s1, v23
	v_ashrrev_i32_e32 v21, s1, v21
	s_delay_alu instid0(VALU_DEP_4) | instskip(NEXT) | instid1(VALU_DEP_4)
	v_mul_i32_i24_e32 v123, v123, v113
	v_mul_i32_i24_e32 v27, v27, v111
	s_delay_alu instid0(VALU_DEP_1) | instskip(SKIP_1) | instid1(VALU_DEP_1)
	v_add3_u32 v27, v122, v123, v27
	v_bfe_u32 v122, v24, 8, 2
	v_mad_i32_i24 v121, v122, v138, v121
	v_bfe_u32 v122, v24, 16, 2
	v_bfe_u32 v24, v24, 24, 2
	s_delay_alu instid0(VALU_DEP_2) | instskip(NEXT) | instid1(VALU_DEP_2)
	v_mul_i32_i24_e32 v122, v122, v103
	v_mul_i32_i24_e32 v24, v24, v105
	s_delay_alu instid0(VALU_DEP_1) | instskip(SKIP_2) | instid1(VALU_DEP_2)
	v_add3_u32 v24, v121, v122, v24
	v_and_b32_e32 v121, 3, v22
	v_add_nc_u32_e32 v122, 0x1098, v119
	v_mul_i32_i24_e32 v121, v121, v118
	s_delay_alu instid0(VALU_DEP_1) | instskip(SKIP_1) | instid1(VALU_DEP_1)
	v_add3_u32 v140, v27, v121, v26
	v_bfe_u32 v26, v141, 8, 2
	v_mul_i32_i24_e32 v26, v26, v142
	s_delay_alu instid0(VALU_DEP_1)
	v_add3_u32 v143, v24, v25, v26
	v_add_nc_u32_e32 v24, 0x1080, v119
	v_add_nc_u32_e32 v26, 0x1088, v119
	ds_load_2addr_b32 v[24:25], v24 offset1:1
	ds_load_2addr_b32 v[26:27], v26 offset1:1
	s_wait_dscnt 0x1
	v_ashrrev_i32_e32 v25, s1, v25
	v_ashrrev_i32_e32 v24, s1, v24
	s_wait_dscnt 0x0
	v_ashrrev_i32_e32 v26, s1, v26
	s_delay_alu instid0(VALU_DEP_3) | instskip(SKIP_1) | instid1(VALU_DEP_2)
	v_and_b32_e32 v120, 3, v25
	v_bfe_u32 v121, v25, 8, 2
	v_mul_i32_i24_e32 v120, v120, v116
	s_delay_alu instid0(VALU_DEP_1) | instskip(SKIP_2) | instid1(VALU_DEP_2)
	v_mad_i32_i24 v120, v121, v112, v120
	v_bfe_u32 v121, v25, 16, 2
	v_bfe_u32 v25, v25, 24, 2
	v_mul_i32_i24_e32 v121, v121, v113
	s_delay_alu instid0(VALU_DEP_2) | instskip(NEXT) | instid1(VALU_DEP_1)
	v_mul_i32_i24_e32 v25, v25, v111
	v_add3_u32 v25, v120, v121, v25
	s_wait_alu 0xfffe
	v_add_nc_u32_e32 v120, s20, v71
	ds_load_u16 v144, v120 offset:17920
	v_add_nc_u32_e32 v120, 0x1090, v119
	ds_load_2addr_b32 v[120:121], v120 offset1:1
	ds_load_2addr_b32 v[122:123], v122 offset1:1
	s_wait_dscnt 0x1
	v_ashrrev_i32_e32 v120, s1, v120
	v_ashrrev_i32_e32 v121, s1, v121
	s_delay_alu instid0(VALU_DEP_2) | instskip(SKIP_1) | instid1(VALU_DEP_2)
	v_and_b32_e32 v124, 3, v120
	v_bfe_u32 v125, v120, 8, 2
	v_mul_i32_i24_e32 v124, v124, v109
	s_delay_alu instid0(VALU_DEP_1) | instskip(SKIP_2) | instid1(VALU_DEP_2)
	v_mad_i32_i24 v124, v125, v138, v124
	v_bfe_u32 v125, v120, 16, 2
	v_bfe_u32 v120, v120, 24, 2
	v_mul_i32_i24_e32 v125, v125, v103
	s_delay_alu instid0(VALU_DEP_2) | instskip(NEXT) | instid1(VALU_DEP_1)
	v_mul_i32_i24_e32 v120, v120, v105
	v_add3_u32 v145, v124, v125, v120
	v_add_nc_u32_e32 v120, 0x2100, v119
	ds_load_2addr_b32 v[124:125], v120 offset1:1
	ds_load_2addr_b32 v[126:127], v126 offset1:1
	;; [unrolled: 1-line block ×4, first 2 shown]
	s_wait_dscnt 0x3
	v_ashrrev_i32_e32 v120, s1, v125
	v_ashrrev_i32_e32 v124, s1, v124
	s_wait_dscnt 0x2
	v_ashrrev_i32_e32 v126, s1, v126
	s_wait_dscnt 0x1
	v_ashrrev_i32_e32 v129, s1, v129
	v_and_b32_e32 v125, 3, v120
	v_bfe_u32 v132, v120, 8, 2
	s_delay_alu instid0(VALU_DEP_2) | instskip(NEXT) | instid1(VALU_DEP_1)
	v_mul_i32_i24_e32 v125, v125, v116
	v_mad_i32_i24 v125, v132, v112, v125
	v_bfe_u32 v132, v120, 16, 2
	v_bfe_u32 v120, v120, 24, 2
	s_delay_alu instid0(VALU_DEP_2) | instskip(NEXT) | instid1(VALU_DEP_2)
	v_mul_i32_i24_e32 v132, v132, v113
	v_mul_i32_i24_e32 v120, v120, v111
	s_delay_alu instid0(VALU_DEP_1) | instskip(SKIP_1) | instid1(VALU_DEP_1)
	v_add3_u32 v125, v125, v132, v120
	v_ashrrev_i32_e32 v120, s1, v128
	v_and_b32_e32 v128, 3, v120
	v_bfe_u32 v132, v120, 8, 2
	s_delay_alu instid0(VALU_DEP_2) | instskip(NEXT) | instid1(VALU_DEP_1)
	v_mul_i32_i24_e32 v128, v128, v109
	v_mad_i32_i24 v128, v132, v138, v128
	v_bfe_u32 v132, v120, 16, 2
	v_bfe_u32 v120, v120, 24, 2
	s_delay_alu instid0(VALU_DEP_2) | instskip(NEXT) | instid1(VALU_DEP_2)
	v_mul_i32_i24_e32 v132, v132, v103
	v_mul_i32_i24_e32 v120, v120, v105
	s_delay_alu instid0(VALU_DEP_1)
	v_add3_u32 v128, v128, v132, v120
	v_add_nc_u32_e32 v120, 0x3180, v119
	ds_load_2addr_b32 v[132:133], v120 offset1:1
	ds_load_2addr_b32 v[134:135], v134 offset1:1
	s_wait_dscnt 0x1
	v_ashrrev_i32_e32 v120, s1, v133
	v_ashrrev_i32_e32 v132, s1, v132
	s_wait_dscnt 0x0
	v_ashrrev_i32_e32 v134, s1, v134
	s_delay_alu instid0(VALU_DEP_3) | instskip(SKIP_1) | instid1(VALU_DEP_2)
	v_and_b32_e32 v133, 3, v120
	v_bfe_u32 v136, v120, 8, 2
	v_mul_i32_i24_e32 v133, v133, v116
	s_delay_alu instid0(VALU_DEP_1) | instskip(SKIP_3) | instid1(VALU_DEP_3)
	v_mad_i32_i24 v133, v136, v112, v133
	v_bfe_u32 v136, v120, 16, 2
	v_bfe_u32 v120, v120, 24, 2
	v_add_nc_u32_e32 v112, v108, v112
	v_mul_i32_i24_e32 v136, v136, v113
	s_delay_alu instid0(VALU_DEP_3) | instskip(NEXT) | instid1(VALU_DEP_3)
	v_mul_i32_i24_e32 v120, v120, v111
	v_add3_u32 v112, v112, v115, v117
	v_add_nc_u32_e32 v111, v111, v100
	v_add_nc_u32_e32 v113, v113, v107
	s_delay_alu instid0(VALU_DEP_4)
	v_add3_u32 v133, v133, v136, v120
	v_add_nc_u32_e32 v120, 0x3190, v119
	v_add_nc_u32_e32 v136, 0x3198, v119
	;; [unrolled: 1-line block ×3, first 2 shown]
	ds_load_u16 v146, v119 offset:19968
	ds_load_2addr_b32 v[119:120], v120 offset1:1
	ds_load_2addr_b32 v[136:137], v136 offset1:1
	v_add3_u32 v111, v111, v96, v89
	v_add3_u32 v113, v113, v97, v90
	s_wait_dscnt 0x1
	v_ashrrev_i32_e32 v119, s1, v119
	v_ashrrev_i32_e32 v120, s1, v120
	s_delay_alu instid0(VALU_DEP_2) | instskip(SKIP_1) | instid1(VALU_DEP_2)
	v_and_b32_e32 v147, 3, v119
	v_bfe_u32 v148, v119, 8, 2
	v_mul_i32_i24_e32 v147, v147, v109
	v_add_nc_u32_e32 v109, v110, v109
	s_delay_alu instid0(VALU_DEP_2) | instskip(SKIP_2) | instid1(VALU_DEP_4)
	v_mad_i32_i24 v147, v148, v138, v147
	v_bfe_u32 v148, v119, 16, 2
	v_bfe_u32 v119, v119, 24, 2
	v_add3_u32 v109, v109, v102, v95
	s_delay_alu instid0(VALU_DEP_3) | instskip(NEXT) | instid1(VALU_DEP_3)
	v_mul_i32_i24_e32 v148, v148, v103
	v_mul_i32_i24_e32 v119, v119, v105
	v_add_nc_u32_e32 v105, v106, v105
	v_add_nc_u32_e32 v103, v104, v103
	s_delay_alu instid0(VALU_DEP_3)
	v_add3_u32 v119, v147, v148, v119
	v_bfe_u32 v147, v139, 8, 2
	v_bfe_u32 v148, v139, 16, 2
	;; [unrolled: 1-line block ×3, first 2 shown]
	v_add3_u32 v105, v105, v98, v91
	v_add3_u32 v103, v103, v99, v92
	v_mul_i32_i24_e32 v147, v108, v147
	v_mul_i32_i24_e32 v148, v107, v148
	;; [unrolled: 1-line block ×3, first 2 shown]
	s_delay_alu instid0(VALU_DEP_2) | instskip(SKIP_2) | instid1(VALU_DEP_2)
	v_add3_u32 v140, v140, v147, v148
	v_bfe_u32 v147, v141, 16, 2
	v_bfe_u32 v141, v141, 24, 2
	v_mul_i32_i24_e32 v147, v147, v104
	s_delay_alu instid0(VALU_DEP_2) | instskip(NEXT) | instid1(VALU_DEP_1)
	v_mul_i32_i24_e32 v141, v141, v106
	v_add3_u32 v141, v143, v147, v141
	v_and_b32_e32 v143, 3, v24
	v_and_b32_e32 v147, 3, v26
	s_delay_alu instid0(VALU_DEP_2) | instskip(NEXT) | instid1(VALU_DEP_2)
	v_mul_i32_i24_e32 v143, v114, v143
	v_mul_i32_i24_e32 v147, v147, v118
	s_delay_alu instid0(VALU_DEP_1) | instskip(SKIP_2) | instid1(VALU_DEP_2)
	v_add3_u32 v25, v25, v147, v143
	v_and_b32_e32 v143, 3, v121
	v_bfe_u32 v147, v121, 8, 2
	v_mul_i32_i24_e32 v143, v143, v110
	s_delay_alu instid0(VALU_DEP_2) | instskip(NEXT) | instid1(VALU_DEP_1)
	v_mul_i32_i24_e32 v147, v147, v142
	v_add3_u32 v143, v145, v143, v147
	v_and_b32_e32 v145, 3, v124
	v_and_b32_e32 v147, 3, v126
	s_delay_alu instid0(VALU_DEP_2) | instskip(NEXT) | instid1(VALU_DEP_2)
	v_mul_i32_i24_e32 v145, v114, v145
	v_mul_i32_i24_e32 v147, v147, v118
	s_delay_alu instid0(VALU_DEP_1) | instskip(SKIP_2) | instid1(VALU_DEP_2)
	v_add3_u32 v125, v125, v147, v145
	v_and_b32_e32 v145, 3, v129
	v_bfe_u32 v147, v129, 8, 2
	v_mul_i32_i24_e32 v145, v145, v110
	s_delay_alu instid0(VALU_DEP_2) | instskip(NEXT) | instid1(VALU_DEP_1)
	v_mul_i32_i24_e32 v147, v147, v142
	v_add3_u32 v128, v128, v145, v147
	v_and_b32_e32 v145, 3, v132
	v_and_b32_e32 v147, 3, v134
	s_delay_alu instid0(VALU_DEP_2) | instskip(SKIP_2) | instid1(VALU_DEP_4)
	v_mul_i32_i24_e32 v145, v114, v145
	v_add_nc_u32_e32 v114, v116, v114
	v_add_nc_u32_e32 v116, 0x4200, v68
	v_mul_i32_i24_e32 v147, v147, v118
	s_delay_alu instid0(VALU_DEP_3) | instskip(NEXT) | instid1(VALU_DEP_3)
	v_add3_u32 v114, v114, v118, v93
	v_add_nc_u32_e32 v116, s20, v116
	s_delay_alu instid0(VALU_DEP_3)
	v_add3_u32 v133, v133, v147, v145
	v_and_b32_e32 v145, 3, v120
	v_bfe_u32 v147, v120, 8, 2
	ds_load_u16 v116, v116
	v_mul_i32_i24_e32 v145, v145, v110
	v_mul_i32_i24_e32 v147, v147, v142
	v_add_nc_u32_e32 v110, v142, v138
	s_delay_alu instid0(VALU_DEP_2) | instskip(NEXT) | instid1(VALU_DEP_2)
	v_add3_u32 v119, v119, v145, v147
	v_add3_u32 v110, v110, v101, v94
	s_wait_dscnt 0x0
	v_bfe_u32 v118, v116, 4, 4
	s_delay_alu instid0(VALU_DEP_1) | instskip(NEXT) | instid1(VALU_DEP_1)
	v_mul_lo_u32 v118, 0x1010101, v118
	v_bfe_i32 v145, v118, 0, 8
	v_bfe_i32 v147, v118, 8, 8
	s_delay_alu instid0(VALU_DEP_2) | instskip(NEXT) | instid1(VALU_DEP_1)
	v_mul_i32_i24_e32 v145, v114, v145
	v_mad_i32_i24 v145, v112, v147, v145
	v_lshrrev_b32_e32 v147, 24, v118
	v_bfe_i32 v118, v118, 16, 8
	s_delay_alu instid0(VALU_DEP_2) | instskip(NEXT) | instid1(VALU_DEP_2)
	v_mul_i32_i24_e32 v147, v111, v147
	v_mul_i32_i24_e32 v118, v113, v118
	s_delay_alu instid0(VALU_DEP_1) | instskip(SKIP_1) | instid1(VALU_DEP_1)
	v_add3_u32 v118, v145, v118, v147
	v_bfe_u32 v145, v144, 4, 4
	v_mul_lo_u32 v145, 0x1010101, v145
	s_delay_alu instid0(VALU_DEP_1) | instskip(SKIP_1) | instid1(VALU_DEP_2)
	v_bfe_i32 v147, v145, 0, 8
	v_bfe_i32 v148, v145, 8, 8
	v_mul_i32_i24_e32 v147, v114, v147
	s_delay_alu instid0(VALU_DEP_1) | instskip(SKIP_2) | instid1(VALU_DEP_2)
	v_mad_i32_i24 v147, v112, v148, v147
	v_lshrrev_b32_e32 v148, 24, v145
	v_bfe_i32 v145, v145, 16, 8
	v_mul_i32_i24_e32 v148, v111, v148
	s_delay_alu instid0(VALU_DEP_2) | instskip(NEXT) | instid1(VALU_DEP_1)
	v_mul_i32_i24_e32 v145, v113, v145
	v_add3_u32 v145, v147, v145, v148
	v_add_nc_u32_e32 v147, s20, v72
	s_lshr_b32 s20, s1, 2
	s_wait_alu 0xfffe
	s_and_b32 s20, s20, 0x3ffffffc
	ds_load_u16 v147, v147 offset:18944
	s_wait_alu 0xfffe
	s_addk_co_i32 s20, 0x5280
	s_wait_dscnt 0x0
	v_bfe_u32 v148, v147, 4, 4
	s_delay_alu instid0(VALU_DEP_1) | instskip(NEXT) | instid1(VALU_DEP_1)
	v_mul_lo_u32 v148, 0x1010101, v148
	v_bfe_i32 v149, v148, 0, 8
	v_bfe_i32 v150, v148, 8, 8
	s_delay_alu instid0(VALU_DEP_2) | instskip(NEXT) | instid1(VALU_DEP_1)
	v_mul_i32_i24_e32 v149, v114, v149
	v_mad_i32_i24 v149, v112, v150, v149
	v_lshrrev_b32_e32 v150, 24, v148
	v_bfe_i32 v148, v148, 16, 8
	s_delay_alu instid0(VALU_DEP_2) | instskip(NEXT) | instid1(VALU_DEP_2)
	v_mul_i32_i24_e32 v150, v111, v150
	v_mul_i32_i24_e32 v148, v113, v148
	s_delay_alu instid0(VALU_DEP_1) | instskip(SKIP_1) | instid1(VALU_DEP_1)
	v_add3_u32 v148, v149, v148, v150
	v_bfe_u32 v149, v22, 8, 2
	v_mul_i32_i24_e32 v149, v149, v115
	s_delay_alu instid0(VALU_DEP_1) | instskip(SKIP_2) | instid1(VALU_DEP_2)
	v_add3_u32 v139, v140, v139, v149
	v_and_b32_e32 v140, 3, v20
	v_bfe_u32 v149, v20, 8, 2
	v_mul_i32_i24_e32 v140, v140, v102
	s_delay_alu instid0(VALU_DEP_2) | instskip(NEXT) | instid1(VALU_DEP_1)
	v_mul_i32_i24_e32 v149, v149, v101
	v_add3_u32 v140, v141, v140, v149
	v_bfe_u32 v141, v24, 8, 2
	v_bfe_u32 v149, v24, 16, 2
	;; [unrolled: 1-line block ×3, first 2 shown]
	s_delay_alu instid0(VALU_DEP_3) | instskip(NEXT) | instid1(VALU_DEP_3)
	v_mul_i32_i24_e32 v141, v108, v141
	v_mul_i32_i24_e32 v149, v107, v149
	s_delay_alu instid0(VALU_DEP_3) | instskip(NEXT) | instid1(VALU_DEP_2)
	v_mul_i32_i24_e32 v24, v100, v24
	v_add3_u32 v25, v25, v141, v149
	v_bfe_u32 v141, v121, 16, 2
	v_bfe_u32 v121, v121, 24, 2
	s_delay_alu instid0(VALU_DEP_2) | instskip(NEXT) | instid1(VALU_DEP_2)
	v_mul_i32_i24_e32 v141, v141, v104
	v_mul_i32_i24_e32 v121, v121, v106
	s_delay_alu instid0(VALU_DEP_1) | instskip(SKIP_2) | instid1(VALU_DEP_2)
	v_add3_u32 v121, v143, v141, v121
	v_bfe_u32 v141, v124, 8, 2
	v_bfe_u32 v143, v124, 16, 2
	v_mul_i32_i24_e32 v141, v108, v141
	s_delay_alu instid0(VALU_DEP_2) | instskip(NEXT) | instid1(VALU_DEP_1)
	v_mul_i32_i24_e32 v143, v107, v143
	v_add3_u32 v125, v125, v141, v143
	v_bfe_u32 v141, v129, 16, 2
	v_bfe_u32 v129, v129, 24, 2
	s_delay_alu instid0(VALU_DEP_2) | instskip(NEXT) | instid1(VALU_DEP_2)
	v_mul_i32_i24_e32 v141, v141, v104
	v_mul_i32_i24_e32 v129, v129, v106
	s_delay_alu instid0(VALU_DEP_1) | instskip(SKIP_1) | instid1(VALU_DEP_1)
	v_add3_u32 v128, v128, v141, v129
	v_bfe_u32 v129, v132, 8, 2
	v_mul_i32_i24_e32 v108, v108, v129
	v_bfe_u32 v129, v132, 16, 2
	s_delay_alu instid0(VALU_DEP_1) | instskip(NEXT) | instid1(VALU_DEP_1)
	v_mul_i32_i24_e32 v107, v107, v129
	v_add3_u32 v107, v133, v108, v107
	v_bfe_u32 v108, v120, 16, 2
	v_bfe_u32 v120, v120, 24, 2
	s_delay_alu instid0(VALU_DEP_2) | instskip(NEXT) | instid1(VALU_DEP_2)
	v_mul_i32_i24_e32 v108, v108, v104
	v_mul_i32_i24_e32 v120, v120, v106
	v_lshrrev_b16 v106, 8, v146
	s_delay_alu instid0(VALU_DEP_2) | instskip(SKIP_1) | instid1(VALU_DEP_3)
	v_add3_u32 v108, v119, v108, v120
	v_lshrrev_b16 v119, 8, v116
	v_and_b32_e32 v106, 0xffff, v106
	s_delay_alu instid0(VALU_DEP_2) | instskip(NEXT) | instid1(VALU_DEP_1)
	v_and_b32_e32 v119, 0xffff, v119
	v_lshrrev_b32_e32 v120, 4, v119
	s_delay_alu instid0(VALU_DEP_1) | instskip(NEXT) | instid1(VALU_DEP_1)
	v_mul_lo_u32 v120, 0x1010101, v120
	v_bfe_i32 v129, v120, 0, 8
	v_bfe_i32 v133, v120, 8, 8
	s_delay_alu instid0(VALU_DEP_2) | instskip(NEXT) | instid1(VALU_DEP_2)
	v_mul_i32_i24_e32 v129, v109, v129
	v_mul_i32_i24_e32 v133, v110, v133
	s_delay_alu instid0(VALU_DEP_1) | instskip(SKIP_1) | instid1(VALU_DEP_1)
	v_add3_u32 v118, v118, v129, v133
	v_lshrrev_b16 v129, 8, v144
	v_and_b32_e32 v129, 0xffff, v129
	s_delay_alu instid0(VALU_DEP_1) | instskip(NEXT) | instid1(VALU_DEP_1)
	v_lshrrev_b32_e32 v133, 4, v129
	v_mul_lo_u32 v133, 0x1010101, v133
	s_delay_alu instid0(VALU_DEP_1) | instskip(SKIP_1) | instid1(VALU_DEP_2)
	v_bfe_i32 v138, v133, 0, 8
	v_bfe_i32 v141, v133, 8, 8
	v_mul_i32_i24_e32 v138, v109, v138
	s_delay_alu instid0(VALU_DEP_2) | instskip(NEXT) | instid1(VALU_DEP_1)
	v_mul_i32_i24_e32 v141, v110, v141
	v_add3_u32 v138, v145, v138, v141
	v_lshrrev_b16 v141, 8, v147
	s_delay_alu instid0(VALU_DEP_1) | instskip(NEXT) | instid1(VALU_DEP_1)
	v_and_b32_e32 v141, 0xffff, v141
	v_lshrrev_b32_e32 v142, 4, v141
	s_delay_alu instid0(VALU_DEP_1) | instskip(NEXT) | instid1(VALU_DEP_1)
	v_mul_lo_u32 v142, 0x1010101, v142
	v_bfe_i32 v143, v142, 0, 8
	v_bfe_i32 v145, v142, 8, 8
	s_delay_alu instid0(VALU_DEP_2) | instskip(NEXT) | instid1(VALU_DEP_2)
	v_mul_i32_i24_e32 v143, v109, v143
	v_mul_i32_i24_e32 v145, v110, v145
	s_delay_alu instid0(VALU_DEP_1) | instskip(SKIP_2) | instid1(VALU_DEP_2)
	v_add3_u32 v143, v148, v143, v145
	v_lshrrev_b32_e32 v148, 4, v106
	v_bfe_u32 v145, v146, 4, 4
	v_mul_lo_u32 v148, 0x1010101, v148
	s_delay_alu instid0(VALU_DEP_2) | instskip(NEXT) | instid1(VALU_DEP_2)
	v_mul_lo_u32 v145, 0x1010101, v145
	v_lshrrev_b32_e32 v149, 24, v148
	s_delay_alu instid0(VALU_DEP_2) | instskip(SKIP_1) | instid1(VALU_DEP_3)
	v_lshrrev_b32_e32 v150, 24, v145
	v_bfe_i32 v104, v148, 16, 8
	v_mul_i32_i24_e32 v149, v105, v149
	s_delay_alu instid0(VALU_DEP_2) | instskip(NEXT) | instid1(VALU_DEP_2)
	v_mul_i32_i24_e32 v104, v103, v104
	v_mad_i32_i24 v111, v111, v150, v149
	v_bfe_i32 v149, v145, 16, 8
	s_delay_alu instid0(VALU_DEP_1) | instskip(SKIP_1) | instid1(VALU_DEP_1)
	v_mad_i32_i24 v104, v113, v149, v104
	v_bfe_i32 v113, v148, 0, 8
	v_mul_i32_i24_e32 v109, v109, v113
	v_bfe_i32 v113, v145, 0, 8
	s_delay_alu instid0(VALU_DEP_1) | instskip(SKIP_2) | instid1(VALU_DEP_2)
	v_mad_i32_i24 v109, v114, v113, v109
	v_bfe_u32 v113, v22, 16, 2
	v_bfe_u32 v22, v22, 24, 2
	v_mul_i32_i24_e32 v113, v113, v97
	s_delay_alu instid0(VALU_DEP_2) | instskip(NEXT) | instid1(VALU_DEP_1)
	v_mul_i32_i24_e32 v22, v22, v96
	v_add3_u32 v22, v139, v113, v22
	v_bfe_u32 v113, v20, 16, 2
	v_bfe_u32 v20, v20, 24, 2
	s_delay_alu instid0(VALU_DEP_2) | instskip(NEXT) | instid1(VALU_DEP_2)
	v_mul_i32_i24_e32 v113, v113, v99
	v_mul_i32_i24_e32 v20, v20, v98
	s_delay_alu instid0(VALU_DEP_1) | instskip(SKIP_1) | instid1(VALU_DEP_1)
	v_add3_u32 v20, v140, v113, v20
	v_bfe_u32 v113, v26, 8, 2
	v_mul_i32_i24_e32 v113, v113, v115
	s_delay_alu instid0(VALU_DEP_1) | instskip(SKIP_1) | instid1(VALU_DEP_1)
	v_add3_u32 v24, v25, v24, v113
	v_ashrrev_i32_e32 v25, s1, v122
	v_and_b32_e32 v113, 3, v25
	v_bfe_u32 v114, v25, 8, 2
	s_delay_alu instid0(VALU_DEP_2) | instskip(NEXT) | instid1(VALU_DEP_2)
	v_mul_i32_i24_e32 v113, v113, v102
	v_mul_i32_i24_e32 v114, v114, v101
	s_delay_alu instid0(VALU_DEP_1) | instskip(SKIP_2) | instid1(VALU_DEP_2)
	v_add3_u32 v113, v121, v113, v114
	v_bfe_u32 v114, v124, 24, 2
	v_bfe_u32 v121, v126, 8, 2
	v_mul_i32_i24_e32 v114, v100, v114
	s_delay_alu instid0(VALU_DEP_2) | instskip(NEXT) | instid1(VALU_DEP_1)
	v_mul_i32_i24_e32 v121, v121, v115
	v_add3_u32 v114, v125, v114, v121
	v_ashrrev_i32_e32 v121, s1, v130
	s_delay_alu instid0(VALU_DEP_1) | instskip(SKIP_1) | instid1(VALU_DEP_2)
	v_and_b32_e32 v122, 3, v121
	v_bfe_u32 v124, v121, 8, 2
	v_mul_i32_i24_e32 v122, v122, v102
	s_delay_alu instid0(VALU_DEP_2) | instskip(NEXT) | instid1(VALU_DEP_1)
	v_mul_i32_i24_e32 v124, v124, v101
	v_add3_u32 v122, v128, v122, v124
	v_bfe_u32 v124, v132, 24, 2
	s_delay_alu instid0(VALU_DEP_1) | instskip(SKIP_1) | instid1(VALU_DEP_1)
	v_mul_i32_i24_e32 v100, v100, v124
	v_bfe_u32 v124, v134, 8, 2
	v_mul_i32_i24_e32 v115, v124, v115
	s_delay_alu instid0(VALU_DEP_1) | instskip(SKIP_1) | instid1(VALU_DEP_1)
	v_add3_u32 v100, v107, v100, v115
	v_ashrrev_i32_e32 v107, s1, v136
	v_and_b32_e32 v115, 3, v107
	s_delay_alu instid0(VALU_DEP_1) | instskip(SKIP_1) | instid1(VALU_DEP_1)
	v_mul_i32_i24_e32 v102, v115, v102
	v_bfe_u32 v115, v107, 8, 2
	v_mul_i32_i24_e32 v101, v115, v101
	v_lshrrev_b32_e32 v115, 24, v133
	s_delay_alu instid0(VALU_DEP_2) | instskip(SKIP_2) | instid1(VALU_DEP_4)
	v_add3_u32 v101, v108, v102, v101
	v_bfe_i32 v102, v120, 16, 8
	v_lshrrev_b32_e32 v108, 24, v120
	v_mul_i32_i24_e32 v115, v105, v115
	s_delay_alu instid0(VALU_DEP_3) | instskip(NEXT) | instid1(VALU_DEP_3)
	v_mul_i32_i24_e32 v102, v103, v102
	v_mul_i32_i24_e32 v108, v105, v108
	s_delay_alu instid0(VALU_DEP_1) | instskip(SKIP_1) | instid1(VALU_DEP_1)
	v_add3_u32 v102, v118, v102, v108
	v_bfe_i32 v108, v133, 16, 8
	v_mul_i32_i24_e32 v108, v103, v108
	s_delay_alu instid0(VALU_DEP_1) | instskip(SKIP_1) | instid1(VALU_DEP_1)
	v_add3_u32 v108, v138, v108, v115
	v_bfe_i32 v115, v142, 16, 8
	v_mul_i32_i24_e32 v103, v103, v115
	v_lshrrev_b32_e32 v115, 24, v142
	s_delay_alu instid0(VALU_DEP_1) | instskip(NEXT) | instid1(VALU_DEP_1)
	v_mul_i32_i24_e32 v105, v105, v115
	v_add3_u32 v103, v143, v103, v105
	v_lshrrev_b16 v105, 8, v145
	s_delay_alu instid0(VALU_DEP_1) | instskip(NEXT) | instid1(VALU_DEP_1)
	v_bfe_i32 v105, v105, 0, 8
	v_mul_i32_i24_e32 v105, v112, v105
	v_bfe_i32 v112, v148, 8, 8
	s_delay_alu instid0(VALU_DEP_1) | instskip(NEXT) | instid1(VALU_DEP_1)
	v_mul_i32_i24_e32 v110, v110, v112
	v_add3_u32 v105, v105, v110, v111
	v_and_b32_e32 v110, 3, v23
	v_bfe_u32 v111, v23, 8, 2
	s_delay_alu instid0(VALU_DEP_2) | instskip(NEXT) | instid1(VALU_DEP_2)
	v_mul_i32_i24_e32 v110, v110, v93
	v_mul_i32_i24_e32 v111, v111, v117
	s_delay_alu instid0(VALU_DEP_1) | instskip(SKIP_2) | instid1(VALU_DEP_2)
	v_add3_u32 v22, v22, v110, v111
	v_and_b32_e32 v110, 3, v21
	v_bfe_u32 v111, v21, 8, 2
	v_mul_i32_i24_e32 v110, v110, v95
	s_delay_alu instid0(VALU_DEP_2) | instskip(NEXT) | instid1(VALU_DEP_1)
	v_mul_i32_i24_e32 v111, v111, v94
	v_add3_u32 v20, v20, v110, v111
	v_bfe_u32 v110, v26, 16, 2
	v_bfe_u32 v26, v26, 24, 2
	;; [unrolled: 1-line block ×3, first 2 shown]
	s_delay_alu instid0(VALU_DEP_3) | instskip(NEXT) | instid1(VALU_DEP_3)
	v_mul_i32_i24_e32 v110, v110, v97
	v_mul_i32_i24_e32 v26, v26, v96
	s_delay_alu instid0(VALU_DEP_3) | instskip(NEXT) | instid1(VALU_DEP_2)
	v_mul_i32_i24_e32 v111, v111, v98
	v_add3_u32 v24, v24, v110, v26
	v_bfe_u32 v26, v25, 16, 2
	v_bfe_u32 v25, v25, 24, 2
	;; [unrolled: 1-line block ×3, first 2 shown]
	s_delay_alu instid0(VALU_DEP_3) | instskip(NEXT) | instid1(VALU_DEP_3)
	v_mul_i32_i24_e32 v26, v26, v99
	v_mul_i32_i24_e32 v25, v25, v98
	s_delay_alu instid0(VALU_DEP_3) | instskip(NEXT) | instid1(VALU_DEP_2)
	v_mul_i32_i24_e32 v110, v110, v96
	v_add3_u32 v25, v113, v26, v25
	v_bfe_u32 v26, v126, 16, 2
	s_delay_alu instid0(VALU_DEP_1) | instskip(NEXT) | instid1(VALU_DEP_1)
	v_mul_i32_i24_e32 v26, v26, v97
	v_add3_u32 v26, v114, v26, v110
	v_bfe_u32 v110, v121, 16, 2
	s_delay_alu instid0(VALU_DEP_1) | instskip(NEXT) | instid1(VALU_DEP_1)
	v_mul_i32_i24_e32 v110, v110, v99
	v_add3_u32 v110, v122, v110, v111
	v_bfe_u32 v111, v134, 16, 2
	s_delay_alu instid0(VALU_DEP_1) | instskip(SKIP_1) | instid1(VALU_DEP_1)
	v_mul_i32_i24_e32 v97, v111, v97
	v_bfe_u32 v111, v134, 24, 2
	v_mul_i32_i24_e32 v96, v111, v96
	s_delay_alu instid0(VALU_DEP_1) | instskip(SKIP_1) | instid1(VALU_DEP_1)
	v_add3_u32 v96, v100, v97, v96
	v_bfe_u32 v97, v107, 16, 2
	v_mul_i32_i24_e32 v97, v97, v99
	v_bfe_u32 v99, v107, 24, 2
	s_delay_alu instid0(VALU_DEP_1) | instskip(SKIP_2) | instid1(VALU_DEP_3)
	v_mul_i32_i24_e32 v98, v99, v98
	v_bfe_u32 v99, v23, 16, 2
	v_bfe_u32 v23, v23, 24, 2
	v_add3_u32 v97, v101, v97, v98
	s_delay_alu instid0(VALU_DEP_3) | instskip(NEXT) | instid1(VALU_DEP_3)
	v_mul_i32_i24_e32 v99, v99, v90
	v_mul_i32_i24_e32 v23, v23, v89
	v_add3_u32 v98, v109, v104, v105
	s_delay_alu instid0(VALU_DEP_2) | instskip(SKIP_2) | instid1(VALU_DEP_4)
	v_add3_u32 v22, v22, v99, v23
	v_bfe_u32 v23, v21, 16, 2
	v_bfe_u32 v21, v21, 24, 2
	v_cvt_f32_i32_e32 v98, v98
	s_delay_alu instid0(VALU_DEP_3) | instskip(NEXT) | instid1(VALU_DEP_3)
	v_mul_i32_i24_e32 v23, v23, v92
	v_mul_i32_i24_e32 v21, v21, v91
	s_delay_alu instid0(VALU_DEP_1) | instskip(SKIP_1) | instid1(VALU_DEP_1)
	v_add3_u32 v21, v20, v23, v21
	v_ashrrev_i32_e32 v20, s1, v27
	v_and_b32_e32 v23, 3, v20
	v_bfe_u32 v27, v20, 8, 2
	s_delay_alu instid0(VALU_DEP_2) | instskip(NEXT) | instid1(VALU_DEP_2)
	v_mul_i32_i24_e32 v23, v23, v93
	v_mul_i32_i24_e32 v27, v27, v117
	s_delay_alu instid0(VALU_DEP_1) | instskip(SKIP_1) | instid1(VALU_DEP_1)
	v_add3_u32 v23, v24, v23, v27
	v_ashrrev_i32_e32 v24, s1, v123
	v_and_b32_e32 v27, 3, v24
	v_bfe_u32 v99, v24, 8, 2
	s_delay_alu instid0(VALU_DEP_2) | instskip(NEXT) | instid1(VALU_DEP_2)
	;; [unrolled: 8-line block ×4, first 2 shown]
	v_mul_i32_i24_e32 v100, v100, v95
	v_mul_i32_i24_e32 v101, v101, v94
	s_delay_alu instid0(VALU_DEP_1) | instskip(SKIP_1) | instid1(VALU_DEP_1)
	v_add3_u32 v100, v110, v100, v101
	v_ashrrev_i32_e32 v101, s1, v135
	v_and_b32_e32 v104, 3, v101
	s_delay_alu instid0(VALU_DEP_1) | instskip(SKIP_1) | instid1(VALU_DEP_1)
	v_mul_i32_i24_e32 v93, v104, v93
	v_bfe_u32 v104, v101, 8, 2
	v_mul_i32_i24_e32 v104, v104, v117
	s_delay_alu instid0(VALU_DEP_1) | instskip(SKIP_1) | instid1(VALU_DEP_1)
	v_add3_u32 v93, v96, v93, v104
	v_ashrrev_i32_e32 v96, s1, v137
	v_and_b32_e32 v104, 3, v96
	s_delay_alu instid0(VALU_DEP_1) | instskip(SKIP_1) | instid1(VALU_DEP_1)
	v_mul_i32_i24_e32 v95, v104, v95
	v_bfe_u32 v104, v96, 8, 2
	v_mul_i32_i24_e32 v94, v104, v94
	s_delay_alu instid0(VALU_DEP_1) | instskip(SKIP_3) | instid1(VALU_DEP_3)
	v_add3_u32 v94, v97, v95, v94
	v_bfe_u32 v95, v20, 16, 2
	v_bfe_u32 v20, v20, 24, 2
	v_and_b32_e32 v97, 15, v146
	v_mul_i32_i24_e32 v95, v95, v90
	s_delay_alu instid0(VALU_DEP_3) | instskip(NEXT) | instid1(VALU_DEP_1)
	v_mul_i32_i24_e32 v20, v20, v89
	v_add3_u32 v23, v23, v95, v20
	v_bfe_u32 v20, v24, 16, 2
	v_bfe_u32 v24, v24, 24, 2
	s_delay_alu instid0(VALU_DEP_2) | instskip(NEXT) | instid1(VALU_DEP_2)
	v_mul_i32_i24_e32 v20, v20, v92
	v_mul_i32_i24_e32 v24, v24, v91
	s_delay_alu instid0(VALU_DEP_1) | instskip(SKIP_3) | instid1(VALU_DEP_3)
	v_add3_u32 v24, v25, v20, v24
	v_bfe_u32 v20, v27, 16, 2
	v_bfe_u32 v25, v27, 24, 2
	;; [unrolled: 1-line block ×3, first 2 shown]
	v_mul_i32_i24_e32 v20, v20, v90
	s_delay_alu instid0(VALU_DEP_3) | instskip(NEXT) | instid1(VALU_DEP_3)
	v_mul_i32_i24_e32 v25, v25, v89
	v_mul_i32_i24_e32 v27, v27, v89
	s_wait_alu 0xfffe
	v_add3_u32 v89, s20, v82, v83
	s_delay_alu instid0(VALU_DEP_3) | instskip(SKIP_3) | instid1(VALU_DEP_3)
	v_add3_u32 v25, v26, v20, v25
	v_bfe_u32 v20, v99, 16, 2
	v_bfe_u32 v26, v99, 24, 2
	v_cvt_f32_i32_e32 v99, v103
	v_mul_i32_i24_e32 v20, v20, v92
	s_delay_alu instid0(VALU_DEP_3) | instskip(NEXT) | instid1(VALU_DEP_1)
	v_mul_i32_i24_e32 v26, v26, v91
	v_add3_u32 v26, v100, v20, v26
	v_bfe_u32 v20, v101, 16, 2
	s_delay_alu instid0(VALU_DEP_1) | instskip(SKIP_1) | instid1(VALU_DEP_2)
	v_mul_i32_i24_e32 v20, v20, v90
	v_bfe_u32 v90, v96, 24, 2
	v_add3_u32 v27, v93, v20, v27
	v_bfe_u32 v20, v96, 16, 2
	s_delay_alu instid0(VALU_DEP_3)
	v_mul_i32_i24_e32 v90, v90, v91
	v_add3_u32 v93, s20, v84, v85
	v_add3_u32 v91, s20, v78, v79
	ds_load_b32 v89, v89
	ds_load_b32 v91, v91
	v_mul_i32_i24_e32 v20, v20, v92
	ds_load_b32 v92, v87
	v_add_nc_u32_e32 v87, 4, v87
	v_add3_u32 v90, v94, v20, v90
	v_and_b32_e32 v20, 15, v116
	v_and_b32_e32 v94, 15, v119
	s_delay_alu instid0(VALU_DEP_2) | instskip(SKIP_3) | instid1(VALU_DEP_3)
	v_mul_lo_u32 v20, v22, v20
	v_and_b32_e32 v22, 15, v129
	s_wait_dscnt 0x2
	v_lshrrev_b32_e32 v96, 16, v89
	v_mad_co_u64_u32 v[20:21], null, v21, v94, v[20:21]
	v_add3_u32 v21, s20, v80, v81
	ds_load_b32 v93, v93
	ds_load_b32 v94, v21
	v_and_b32_e32 v21, 15, v144
	s_wait_dscnt 0x3
	v_lshrrev_b32_e32 v95, 16, v91
	v_cvt_f32_f16_e32 v96, v96
	v_cvt_f32_i32_e32 v20, v20
	s_add_co_i32 s20, s1, 2
	v_mul_lo_u32 v21, v23, v21
	v_and_b32_e32 v23, 15, v141
	s_cmp_lt_u32 s1, 6
	s_wait_alu 0xfffe
	s_mov_b32 s1, s20
	s_delay_alu instid0(VALU_DEP_2) | instskip(SKIP_3) | instid1(VALU_DEP_2)
	v_mad_co_u64_u32 v[21:22], null, v24, v22, v[21:22]
	v_and_b32_e32 v22, 15, v147
	s_wait_dscnt 0x0
	v_lshrrev_b32_e32 v24, 16, v94
	v_mul_lo_u32 v22, v25, v22
	v_lshrrev_b32_e32 v25, 16, v93
	v_cvt_f32_i32_e32 v21, v21
	s_delay_alu instid0(VALU_DEP_2) | instskip(NEXT) | instid1(VALU_DEP_4)
	v_cvt_f32_f16_e32 v25, v25
	v_mad_co_u64_u32 v[22:23], null, v26, v23, v[22:23]
	v_mul_lo_u32 v23, v27, v97
	v_cvt_f32_f16_e32 v26, v95
	v_cvt_f32_f16_e32 v95, v24
	v_and_b32_e32 v24, 15, v106
	v_cvt_f32_i32_e32 v27, v102
	v_cvt_f32_i32_e32 v97, v108
	v_mul_f32_e32 v25, v25, v98
	v_cvt_f32_i32_e32 v22, v22
	v_mad_co_u64_u32 v[23:24], null, v90, v24, v[23:24]
	v_mul_f32_e32 v24, v26, v27
	v_dual_mul_f32 v26, v95, v97 :: v_dual_mul_f32 v27, v96, v99
	s_delay_alu instid0(VALU_DEP_2) | instskip(NEXT) | instid1(VALU_DEP_4)
	v_fma_mix_f32 v20, v91, v20, -v24 op_sel_hi:[1,0,0]
	v_cvt_f32_i32_e32 v23, v23
	s_delay_alu instid0(VALU_DEP_3) | instskip(NEXT) | instid1(VALU_DEP_4)
	v_fma_mix_f32 v21, v94, v21, -v26 op_sel_hi:[1,0,0]
	v_fma_mix_f32 v22, v89, v22, -v27 op_sel_hi:[1,0,0]
	s_delay_alu instid0(VALU_DEP_4) | instskip(NEXT) | instid1(VALU_DEP_4)
	v_fmac_f32_e32 v30, v92, v20
	v_fma_mix_f32 v23, v93, v23, -v25 op_sel_hi:[1,0,0]
	s_delay_alu instid0(VALU_DEP_4) | instskip(NEXT) | instid1(VALU_DEP_4)
	v_fmac_f32_e32 v63, v92, v21
	v_fmac_f32_e32 v59, v92, v22
	s_delay_alu instid0(VALU_DEP_3)
	v_fmac_f32_e32 v17, v92, v23
	s_cbranch_scc1 .LBB208_11
; %bb.12:                               ;   in Loop: Header=BB208_5 Depth=1
	s_or_b32 s1, s18, 0x80
	s_wait_loadcnt 0x0
	s_wait_alu 0xfffe
	s_cmp_ge_i32 s1, s5
	s_barrier_signal -1
	s_barrier_wait -1
	global_inv scope:SCOPE_SE
	s_cbranch_scc1 .LBB208_4
; %bb.13:                               ;   in Loop: Header=BB208_5 Depth=1
	v_add_nc_u32_e32 v20, s19, v64
	s_delay_alu instid0(VALU_DEP_1)
	v_cmp_gt_i32_e64 s1, s6, v20
	s_and_b32 s20, s0, s1
	s_wait_alu 0xfffe
	s_and_saveexec_b32 s1, s20
	s_cbranch_execz .LBB208_15
; %bb.14:                               ;   in Loop: Header=BB208_5 Depth=1
	v_add_nc_u32_e32 v20, v67, v20
	s_delay_alu instid0(VALU_DEP_1)
	v_mad_co_i64_i32 v[20:21], null, v20, 36, v[18:19]
	global_load_b32 v20, v[20:21], off offset:4
	s_wait_loadcnt 0x0
	ds_store_b32 v60, v20
.LBB208_15:                             ;   in Loop: Header=BB208_5 Depth=1
	s_wait_alu 0xfffe
	s_or_b32 exec_lo, exec_lo, s1
	s_and_saveexec_b32 s20, vcc_lo
	s_cbranch_execz .LBB208_18
; %bb.16:                               ;   in Loop: Header=BB208_5 Depth=1
	v_or_b32_e32 v20, 4, v86
	s_delay_alu instid0(VALU_DEP_1)
	v_cmp_gt_i32_e64 s1, s6, v20
	s_and_b32 s1, s0, s1
	s_wait_alu 0xfffe
	s_and_b32 exec_lo, exec_lo, s1
	s_cbranch_execz .LBB208_18
; %bb.17:                               ;   in Loop: Header=BB208_5 Depth=1
	v_ashrrev_i32_e32 v20, 31, v86
	v_add_co_u32 v21, s1, v67, v86
	s_wait_alu 0xf1ff
	s_delay_alu instid0(VALU_DEP_2) | instskip(NEXT) | instid1(VALU_DEP_2)
	v_add_co_ci_u32_e64 v22, null, v69, v20, s1
	v_mad_co_u64_u32 v[20:21], null, v21, 36, s[2:3]
	s_delay_alu instid0(VALU_DEP_1)
	v_mad_i32_i24 v21, v22, 36, v21
	global_load_b32 v20, v[20:21], off offset:144
	s_wait_loadcnt 0x0
	v_cvt_f32_f16_e32 v20, v20
	ds_store_b32 v62, v20
.LBB208_18:                             ;   in Loop: Header=BB208_5 Depth=1
	s_wait_alu 0xfffe
	s_or_b32 exec_lo, exec_lo, s20
	v_dual_mov_b32 v24, v58 :: v_dual_mov_b32 v25, v61
	s_mov_b32 s1, 8
	s_wait_loadcnt_dscnt 0x0
	s_barrier_signal -1
	s_barrier_wait -1
	global_inv scope:SCOPE_SE
.LBB208_19:                             ;   Parent Loop BB208_5 Depth=1
                                        ; =>  This Inner Loop Header: Depth=2
	ds_load_b128 v[20:23], v24
	ds_load_b128 v[117:120], v24 offset:16
	s_wait_alu 0xfffe
	s_and_b32 s21, s1, 0x3ffffff8
	s_add_co_i32 s20, s1, -8
	s_wait_alu 0xfffe
	v_lshl_add_u32 v99, s21, 2, v0
	s_and_b32 s21, s1, -16
	s_wait_alu 0xfffe
	s_add_co_i32 s21, s1, s21
	s_delay_alu instid0(VALU_DEP_1)
	v_add_nc_u32_e32 v124, 0x1098, v99
	v_add_nc_u32_e32 v128, 0x2108, v99
	;; [unrolled: 1-line block ×3, first 2 shown]
	s_wait_dscnt 0x1
	v_ashrrev_i32_e32 v96, 24, v20
	v_bfe_i32 v110, v21, 8, 8
	v_bfe_i32 v111, v20, 0, 8
	;; [unrolled: 1-line block ×3, first 2 shown]
	v_ashrrev_i32_e32 v108, 24, v21
	v_bfe_i32 v105, v20, 8, 8
	v_bfe_i32 v113, v21, 0, 8
	;; [unrolled: 1-line block ×3, first 2 shown]
	v_lshrrev_b16 v112, 8, v22
	v_ashrrev_i32_e32 v92, 24, v22
	v_bfe_i32 v93, v22, 16, 8
	v_bfe_i32 v115, v22, 0, 8
	v_lshrrev_b16 v114, 8, v23
	v_ashrrev_i32_e32 v26, 24, v23
	v_bfe_i32 v27, v23, 16, 8
	v_bfe_i32 v89, v23, 0, 8
	s_wait_dscnt 0x0
	v_ashrrev_i32_e32 v94, 24, v119
	v_bfe_i32 v95, v119, 16, 8
	v_bfe_i32 v98, v119, 0, 8
	;; [unrolled: 1-line block ×3, first 2 shown]
	v_ashrrev_i32_e32 v87, 24, v120
	v_bfe_i32 v88, v120, 16, 8
	v_bfe_i32 v91, v120, 0, 8
	v_bfe_i32 v90, v120, 8, 8
	ds_load_2addr_b32 v[22:23], v99 offset1:1
	ds_load_2addr_b32 v[20:21], v99 offset0:2 offset1:3
	ds_load_2addr_b32 v[119:120], v99 offset0:4 offset1:5
	v_lshrrev_b16 v116, 8, v117
	v_ashrrev_i32_e32 v102, 24, v117
	v_bfe_i32 v106, v117, 0, 8
	v_bfe_i32 v100, v117, 16, 8
	v_lshrrev_b16 v117, 8, v118
	v_ashrrev_i32_e32 v103, 24, v118
	v_bfe_i32 v107, v118, 0, 8
	v_bfe_i32 v101, v118, 16, 8
	;; [unrolled: 1-line block ×4, first 2 shown]
	s_wait_dscnt 0x2
	v_ashrrev_i32_e32 v23, s20, v23
	s_wait_dscnt 0x1
	v_ashrrev_i32_e32 v20, s20, v20
	v_ashrrev_i32_e32 v21, s20, v21
	s_delay_alu instid0(VALU_DEP_3) | instskip(SKIP_1) | instid1(VALU_DEP_2)
	v_and_b32_e32 v118, 3, v23
	v_bfe_u32 v121, v23, 8, 2
	v_mul_i32_i24_e32 v118, v118, v113
	s_delay_alu instid0(VALU_DEP_1) | instskip(SKIP_2) | instid1(VALU_DEP_2)
	v_mad_i32_i24 v118, v121, v110, v118
	v_bfe_u32 v121, v23, 16, 2
	v_bfe_u32 v23, v23, 24, 2
	v_mul_i32_i24_e32 v121, v121, v109
	s_delay_alu instid0(VALU_DEP_2) | instskip(NEXT) | instid1(VALU_DEP_1)
	v_mul_i32_i24_e32 v23, v23, v108
	v_add3_u32 v118, v118, v121, v23
	v_bfe_i32 v23, v116, 0, 8
	s_wait_dscnt 0x0
	v_ashrrev_i32_e32 v116, s20, v119
	s_delay_alu instid0(VALU_DEP_1) | instskip(SKIP_1) | instid1(VALU_DEP_2)
	v_and_b32_e32 v119, 3, v116
	v_bfe_u32 v121, v116, 8, 2
	v_mul_i32_i24_e32 v119, v119, v106
	s_delay_alu instid0(VALU_DEP_1) | instskip(SKIP_2) | instid1(VALU_DEP_2)
	v_mad_i32_i24 v119, v121, v23, v119
	v_bfe_u32 v121, v116, 16, 2
	v_bfe_u32 v116, v116, 24, 2
	v_mul_i32_i24_e32 v121, v121, v100
	s_delay_alu instid0(VALU_DEP_2) | instskip(NEXT) | instid1(VALU_DEP_1)
	v_mul_i32_i24_e32 v116, v116, v102
	v_add3_u32 v121, v119, v121, v116
	v_ashrrev_i32_e32 v116, s20, v22
	v_and_b32_e32 v119, 3, v20
	s_delay_alu instid0(VALU_DEP_2) | instskip(NEXT) | instid1(VALU_DEP_2)
	v_and_b32_e32 v22, 3, v116
	v_mul_i32_i24_e32 v119, v119, v115
	s_delay_alu instid0(VALU_DEP_2) | instskip(NEXT) | instid1(VALU_DEP_1)
	v_mul_i32_i24_e32 v22, v111, v22
	v_add3_u32 v119, v118, v119, v22
	v_ashrrev_i32_e32 v118, s20, v120
	v_bfe_i32 v22, v117, 0, 8
	s_delay_alu instid0(VALU_DEP_2) | instskip(SKIP_1) | instid1(VALU_DEP_2)
	v_and_b32_e32 v117, 3, v118
	v_bfe_u32 v120, v118, 8, 2
	v_mul_i32_i24_e32 v117, v117, v107
	s_delay_alu instid0(VALU_DEP_2) | instskip(NEXT) | instid1(VALU_DEP_1)
	v_mul_i32_i24_e32 v120, v120, v22
	v_add3_u32 v117, v121, v117, v120
	v_add_nc_u32_e32 v120, 0x1080, v99
	ds_load_2addr_b32 v[121:122], v120 offset1:1
	s_wait_dscnt 0x0
	v_ashrrev_i32_e32 v120, s20, v122
	s_delay_alu instid0(VALU_DEP_1) | instskip(SKIP_1) | instid1(VALU_DEP_2)
	v_and_b32_e32 v122, 3, v120
	v_bfe_u32 v123, v120, 8, 2
	v_mul_i32_i24_e32 v122, v122, v113
	s_delay_alu instid0(VALU_DEP_1) | instskip(SKIP_2) | instid1(VALU_DEP_2)
	v_mad_i32_i24 v122, v123, v110, v122
	v_bfe_u32 v123, v120, 16, 2
	v_bfe_u32 v120, v120, 24, 2
	v_mul_i32_i24_e32 v123, v123, v109
	s_delay_alu instid0(VALU_DEP_2) | instskip(NEXT) | instid1(VALU_DEP_1)
	v_mul_i32_i24_e32 v120, v120, v108
	v_add3_u32 v137, v122, v123, v120
	s_wait_alu 0xfffe
	v_add_nc_u32_e32 v120, s21, v71
	v_add_nc_u32_e32 v122, 0x1090, v99
	ds_load_u16 v120, v120 offset:17920
	ds_load_2addr_b32 v[122:123], v122 offset1:1
	ds_load_2addr_b32 v[124:125], v124 offset1:1
	s_wait_dscnt 0x1
	v_ashrrev_i32_e32 v122, s20, v122
	v_ashrrev_i32_e32 v123, s20, v123
	s_delay_alu instid0(VALU_DEP_2) | instskip(SKIP_1) | instid1(VALU_DEP_2)
	v_and_b32_e32 v126, 3, v122
	v_bfe_u32 v127, v122, 8, 2
	v_mul_i32_i24_e32 v126, v126, v106
	s_delay_alu instid0(VALU_DEP_1) | instskip(SKIP_2) | instid1(VALU_DEP_2)
	v_mad_i32_i24 v126, v127, v23, v126
	v_bfe_u32 v127, v122, 16, 2
	v_bfe_u32 v122, v122, 24, 2
	v_mul_i32_i24_e32 v127, v127, v100
	s_delay_alu instid0(VALU_DEP_2) | instskip(NEXT) | instid1(VALU_DEP_1)
	v_mul_i32_i24_e32 v122, v122, v102
	v_add3_u32 v122, v126, v127, v122
	v_add_nc_u32_e32 v126, 0x2100, v99
	ds_load_2addr_b32 v[126:127], v126 offset1:1
	ds_load_2addr_b32 v[128:129], v128 offset1:1
	;; [unrolled: 1-line block ×3, first 2 shown]
	s_wait_dscnt 0x2
	v_ashrrev_i32_e32 v127, s20, v127
	v_ashrrev_i32_e32 v126, s20, v126
	s_wait_dscnt 0x0
	v_ashrrev_i32_e32 v130, s20, v130
	v_ashrrev_i32_e32 v128, s20, v128
	;; [unrolled: 1-line block ×3, first 2 shown]
	v_and_b32_e32 v132, 3, v127
	v_bfe_u32 v133, v127, 8, 2
	s_delay_alu instid0(VALU_DEP_2) | instskip(NEXT) | instid1(VALU_DEP_1)
	v_mul_i32_i24_e32 v132, v132, v113
	v_mad_i32_i24 v132, v133, v110, v132
	v_bfe_u32 v133, v127, 16, 2
	v_bfe_u32 v127, v127, 24, 2
	s_delay_alu instid0(VALU_DEP_2) | instskip(NEXT) | instid1(VALU_DEP_2)
	v_mul_i32_i24_e32 v133, v133, v109
	v_mul_i32_i24_e32 v127, v127, v108
	s_delay_alu instid0(VALU_DEP_1) | instskip(SKIP_2) | instid1(VALU_DEP_2)
	v_add3_u32 v127, v132, v133, v127
	v_and_b32_e32 v132, 3, v130
	v_bfe_u32 v133, v130, 8, 2
	v_mul_i32_i24_e32 v132, v132, v106
	s_delay_alu instid0(VALU_DEP_1) | instskip(SKIP_2) | instid1(VALU_DEP_2)
	v_mad_i32_i24 v132, v133, v23, v132
	v_bfe_u32 v133, v130, 16, 2
	v_bfe_u32 v130, v130, 24, 2
	v_mul_i32_i24_e32 v133, v133, v100
	s_delay_alu instid0(VALU_DEP_2) | instskip(NEXT) | instid1(VALU_DEP_1)
	v_mul_i32_i24_e32 v130, v130, v102
	v_add3_u32 v130, v132, v133, v130
	v_add_nc_u32_e32 v132, 0x3180, v99
	ds_load_2addr_b32 v[132:133], v132 offset1:1
	s_wait_dscnt 0x0
	v_ashrrev_i32_e32 v133, s20, v133
	v_ashrrev_i32_e32 v132, s20, v132
	s_delay_alu instid0(VALU_DEP_2) | instskip(SKIP_1) | instid1(VALU_DEP_2)
	v_and_b32_e32 v134, 3, v133
	v_bfe_u32 v135, v133, 8, 2
	v_mul_i32_i24_e32 v134, v134, v113
	s_delay_alu instid0(VALU_DEP_1) | instskip(SKIP_3) | instid1(VALU_DEP_3)
	v_mad_i32_i24 v134, v135, v110, v134
	v_bfe_u32 v135, v133, 16, 2
	v_bfe_u32 v133, v133, 24, 2
	v_add_nc_u32_e32 v110, v105, v110
	v_mul_i32_i24_e32 v135, v135, v109
	s_delay_alu instid0(VALU_DEP_3) | instskip(NEXT) | instid1(VALU_DEP_3)
	v_mul_i32_i24_e32 v133, v133, v108
	v_add3_u32 v110, v110, v112, v114
	v_add_nc_u32_e32 v108, v108, v96
	v_add_nc_u32_e32 v109, v109, v104
	s_delay_alu instid0(VALU_DEP_4) | instskip(SKIP_2) | instid1(VALU_DEP_4)
	v_add3_u32 v138, v134, v135, v133
	v_add_nc_u32_e32 v133, s21, v70
	v_add_nc_u32_e32 v135, 0x3198, v99
	v_add3_u32 v145, v109, v93, v27
	ds_load_u16 v139, v133 offset:19968
	v_add_nc_u32_e32 v133, 0x3190, v99
	ds_load_2addr_b32 v[133:134], v133 offset1:1
	ds_load_2addr_b32 v[135:136], v135 offset1:1
	s_wait_dscnt 0x1
	v_ashrrev_i32_e32 v133, s20, v133
	v_ashrrev_i32_e32 v134, s20, v134
	s_delay_alu instid0(VALU_DEP_2) | instskip(SKIP_1) | instid1(VALU_DEP_2)
	v_and_b32_e32 v140, 3, v133
	v_bfe_u32 v141, v133, 8, 2
	v_mul_i32_i24_e32 v140, v140, v106
	v_add_nc_u32_e32 v106, v107, v106
	s_delay_alu instid0(VALU_DEP_2) | instskip(SKIP_2) | instid1(VALU_DEP_2)
	v_mad_i32_i24 v140, v141, v23, v140
	v_bfe_u32 v141, v133, 16, 2
	v_bfe_u32 v133, v133, 24, 2
	v_mul_i32_i24_e32 v141, v141, v100
	s_delay_alu instid0(VALU_DEP_2) | instskip(NEXT) | instid1(VALU_DEP_1)
	v_mul_i32_i24_e32 v133, v133, v102
	v_add3_u32 v133, v140, v141, v133
	v_bfe_u32 v140, v116, 8, 2
	v_bfe_u32 v141, v116, 16, 2
	s_delay_alu instid0(VALU_DEP_2) | instskip(NEXT) | instid1(VALU_DEP_2)
	v_mul_i32_i24_e32 v140, v105, v140
	v_mul_i32_i24_e32 v141, v104, v141
	s_delay_alu instid0(VALU_DEP_1) | instskip(SKIP_3) | instid1(VALU_DEP_3)
	v_add3_u32 v119, v119, v140, v141
	v_bfe_u32 v140, v118, 16, 2
	v_bfe_u32 v118, v118, 24, 2
	v_ashrrev_i32_e32 v141, s20, v121
	v_mul_i32_i24_e32 v140, v140, v101
	s_delay_alu instid0(VALU_DEP_3) | instskip(NEXT) | instid1(VALU_DEP_1)
	v_mul_i32_i24_e32 v118, v118, v103
	v_add3_u32 v140, v117, v140, v118
	s_delay_alu instid0(VALU_DEP_4) | instskip(NEXT) | instid1(VALU_DEP_1)
	v_and_b32_e32 v117, 3, v141
	v_mul_i32_i24_e32 v121, v111, v117
	v_add_nc_u32_e32 v117, 0x1088, v99
	ds_load_2addr_b32 v[117:118], v117 offset1:1
	s_wait_dscnt 0x0
	v_ashrrev_i32_e32 v117, s20, v117
	s_delay_alu instid0(VALU_DEP_1) | instskip(NEXT) | instid1(VALU_DEP_1)
	v_and_b32_e32 v142, 3, v117
	v_mul_i32_i24_e32 v142, v142, v115
	s_delay_alu instid0(VALU_DEP_1) | instskip(SKIP_2) | instid1(VALU_DEP_2)
	v_add3_u32 v137, v137, v142, v121
	v_and_b32_e32 v121, 3, v123
	v_bfe_u32 v142, v123, 8, 2
	v_mul_i32_i24_e32 v121, v121, v107
	s_delay_alu instid0(VALU_DEP_2) | instskip(NEXT) | instid1(VALU_DEP_1)
	v_mul_i32_i24_e32 v142, v142, v22
	v_add3_u32 v142, v122, v121, v142
	v_and_b32_e32 v121, 3, v126
	v_and_b32_e32 v122, 3, v128
	s_delay_alu instid0(VALU_DEP_2) | instskip(NEXT) | instid1(VALU_DEP_2)
	v_mul_i32_i24_e32 v121, v111, v121
	v_mul_i32_i24_e32 v122, v122, v115
	s_delay_alu instid0(VALU_DEP_1) | instskip(SKIP_2) | instid1(VALU_DEP_2)
	v_add3_u32 v127, v127, v122, v121
	v_and_b32_e32 v121, 3, v131
	v_bfe_u32 v122, v131, 8, 2
	v_mul_i32_i24_e32 v121, v121, v107
	s_delay_alu instid0(VALU_DEP_2) | instskip(NEXT) | instid1(VALU_DEP_1)
	v_mul_i32_i24_e32 v122, v122, v22
	v_add3_u32 v130, v130, v121, v122
	v_and_b32_e32 v121, 3, v132
	s_delay_alu instid0(VALU_DEP_1)
	v_mul_i32_i24_e32 v143, v111, v121
	v_add_nc_u32_e32 v121, 0x3188, v99
	v_add_nc_u32_e32 v111, v113, v111
	;; [unrolled: 1-line block ×3, first 2 shown]
	ds_load_2addr_b32 v[121:122], v121 offset1:1
	v_add3_u32 v111, v111, v115, v89
	ds_load_u16 v113, v113 offset:16896
	s_wait_dscnt 0x1
	v_ashrrev_i32_e32 v121, s20, v121
	s_delay_alu instid0(VALU_DEP_1) | instskip(NEXT) | instid1(VALU_DEP_1)
	v_and_b32_e32 v144, 3, v121
	v_mul_i32_i24_e32 v144, v144, v115
	s_wait_dscnt 0x0
	v_bfe_u32 v115, v113, 4, 4
	s_delay_alu instid0(VALU_DEP_2) | instskip(SKIP_2) | instid1(VALU_DEP_4)
	v_add3_u32 v138, v138, v144, v143
	v_and_b32_e32 v143, 3, v134
	v_bfe_u32 v144, v134, 8, 2
	v_mul_lo_u32 v115, 0x1010101, v115
	s_delay_alu instid0(VALU_DEP_3) | instskip(NEXT) | instid1(VALU_DEP_3)
	v_mul_i32_i24_e32 v143, v143, v107
	v_mul_i32_i24_e32 v144, v144, v22
	v_add_nc_u32_e32 v22, v22, v23
	v_add3_u32 v23, v106, v98, v91
	v_bfe_i32 v109, v115, 16, 8
	s_delay_alu instid0(VALU_DEP_4)
	v_add3_u32 v133, v133, v143, v144
	v_bfe_i32 v143, v115, 0, 8
	v_bfe_i32 v144, v115, 8, 8
	v_add3_u32 v106, v22, v97, v90
	v_mul_i32_i24_e32 v109, v145, v109
	v_lshrrev_b16 v22, 8, v113
	v_mul_i32_i24_e32 v143, v111, v143
	s_delay_alu instid0(VALU_DEP_2) | instskip(NEXT) | instid1(VALU_DEP_2)
	v_and_b32_e32 v107, 0xffff, v22
	v_mad_i32_i24 v143, v110, v144, v143
	v_add3_u32 v144, v108, v92, v26
	v_lshrrev_b32_e32 v108, 24, v115
	s_delay_alu instid0(VALU_DEP_4) | instskip(NEXT) | instid1(VALU_DEP_2)
	v_lshrrev_b32_e32 v22, 4, v107
	v_mul_i32_i24_e32 v108, v144, v108
	s_delay_alu instid0(VALU_DEP_1) | instskip(SKIP_1) | instid1(VALU_DEP_1)
	v_add3_u32 v115, v143, v109, v108
	v_bfe_u32 v108, v120, 4, 4
	v_mul_lo_u32 v108, 0x1010101, v108
	s_delay_alu instid0(VALU_DEP_1) | instskip(SKIP_1) | instid1(VALU_DEP_2)
	v_bfe_i32 v109, v108, 0, 8
	v_bfe_i32 v143, v108, 8, 8
	v_mul_i32_i24_e32 v109, v111, v109
	s_delay_alu instid0(VALU_DEP_1) | instskip(SKIP_2) | instid1(VALU_DEP_2)
	v_mad_i32_i24 v109, v110, v143, v109
	v_lshrrev_b32_e32 v143, 24, v108
	v_bfe_i32 v108, v108, 16, 8
	v_mul_i32_i24_e32 v143, v144, v143
	s_delay_alu instid0(VALU_DEP_2) | instskip(NEXT) | instid1(VALU_DEP_1)
	v_mul_i32_i24_e32 v108, v145, v108
	v_add3_u32 v143, v109, v108, v143
	v_add_nc_u32_e32 v108, s21, v72
	ds_load_u16 v146, v108 offset:18944
	s_wait_dscnt 0x0
	v_bfe_u32 v108, v146, 4, 4
	s_delay_alu instid0(VALU_DEP_1) | instskip(NEXT) | instid1(VALU_DEP_1)
	v_mul_lo_u32 v108, 0x1010101, v108
	v_bfe_i32 v109, v108, 0, 8
	v_bfe_i32 v147, v108, 8, 8
	s_delay_alu instid0(VALU_DEP_2) | instskip(NEXT) | instid1(VALU_DEP_1)
	v_mul_i32_i24_e32 v109, v111, v109
	v_mad_i32_i24 v109, v110, v147, v109
	v_lshrrev_b32_e32 v147, 24, v108
	v_bfe_i32 v108, v108, 16, 8
	s_delay_alu instid0(VALU_DEP_2) | instskip(NEXT) | instid1(VALU_DEP_2)
	v_mul_i32_i24_e32 v147, v144, v147
	v_mul_i32_i24_e32 v108, v145, v108
	s_delay_alu instid0(VALU_DEP_1) | instskip(SKIP_2) | instid1(VALU_DEP_2)
	v_add3_u32 v147, v109, v108, v147
	v_bfe_u32 v108, v116, 24, 2
	v_bfe_u32 v109, v20, 8, 2
	v_mul_i32_i24_e32 v108, v96, v108
	s_delay_alu instid0(VALU_DEP_2) | instskip(NEXT) | instid1(VALU_DEP_1)
	v_mul_i32_i24_e32 v109, v109, v112
	v_add3_u32 v116, v119, v108, v109
	ds_load_2addr_b32 v[108:109], v99 offset0:6 offset1:7
	s_wait_dscnt 0x0
	v_ashrrev_i32_e32 v108, s20, v108
	s_delay_alu instid0(VALU_DEP_1) | instskip(SKIP_1) | instid1(VALU_DEP_2)
	v_and_b32_e32 v119, 3, v108
	v_bfe_u32 v148, v108, 8, 2
	v_mul_i32_i24_e32 v119, v119, v98
	s_delay_alu instid0(VALU_DEP_2) | instskip(NEXT) | instid1(VALU_DEP_1)
	v_mul_i32_i24_e32 v148, v148, v97
	v_add3_u32 v119, v140, v119, v148
	v_bfe_u32 v140, v141, 8, 2
	v_bfe_u32 v148, v141, 16, 2
	s_delay_alu instid0(VALU_DEP_2) | instskip(NEXT) | instid1(VALU_DEP_2)
	v_mul_i32_i24_e32 v140, v105, v140
	v_mul_i32_i24_e32 v148, v104, v148
	s_delay_alu instid0(VALU_DEP_1) | instskip(SKIP_2) | instid1(VALU_DEP_2)
	v_add3_u32 v137, v137, v140, v148
	v_bfe_u32 v140, v123, 16, 2
	v_bfe_u32 v123, v123, 24, 2
	v_mul_i32_i24_e32 v140, v140, v101
	s_delay_alu instid0(VALU_DEP_2) | instskip(NEXT) | instid1(VALU_DEP_1)
	v_mul_i32_i24_e32 v123, v123, v103
	v_add3_u32 v123, v142, v140, v123
	v_bfe_u32 v140, v126, 8, 2
	v_bfe_u32 v142, v126, 16, 2
	s_delay_alu instid0(VALU_DEP_2) | instskip(NEXT) | instid1(VALU_DEP_2)
	v_mul_i32_i24_e32 v140, v105, v140
	v_mul_i32_i24_e32 v142, v104, v142
	s_delay_alu instid0(VALU_DEP_1) | instskip(SKIP_2) | instid1(VALU_DEP_2)
	v_add3_u32 v127, v127, v140, v142
	v_bfe_u32 v140, v131, 16, 2
	v_bfe_u32 v131, v131, 24, 2
	v_mul_i32_i24_e32 v140, v140, v101
	s_delay_alu instid0(VALU_DEP_2) | instskip(NEXT) | instid1(VALU_DEP_1)
	v_mul_i32_i24_e32 v131, v131, v103
	v_add3_u32 v130, v130, v140, v131
	v_bfe_u32 v131, v132, 8, 2
	s_delay_alu instid0(VALU_DEP_1) | instskip(SKIP_1) | instid1(VALU_DEP_1)
	v_mul_i32_i24_e32 v105, v105, v131
	v_bfe_u32 v131, v132, 16, 2
	v_mul_i32_i24_e32 v104, v104, v131
	v_bfe_u32 v131, v134, 24, 2
	s_delay_alu instid0(VALU_DEP_2) | instskip(SKIP_1) | instid1(VALU_DEP_3)
	v_add3_u32 v104, v138, v105, v104
	v_bfe_u32 v105, v134, 16, 2
	v_mul_i32_i24_e32 v131, v131, v103
	s_delay_alu instid0(VALU_DEP_2) | instskip(NEXT) | instid1(VALU_DEP_1)
	v_mul_i32_i24_e32 v105, v105, v101
	v_add3_u32 v105, v133, v105, v131
	v_mul_lo_u32 v131, 0x1010101, v22
	s_delay_alu instid0(VALU_DEP_1) | instskip(SKIP_1) | instid1(VALU_DEP_2)
	v_bfe_i32 v22, v131, 0, 8
	v_bfe_i32 v133, v131, 8, 8
	v_mul_i32_i24_e32 v22, v23, v22
	s_delay_alu instid0(VALU_DEP_2) | instskip(NEXT) | instid1(VALU_DEP_1)
	v_mul_i32_i24_e32 v133, v106, v133
	v_add3_u32 v115, v115, v22, v133
	v_lshrrev_b16 v22, 8, v120
	s_delay_alu instid0(VALU_DEP_1) | instskip(NEXT) | instid1(VALU_DEP_1)
	v_and_b32_e32 v133, 0xffff, v22
	v_lshrrev_b32_e32 v22, 4, v133
	s_delay_alu instid0(VALU_DEP_1) | instskip(NEXT) | instid1(VALU_DEP_1)
	v_mul_lo_u32 v134, 0x1010101, v22
	v_bfe_i32 v22, v134, 0, 8
	v_bfe_i32 v138, v134, 8, 8
	s_delay_alu instid0(VALU_DEP_2) | instskip(NEXT) | instid1(VALU_DEP_2)
	v_mul_i32_i24_e32 v22, v23, v22
	v_mul_i32_i24_e32 v138, v106, v138
	s_delay_alu instid0(VALU_DEP_1) | instskip(SKIP_1) | instid1(VALU_DEP_1)
	v_add3_u32 v138, v143, v22, v138
	v_lshrrev_b16 v22, 8, v146
	v_and_b32_e32 v140, 0xffff, v22
	s_delay_alu instid0(VALU_DEP_1) | instskip(NEXT) | instid1(VALU_DEP_1)
	v_lshrrev_b32_e32 v22, 4, v140
	v_mul_lo_u32 v142, 0x1010101, v22
	s_delay_alu instid0(VALU_DEP_1) | instskip(SKIP_1) | instid1(VALU_DEP_2)
	v_bfe_i32 v22, v142, 0, 8
	v_bfe_i32 v143, v142, 8, 8
	v_mul_i32_i24_e32 v22, v23, v22
	s_delay_alu instid0(VALU_DEP_2) | instskip(NEXT) | instid1(VALU_DEP_1)
	v_mul_i32_i24_e32 v143, v106, v143
	v_add3_u32 v143, v147, v22, v143
	v_add_nc_u32_e32 v22, v103, v102
	s_delay_alu instid0(VALU_DEP_1) | instskip(SKIP_1) | instid1(VALU_DEP_1)
	v_add3_u32 v102, v22, v94, v87
	v_lshrrev_b16 v22, 8, v139
	v_and_b32_e32 v103, 0xffff, v22
	v_bfe_u32 v22, v139, 4, 4
	s_delay_alu instid0(VALU_DEP_1) | instskip(NEXT) | instid1(VALU_DEP_3)
	v_mul_lo_u32 v147, 0x1010101, v22
	v_lshrrev_b32_e32 v22, 4, v103
	s_delay_alu instid0(VALU_DEP_1) | instskip(NEXT) | instid1(VALU_DEP_3)
	v_mul_lo_u32 v148, 0x1010101, v22
	v_lshrrev_b32_e32 v149, 24, v147
	s_delay_alu instid0(VALU_DEP_2) | instskip(NEXT) | instid1(VALU_DEP_1)
	v_lshrrev_b32_e32 v22, 24, v148
	v_mul_i32_i24_e32 v22, v102, v22
	s_delay_alu instid0(VALU_DEP_1) | instskip(SKIP_2) | instid1(VALU_DEP_2)
	v_mad_i32_i24 v144, v144, v149, v22
	v_add_nc_u32_e32 v22, v101, v100
	v_bfe_i32 v101, v147, 16, 8
	v_add3_u32 v100, v22, v95, v88
	v_bfe_i32 v22, v148, 16, 8
	s_delay_alu instid0(VALU_DEP_1) | instskip(NEXT) | instid1(VALU_DEP_1)
	v_mul_i32_i24_e32 v22, v100, v22
	v_mad_i32_i24 v101, v145, v101, v22
	v_bfe_i32 v22, v148, 0, 8
	s_delay_alu instid0(VALU_DEP_1) | instskip(SKIP_1) | instid1(VALU_DEP_1)
	v_mul_i32_i24_e32 v22, v23, v22
	v_bfe_i32 v23, v147, 0, 8
	v_mad_i32_i24 v111, v111, v23, v22
	v_bfe_u32 v22, v20, 16, 2
	v_bfe_u32 v20, v20, 24, 2
	;; [unrolled: 1-line block ×3, first 2 shown]
	s_delay_alu instid0(VALU_DEP_3) | instskip(NEXT) | instid1(VALU_DEP_3)
	v_mul_i32_i24_e32 v22, v22, v93
	v_mul_i32_i24_e32 v20, v20, v92
	s_delay_alu instid0(VALU_DEP_3) | instskip(NEXT) | instid1(VALU_DEP_2)
	v_mul_i32_i24_e32 v23, v23, v94
	v_add3_u32 v20, v116, v22, v20
	v_bfe_u32 v22, v108, 16, 2
	s_delay_alu instid0(VALU_DEP_1) | instskip(NEXT) | instid1(VALU_DEP_1)
	v_mul_i32_i24_e32 v22, v22, v95
	v_add3_u32 v108, v119, v22, v23
	v_bfe_u32 v22, v141, 24, 2
	v_bfe_u32 v23, v117, 8, 2
	v_ashrrev_i32_e32 v119, s20, v124
	s_delay_alu instid0(VALU_DEP_3) | instskip(NEXT) | instid1(VALU_DEP_3)
	v_mul_i32_i24_e32 v22, v96, v22
	v_mul_i32_i24_e32 v23, v23, v112
	s_delay_alu instid0(VALU_DEP_1) | instskip(NEXT) | instid1(VALU_DEP_4)
	v_add3_u32 v116, v137, v22, v23
	v_and_b32_e32 v22, 3, v119
	v_bfe_u32 v23, v119, 8, 2
	s_delay_alu instid0(VALU_DEP_2) | instskip(NEXT) | instid1(VALU_DEP_2)
	v_mul_i32_i24_e32 v22, v22, v98
	v_mul_i32_i24_e32 v23, v23, v97
	s_delay_alu instid0(VALU_DEP_1) | instskip(SKIP_2) | instid1(VALU_DEP_2)
	v_add3_u32 v123, v123, v22, v23
	v_bfe_u32 v22, v126, 24, 2
	v_bfe_u32 v23, v128, 8, 2
	v_mul_i32_i24_e32 v22, v96, v22
	s_delay_alu instid0(VALU_DEP_2) | instskip(NEXT) | instid1(VALU_DEP_1)
	v_mul_i32_i24_e32 v23, v23, v112
	v_add3_u32 v124, v127, v22, v23
	v_add_nc_u32_e32 v22, 0x2118, v99
	ds_load_2addr_b32 v[22:23], v22 offset1:1
	s_wait_dscnt 0x0
	v_ashrrev_i32_e32 v22, s20, v22
	v_ashrrev_i32_e32 v23, s20, v23
	s_delay_alu instid0(VALU_DEP_2) | instskip(SKIP_1) | instid1(VALU_DEP_2)
	v_and_b32_e32 v99, 3, v22
	v_bfe_u32 v126, v22, 8, 2
	v_mul_i32_i24_e32 v99, v99, v98
	s_delay_alu instid0(VALU_DEP_2) | instskip(NEXT) | instid1(VALU_DEP_1)
	v_mul_i32_i24_e32 v126, v126, v97
	v_add3_u32 v99, v130, v99, v126
	v_bfe_u32 v126, v132, 24, 2
	s_delay_alu instid0(VALU_DEP_1) | instskip(SKIP_1) | instid1(VALU_DEP_1)
	v_mul_i32_i24_e32 v96, v96, v126
	v_bfe_u32 v126, v121, 8, 2
	v_mul_i32_i24_e32 v112, v126, v112
	s_delay_alu instid0(VALU_DEP_1) | instskip(SKIP_1) | instid1(VALU_DEP_1)
	v_add3_u32 v96, v104, v96, v112
	v_ashrrev_i32_e32 v104, s20, v135
	v_and_b32_e32 v112, 3, v104
	s_delay_alu instid0(VALU_DEP_1) | instskip(SKIP_1) | instid1(VALU_DEP_1)
	v_mul_i32_i24_e32 v98, v112, v98
	v_bfe_u32 v112, v104, 8, 2
	v_mul_i32_i24_e32 v97, v112, v97
	v_bfe_i32 v112, v134, 16, 8
	s_delay_alu instid0(VALU_DEP_2) | instskip(SKIP_2) | instid1(VALU_DEP_4)
	v_add3_u32 v97, v105, v98, v97
	v_lshrrev_b32_e32 v98, 24, v131
	v_bfe_i32 v105, v131, 16, 8
	v_mul_i32_i24_e32 v112, v100, v112
	s_delay_alu instid0(VALU_DEP_3) | instskip(NEXT) | instid1(VALU_DEP_3)
	v_mul_i32_i24_e32 v98, v102, v98
	v_mul_i32_i24_e32 v105, v100, v105
	s_delay_alu instid0(VALU_DEP_1) | instskip(SKIP_2) | instid1(VALU_DEP_2)
	v_add3_u32 v98, v115, v105, v98
	v_lshrrev_b32_e32 v105, 24, v134
	v_bfe_u32 v115, v128, 24, 2
	v_mul_i32_i24_e32 v105, v102, v105
	s_delay_alu instid0(VALU_DEP_2) | instskip(NEXT) | instid1(VALU_DEP_2)
	v_mul_i32_i24_e32 v115, v115, v92
	v_add3_u32 v105, v138, v112, v105
	v_lshrrev_b32_e32 v112, 24, v142
	s_delay_alu instid0(VALU_DEP_1) | instskip(SKIP_1) | instid1(VALU_DEP_1)
	v_mul_i32_i24_e32 v102, v102, v112
	v_bfe_i32 v112, v142, 16, 8
	v_mul_i32_i24_e32 v100, v100, v112
	v_bfe_u32 v112, v119, 24, 2
	s_delay_alu instid0(VALU_DEP_2) | instskip(SKIP_1) | instid1(VALU_DEP_3)
	v_add3_u32 v100, v143, v100, v102
	v_lshrrev_b16 v102, 8, v147
	v_mul_i32_i24_e32 v112, v112, v94
	s_delay_alu instid0(VALU_DEP_2) | instskip(NEXT) | instid1(VALU_DEP_1)
	v_bfe_i32 v102, v102, 0, 8
	v_mul_i32_i24_e32 v102, v110, v102
	v_bfe_i32 v110, v148, 8, 8
	s_delay_alu instid0(VALU_DEP_1) | instskip(SKIP_1) | instid1(VALU_DEP_2)
	v_mul_i32_i24_e32 v106, v106, v110
	v_bfe_u32 v110, v21, 8, 2
	v_add3_u32 v102, v102, v106, v144
	v_and_b32_e32 v106, 3, v21
	s_delay_alu instid0(VALU_DEP_3) | instskip(NEXT) | instid1(VALU_DEP_2)
	v_mul_i32_i24_e32 v110, v110, v114
	v_mul_i32_i24_e32 v106, v106, v89
	s_delay_alu instid0(VALU_DEP_1) | instskip(SKIP_1) | instid1(VALU_DEP_1)
	v_add3_u32 v20, v20, v106, v110
	v_ashrrev_i32_e32 v106, s20, v109
	v_and_b32_e32 v109, 3, v106
	v_bfe_u32 v110, v106, 8, 2
	s_delay_alu instid0(VALU_DEP_2) | instskip(NEXT) | instid1(VALU_DEP_2)
	v_mul_i32_i24_e32 v109, v109, v91
	v_mul_i32_i24_e32 v110, v110, v90
	s_delay_alu instid0(VALU_DEP_1) | instskip(SKIP_2) | instid1(VALU_DEP_2)
	v_add3_u32 v108, v108, v109, v110
	v_bfe_u32 v109, v117, 16, 2
	v_bfe_u32 v110, v117, 24, 2
	v_mul_i32_i24_e32 v109, v109, v93
	s_delay_alu instid0(VALU_DEP_2) | instskip(NEXT) | instid1(VALU_DEP_1)
	v_mul_i32_i24_e32 v110, v110, v92
	v_add3_u32 v109, v116, v109, v110
	v_bfe_u32 v110, v119, 16, 2
	s_delay_alu instid0(VALU_DEP_1) | instskip(NEXT) | instid1(VALU_DEP_1)
	v_mul_i32_i24_e32 v110, v110, v95
	v_add3_u32 v110, v123, v110, v112
	v_bfe_u32 v112, v128, 16, 2
	s_delay_alu instid0(VALU_DEP_1) | instskip(NEXT) | instid1(VALU_DEP_1)
	v_mul_i32_i24_e32 v112, v112, v93
	v_add3_u32 v112, v124, v112, v115
	v_bfe_u32 v115, v22, 16, 2
	v_bfe_u32 v22, v22, 24, 2
	s_delay_alu instid0(VALU_DEP_2) | instskip(NEXT) | instid1(VALU_DEP_2)
	v_mul_i32_i24_e32 v115, v115, v95
	v_mul_i32_i24_e32 v22, v22, v94
	s_delay_alu instid0(VALU_DEP_1) | instskip(SKIP_1) | instid1(VALU_DEP_1)
	v_add3_u32 v22, v99, v115, v22
	v_bfe_u32 v99, v121, 16, 2
	v_mul_i32_i24_e32 v93, v99, v93
	v_bfe_u32 v99, v121, 24, 2
	s_delay_alu instid0(VALU_DEP_1) | instskip(NEXT) | instid1(VALU_DEP_1)
	v_mul_i32_i24_e32 v92, v99, v92
	v_add3_u32 v92, v96, v93, v92
	v_bfe_u32 v93, v104, 16, 2
	s_delay_alu instid0(VALU_DEP_1) | instskip(SKIP_1) | instid1(VALU_DEP_1)
	v_mul_i32_i24_e32 v93, v93, v95
	v_bfe_u32 v95, v104, 24, 2
	v_mul_i32_i24_e32 v94, v95, v94
	v_bfe_u32 v95, v21, 16, 2
	v_bfe_u32 v21, v21, 24, 2
	s_delay_alu instid0(VALU_DEP_3) | instskip(NEXT) | instid1(VALU_DEP_3)
	v_add3_u32 v93, v97, v93, v94
	v_mul_i32_i24_e32 v95, v95, v27
	s_delay_alu instid0(VALU_DEP_3) | instskip(SKIP_1) | instid1(VALU_DEP_2)
	v_mul_i32_i24_e32 v21, v21, v26
	v_add3_u32 v94, v111, v101, v102
	v_add3_u32 v20, v20, v95, v21
	v_bfe_u32 v21, v106, 16, 2
	v_bfe_u32 v95, v106, 24, 2
	;; [unrolled: 1-line block ×3, first 2 shown]
	v_cvt_f32_i32_e32 v94, v94
	s_delay_alu instid0(VALU_DEP_4) | instskip(NEXT) | instid1(VALU_DEP_4)
	v_mul_i32_i24_e32 v21, v21, v88
	v_mul_i32_i24_e32 v95, v95, v87
	s_delay_alu instid0(VALU_DEP_4) | instskip(NEXT) | instid1(VALU_DEP_2)
	v_mul_i32_i24_e32 v106, v106, v90
	v_add3_u32 v21, v108, v21, v95
	v_ashrrev_i32_e32 v95, s20, v118
	s_delay_alu instid0(VALU_DEP_1) | instskip(SKIP_1) | instid1(VALU_DEP_2)
	v_and_b32_e32 v96, 3, v95
	v_bfe_u32 v97, v95, 8, 2
	v_mul_i32_i24_e32 v96, v96, v89
	s_delay_alu instid0(VALU_DEP_2) | instskip(NEXT) | instid1(VALU_DEP_1)
	v_mul_i32_i24_e32 v97, v97, v114
	v_add3_u32 v96, v109, v96, v97
	v_ashrrev_i32_e32 v97, s20, v125
	s_delay_alu instid0(VALU_DEP_1) | instskip(SKIP_1) | instid1(VALU_DEP_2)
	v_and_b32_e32 v99, 3, v97
	v_bfe_u32 v101, v97, 8, 2
	v_mul_i32_i24_e32 v99, v99, v91
	s_delay_alu instid0(VALU_DEP_2) | instskip(NEXT) | instid1(VALU_DEP_1)
	;; [unrolled: 8-line block ×3, first 2 shown]
	v_mul_i32_i24_e32 v104, v104, v114
	v_add3_u32 v102, v112, v102, v104
	v_and_b32_e32 v104, 3, v23
	s_delay_alu instid0(VALU_DEP_1) | instskip(NEXT) | instid1(VALU_DEP_1)
	v_mul_i32_i24_e32 v104, v104, v91
	v_add3_u32 v22, v22, v104, v106
	v_ashrrev_i32_e32 v104, s20, v122
	s_delay_alu instid0(VALU_DEP_1) | instskip(NEXT) | instid1(VALU_DEP_1)
	v_and_b32_e32 v106, 3, v104
	v_mul_i32_i24_e32 v89, v106, v89
	v_bfe_u32 v106, v104, 8, 2
	s_delay_alu instid0(VALU_DEP_1) | instskip(NEXT) | instid1(VALU_DEP_1)
	v_mul_i32_i24_e32 v106, v106, v114
	v_add3_u32 v89, v92, v89, v106
	v_ashrrev_i32_e32 v92, s20, v136
	s_lshr_b32 s20, s1, 2
	s_wait_alu 0xfffe
	s_and_b32 s20, s20, 0x3ffffffc
	s_delay_alu instid0(VALU_DEP_1) | instskip(SKIP_2) | instid1(VALU_DEP_1)
	v_and_b32_e32 v106, 3, v92
	s_wait_alu 0xfffe
	s_addk_co_i32 s20, 0x5280
	v_mul_i32_i24_e32 v91, v106, v91
	v_bfe_u32 v106, v92, 8, 2
	s_delay_alu instid0(VALU_DEP_1) | instskip(NEXT) | instid1(VALU_DEP_1)
	v_mul_i32_i24_e32 v90, v106, v90
	v_add3_u32 v90, v93, v91, v90
	v_bfe_u32 v91, v95, 16, 2
	v_bfe_u32 v93, v95, 24, 2
	;; [unrolled: 1-line block ×3, first 2 shown]
	s_delay_alu instid0(VALU_DEP_3) | instskip(NEXT) | instid1(VALU_DEP_3)
	v_mul_i32_i24_e32 v91, v91, v27
	v_mul_i32_i24_e32 v93, v93, v26
	s_delay_alu instid0(VALU_DEP_3) | instskip(NEXT) | instid1(VALU_DEP_2)
	v_mul_i32_i24_e32 v95, v95, v87
	v_add3_u32 v91, v96, v91, v93
	v_bfe_u32 v93, v97, 16, 2
	v_bfe_u32 v96, v101, 24, 2
	v_and_b32_e32 v97, 15, v139
	s_delay_alu instid0(VALU_DEP_3) | instskip(NEXT) | instid1(VALU_DEP_3)
	v_mul_i32_i24_e32 v93, v93, v88
	v_mul_i32_i24_e32 v96, v96, v26
	s_delay_alu instid0(VALU_DEP_2) | instskip(SKIP_2) | instid1(VALU_DEP_2)
	v_add3_u32 v93, v99, v93, v95
	v_bfe_u32 v95, v101, 16, 2
	v_and_b32_e32 v99, 15, v140
	v_mul_i32_i24_e32 v95, v95, v27
	s_delay_alu instid0(VALU_DEP_1) | instskip(SKIP_2) | instid1(VALU_DEP_2)
	v_add3_u32 v95, v102, v95, v96
	v_bfe_u32 v96, v23, 16, 2
	v_bfe_u32 v23, v23, 24, 2
	v_mul_i32_i24_e32 v96, v96, v88
	s_delay_alu instid0(VALU_DEP_2) | instskip(NEXT) | instid1(VALU_DEP_1)
	v_mul_i32_i24_e32 v23, v23, v87
	v_add3_u32 v23, v22, v96, v23
	v_bfe_u32 v22, v104, 16, 2
	s_delay_alu instid0(VALU_DEP_1) | instskip(SKIP_1) | instid1(VALU_DEP_1)
	v_mul_i32_i24_e32 v22, v22, v27
	v_bfe_u32 v27, v104, 24, 2
	v_mul_i32_i24_e32 v26, v27, v26
	s_wait_alu 0xfffe
	v_add3_u32 v27, s20, v78, v79
	s_delay_alu instid0(VALU_DEP_2) | instskip(SKIP_1) | instid1(VALU_DEP_1)
	v_add3_u32 v26, v89, v22, v26
	v_bfe_u32 v22, v92, 16, 2
	v_mul_i32_i24_e32 v22, v22, v88
	v_bfe_u32 v88, v92, 24, 2
	v_and_b32_e32 v92, 15, v107
	s_delay_alu instid0(VALU_DEP_2)
	v_mul_i32_i24_e32 v87, v88, v87
	v_add3_u32 v88, s20, v82, v83
	ds_load_b32 v89, v27
	ds_load_b32 v88, v88
	v_add3_u32 v27, v90, v22, v87
	v_add3_u32 v22, s20, v84, v85
	;; [unrolled: 1-line block ×3, first 2 shown]
	ds_load_b32 v90, v22
	ds_load_b32 v87, v87
	v_and_b32_e32 v22, 15, v113
	s_add_co_i32 s20, s1, 2
	s_cmp_lt_u32 s1, 14
	s_wait_alu 0xfffe
	s_mov_b32 s1, s20
	v_mul_lo_u32 v20, v20, v22
	v_and_b32_e32 v22, 15, v133
	s_delay_alu instid0(VALU_DEP_2)
	v_mad_co_u64_u32 v[20:21], null, v21, v92, v[20:21]
	v_and_b32_e32 v21, 15, v120
	ds_load_b32 v92, v25
	v_add_nc_u32_e32 v25, 4, v25
	s_wait_dscnt 0x1
	v_lshrrev_b32_e32 v96, 16, v87
	v_mul_lo_u32 v21, v91, v21
	v_lshrrev_b32_e32 v91, 16, v90
	v_cvt_f32_i32_e32 v20, v20
	s_delay_alu instid0(VALU_DEP_4) | instskip(NEXT) | instid1(VALU_DEP_3)
	v_cvt_f32_f16_e32 v96, v96
	v_cvt_f32_f16_e32 v91, v91
	v_mad_co_u64_u32 v[21:22], null, v93, v22, v[21:22]
	v_and_b32_e32 v22, 15, v146
	v_lshrrev_b32_e32 v93, 16, v89
	s_delay_alu instid0(VALU_DEP_4) | instskip(NEXT) | instid1(VALU_DEP_3)
	v_mul_f32_e32 v91, v91, v94
	v_mul_lo_u32 v22, v95, v22
	v_lshrrev_b32_e32 v95, 16, v88
	s_delay_alu instid0(VALU_DEP_4) | instskip(SKIP_1) | instid1(VALU_DEP_3)
	v_cvt_f32_f16_e32 v93, v93
	v_cvt_f32_i32_e32 v21, v21
	v_cvt_f32_f16_e32 v95, v95
	v_mad_co_u64_u32 v[22:23], null, v23, v99, v[22:23]
	v_mul_lo_u32 v23, v26, v97
	v_and_b32_e32 v26, 15, v103
	v_cvt_f32_i32_e32 v97, v98
	v_cvt_f32_i32_e32 v98, v105
	;; [unrolled: 1-line block ×4, first 2 shown]
	v_mad_co_u64_u32 v[26:27], null, v27, v26, v[23:24]
	v_mul_f32_e32 v23, v93, v97
	v_mul_f32_e32 v27, v96, v98
	v_dual_mul_f32 v93, v95, v99 :: v_dual_add_nc_u32 v24, 32, v24
	s_delay_alu instid0(VALU_DEP_3) | instskip(SKIP_1) | instid1(VALU_DEP_4)
	v_fma_mix_f32 v20, v89, v20, -v23 op_sel_hi:[1,0,0]
	v_cvt_f32_i32_e32 v26, v26
	v_fma_mix_f32 v21, v87, v21, -v27 op_sel_hi:[1,0,0]
	s_delay_alu instid0(VALU_DEP_4)
	v_fma_mix_f32 v22, v88, v22, -v93 op_sel_hi:[1,0,0]
	s_wait_dscnt 0x0
	v_fmac_f32_e32 v30, v92, v20
	v_fma_mix_f32 v23, v90, v26, -v91 op_sel_hi:[1,0,0]
	v_fmac_f32_e32 v63, v92, v21
	v_fmac_f32_e32 v59, v92, v22
	s_delay_alu instid0(VALU_DEP_3)
	v_fmac_f32_e32 v17, v92, v23
	s_cbranch_scc1 .LBB208_19
; %bb.20:                               ;   in Loop: Header=BB208_5 Depth=1
	s_or_b32 s1, s18, 0x100
	s_wait_loadcnt 0x0
	s_wait_alu 0xfffe
	s_cmp_ge_i32 s1, s5
	s_barrier_signal -1
	s_barrier_wait -1
	global_inv scope:SCOPE_SE
	s_cbranch_scc1 .LBB208_4
; %bb.21:                               ;   in Loop: Header=BB208_5 Depth=1
	v_add_nc_u32_e32 v20, s19, v65
	s_delay_alu instid0(VALU_DEP_1)
	v_cmp_gt_i32_e64 s1, s6, v20
	s_and_b32 s20, s0, s1
	s_wait_alu 0xfffe
	s_and_saveexec_b32 s1, s20
	s_cbranch_execz .LBB208_23
; %bb.22:                               ;   in Loop: Header=BB208_5 Depth=1
	v_add_nc_u32_e32 v20, v67, v20
	s_delay_alu instid0(VALU_DEP_1)
	v_mad_co_i64_i32 v[20:21], null, v20, 36, v[18:19]
	global_load_b32 v20, v[20:21], off offset:4
	s_wait_loadcnt 0x0
	ds_store_b32 v60, v20
.LBB208_23:                             ;   in Loop: Header=BB208_5 Depth=1
	s_wait_alu 0xfffe
	s_or_b32 exec_lo, exec_lo, s1
	s_and_saveexec_b32 s20, vcc_lo
	s_cbranch_execz .LBB208_26
; %bb.24:                               ;   in Loop: Header=BB208_5 Depth=1
	v_or_b32_e32 v20, 8, v86
	s_delay_alu instid0(VALU_DEP_1)
	v_cmp_gt_i32_e64 s1, s6, v20
	s_and_b32 s1, s0, s1
	s_wait_alu 0xfffe
	s_and_b32 exec_lo, exec_lo, s1
	s_cbranch_execz .LBB208_26
; %bb.25:                               ;   in Loop: Header=BB208_5 Depth=1
	v_ashrrev_i32_e32 v20, 31, v86
	v_add_co_u32 v21, s1, v67, v86
	s_wait_alu 0xf1ff
	s_delay_alu instid0(VALU_DEP_2) | instskip(NEXT) | instid1(VALU_DEP_2)
	v_add_co_ci_u32_e64 v22, null, v69, v20, s1
	v_mad_co_u64_u32 v[20:21], null, v21, 36, s[2:3]
	s_delay_alu instid0(VALU_DEP_1)
	v_mad_i32_i24 v21, v22, 36, v21
	global_load_b32 v20, v[20:21], off offset:288
	s_wait_loadcnt 0x0
	v_cvt_f32_f16_e32 v20, v20
	ds_store_b32 v62, v20
.LBB208_26:                             ;   in Loop: Header=BB208_5 Depth=1
	s_wait_alu 0xfffe
	s_or_b32 exec_lo, exec_lo, s20
	v_dual_mov_b32 v24, v58 :: v_dual_mov_b32 v25, v61
	s_mov_b32 s1, 16
	s_wait_loadcnt_dscnt 0x0
	s_barrier_signal -1
	s_barrier_wait -1
	global_inv scope:SCOPE_SE
.LBB208_27:                             ;   Parent Loop BB208_5 Depth=1
                                        ; =>  This Inner Loop Header: Depth=2
	ds_load_b128 v[20:23], v24
	ds_load_b128 v[117:120], v24 offset:16
	s_wait_alu 0xfffe
	s_and_b32 s21, s1, 0x3ffffff8
	s_add_co_i32 s20, s1, -16
	s_wait_alu 0xfffe
	v_lshl_add_u32 v99, s21, 2, v0
	s_and_b32 s21, s1, -16
	s_wait_alu 0xfffe
	s_add_co_i32 s21, s1, s21
	s_delay_alu instid0(VALU_DEP_1)
	v_add_nc_u32_e32 v124, 0x1098, v99
	v_add_nc_u32_e32 v128, 0x2108, v99
	;; [unrolled: 1-line block ×3, first 2 shown]
	s_wait_dscnt 0x1
	v_ashrrev_i32_e32 v96, 24, v20
	v_bfe_i32 v110, v21, 8, 8
	v_bfe_i32 v111, v20, 0, 8
	;; [unrolled: 1-line block ×3, first 2 shown]
	v_ashrrev_i32_e32 v108, 24, v21
	v_bfe_i32 v105, v20, 8, 8
	v_bfe_i32 v113, v21, 0, 8
	;; [unrolled: 1-line block ×3, first 2 shown]
	v_lshrrev_b16 v112, 8, v22
	v_ashrrev_i32_e32 v92, 24, v22
	v_bfe_i32 v93, v22, 16, 8
	v_bfe_i32 v115, v22, 0, 8
	v_lshrrev_b16 v114, 8, v23
	v_ashrrev_i32_e32 v26, 24, v23
	v_bfe_i32 v27, v23, 16, 8
	v_bfe_i32 v89, v23, 0, 8
	s_wait_dscnt 0x0
	v_ashrrev_i32_e32 v94, 24, v119
	v_bfe_i32 v95, v119, 16, 8
	v_bfe_i32 v98, v119, 0, 8
	;; [unrolled: 1-line block ×3, first 2 shown]
	v_ashrrev_i32_e32 v87, 24, v120
	v_bfe_i32 v88, v120, 16, 8
	v_bfe_i32 v91, v120, 0, 8
	;; [unrolled: 1-line block ×3, first 2 shown]
	ds_load_2addr_b32 v[22:23], v99 offset1:1
	ds_load_2addr_b32 v[20:21], v99 offset0:2 offset1:3
	ds_load_2addr_b32 v[119:120], v99 offset0:4 offset1:5
	v_lshrrev_b16 v116, 8, v117
	v_ashrrev_i32_e32 v102, 24, v117
	v_bfe_i32 v106, v117, 0, 8
	v_bfe_i32 v100, v117, 16, 8
	v_lshrrev_b16 v117, 8, v118
	v_ashrrev_i32_e32 v103, 24, v118
	v_bfe_i32 v107, v118, 0, 8
	v_bfe_i32 v101, v118, 16, 8
	;; [unrolled: 1-line block ×4, first 2 shown]
	s_wait_dscnt 0x2
	v_ashrrev_i32_e32 v23, s20, v23
	s_wait_dscnt 0x1
	v_ashrrev_i32_e32 v20, s20, v20
	v_ashrrev_i32_e32 v21, s20, v21
	s_delay_alu instid0(VALU_DEP_3) | instskip(SKIP_1) | instid1(VALU_DEP_2)
	v_and_b32_e32 v118, 3, v23
	v_bfe_u32 v121, v23, 8, 2
	v_mul_i32_i24_e32 v118, v118, v113
	s_delay_alu instid0(VALU_DEP_1) | instskip(SKIP_2) | instid1(VALU_DEP_2)
	v_mad_i32_i24 v118, v121, v110, v118
	v_bfe_u32 v121, v23, 16, 2
	v_bfe_u32 v23, v23, 24, 2
	v_mul_i32_i24_e32 v121, v121, v109
	s_delay_alu instid0(VALU_DEP_2) | instskip(NEXT) | instid1(VALU_DEP_1)
	v_mul_i32_i24_e32 v23, v23, v108
	v_add3_u32 v118, v118, v121, v23
	v_bfe_i32 v23, v116, 0, 8
	s_wait_dscnt 0x0
	v_ashrrev_i32_e32 v116, s20, v119
	s_delay_alu instid0(VALU_DEP_1) | instskip(SKIP_1) | instid1(VALU_DEP_2)
	v_and_b32_e32 v119, 3, v116
	v_bfe_u32 v121, v116, 8, 2
	v_mul_i32_i24_e32 v119, v119, v106
	s_delay_alu instid0(VALU_DEP_1) | instskip(SKIP_2) | instid1(VALU_DEP_2)
	v_mad_i32_i24 v119, v121, v23, v119
	v_bfe_u32 v121, v116, 16, 2
	v_bfe_u32 v116, v116, 24, 2
	v_mul_i32_i24_e32 v121, v121, v100
	s_delay_alu instid0(VALU_DEP_2) | instskip(NEXT) | instid1(VALU_DEP_1)
	v_mul_i32_i24_e32 v116, v116, v102
	v_add3_u32 v121, v119, v121, v116
	v_ashrrev_i32_e32 v116, s20, v22
	v_and_b32_e32 v119, 3, v20
	s_delay_alu instid0(VALU_DEP_2) | instskip(NEXT) | instid1(VALU_DEP_2)
	v_and_b32_e32 v22, 3, v116
	v_mul_i32_i24_e32 v119, v119, v115
	s_delay_alu instid0(VALU_DEP_2) | instskip(NEXT) | instid1(VALU_DEP_1)
	v_mul_i32_i24_e32 v22, v111, v22
	v_add3_u32 v119, v118, v119, v22
	v_ashrrev_i32_e32 v118, s20, v120
	v_bfe_i32 v22, v117, 0, 8
	s_delay_alu instid0(VALU_DEP_2) | instskip(SKIP_1) | instid1(VALU_DEP_2)
	v_and_b32_e32 v117, 3, v118
	v_bfe_u32 v120, v118, 8, 2
	v_mul_i32_i24_e32 v117, v117, v107
	s_delay_alu instid0(VALU_DEP_2) | instskip(NEXT) | instid1(VALU_DEP_1)
	v_mul_i32_i24_e32 v120, v120, v22
	v_add3_u32 v117, v121, v117, v120
	v_add_nc_u32_e32 v120, 0x1080, v99
	ds_load_2addr_b32 v[121:122], v120 offset1:1
	s_wait_dscnt 0x0
	v_ashrrev_i32_e32 v120, s20, v122
	s_delay_alu instid0(VALU_DEP_1) | instskip(SKIP_1) | instid1(VALU_DEP_2)
	v_and_b32_e32 v122, 3, v120
	v_bfe_u32 v123, v120, 8, 2
	v_mul_i32_i24_e32 v122, v122, v113
	s_delay_alu instid0(VALU_DEP_1) | instskip(SKIP_2) | instid1(VALU_DEP_2)
	v_mad_i32_i24 v122, v123, v110, v122
	v_bfe_u32 v123, v120, 16, 2
	v_bfe_u32 v120, v120, 24, 2
	v_mul_i32_i24_e32 v123, v123, v109
	s_delay_alu instid0(VALU_DEP_2) | instskip(NEXT) | instid1(VALU_DEP_1)
	v_mul_i32_i24_e32 v120, v120, v108
	v_add3_u32 v137, v122, v123, v120
	s_wait_alu 0xfffe
	v_add_nc_u32_e32 v120, s21, v71
	v_add_nc_u32_e32 v122, 0x1090, v99
	ds_load_u16 v120, v120 offset:17904
	ds_load_2addr_b32 v[122:123], v122 offset1:1
	ds_load_2addr_b32 v[124:125], v124 offset1:1
	s_wait_dscnt 0x1
	v_ashrrev_i32_e32 v122, s20, v122
	v_ashrrev_i32_e32 v123, s20, v123
	s_delay_alu instid0(VALU_DEP_2) | instskip(SKIP_1) | instid1(VALU_DEP_2)
	v_and_b32_e32 v126, 3, v122
	v_bfe_u32 v127, v122, 8, 2
	v_mul_i32_i24_e32 v126, v126, v106
	s_delay_alu instid0(VALU_DEP_1) | instskip(SKIP_2) | instid1(VALU_DEP_2)
	v_mad_i32_i24 v126, v127, v23, v126
	v_bfe_u32 v127, v122, 16, 2
	v_bfe_u32 v122, v122, 24, 2
	v_mul_i32_i24_e32 v127, v127, v100
	s_delay_alu instid0(VALU_DEP_2) | instskip(NEXT) | instid1(VALU_DEP_1)
	v_mul_i32_i24_e32 v122, v122, v102
	v_add3_u32 v122, v126, v127, v122
	v_add_nc_u32_e32 v126, 0x2100, v99
	ds_load_2addr_b32 v[126:127], v126 offset1:1
	ds_load_2addr_b32 v[128:129], v128 offset1:1
	;; [unrolled: 1-line block ×3, first 2 shown]
	s_wait_dscnt 0x2
	v_ashrrev_i32_e32 v127, s20, v127
	v_ashrrev_i32_e32 v126, s20, v126
	s_wait_dscnt 0x0
	v_ashrrev_i32_e32 v130, s20, v130
	v_ashrrev_i32_e32 v128, s20, v128
	;; [unrolled: 1-line block ×3, first 2 shown]
	v_and_b32_e32 v132, 3, v127
	v_bfe_u32 v133, v127, 8, 2
	s_delay_alu instid0(VALU_DEP_2) | instskip(NEXT) | instid1(VALU_DEP_1)
	v_mul_i32_i24_e32 v132, v132, v113
	v_mad_i32_i24 v132, v133, v110, v132
	v_bfe_u32 v133, v127, 16, 2
	v_bfe_u32 v127, v127, 24, 2
	s_delay_alu instid0(VALU_DEP_2) | instskip(NEXT) | instid1(VALU_DEP_2)
	v_mul_i32_i24_e32 v133, v133, v109
	v_mul_i32_i24_e32 v127, v127, v108
	s_delay_alu instid0(VALU_DEP_1) | instskip(SKIP_2) | instid1(VALU_DEP_2)
	v_add3_u32 v127, v132, v133, v127
	v_and_b32_e32 v132, 3, v130
	v_bfe_u32 v133, v130, 8, 2
	v_mul_i32_i24_e32 v132, v132, v106
	s_delay_alu instid0(VALU_DEP_1) | instskip(SKIP_2) | instid1(VALU_DEP_2)
	v_mad_i32_i24 v132, v133, v23, v132
	v_bfe_u32 v133, v130, 16, 2
	v_bfe_u32 v130, v130, 24, 2
	v_mul_i32_i24_e32 v133, v133, v100
	s_delay_alu instid0(VALU_DEP_2) | instskip(NEXT) | instid1(VALU_DEP_1)
	v_mul_i32_i24_e32 v130, v130, v102
	v_add3_u32 v130, v132, v133, v130
	v_add_nc_u32_e32 v132, 0x3180, v99
	ds_load_2addr_b32 v[132:133], v132 offset1:1
	s_wait_dscnt 0x0
	v_ashrrev_i32_e32 v133, s20, v133
	v_ashrrev_i32_e32 v132, s20, v132
	s_delay_alu instid0(VALU_DEP_2) | instskip(SKIP_1) | instid1(VALU_DEP_2)
	v_and_b32_e32 v134, 3, v133
	v_bfe_u32 v135, v133, 8, 2
	v_mul_i32_i24_e32 v134, v134, v113
	s_delay_alu instid0(VALU_DEP_1) | instskip(SKIP_3) | instid1(VALU_DEP_3)
	v_mad_i32_i24 v134, v135, v110, v134
	v_bfe_u32 v135, v133, 16, 2
	v_bfe_u32 v133, v133, 24, 2
	v_add_nc_u32_e32 v110, v105, v110
	v_mul_i32_i24_e32 v135, v135, v109
	s_delay_alu instid0(VALU_DEP_3) | instskip(NEXT) | instid1(VALU_DEP_3)
	v_mul_i32_i24_e32 v133, v133, v108
	v_add3_u32 v110, v110, v112, v114
	v_add_nc_u32_e32 v108, v108, v96
	v_add_nc_u32_e32 v109, v109, v104
	s_delay_alu instid0(VALU_DEP_4) | instskip(SKIP_2) | instid1(VALU_DEP_4)
	v_add3_u32 v138, v134, v135, v133
	v_add_nc_u32_e32 v133, s21, v70
	v_add_nc_u32_e32 v135, 0x3198, v99
	v_add3_u32 v145, v109, v93, v27
	ds_load_u16 v139, v133 offset:19952
	v_add_nc_u32_e32 v133, 0x3190, v99
	ds_load_2addr_b32 v[133:134], v133 offset1:1
	ds_load_2addr_b32 v[135:136], v135 offset1:1
	s_wait_dscnt 0x1
	v_ashrrev_i32_e32 v133, s20, v133
	v_ashrrev_i32_e32 v134, s20, v134
	s_delay_alu instid0(VALU_DEP_2) | instskip(SKIP_1) | instid1(VALU_DEP_2)
	v_and_b32_e32 v140, 3, v133
	v_bfe_u32 v141, v133, 8, 2
	v_mul_i32_i24_e32 v140, v140, v106
	v_add_nc_u32_e32 v106, v107, v106
	s_delay_alu instid0(VALU_DEP_2) | instskip(SKIP_2) | instid1(VALU_DEP_2)
	v_mad_i32_i24 v140, v141, v23, v140
	v_bfe_u32 v141, v133, 16, 2
	v_bfe_u32 v133, v133, 24, 2
	v_mul_i32_i24_e32 v141, v141, v100
	s_delay_alu instid0(VALU_DEP_2) | instskip(NEXT) | instid1(VALU_DEP_1)
	v_mul_i32_i24_e32 v133, v133, v102
	v_add3_u32 v133, v140, v141, v133
	v_bfe_u32 v140, v116, 8, 2
	v_bfe_u32 v141, v116, 16, 2
	s_delay_alu instid0(VALU_DEP_2) | instskip(NEXT) | instid1(VALU_DEP_2)
	v_mul_i32_i24_e32 v140, v105, v140
	v_mul_i32_i24_e32 v141, v104, v141
	s_delay_alu instid0(VALU_DEP_1) | instskip(SKIP_3) | instid1(VALU_DEP_3)
	v_add3_u32 v119, v119, v140, v141
	v_bfe_u32 v140, v118, 16, 2
	v_bfe_u32 v118, v118, 24, 2
	v_ashrrev_i32_e32 v141, s20, v121
	v_mul_i32_i24_e32 v140, v140, v101
	s_delay_alu instid0(VALU_DEP_3) | instskip(NEXT) | instid1(VALU_DEP_1)
	v_mul_i32_i24_e32 v118, v118, v103
	v_add3_u32 v140, v117, v140, v118
	s_delay_alu instid0(VALU_DEP_4) | instskip(NEXT) | instid1(VALU_DEP_1)
	v_and_b32_e32 v117, 3, v141
	v_mul_i32_i24_e32 v121, v111, v117
	v_add_nc_u32_e32 v117, 0x1088, v99
	ds_load_2addr_b32 v[117:118], v117 offset1:1
	s_wait_dscnt 0x0
	v_ashrrev_i32_e32 v117, s20, v117
	s_delay_alu instid0(VALU_DEP_1) | instskip(NEXT) | instid1(VALU_DEP_1)
	v_and_b32_e32 v142, 3, v117
	v_mul_i32_i24_e32 v142, v142, v115
	s_delay_alu instid0(VALU_DEP_1) | instskip(SKIP_2) | instid1(VALU_DEP_2)
	v_add3_u32 v137, v137, v142, v121
	v_and_b32_e32 v121, 3, v123
	v_bfe_u32 v142, v123, 8, 2
	v_mul_i32_i24_e32 v121, v121, v107
	s_delay_alu instid0(VALU_DEP_2) | instskip(NEXT) | instid1(VALU_DEP_1)
	v_mul_i32_i24_e32 v142, v142, v22
	v_add3_u32 v142, v122, v121, v142
	v_and_b32_e32 v121, 3, v126
	v_and_b32_e32 v122, 3, v128
	s_delay_alu instid0(VALU_DEP_2) | instskip(NEXT) | instid1(VALU_DEP_2)
	v_mul_i32_i24_e32 v121, v111, v121
	v_mul_i32_i24_e32 v122, v122, v115
	s_delay_alu instid0(VALU_DEP_1) | instskip(SKIP_2) | instid1(VALU_DEP_2)
	v_add3_u32 v127, v127, v122, v121
	v_and_b32_e32 v121, 3, v131
	v_bfe_u32 v122, v131, 8, 2
	v_mul_i32_i24_e32 v121, v121, v107
	s_delay_alu instid0(VALU_DEP_2) | instskip(NEXT) | instid1(VALU_DEP_1)
	v_mul_i32_i24_e32 v122, v122, v22
	v_add3_u32 v130, v130, v121, v122
	v_and_b32_e32 v121, 3, v132
	s_delay_alu instid0(VALU_DEP_1)
	v_mul_i32_i24_e32 v143, v111, v121
	v_add_nc_u32_e32 v121, 0x3188, v99
	v_add_nc_u32_e32 v111, v113, v111
	;; [unrolled: 1-line block ×3, first 2 shown]
	ds_load_2addr_b32 v[121:122], v121 offset1:1
	v_add3_u32 v111, v111, v115, v89
	ds_load_u16 v113, v113 offset:16880
	s_wait_dscnt 0x1
	v_ashrrev_i32_e32 v121, s20, v121
	s_delay_alu instid0(VALU_DEP_1) | instskip(NEXT) | instid1(VALU_DEP_1)
	v_and_b32_e32 v144, 3, v121
	v_mul_i32_i24_e32 v144, v144, v115
	s_wait_dscnt 0x0
	v_bfe_u32 v115, v113, 4, 4
	s_delay_alu instid0(VALU_DEP_2) | instskip(SKIP_2) | instid1(VALU_DEP_4)
	v_add3_u32 v138, v138, v144, v143
	v_and_b32_e32 v143, 3, v134
	v_bfe_u32 v144, v134, 8, 2
	v_mul_lo_u32 v115, 0x1010101, v115
	s_delay_alu instid0(VALU_DEP_3) | instskip(NEXT) | instid1(VALU_DEP_3)
	v_mul_i32_i24_e32 v143, v143, v107
	v_mul_i32_i24_e32 v144, v144, v22
	v_add_nc_u32_e32 v22, v22, v23
	v_add3_u32 v23, v106, v98, v91
	v_bfe_i32 v109, v115, 16, 8
	s_delay_alu instid0(VALU_DEP_4)
	v_add3_u32 v133, v133, v143, v144
	v_bfe_i32 v143, v115, 0, 8
	v_bfe_i32 v144, v115, 8, 8
	v_add3_u32 v106, v22, v97, v90
	v_mul_i32_i24_e32 v109, v145, v109
	v_lshrrev_b16 v22, 8, v113
	v_mul_i32_i24_e32 v143, v111, v143
	s_delay_alu instid0(VALU_DEP_2) | instskip(NEXT) | instid1(VALU_DEP_2)
	v_and_b32_e32 v107, 0xffff, v22
	v_mad_i32_i24 v143, v110, v144, v143
	v_add3_u32 v144, v108, v92, v26
	v_lshrrev_b32_e32 v108, 24, v115
	s_delay_alu instid0(VALU_DEP_4) | instskip(NEXT) | instid1(VALU_DEP_2)
	v_lshrrev_b32_e32 v22, 4, v107
	v_mul_i32_i24_e32 v108, v144, v108
	s_delay_alu instid0(VALU_DEP_1) | instskip(SKIP_1) | instid1(VALU_DEP_1)
	v_add3_u32 v115, v143, v109, v108
	v_bfe_u32 v108, v120, 4, 4
	v_mul_lo_u32 v108, 0x1010101, v108
	s_delay_alu instid0(VALU_DEP_1) | instskip(SKIP_1) | instid1(VALU_DEP_2)
	v_bfe_i32 v109, v108, 0, 8
	v_bfe_i32 v143, v108, 8, 8
	v_mul_i32_i24_e32 v109, v111, v109
	s_delay_alu instid0(VALU_DEP_1) | instskip(SKIP_2) | instid1(VALU_DEP_2)
	v_mad_i32_i24 v109, v110, v143, v109
	v_lshrrev_b32_e32 v143, 24, v108
	v_bfe_i32 v108, v108, 16, 8
	v_mul_i32_i24_e32 v143, v144, v143
	s_delay_alu instid0(VALU_DEP_2) | instskip(NEXT) | instid1(VALU_DEP_1)
	v_mul_i32_i24_e32 v108, v145, v108
	v_add3_u32 v143, v109, v108, v143
	v_add_nc_u32_e32 v108, s21, v72
	ds_load_u16 v146, v108 offset:18928
	s_wait_dscnt 0x0
	v_bfe_u32 v108, v146, 4, 4
	s_delay_alu instid0(VALU_DEP_1) | instskip(NEXT) | instid1(VALU_DEP_1)
	v_mul_lo_u32 v108, 0x1010101, v108
	v_bfe_i32 v109, v108, 0, 8
	v_bfe_i32 v147, v108, 8, 8
	s_delay_alu instid0(VALU_DEP_2) | instskip(NEXT) | instid1(VALU_DEP_1)
	v_mul_i32_i24_e32 v109, v111, v109
	v_mad_i32_i24 v109, v110, v147, v109
	v_lshrrev_b32_e32 v147, 24, v108
	v_bfe_i32 v108, v108, 16, 8
	s_delay_alu instid0(VALU_DEP_2) | instskip(NEXT) | instid1(VALU_DEP_2)
	v_mul_i32_i24_e32 v147, v144, v147
	v_mul_i32_i24_e32 v108, v145, v108
	s_delay_alu instid0(VALU_DEP_1) | instskip(SKIP_2) | instid1(VALU_DEP_2)
	v_add3_u32 v147, v109, v108, v147
	v_bfe_u32 v108, v116, 24, 2
	v_bfe_u32 v109, v20, 8, 2
	v_mul_i32_i24_e32 v108, v96, v108
	s_delay_alu instid0(VALU_DEP_2) | instskip(NEXT) | instid1(VALU_DEP_1)
	v_mul_i32_i24_e32 v109, v109, v112
	v_add3_u32 v116, v119, v108, v109
	ds_load_2addr_b32 v[108:109], v99 offset0:6 offset1:7
	s_wait_dscnt 0x0
	v_ashrrev_i32_e32 v108, s20, v108
	s_delay_alu instid0(VALU_DEP_1) | instskip(SKIP_1) | instid1(VALU_DEP_2)
	v_and_b32_e32 v119, 3, v108
	v_bfe_u32 v148, v108, 8, 2
	v_mul_i32_i24_e32 v119, v119, v98
	s_delay_alu instid0(VALU_DEP_2) | instskip(NEXT) | instid1(VALU_DEP_1)
	v_mul_i32_i24_e32 v148, v148, v97
	v_add3_u32 v119, v140, v119, v148
	v_bfe_u32 v140, v141, 8, 2
	v_bfe_u32 v148, v141, 16, 2
	s_delay_alu instid0(VALU_DEP_2) | instskip(NEXT) | instid1(VALU_DEP_2)
	v_mul_i32_i24_e32 v140, v105, v140
	v_mul_i32_i24_e32 v148, v104, v148
	s_delay_alu instid0(VALU_DEP_1) | instskip(SKIP_2) | instid1(VALU_DEP_2)
	v_add3_u32 v137, v137, v140, v148
	v_bfe_u32 v140, v123, 16, 2
	v_bfe_u32 v123, v123, 24, 2
	v_mul_i32_i24_e32 v140, v140, v101
	s_delay_alu instid0(VALU_DEP_2) | instskip(NEXT) | instid1(VALU_DEP_1)
	v_mul_i32_i24_e32 v123, v123, v103
	v_add3_u32 v123, v142, v140, v123
	v_bfe_u32 v140, v126, 8, 2
	v_bfe_u32 v142, v126, 16, 2
	s_delay_alu instid0(VALU_DEP_2) | instskip(NEXT) | instid1(VALU_DEP_2)
	v_mul_i32_i24_e32 v140, v105, v140
	v_mul_i32_i24_e32 v142, v104, v142
	s_delay_alu instid0(VALU_DEP_1) | instskip(SKIP_2) | instid1(VALU_DEP_2)
	v_add3_u32 v127, v127, v140, v142
	v_bfe_u32 v140, v131, 16, 2
	v_bfe_u32 v131, v131, 24, 2
	v_mul_i32_i24_e32 v140, v140, v101
	s_delay_alu instid0(VALU_DEP_2) | instskip(NEXT) | instid1(VALU_DEP_1)
	v_mul_i32_i24_e32 v131, v131, v103
	v_add3_u32 v130, v130, v140, v131
	v_bfe_u32 v131, v132, 8, 2
	s_delay_alu instid0(VALU_DEP_1) | instskip(SKIP_1) | instid1(VALU_DEP_1)
	v_mul_i32_i24_e32 v105, v105, v131
	v_bfe_u32 v131, v132, 16, 2
	v_mul_i32_i24_e32 v104, v104, v131
	v_bfe_u32 v131, v134, 24, 2
	s_delay_alu instid0(VALU_DEP_2) | instskip(SKIP_1) | instid1(VALU_DEP_3)
	v_add3_u32 v104, v138, v105, v104
	v_bfe_u32 v105, v134, 16, 2
	v_mul_i32_i24_e32 v131, v131, v103
	s_delay_alu instid0(VALU_DEP_2) | instskip(NEXT) | instid1(VALU_DEP_1)
	v_mul_i32_i24_e32 v105, v105, v101
	v_add3_u32 v105, v133, v105, v131
	v_mul_lo_u32 v131, 0x1010101, v22
	s_delay_alu instid0(VALU_DEP_1) | instskip(SKIP_1) | instid1(VALU_DEP_2)
	v_bfe_i32 v22, v131, 0, 8
	v_bfe_i32 v133, v131, 8, 8
	v_mul_i32_i24_e32 v22, v23, v22
	s_delay_alu instid0(VALU_DEP_2) | instskip(NEXT) | instid1(VALU_DEP_1)
	v_mul_i32_i24_e32 v133, v106, v133
	v_add3_u32 v115, v115, v22, v133
	v_lshrrev_b16 v22, 8, v120
	s_delay_alu instid0(VALU_DEP_1) | instskip(NEXT) | instid1(VALU_DEP_1)
	v_and_b32_e32 v133, 0xffff, v22
	v_lshrrev_b32_e32 v22, 4, v133
	s_delay_alu instid0(VALU_DEP_1) | instskip(NEXT) | instid1(VALU_DEP_1)
	v_mul_lo_u32 v134, 0x1010101, v22
	v_bfe_i32 v22, v134, 0, 8
	v_bfe_i32 v138, v134, 8, 8
	s_delay_alu instid0(VALU_DEP_2) | instskip(NEXT) | instid1(VALU_DEP_2)
	v_mul_i32_i24_e32 v22, v23, v22
	v_mul_i32_i24_e32 v138, v106, v138
	s_delay_alu instid0(VALU_DEP_1) | instskip(SKIP_1) | instid1(VALU_DEP_1)
	v_add3_u32 v138, v143, v22, v138
	v_lshrrev_b16 v22, 8, v146
	v_and_b32_e32 v140, 0xffff, v22
	s_delay_alu instid0(VALU_DEP_1) | instskip(NEXT) | instid1(VALU_DEP_1)
	v_lshrrev_b32_e32 v22, 4, v140
	v_mul_lo_u32 v142, 0x1010101, v22
	s_delay_alu instid0(VALU_DEP_1) | instskip(SKIP_1) | instid1(VALU_DEP_2)
	v_bfe_i32 v22, v142, 0, 8
	v_bfe_i32 v143, v142, 8, 8
	v_mul_i32_i24_e32 v22, v23, v22
	s_delay_alu instid0(VALU_DEP_2) | instskip(NEXT) | instid1(VALU_DEP_1)
	v_mul_i32_i24_e32 v143, v106, v143
	v_add3_u32 v143, v147, v22, v143
	v_add_nc_u32_e32 v22, v103, v102
	s_delay_alu instid0(VALU_DEP_1) | instskip(SKIP_1) | instid1(VALU_DEP_1)
	v_add3_u32 v102, v22, v94, v87
	v_lshrrev_b16 v22, 8, v139
	v_and_b32_e32 v103, 0xffff, v22
	v_bfe_u32 v22, v139, 4, 4
	s_delay_alu instid0(VALU_DEP_1) | instskip(NEXT) | instid1(VALU_DEP_3)
	v_mul_lo_u32 v147, 0x1010101, v22
	v_lshrrev_b32_e32 v22, 4, v103
	s_delay_alu instid0(VALU_DEP_1) | instskip(NEXT) | instid1(VALU_DEP_3)
	v_mul_lo_u32 v148, 0x1010101, v22
	v_lshrrev_b32_e32 v149, 24, v147
	s_delay_alu instid0(VALU_DEP_2) | instskip(NEXT) | instid1(VALU_DEP_1)
	v_lshrrev_b32_e32 v22, 24, v148
	v_mul_i32_i24_e32 v22, v102, v22
	s_delay_alu instid0(VALU_DEP_1) | instskip(SKIP_2) | instid1(VALU_DEP_2)
	v_mad_i32_i24 v144, v144, v149, v22
	v_add_nc_u32_e32 v22, v101, v100
	v_bfe_i32 v101, v147, 16, 8
	v_add3_u32 v100, v22, v95, v88
	v_bfe_i32 v22, v148, 16, 8
	s_delay_alu instid0(VALU_DEP_1) | instskip(NEXT) | instid1(VALU_DEP_1)
	v_mul_i32_i24_e32 v22, v100, v22
	v_mad_i32_i24 v101, v145, v101, v22
	v_bfe_i32 v22, v148, 0, 8
	s_delay_alu instid0(VALU_DEP_1) | instskip(SKIP_1) | instid1(VALU_DEP_1)
	v_mul_i32_i24_e32 v22, v23, v22
	v_bfe_i32 v23, v147, 0, 8
	v_mad_i32_i24 v111, v111, v23, v22
	v_bfe_u32 v22, v20, 16, 2
	v_bfe_u32 v20, v20, 24, 2
	;; [unrolled: 1-line block ×3, first 2 shown]
	s_delay_alu instid0(VALU_DEP_3) | instskip(NEXT) | instid1(VALU_DEP_3)
	v_mul_i32_i24_e32 v22, v22, v93
	v_mul_i32_i24_e32 v20, v20, v92
	s_delay_alu instid0(VALU_DEP_3) | instskip(NEXT) | instid1(VALU_DEP_2)
	v_mul_i32_i24_e32 v23, v23, v94
	v_add3_u32 v20, v116, v22, v20
	v_bfe_u32 v22, v108, 16, 2
	s_delay_alu instid0(VALU_DEP_1) | instskip(NEXT) | instid1(VALU_DEP_1)
	v_mul_i32_i24_e32 v22, v22, v95
	v_add3_u32 v108, v119, v22, v23
	v_bfe_u32 v22, v141, 24, 2
	v_bfe_u32 v23, v117, 8, 2
	v_ashrrev_i32_e32 v119, s20, v124
	s_delay_alu instid0(VALU_DEP_3) | instskip(NEXT) | instid1(VALU_DEP_3)
	v_mul_i32_i24_e32 v22, v96, v22
	v_mul_i32_i24_e32 v23, v23, v112
	s_delay_alu instid0(VALU_DEP_1) | instskip(NEXT) | instid1(VALU_DEP_4)
	v_add3_u32 v116, v137, v22, v23
	v_and_b32_e32 v22, 3, v119
	v_bfe_u32 v23, v119, 8, 2
	s_delay_alu instid0(VALU_DEP_2) | instskip(NEXT) | instid1(VALU_DEP_2)
	v_mul_i32_i24_e32 v22, v22, v98
	v_mul_i32_i24_e32 v23, v23, v97
	s_delay_alu instid0(VALU_DEP_1) | instskip(SKIP_2) | instid1(VALU_DEP_2)
	v_add3_u32 v123, v123, v22, v23
	v_bfe_u32 v22, v126, 24, 2
	v_bfe_u32 v23, v128, 8, 2
	v_mul_i32_i24_e32 v22, v96, v22
	s_delay_alu instid0(VALU_DEP_2) | instskip(NEXT) | instid1(VALU_DEP_1)
	v_mul_i32_i24_e32 v23, v23, v112
	v_add3_u32 v124, v127, v22, v23
	v_add_nc_u32_e32 v22, 0x2118, v99
	ds_load_2addr_b32 v[22:23], v22 offset1:1
	s_wait_dscnt 0x0
	v_ashrrev_i32_e32 v22, s20, v22
	v_ashrrev_i32_e32 v23, s20, v23
	s_delay_alu instid0(VALU_DEP_2) | instskip(SKIP_1) | instid1(VALU_DEP_2)
	v_and_b32_e32 v99, 3, v22
	v_bfe_u32 v126, v22, 8, 2
	v_mul_i32_i24_e32 v99, v99, v98
	s_delay_alu instid0(VALU_DEP_2) | instskip(NEXT) | instid1(VALU_DEP_1)
	v_mul_i32_i24_e32 v126, v126, v97
	v_add3_u32 v99, v130, v99, v126
	v_bfe_u32 v126, v132, 24, 2
	s_delay_alu instid0(VALU_DEP_1) | instskip(SKIP_1) | instid1(VALU_DEP_1)
	v_mul_i32_i24_e32 v96, v96, v126
	v_bfe_u32 v126, v121, 8, 2
	v_mul_i32_i24_e32 v112, v126, v112
	s_delay_alu instid0(VALU_DEP_1) | instskip(SKIP_1) | instid1(VALU_DEP_1)
	v_add3_u32 v96, v104, v96, v112
	v_ashrrev_i32_e32 v104, s20, v135
	v_and_b32_e32 v112, 3, v104
	s_delay_alu instid0(VALU_DEP_1) | instskip(SKIP_1) | instid1(VALU_DEP_1)
	v_mul_i32_i24_e32 v98, v112, v98
	v_bfe_u32 v112, v104, 8, 2
	v_mul_i32_i24_e32 v97, v112, v97
	v_bfe_i32 v112, v134, 16, 8
	s_delay_alu instid0(VALU_DEP_2) | instskip(SKIP_2) | instid1(VALU_DEP_4)
	v_add3_u32 v97, v105, v98, v97
	v_lshrrev_b32_e32 v98, 24, v131
	v_bfe_i32 v105, v131, 16, 8
	v_mul_i32_i24_e32 v112, v100, v112
	s_delay_alu instid0(VALU_DEP_3) | instskip(NEXT) | instid1(VALU_DEP_3)
	v_mul_i32_i24_e32 v98, v102, v98
	v_mul_i32_i24_e32 v105, v100, v105
	s_delay_alu instid0(VALU_DEP_1) | instskip(SKIP_2) | instid1(VALU_DEP_2)
	v_add3_u32 v98, v115, v105, v98
	v_lshrrev_b32_e32 v105, 24, v134
	v_bfe_u32 v115, v128, 24, 2
	v_mul_i32_i24_e32 v105, v102, v105
	s_delay_alu instid0(VALU_DEP_2) | instskip(NEXT) | instid1(VALU_DEP_2)
	v_mul_i32_i24_e32 v115, v115, v92
	v_add3_u32 v105, v138, v112, v105
	v_lshrrev_b32_e32 v112, 24, v142
	s_delay_alu instid0(VALU_DEP_1) | instskip(SKIP_1) | instid1(VALU_DEP_1)
	v_mul_i32_i24_e32 v102, v102, v112
	v_bfe_i32 v112, v142, 16, 8
	v_mul_i32_i24_e32 v100, v100, v112
	v_bfe_u32 v112, v119, 24, 2
	s_delay_alu instid0(VALU_DEP_2) | instskip(SKIP_1) | instid1(VALU_DEP_3)
	v_add3_u32 v100, v143, v100, v102
	v_lshrrev_b16 v102, 8, v147
	v_mul_i32_i24_e32 v112, v112, v94
	s_delay_alu instid0(VALU_DEP_2) | instskip(NEXT) | instid1(VALU_DEP_1)
	v_bfe_i32 v102, v102, 0, 8
	v_mul_i32_i24_e32 v102, v110, v102
	v_bfe_i32 v110, v148, 8, 8
	s_delay_alu instid0(VALU_DEP_1) | instskip(SKIP_1) | instid1(VALU_DEP_2)
	v_mul_i32_i24_e32 v106, v106, v110
	v_bfe_u32 v110, v21, 8, 2
	v_add3_u32 v102, v102, v106, v144
	v_and_b32_e32 v106, 3, v21
	s_delay_alu instid0(VALU_DEP_3) | instskip(NEXT) | instid1(VALU_DEP_2)
	v_mul_i32_i24_e32 v110, v110, v114
	v_mul_i32_i24_e32 v106, v106, v89
	s_delay_alu instid0(VALU_DEP_1) | instskip(SKIP_1) | instid1(VALU_DEP_1)
	v_add3_u32 v20, v20, v106, v110
	v_ashrrev_i32_e32 v106, s20, v109
	v_and_b32_e32 v109, 3, v106
	v_bfe_u32 v110, v106, 8, 2
	s_delay_alu instid0(VALU_DEP_2) | instskip(NEXT) | instid1(VALU_DEP_2)
	v_mul_i32_i24_e32 v109, v109, v91
	v_mul_i32_i24_e32 v110, v110, v90
	s_delay_alu instid0(VALU_DEP_1) | instskip(SKIP_2) | instid1(VALU_DEP_2)
	v_add3_u32 v108, v108, v109, v110
	v_bfe_u32 v109, v117, 16, 2
	v_bfe_u32 v110, v117, 24, 2
	v_mul_i32_i24_e32 v109, v109, v93
	s_delay_alu instid0(VALU_DEP_2) | instskip(NEXT) | instid1(VALU_DEP_1)
	v_mul_i32_i24_e32 v110, v110, v92
	v_add3_u32 v109, v116, v109, v110
	v_bfe_u32 v110, v119, 16, 2
	s_delay_alu instid0(VALU_DEP_1) | instskip(NEXT) | instid1(VALU_DEP_1)
	v_mul_i32_i24_e32 v110, v110, v95
	v_add3_u32 v110, v123, v110, v112
	v_bfe_u32 v112, v128, 16, 2
	s_delay_alu instid0(VALU_DEP_1) | instskip(NEXT) | instid1(VALU_DEP_1)
	v_mul_i32_i24_e32 v112, v112, v93
	v_add3_u32 v112, v124, v112, v115
	v_bfe_u32 v115, v22, 16, 2
	v_bfe_u32 v22, v22, 24, 2
	s_delay_alu instid0(VALU_DEP_2) | instskip(NEXT) | instid1(VALU_DEP_2)
	v_mul_i32_i24_e32 v115, v115, v95
	v_mul_i32_i24_e32 v22, v22, v94
	s_delay_alu instid0(VALU_DEP_1) | instskip(SKIP_1) | instid1(VALU_DEP_1)
	v_add3_u32 v22, v99, v115, v22
	v_bfe_u32 v99, v121, 16, 2
	v_mul_i32_i24_e32 v93, v99, v93
	v_bfe_u32 v99, v121, 24, 2
	s_delay_alu instid0(VALU_DEP_1) | instskip(NEXT) | instid1(VALU_DEP_1)
	v_mul_i32_i24_e32 v92, v99, v92
	v_add3_u32 v92, v96, v93, v92
	v_bfe_u32 v93, v104, 16, 2
	s_delay_alu instid0(VALU_DEP_1) | instskip(SKIP_1) | instid1(VALU_DEP_1)
	v_mul_i32_i24_e32 v93, v93, v95
	v_bfe_u32 v95, v104, 24, 2
	v_mul_i32_i24_e32 v94, v95, v94
	v_bfe_u32 v95, v21, 16, 2
	v_bfe_u32 v21, v21, 24, 2
	s_delay_alu instid0(VALU_DEP_3) | instskip(NEXT) | instid1(VALU_DEP_3)
	v_add3_u32 v93, v97, v93, v94
	v_mul_i32_i24_e32 v95, v95, v27
	s_delay_alu instid0(VALU_DEP_3) | instskip(SKIP_1) | instid1(VALU_DEP_2)
	v_mul_i32_i24_e32 v21, v21, v26
	v_add3_u32 v94, v111, v101, v102
	v_add3_u32 v20, v20, v95, v21
	v_bfe_u32 v21, v106, 16, 2
	v_bfe_u32 v95, v106, 24, 2
	;; [unrolled: 1-line block ×3, first 2 shown]
	v_cvt_f32_i32_e32 v94, v94
	s_delay_alu instid0(VALU_DEP_4) | instskip(NEXT) | instid1(VALU_DEP_4)
	v_mul_i32_i24_e32 v21, v21, v88
	v_mul_i32_i24_e32 v95, v95, v87
	s_delay_alu instid0(VALU_DEP_4) | instskip(NEXT) | instid1(VALU_DEP_2)
	v_mul_i32_i24_e32 v106, v106, v90
	v_add3_u32 v21, v108, v21, v95
	v_ashrrev_i32_e32 v95, s20, v118
	s_delay_alu instid0(VALU_DEP_1) | instskip(SKIP_1) | instid1(VALU_DEP_2)
	v_and_b32_e32 v96, 3, v95
	v_bfe_u32 v97, v95, 8, 2
	v_mul_i32_i24_e32 v96, v96, v89
	s_delay_alu instid0(VALU_DEP_2) | instskip(NEXT) | instid1(VALU_DEP_1)
	v_mul_i32_i24_e32 v97, v97, v114
	v_add3_u32 v96, v109, v96, v97
	v_ashrrev_i32_e32 v97, s20, v125
	s_delay_alu instid0(VALU_DEP_1) | instskip(SKIP_1) | instid1(VALU_DEP_2)
	v_and_b32_e32 v99, 3, v97
	v_bfe_u32 v101, v97, 8, 2
	v_mul_i32_i24_e32 v99, v99, v91
	s_delay_alu instid0(VALU_DEP_2) | instskip(NEXT) | instid1(VALU_DEP_1)
	;; [unrolled: 8-line block ×3, first 2 shown]
	v_mul_i32_i24_e32 v104, v104, v114
	v_add3_u32 v102, v112, v102, v104
	v_and_b32_e32 v104, 3, v23
	s_delay_alu instid0(VALU_DEP_1) | instskip(NEXT) | instid1(VALU_DEP_1)
	v_mul_i32_i24_e32 v104, v104, v91
	v_add3_u32 v22, v22, v104, v106
	v_ashrrev_i32_e32 v104, s20, v122
	s_delay_alu instid0(VALU_DEP_1) | instskip(NEXT) | instid1(VALU_DEP_1)
	v_and_b32_e32 v106, 3, v104
	v_mul_i32_i24_e32 v89, v106, v89
	v_bfe_u32 v106, v104, 8, 2
	s_delay_alu instid0(VALU_DEP_1) | instskip(NEXT) | instid1(VALU_DEP_1)
	v_mul_i32_i24_e32 v106, v106, v114
	v_add3_u32 v89, v92, v89, v106
	v_ashrrev_i32_e32 v92, s20, v136
	s_lshr_b32 s20, s1, 2
	s_wait_alu 0xfffe
	s_and_b32 s20, s20, 0x3ffffffc
	s_delay_alu instid0(VALU_DEP_1) | instskip(SKIP_2) | instid1(VALU_DEP_1)
	v_and_b32_e32 v106, 3, v92
	s_wait_alu 0xfffe
	s_addk_co_i32 s20, 0x5280
	v_mul_i32_i24_e32 v91, v106, v91
	v_bfe_u32 v106, v92, 8, 2
	s_delay_alu instid0(VALU_DEP_1) | instskip(NEXT) | instid1(VALU_DEP_1)
	v_mul_i32_i24_e32 v90, v106, v90
	v_add3_u32 v90, v93, v91, v90
	v_bfe_u32 v91, v95, 16, 2
	v_bfe_u32 v93, v95, 24, 2
	;; [unrolled: 1-line block ×3, first 2 shown]
	s_delay_alu instid0(VALU_DEP_3) | instskip(NEXT) | instid1(VALU_DEP_3)
	v_mul_i32_i24_e32 v91, v91, v27
	v_mul_i32_i24_e32 v93, v93, v26
	s_delay_alu instid0(VALU_DEP_3) | instskip(NEXT) | instid1(VALU_DEP_2)
	v_mul_i32_i24_e32 v95, v95, v87
	v_add3_u32 v91, v96, v91, v93
	v_bfe_u32 v93, v97, 16, 2
	v_bfe_u32 v96, v101, 24, 2
	v_and_b32_e32 v97, 15, v139
	s_delay_alu instid0(VALU_DEP_3) | instskip(NEXT) | instid1(VALU_DEP_3)
	v_mul_i32_i24_e32 v93, v93, v88
	v_mul_i32_i24_e32 v96, v96, v26
	s_delay_alu instid0(VALU_DEP_2) | instskip(SKIP_2) | instid1(VALU_DEP_2)
	v_add3_u32 v93, v99, v93, v95
	v_bfe_u32 v95, v101, 16, 2
	v_and_b32_e32 v99, 15, v140
	v_mul_i32_i24_e32 v95, v95, v27
	s_delay_alu instid0(VALU_DEP_1) | instskip(SKIP_2) | instid1(VALU_DEP_2)
	v_add3_u32 v95, v102, v95, v96
	v_bfe_u32 v96, v23, 16, 2
	v_bfe_u32 v23, v23, 24, 2
	v_mul_i32_i24_e32 v96, v96, v88
	s_delay_alu instid0(VALU_DEP_2) | instskip(NEXT) | instid1(VALU_DEP_1)
	v_mul_i32_i24_e32 v23, v23, v87
	v_add3_u32 v23, v22, v96, v23
	v_bfe_u32 v22, v104, 16, 2
	s_delay_alu instid0(VALU_DEP_1) | instskip(SKIP_1) | instid1(VALU_DEP_1)
	v_mul_i32_i24_e32 v22, v22, v27
	v_bfe_u32 v27, v104, 24, 2
	v_mul_i32_i24_e32 v26, v27, v26
	s_wait_alu 0xfffe
	v_add3_u32 v27, s20, v78, v79
	s_delay_alu instid0(VALU_DEP_2) | instskip(SKIP_1) | instid1(VALU_DEP_1)
	v_add3_u32 v26, v89, v22, v26
	v_bfe_u32 v22, v92, 16, 2
	v_mul_i32_i24_e32 v22, v22, v88
	v_bfe_u32 v88, v92, 24, 2
	v_and_b32_e32 v92, 15, v107
	s_delay_alu instid0(VALU_DEP_2)
	v_mul_i32_i24_e32 v87, v88, v87
	v_add3_u32 v88, s20, v82, v83
	ds_load_b32 v89, v27
	ds_load_b32 v88, v88
	v_add3_u32 v27, v90, v22, v87
	v_add3_u32 v22, s20, v84, v85
	;; [unrolled: 1-line block ×3, first 2 shown]
	ds_load_b32 v90, v22
	ds_load_b32 v87, v87
	v_and_b32_e32 v22, 15, v113
	s_add_co_i32 s20, s1, 2
	s_cmp_lt_u32 s1, 22
	s_wait_alu 0xfffe
	s_mov_b32 s1, s20
	v_mul_lo_u32 v20, v20, v22
	v_and_b32_e32 v22, 15, v133
	s_delay_alu instid0(VALU_DEP_2)
	v_mad_co_u64_u32 v[20:21], null, v21, v92, v[20:21]
	v_and_b32_e32 v21, 15, v120
	ds_load_b32 v92, v25
	v_add_nc_u32_e32 v25, 4, v25
	s_wait_dscnt 0x1
	v_lshrrev_b32_e32 v96, 16, v87
	v_mul_lo_u32 v21, v91, v21
	v_lshrrev_b32_e32 v91, 16, v90
	v_cvt_f32_i32_e32 v20, v20
	s_delay_alu instid0(VALU_DEP_4) | instskip(NEXT) | instid1(VALU_DEP_3)
	v_cvt_f32_f16_e32 v96, v96
	v_cvt_f32_f16_e32 v91, v91
	v_mad_co_u64_u32 v[21:22], null, v93, v22, v[21:22]
	v_and_b32_e32 v22, 15, v146
	v_lshrrev_b32_e32 v93, 16, v89
	s_delay_alu instid0(VALU_DEP_4) | instskip(NEXT) | instid1(VALU_DEP_3)
	v_mul_f32_e32 v91, v91, v94
	v_mul_lo_u32 v22, v95, v22
	v_lshrrev_b32_e32 v95, 16, v88
	s_delay_alu instid0(VALU_DEP_4) | instskip(SKIP_1) | instid1(VALU_DEP_3)
	v_cvt_f32_f16_e32 v93, v93
	v_cvt_f32_i32_e32 v21, v21
	v_cvt_f32_f16_e32 v95, v95
	v_mad_co_u64_u32 v[22:23], null, v23, v99, v[22:23]
	v_mul_lo_u32 v23, v26, v97
	v_and_b32_e32 v26, 15, v103
	v_cvt_f32_i32_e32 v97, v98
	v_cvt_f32_i32_e32 v98, v105
	;; [unrolled: 1-line block ×4, first 2 shown]
	v_mad_co_u64_u32 v[26:27], null, v27, v26, v[23:24]
	v_mul_f32_e32 v23, v93, v97
	v_mul_f32_e32 v27, v96, v98
	v_dual_mul_f32 v93, v95, v99 :: v_dual_add_nc_u32 v24, 32, v24
	s_delay_alu instid0(VALU_DEP_3) | instskip(SKIP_1) | instid1(VALU_DEP_4)
	v_fma_mix_f32 v20, v89, v20, -v23 op_sel_hi:[1,0,0]
	v_cvt_f32_i32_e32 v26, v26
	v_fma_mix_f32 v21, v87, v21, -v27 op_sel_hi:[1,0,0]
	s_delay_alu instid0(VALU_DEP_4)
	v_fma_mix_f32 v22, v88, v22, -v93 op_sel_hi:[1,0,0]
	s_wait_dscnt 0x0
	v_fmac_f32_e32 v30, v92, v20
	v_fma_mix_f32 v23, v90, v26, -v91 op_sel_hi:[1,0,0]
	v_fmac_f32_e32 v63, v92, v21
	v_fmac_f32_e32 v59, v92, v22
	s_delay_alu instid0(VALU_DEP_3)
	v_fmac_f32_e32 v17, v92, v23
	s_cbranch_scc1 .LBB208_27
; %bb.28:                               ;   in Loop: Header=BB208_5 Depth=1
	s_or_b32 s1, s18, 0x180
	s_wait_loadcnt 0x0
	s_wait_alu 0xfffe
	s_cmp_ge_i32 s1, s5
	s_barrier_signal -1
	s_barrier_wait -1
	global_inv scope:SCOPE_SE
	s_cbranch_scc1 .LBB208_4
; %bb.29:                               ;   in Loop: Header=BB208_5 Depth=1
	v_add_nc_u32_e32 v20, s19, v66
	s_delay_alu instid0(VALU_DEP_1)
	v_cmp_gt_i32_e64 s1, s6, v20
	s_and_b32 s18, s0, s1
	s_wait_alu 0xfffe
	s_and_saveexec_b32 s1, s18
	s_cbranch_execz .LBB208_31
; %bb.30:                               ;   in Loop: Header=BB208_5 Depth=1
	v_add_nc_u32_e32 v20, v67, v20
	s_delay_alu instid0(VALU_DEP_1)
	v_mad_co_i64_i32 v[20:21], null, v20, 36, v[18:19]
	global_load_b32 v20, v[20:21], off offset:4
	s_wait_loadcnt 0x0
	ds_store_b32 v60, v20
.LBB208_31:                             ;   in Loop: Header=BB208_5 Depth=1
	s_wait_alu 0xfffe
	s_or_b32 exec_lo, exec_lo, s1
	s_and_saveexec_b32 s18, vcc_lo
	s_cbranch_execz .LBB208_34
; %bb.32:                               ;   in Loop: Header=BB208_5 Depth=1
	v_or_b32_e32 v20, 12, v86
	s_delay_alu instid0(VALU_DEP_1)
	v_cmp_gt_i32_e64 s1, s6, v20
	s_and_b32 s1, s0, s1
	s_wait_alu 0xfffe
	s_and_b32 exec_lo, exec_lo, s1
	s_cbranch_execz .LBB208_34
; %bb.33:                               ;   in Loop: Header=BB208_5 Depth=1
	v_ashrrev_i32_e32 v20, 31, v86
	v_add_co_u32 v21, s1, v67, v86
	s_wait_alu 0xf1ff
	s_delay_alu instid0(VALU_DEP_2) | instskip(NEXT) | instid1(VALU_DEP_2)
	v_add_co_ci_u32_e64 v22, null, v69, v20, s1
	v_mad_co_u64_u32 v[20:21], null, v21, 36, s[2:3]
	s_delay_alu instid0(VALU_DEP_1)
	v_mad_i32_i24 v21, v22, 36, v21
	global_load_b32 v20, v[20:21], off offset:432
	s_wait_loadcnt 0x0
	v_cvt_f32_f16_e32 v20, v20
	ds_store_b32 v62, v20
.LBB208_34:                             ;   in Loop: Header=BB208_5 Depth=1
	s_wait_alu 0xfffe
	s_or_b32 exec_lo, exec_lo, s18
	v_dual_mov_b32 v24, v58 :: v_dual_mov_b32 v25, v61
	s_mov_b32 s1, 24
	s_wait_loadcnt_dscnt 0x0
	s_barrier_signal -1
	s_barrier_wait -1
	global_inv scope:SCOPE_SE
.LBB208_35:                             ;   Parent Loop BB208_5 Depth=1
                                        ; =>  This Inner Loop Header: Depth=2
	ds_load_b128 v[20:23], v24
	ds_load_b128 v[116:119], v24 offset:16
	s_wait_alu 0xfffe
	s_and_b32 s19, s1, 0x3ffffff8
	s_sub_co_i32 s18, s1, 24
	s_wait_alu 0xfffe
	v_lshl_add_u32 v98, s19, 2, v0
	s_and_b32 s19, s1, -16
	s_wait_alu 0xfffe
	s_add_co_i32 s19, s1, s19
	s_delay_alu instid0(VALU_DEP_1)
	v_add_nc_u32_e32 v123, 0x1098, v98
	v_add_nc_u32_e32 v127, 0x2108, v98
	v_add_nc_u32_e32 v129, 0x2110, v98
	s_wait_dscnt 0x1
	v_ashrrev_i32_e32 v95, 24, v20
	v_bfe_i32 v109, v21, 8, 8
	v_bfe_i32 v110, v20, 0, 8
	;; [unrolled: 1-line block ×3, first 2 shown]
	v_ashrrev_i32_e32 v107, 24, v21
	v_bfe_i32 v104, v20, 8, 8
	v_bfe_i32 v112, v21, 0, 8
	;; [unrolled: 1-line block ×3, first 2 shown]
	v_lshrrev_b16 v111, 8, v22
	v_ashrrev_i32_e32 v91, 24, v22
	v_bfe_i32 v92, v22, 16, 8
	v_bfe_i32 v114, v22, 0, 8
	v_lshrrev_b16 v113, 8, v23
	v_ashrrev_i32_e32 v26, 24, v23
	v_bfe_i32 v27, v23, 16, 8
	v_bfe_i32 v88, v23, 0, 8
	s_wait_dscnt 0x0
	v_ashrrev_i32_e32 v93, 24, v118
	v_bfe_i32 v94, v118, 16, 8
	v_bfe_i32 v97, v118, 0, 8
	;; [unrolled: 1-line block ×3, first 2 shown]
	v_ashrrev_i32_e32 v86, 24, v119
	v_bfe_i32 v87, v119, 16, 8
	v_bfe_i32 v90, v119, 0, 8
	;; [unrolled: 1-line block ×3, first 2 shown]
	ds_load_2addr_b32 v[22:23], v98 offset1:1
	ds_load_2addr_b32 v[20:21], v98 offset0:2 offset1:3
	ds_load_2addr_b32 v[118:119], v98 offset0:4 offset1:5
	v_lshrrev_b16 v115, 8, v116
	v_ashrrev_i32_e32 v101, 24, v116
	v_bfe_i32 v105, v116, 0, 8
	v_bfe_i32 v99, v116, 16, 8
	v_lshrrev_b16 v116, 8, v117
	v_ashrrev_i32_e32 v102, 24, v117
	v_bfe_i32 v106, v117, 0, 8
	v_bfe_i32 v100, v117, 16, 8
	;; [unrolled: 1-line block ×4, first 2 shown]
	s_wait_dscnt 0x2
	v_ashrrev_i32_e32 v23, s18, v23
	s_wait_dscnt 0x1
	v_ashrrev_i32_e32 v20, s18, v20
	v_ashrrev_i32_e32 v21, s18, v21
	s_delay_alu instid0(VALU_DEP_3) | instskip(SKIP_1) | instid1(VALU_DEP_2)
	v_and_b32_e32 v117, 3, v23
	v_bfe_u32 v120, v23, 8, 2
	v_mul_i32_i24_e32 v117, v117, v112
	s_delay_alu instid0(VALU_DEP_1) | instskip(SKIP_2) | instid1(VALU_DEP_2)
	v_mad_i32_i24 v117, v120, v109, v117
	v_bfe_u32 v120, v23, 16, 2
	v_bfe_u32 v23, v23, 24, 2
	v_mul_i32_i24_e32 v120, v120, v108
	s_delay_alu instid0(VALU_DEP_2) | instskip(NEXT) | instid1(VALU_DEP_1)
	v_mul_i32_i24_e32 v23, v23, v107
	v_add3_u32 v117, v117, v120, v23
	v_bfe_i32 v23, v115, 0, 8
	s_wait_dscnt 0x0
	v_ashrrev_i32_e32 v115, s18, v118
	s_delay_alu instid0(VALU_DEP_1) | instskip(SKIP_1) | instid1(VALU_DEP_2)
	v_and_b32_e32 v118, 3, v115
	v_bfe_u32 v120, v115, 8, 2
	v_mul_i32_i24_e32 v118, v118, v105
	s_delay_alu instid0(VALU_DEP_1) | instskip(SKIP_2) | instid1(VALU_DEP_2)
	v_mad_i32_i24 v118, v120, v23, v118
	v_bfe_u32 v120, v115, 16, 2
	v_bfe_u32 v115, v115, 24, 2
	v_mul_i32_i24_e32 v120, v120, v99
	s_delay_alu instid0(VALU_DEP_2) | instskip(NEXT) | instid1(VALU_DEP_1)
	v_mul_i32_i24_e32 v115, v115, v101
	v_add3_u32 v120, v118, v120, v115
	v_ashrrev_i32_e32 v115, s18, v22
	v_and_b32_e32 v118, 3, v20
	s_delay_alu instid0(VALU_DEP_2) | instskip(NEXT) | instid1(VALU_DEP_2)
	v_and_b32_e32 v22, 3, v115
	v_mul_i32_i24_e32 v118, v118, v114
	s_delay_alu instid0(VALU_DEP_2) | instskip(NEXT) | instid1(VALU_DEP_1)
	v_mul_i32_i24_e32 v22, v110, v22
	v_add3_u32 v118, v117, v118, v22
	v_ashrrev_i32_e32 v117, s18, v119
	v_bfe_i32 v22, v116, 0, 8
	s_delay_alu instid0(VALU_DEP_2) | instskip(SKIP_1) | instid1(VALU_DEP_2)
	v_and_b32_e32 v116, 3, v117
	v_bfe_u32 v119, v117, 8, 2
	v_mul_i32_i24_e32 v116, v116, v106
	s_delay_alu instid0(VALU_DEP_2) | instskip(NEXT) | instid1(VALU_DEP_1)
	v_mul_i32_i24_e32 v119, v119, v22
	v_add3_u32 v116, v120, v116, v119
	v_add_nc_u32_e32 v119, 0x1080, v98
	ds_load_2addr_b32 v[120:121], v119 offset1:1
	s_wait_dscnt 0x0
	v_ashrrev_i32_e32 v119, s18, v121
	s_delay_alu instid0(VALU_DEP_1) | instskip(SKIP_1) | instid1(VALU_DEP_2)
	v_and_b32_e32 v121, 3, v119
	v_bfe_u32 v122, v119, 8, 2
	v_mul_i32_i24_e32 v121, v121, v112
	s_delay_alu instid0(VALU_DEP_1) | instskip(SKIP_2) | instid1(VALU_DEP_2)
	v_mad_i32_i24 v121, v122, v109, v121
	v_bfe_u32 v122, v119, 16, 2
	v_bfe_u32 v119, v119, 24, 2
	v_mul_i32_i24_e32 v122, v122, v108
	s_delay_alu instid0(VALU_DEP_2) | instskip(NEXT) | instid1(VALU_DEP_1)
	v_mul_i32_i24_e32 v119, v119, v107
	v_add3_u32 v136, v121, v122, v119
	s_wait_alu 0xfffe
	v_add_nc_u32_e32 v119, s19, v71
	v_add_nc_u32_e32 v121, 0x1090, v98
	ds_load_u16 v119, v119 offset:17904
	ds_load_2addr_b32 v[121:122], v121 offset1:1
	ds_load_2addr_b32 v[123:124], v123 offset1:1
	s_wait_dscnt 0x1
	v_ashrrev_i32_e32 v121, s18, v121
	v_ashrrev_i32_e32 v122, s18, v122
	s_delay_alu instid0(VALU_DEP_2) | instskip(SKIP_1) | instid1(VALU_DEP_2)
	v_and_b32_e32 v125, 3, v121
	v_bfe_u32 v126, v121, 8, 2
	v_mul_i32_i24_e32 v125, v125, v105
	s_delay_alu instid0(VALU_DEP_1) | instskip(SKIP_2) | instid1(VALU_DEP_2)
	v_mad_i32_i24 v125, v126, v23, v125
	v_bfe_u32 v126, v121, 16, 2
	v_bfe_u32 v121, v121, 24, 2
	v_mul_i32_i24_e32 v126, v126, v99
	s_delay_alu instid0(VALU_DEP_2) | instskip(NEXT) | instid1(VALU_DEP_1)
	v_mul_i32_i24_e32 v121, v121, v101
	v_add3_u32 v121, v125, v126, v121
	v_add_nc_u32_e32 v125, 0x2100, v98
	ds_load_2addr_b32 v[125:126], v125 offset1:1
	ds_load_2addr_b32 v[127:128], v127 offset1:1
	;; [unrolled: 1-line block ×3, first 2 shown]
	s_wait_dscnt 0x2
	v_ashrrev_i32_e32 v126, s18, v126
	v_ashrrev_i32_e32 v125, s18, v125
	s_wait_dscnt 0x0
	v_ashrrev_i32_e32 v129, s18, v129
	v_ashrrev_i32_e32 v127, s18, v127
	;; [unrolled: 1-line block ×3, first 2 shown]
	v_and_b32_e32 v131, 3, v126
	v_bfe_u32 v132, v126, 8, 2
	s_delay_alu instid0(VALU_DEP_2) | instskip(NEXT) | instid1(VALU_DEP_1)
	v_mul_i32_i24_e32 v131, v131, v112
	v_mad_i32_i24 v131, v132, v109, v131
	v_bfe_u32 v132, v126, 16, 2
	v_bfe_u32 v126, v126, 24, 2
	s_delay_alu instid0(VALU_DEP_2) | instskip(NEXT) | instid1(VALU_DEP_2)
	v_mul_i32_i24_e32 v132, v132, v108
	v_mul_i32_i24_e32 v126, v126, v107
	s_delay_alu instid0(VALU_DEP_1) | instskip(SKIP_2) | instid1(VALU_DEP_2)
	v_add3_u32 v126, v131, v132, v126
	v_and_b32_e32 v131, 3, v129
	v_bfe_u32 v132, v129, 8, 2
	v_mul_i32_i24_e32 v131, v131, v105
	s_delay_alu instid0(VALU_DEP_1) | instskip(SKIP_2) | instid1(VALU_DEP_2)
	v_mad_i32_i24 v131, v132, v23, v131
	v_bfe_u32 v132, v129, 16, 2
	v_bfe_u32 v129, v129, 24, 2
	v_mul_i32_i24_e32 v132, v132, v99
	s_delay_alu instid0(VALU_DEP_2) | instskip(NEXT) | instid1(VALU_DEP_1)
	v_mul_i32_i24_e32 v129, v129, v101
	v_add3_u32 v129, v131, v132, v129
	v_add_nc_u32_e32 v131, 0x3180, v98
	ds_load_2addr_b32 v[131:132], v131 offset1:1
	s_wait_dscnt 0x0
	v_ashrrev_i32_e32 v132, s18, v132
	v_ashrrev_i32_e32 v131, s18, v131
	s_delay_alu instid0(VALU_DEP_2) | instskip(SKIP_1) | instid1(VALU_DEP_2)
	v_and_b32_e32 v133, 3, v132
	v_bfe_u32 v134, v132, 8, 2
	v_mul_i32_i24_e32 v133, v133, v112
	s_delay_alu instid0(VALU_DEP_1) | instskip(SKIP_3) | instid1(VALU_DEP_3)
	v_mad_i32_i24 v133, v134, v109, v133
	v_bfe_u32 v134, v132, 16, 2
	v_bfe_u32 v132, v132, 24, 2
	v_add_nc_u32_e32 v109, v104, v109
	v_mul_i32_i24_e32 v134, v134, v108
	s_delay_alu instid0(VALU_DEP_3) | instskip(NEXT) | instid1(VALU_DEP_3)
	v_mul_i32_i24_e32 v132, v132, v107
	v_add3_u32 v109, v109, v111, v113
	v_add_nc_u32_e32 v107, v107, v95
	v_add_nc_u32_e32 v108, v108, v103
	s_delay_alu instid0(VALU_DEP_4) | instskip(SKIP_2) | instid1(VALU_DEP_4)
	v_add3_u32 v137, v133, v134, v132
	v_add_nc_u32_e32 v132, s19, v70
	v_add_nc_u32_e32 v134, 0x3198, v98
	v_add3_u32 v144, v108, v92, v27
	ds_load_u16 v138, v132 offset:19952
	v_add_nc_u32_e32 v132, 0x3190, v98
	ds_load_2addr_b32 v[132:133], v132 offset1:1
	ds_load_2addr_b32 v[134:135], v134 offset1:1
	s_wait_dscnt 0x1
	v_ashrrev_i32_e32 v132, s18, v132
	v_ashrrev_i32_e32 v133, s18, v133
	s_delay_alu instid0(VALU_DEP_2) | instskip(SKIP_1) | instid1(VALU_DEP_2)
	v_and_b32_e32 v139, 3, v132
	v_bfe_u32 v140, v132, 8, 2
	v_mul_i32_i24_e32 v139, v139, v105
	v_add_nc_u32_e32 v105, v106, v105
	s_delay_alu instid0(VALU_DEP_2) | instskip(SKIP_2) | instid1(VALU_DEP_2)
	v_mad_i32_i24 v139, v140, v23, v139
	v_bfe_u32 v140, v132, 16, 2
	v_bfe_u32 v132, v132, 24, 2
	v_mul_i32_i24_e32 v140, v140, v99
	s_delay_alu instid0(VALU_DEP_2) | instskip(NEXT) | instid1(VALU_DEP_1)
	v_mul_i32_i24_e32 v132, v132, v101
	v_add3_u32 v132, v139, v140, v132
	v_bfe_u32 v139, v115, 8, 2
	v_bfe_u32 v140, v115, 16, 2
	s_delay_alu instid0(VALU_DEP_2) | instskip(NEXT) | instid1(VALU_DEP_2)
	v_mul_i32_i24_e32 v139, v104, v139
	v_mul_i32_i24_e32 v140, v103, v140
	s_delay_alu instid0(VALU_DEP_1) | instskip(SKIP_3) | instid1(VALU_DEP_3)
	v_add3_u32 v118, v118, v139, v140
	v_bfe_u32 v139, v117, 16, 2
	v_bfe_u32 v117, v117, 24, 2
	v_ashrrev_i32_e32 v140, s18, v120
	v_mul_i32_i24_e32 v139, v139, v100
	s_delay_alu instid0(VALU_DEP_3) | instskip(NEXT) | instid1(VALU_DEP_1)
	v_mul_i32_i24_e32 v117, v117, v102
	v_add3_u32 v139, v116, v139, v117
	s_delay_alu instid0(VALU_DEP_4) | instskip(NEXT) | instid1(VALU_DEP_1)
	v_and_b32_e32 v116, 3, v140
	v_mul_i32_i24_e32 v120, v110, v116
	v_add_nc_u32_e32 v116, 0x1088, v98
	ds_load_2addr_b32 v[116:117], v116 offset1:1
	s_wait_dscnt 0x0
	v_ashrrev_i32_e32 v116, s18, v116
	s_delay_alu instid0(VALU_DEP_1) | instskip(NEXT) | instid1(VALU_DEP_1)
	v_and_b32_e32 v141, 3, v116
	v_mul_i32_i24_e32 v141, v141, v114
	s_delay_alu instid0(VALU_DEP_1) | instskip(SKIP_2) | instid1(VALU_DEP_2)
	v_add3_u32 v136, v136, v141, v120
	v_and_b32_e32 v120, 3, v122
	v_bfe_u32 v141, v122, 8, 2
	v_mul_i32_i24_e32 v120, v120, v106
	s_delay_alu instid0(VALU_DEP_2) | instskip(NEXT) | instid1(VALU_DEP_1)
	v_mul_i32_i24_e32 v141, v141, v22
	v_add3_u32 v141, v121, v120, v141
	v_and_b32_e32 v120, 3, v125
	v_and_b32_e32 v121, 3, v127
	s_delay_alu instid0(VALU_DEP_2) | instskip(NEXT) | instid1(VALU_DEP_2)
	v_mul_i32_i24_e32 v120, v110, v120
	v_mul_i32_i24_e32 v121, v121, v114
	s_delay_alu instid0(VALU_DEP_1) | instskip(SKIP_2) | instid1(VALU_DEP_2)
	v_add3_u32 v126, v126, v121, v120
	v_and_b32_e32 v120, 3, v130
	v_bfe_u32 v121, v130, 8, 2
	v_mul_i32_i24_e32 v120, v120, v106
	s_delay_alu instid0(VALU_DEP_2) | instskip(NEXT) | instid1(VALU_DEP_1)
	v_mul_i32_i24_e32 v121, v121, v22
	v_add3_u32 v129, v129, v120, v121
	v_and_b32_e32 v120, 3, v131
	s_delay_alu instid0(VALU_DEP_1)
	v_mul_i32_i24_e32 v142, v110, v120
	v_add_nc_u32_e32 v120, 0x3188, v98
	v_add_nc_u32_e32 v110, v112, v110
	;; [unrolled: 1-line block ×3, first 2 shown]
	ds_load_2addr_b32 v[120:121], v120 offset1:1
	v_add3_u32 v110, v110, v114, v88
	ds_load_u16 v112, v112 offset:16880
	s_wait_dscnt 0x1
	v_ashrrev_i32_e32 v120, s18, v120
	s_delay_alu instid0(VALU_DEP_1) | instskip(NEXT) | instid1(VALU_DEP_1)
	v_and_b32_e32 v143, 3, v120
	v_mul_i32_i24_e32 v143, v143, v114
	s_wait_dscnt 0x0
	v_bfe_u32 v114, v112, 4, 4
	s_delay_alu instid0(VALU_DEP_2) | instskip(SKIP_2) | instid1(VALU_DEP_4)
	v_add3_u32 v137, v137, v143, v142
	v_and_b32_e32 v142, 3, v133
	v_bfe_u32 v143, v133, 8, 2
	v_mul_lo_u32 v114, 0x1010101, v114
	s_delay_alu instid0(VALU_DEP_3) | instskip(NEXT) | instid1(VALU_DEP_3)
	v_mul_i32_i24_e32 v142, v142, v106
	v_mul_i32_i24_e32 v143, v143, v22
	v_add_nc_u32_e32 v22, v22, v23
	v_add3_u32 v23, v105, v97, v90
	v_bfe_i32 v108, v114, 16, 8
	s_delay_alu instid0(VALU_DEP_4)
	v_add3_u32 v132, v132, v142, v143
	v_bfe_i32 v142, v114, 0, 8
	v_bfe_i32 v143, v114, 8, 8
	v_add3_u32 v105, v22, v96, v89
	v_mul_i32_i24_e32 v108, v144, v108
	v_lshrrev_b16 v22, 8, v112
	v_mul_i32_i24_e32 v142, v110, v142
	s_delay_alu instid0(VALU_DEP_2) | instskip(NEXT) | instid1(VALU_DEP_2)
	v_and_b32_e32 v106, 0xffff, v22
	v_mad_i32_i24 v142, v109, v143, v142
	v_add3_u32 v143, v107, v91, v26
	v_lshrrev_b32_e32 v107, 24, v114
	s_delay_alu instid0(VALU_DEP_4) | instskip(NEXT) | instid1(VALU_DEP_2)
	v_lshrrev_b32_e32 v22, 4, v106
	v_mul_i32_i24_e32 v107, v143, v107
	s_delay_alu instid0(VALU_DEP_1) | instskip(SKIP_1) | instid1(VALU_DEP_1)
	v_add3_u32 v114, v142, v108, v107
	v_bfe_u32 v107, v119, 4, 4
	v_mul_lo_u32 v107, 0x1010101, v107
	s_delay_alu instid0(VALU_DEP_1) | instskip(SKIP_1) | instid1(VALU_DEP_2)
	v_bfe_i32 v108, v107, 0, 8
	v_bfe_i32 v142, v107, 8, 8
	v_mul_i32_i24_e32 v108, v110, v108
	s_delay_alu instid0(VALU_DEP_1) | instskip(SKIP_2) | instid1(VALU_DEP_2)
	v_mad_i32_i24 v108, v109, v142, v108
	v_lshrrev_b32_e32 v142, 24, v107
	v_bfe_i32 v107, v107, 16, 8
	v_mul_i32_i24_e32 v142, v143, v142
	s_delay_alu instid0(VALU_DEP_2) | instskip(NEXT) | instid1(VALU_DEP_1)
	v_mul_i32_i24_e32 v107, v144, v107
	v_add3_u32 v142, v108, v107, v142
	v_add_nc_u32_e32 v107, s19, v72
	ds_load_u16 v145, v107 offset:18928
	s_wait_dscnt 0x0
	v_bfe_u32 v107, v145, 4, 4
	s_delay_alu instid0(VALU_DEP_1) | instskip(NEXT) | instid1(VALU_DEP_1)
	v_mul_lo_u32 v107, 0x1010101, v107
	v_bfe_i32 v108, v107, 0, 8
	v_bfe_i32 v146, v107, 8, 8
	s_delay_alu instid0(VALU_DEP_2) | instskip(NEXT) | instid1(VALU_DEP_1)
	v_mul_i32_i24_e32 v108, v110, v108
	v_mad_i32_i24 v108, v109, v146, v108
	v_lshrrev_b32_e32 v146, 24, v107
	v_bfe_i32 v107, v107, 16, 8
	s_delay_alu instid0(VALU_DEP_2) | instskip(NEXT) | instid1(VALU_DEP_2)
	v_mul_i32_i24_e32 v146, v143, v146
	v_mul_i32_i24_e32 v107, v144, v107
	s_delay_alu instid0(VALU_DEP_1) | instskip(SKIP_2) | instid1(VALU_DEP_2)
	v_add3_u32 v146, v108, v107, v146
	v_bfe_u32 v107, v115, 24, 2
	v_bfe_u32 v108, v20, 8, 2
	v_mul_i32_i24_e32 v107, v95, v107
	s_delay_alu instid0(VALU_DEP_2) | instskip(NEXT) | instid1(VALU_DEP_1)
	v_mul_i32_i24_e32 v108, v108, v111
	v_add3_u32 v115, v118, v107, v108
	ds_load_2addr_b32 v[107:108], v98 offset0:6 offset1:7
	s_wait_dscnt 0x0
	v_ashrrev_i32_e32 v107, s18, v107
	s_delay_alu instid0(VALU_DEP_1) | instskip(SKIP_1) | instid1(VALU_DEP_2)
	v_and_b32_e32 v118, 3, v107
	v_bfe_u32 v147, v107, 8, 2
	v_mul_i32_i24_e32 v118, v118, v97
	s_delay_alu instid0(VALU_DEP_2) | instskip(NEXT) | instid1(VALU_DEP_1)
	v_mul_i32_i24_e32 v147, v147, v96
	v_add3_u32 v118, v139, v118, v147
	v_bfe_u32 v139, v140, 8, 2
	v_bfe_u32 v147, v140, 16, 2
	s_delay_alu instid0(VALU_DEP_2) | instskip(NEXT) | instid1(VALU_DEP_2)
	v_mul_i32_i24_e32 v139, v104, v139
	v_mul_i32_i24_e32 v147, v103, v147
	s_delay_alu instid0(VALU_DEP_1) | instskip(SKIP_2) | instid1(VALU_DEP_2)
	v_add3_u32 v136, v136, v139, v147
	v_bfe_u32 v139, v122, 16, 2
	v_bfe_u32 v122, v122, 24, 2
	v_mul_i32_i24_e32 v139, v139, v100
	s_delay_alu instid0(VALU_DEP_2) | instskip(NEXT) | instid1(VALU_DEP_1)
	v_mul_i32_i24_e32 v122, v122, v102
	v_add3_u32 v122, v141, v139, v122
	v_bfe_u32 v139, v125, 8, 2
	v_bfe_u32 v141, v125, 16, 2
	s_delay_alu instid0(VALU_DEP_2) | instskip(NEXT) | instid1(VALU_DEP_2)
	v_mul_i32_i24_e32 v139, v104, v139
	v_mul_i32_i24_e32 v141, v103, v141
	s_delay_alu instid0(VALU_DEP_1) | instskip(SKIP_2) | instid1(VALU_DEP_2)
	v_add3_u32 v126, v126, v139, v141
	v_bfe_u32 v139, v130, 16, 2
	v_bfe_u32 v130, v130, 24, 2
	v_mul_i32_i24_e32 v139, v139, v100
	s_delay_alu instid0(VALU_DEP_2) | instskip(NEXT) | instid1(VALU_DEP_1)
	v_mul_i32_i24_e32 v130, v130, v102
	v_add3_u32 v129, v129, v139, v130
	v_bfe_u32 v130, v131, 8, 2
	s_delay_alu instid0(VALU_DEP_1) | instskip(SKIP_1) | instid1(VALU_DEP_1)
	v_mul_i32_i24_e32 v104, v104, v130
	v_bfe_u32 v130, v131, 16, 2
	v_mul_i32_i24_e32 v103, v103, v130
	v_bfe_u32 v130, v133, 24, 2
	s_delay_alu instid0(VALU_DEP_2) | instskip(SKIP_1) | instid1(VALU_DEP_3)
	v_add3_u32 v103, v137, v104, v103
	v_bfe_u32 v104, v133, 16, 2
	v_mul_i32_i24_e32 v130, v130, v102
	s_delay_alu instid0(VALU_DEP_2) | instskip(NEXT) | instid1(VALU_DEP_1)
	v_mul_i32_i24_e32 v104, v104, v100
	v_add3_u32 v104, v132, v104, v130
	v_mul_lo_u32 v130, 0x1010101, v22
	s_delay_alu instid0(VALU_DEP_1) | instskip(SKIP_1) | instid1(VALU_DEP_2)
	v_bfe_i32 v22, v130, 0, 8
	v_bfe_i32 v132, v130, 8, 8
	v_mul_i32_i24_e32 v22, v23, v22
	s_delay_alu instid0(VALU_DEP_2) | instskip(NEXT) | instid1(VALU_DEP_1)
	v_mul_i32_i24_e32 v132, v105, v132
	v_add3_u32 v114, v114, v22, v132
	v_lshrrev_b16 v22, 8, v119
	s_delay_alu instid0(VALU_DEP_1) | instskip(NEXT) | instid1(VALU_DEP_1)
	v_and_b32_e32 v132, 0xffff, v22
	v_lshrrev_b32_e32 v22, 4, v132
	s_delay_alu instid0(VALU_DEP_1) | instskip(NEXT) | instid1(VALU_DEP_1)
	v_mul_lo_u32 v133, 0x1010101, v22
	v_bfe_i32 v22, v133, 0, 8
	v_bfe_i32 v137, v133, 8, 8
	s_delay_alu instid0(VALU_DEP_2) | instskip(NEXT) | instid1(VALU_DEP_2)
	v_mul_i32_i24_e32 v22, v23, v22
	v_mul_i32_i24_e32 v137, v105, v137
	s_delay_alu instid0(VALU_DEP_1) | instskip(SKIP_1) | instid1(VALU_DEP_1)
	v_add3_u32 v137, v142, v22, v137
	v_lshrrev_b16 v22, 8, v145
	v_and_b32_e32 v139, 0xffff, v22
	s_delay_alu instid0(VALU_DEP_1) | instskip(NEXT) | instid1(VALU_DEP_1)
	v_lshrrev_b32_e32 v22, 4, v139
	v_mul_lo_u32 v141, 0x1010101, v22
	s_delay_alu instid0(VALU_DEP_1) | instskip(SKIP_1) | instid1(VALU_DEP_2)
	v_bfe_i32 v22, v141, 0, 8
	v_bfe_i32 v142, v141, 8, 8
	v_mul_i32_i24_e32 v22, v23, v22
	s_delay_alu instid0(VALU_DEP_2) | instskip(NEXT) | instid1(VALU_DEP_1)
	v_mul_i32_i24_e32 v142, v105, v142
	v_add3_u32 v142, v146, v22, v142
	v_add_nc_u32_e32 v22, v102, v101
	s_delay_alu instid0(VALU_DEP_1) | instskip(SKIP_1) | instid1(VALU_DEP_1)
	v_add3_u32 v101, v22, v93, v86
	v_lshrrev_b16 v22, 8, v138
	v_and_b32_e32 v102, 0xffff, v22
	v_bfe_u32 v22, v138, 4, 4
	s_delay_alu instid0(VALU_DEP_1) | instskip(NEXT) | instid1(VALU_DEP_3)
	v_mul_lo_u32 v146, 0x1010101, v22
	v_lshrrev_b32_e32 v22, 4, v102
	s_delay_alu instid0(VALU_DEP_1) | instskip(NEXT) | instid1(VALU_DEP_3)
	v_mul_lo_u32 v147, 0x1010101, v22
	v_lshrrev_b32_e32 v148, 24, v146
	s_delay_alu instid0(VALU_DEP_2) | instskip(NEXT) | instid1(VALU_DEP_1)
	v_lshrrev_b32_e32 v22, 24, v147
	v_mul_i32_i24_e32 v22, v101, v22
	s_delay_alu instid0(VALU_DEP_1) | instskip(SKIP_2) | instid1(VALU_DEP_2)
	v_mad_i32_i24 v143, v143, v148, v22
	v_add_nc_u32_e32 v22, v100, v99
	v_bfe_i32 v100, v146, 16, 8
	v_add3_u32 v99, v22, v94, v87
	v_bfe_i32 v22, v147, 16, 8
	s_delay_alu instid0(VALU_DEP_1) | instskip(NEXT) | instid1(VALU_DEP_1)
	v_mul_i32_i24_e32 v22, v99, v22
	v_mad_i32_i24 v100, v144, v100, v22
	v_bfe_i32 v22, v147, 0, 8
	s_delay_alu instid0(VALU_DEP_1) | instskip(SKIP_1) | instid1(VALU_DEP_1)
	v_mul_i32_i24_e32 v22, v23, v22
	v_bfe_i32 v23, v146, 0, 8
	v_mad_i32_i24 v110, v110, v23, v22
	v_bfe_u32 v22, v20, 16, 2
	v_bfe_u32 v20, v20, 24, 2
	;; [unrolled: 1-line block ×3, first 2 shown]
	s_delay_alu instid0(VALU_DEP_3) | instskip(NEXT) | instid1(VALU_DEP_3)
	v_mul_i32_i24_e32 v22, v22, v92
	v_mul_i32_i24_e32 v20, v20, v91
	s_delay_alu instid0(VALU_DEP_3) | instskip(NEXT) | instid1(VALU_DEP_2)
	v_mul_i32_i24_e32 v23, v23, v93
	v_add3_u32 v20, v115, v22, v20
	v_bfe_u32 v22, v107, 16, 2
	s_delay_alu instid0(VALU_DEP_1) | instskip(NEXT) | instid1(VALU_DEP_1)
	v_mul_i32_i24_e32 v22, v22, v94
	v_add3_u32 v107, v118, v22, v23
	v_bfe_u32 v22, v140, 24, 2
	v_bfe_u32 v23, v116, 8, 2
	v_ashrrev_i32_e32 v118, s18, v123
	s_delay_alu instid0(VALU_DEP_3) | instskip(NEXT) | instid1(VALU_DEP_3)
	v_mul_i32_i24_e32 v22, v95, v22
	v_mul_i32_i24_e32 v23, v23, v111
	s_delay_alu instid0(VALU_DEP_1) | instskip(NEXT) | instid1(VALU_DEP_4)
	v_add3_u32 v115, v136, v22, v23
	v_and_b32_e32 v22, 3, v118
	v_bfe_u32 v23, v118, 8, 2
	s_delay_alu instid0(VALU_DEP_2) | instskip(NEXT) | instid1(VALU_DEP_2)
	v_mul_i32_i24_e32 v22, v22, v97
	v_mul_i32_i24_e32 v23, v23, v96
	s_delay_alu instid0(VALU_DEP_1) | instskip(SKIP_2) | instid1(VALU_DEP_2)
	v_add3_u32 v122, v122, v22, v23
	v_bfe_u32 v22, v125, 24, 2
	v_bfe_u32 v23, v127, 8, 2
	v_mul_i32_i24_e32 v22, v95, v22
	s_delay_alu instid0(VALU_DEP_2) | instskip(NEXT) | instid1(VALU_DEP_1)
	v_mul_i32_i24_e32 v23, v23, v111
	v_add3_u32 v123, v126, v22, v23
	v_add_nc_u32_e32 v22, 0x2118, v98
	ds_load_2addr_b32 v[22:23], v22 offset1:1
	s_wait_dscnt 0x0
	v_ashrrev_i32_e32 v22, s18, v22
	v_ashrrev_i32_e32 v23, s18, v23
	s_delay_alu instid0(VALU_DEP_2) | instskip(SKIP_1) | instid1(VALU_DEP_2)
	v_and_b32_e32 v98, 3, v22
	v_bfe_u32 v125, v22, 8, 2
	v_mul_i32_i24_e32 v98, v98, v97
	s_delay_alu instid0(VALU_DEP_2) | instskip(NEXT) | instid1(VALU_DEP_1)
	v_mul_i32_i24_e32 v125, v125, v96
	v_add3_u32 v98, v129, v98, v125
	v_bfe_u32 v125, v131, 24, 2
	s_delay_alu instid0(VALU_DEP_1) | instskip(SKIP_1) | instid1(VALU_DEP_1)
	v_mul_i32_i24_e32 v95, v95, v125
	v_bfe_u32 v125, v120, 8, 2
	v_mul_i32_i24_e32 v111, v125, v111
	s_delay_alu instid0(VALU_DEP_1) | instskip(SKIP_1) | instid1(VALU_DEP_1)
	v_add3_u32 v95, v103, v95, v111
	v_ashrrev_i32_e32 v103, s18, v134
	v_and_b32_e32 v111, 3, v103
	s_delay_alu instid0(VALU_DEP_1) | instskip(SKIP_1) | instid1(VALU_DEP_1)
	v_mul_i32_i24_e32 v97, v111, v97
	v_bfe_u32 v111, v103, 8, 2
	v_mul_i32_i24_e32 v96, v111, v96
	v_bfe_i32 v111, v133, 16, 8
	s_delay_alu instid0(VALU_DEP_2) | instskip(SKIP_2) | instid1(VALU_DEP_4)
	v_add3_u32 v96, v104, v97, v96
	v_lshrrev_b32_e32 v97, 24, v130
	v_bfe_i32 v104, v130, 16, 8
	v_mul_i32_i24_e32 v111, v99, v111
	s_delay_alu instid0(VALU_DEP_3) | instskip(NEXT) | instid1(VALU_DEP_3)
	v_mul_i32_i24_e32 v97, v101, v97
	v_mul_i32_i24_e32 v104, v99, v104
	s_delay_alu instid0(VALU_DEP_1) | instskip(SKIP_2) | instid1(VALU_DEP_2)
	v_add3_u32 v97, v114, v104, v97
	v_lshrrev_b32_e32 v104, 24, v133
	v_bfe_u32 v114, v127, 24, 2
	v_mul_i32_i24_e32 v104, v101, v104
	s_delay_alu instid0(VALU_DEP_2) | instskip(NEXT) | instid1(VALU_DEP_2)
	v_mul_i32_i24_e32 v114, v114, v91
	v_add3_u32 v104, v137, v111, v104
	v_lshrrev_b32_e32 v111, 24, v141
	s_delay_alu instid0(VALU_DEP_1) | instskip(SKIP_1) | instid1(VALU_DEP_1)
	v_mul_i32_i24_e32 v101, v101, v111
	v_bfe_i32 v111, v141, 16, 8
	v_mul_i32_i24_e32 v99, v99, v111
	v_bfe_u32 v111, v118, 24, 2
	s_delay_alu instid0(VALU_DEP_2) | instskip(SKIP_1) | instid1(VALU_DEP_3)
	v_add3_u32 v99, v142, v99, v101
	v_lshrrev_b16 v101, 8, v146
	v_mul_i32_i24_e32 v111, v111, v93
	s_delay_alu instid0(VALU_DEP_2) | instskip(NEXT) | instid1(VALU_DEP_1)
	v_bfe_i32 v101, v101, 0, 8
	v_mul_i32_i24_e32 v101, v109, v101
	v_bfe_i32 v109, v147, 8, 8
	s_delay_alu instid0(VALU_DEP_1) | instskip(SKIP_1) | instid1(VALU_DEP_2)
	v_mul_i32_i24_e32 v105, v105, v109
	v_bfe_u32 v109, v21, 8, 2
	v_add3_u32 v101, v101, v105, v143
	v_and_b32_e32 v105, 3, v21
	s_delay_alu instid0(VALU_DEP_3) | instskip(NEXT) | instid1(VALU_DEP_2)
	v_mul_i32_i24_e32 v109, v109, v113
	v_mul_i32_i24_e32 v105, v105, v88
	s_delay_alu instid0(VALU_DEP_1) | instskip(SKIP_1) | instid1(VALU_DEP_1)
	v_add3_u32 v20, v20, v105, v109
	v_ashrrev_i32_e32 v105, s18, v108
	v_and_b32_e32 v108, 3, v105
	v_bfe_u32 v109, v105, 8, 2
	s_delay_alu instid0(VALU_DEP_2) | instskip(NEXT) | instid1(VALU_DEP_2)
	v_mul_i32_i24_e32 v108, v108, v90
	v_mul_i32_i24_e32 v109, v109, v89
	s_delay_alu instid0(VALU_DEP_1) | instskip(SKIP_2) | instid1(VALU_DEP_2)
	v_add3_u32 v107, v107, v108, v109
	v_bfe_u32 v108, v116, 16, 2
	v_bfe_u32 v109, v116, 24, 2
	v_mul_i32_i24_e32 v108, v108, v92
	s_delay_alu instid0(VALU_DEP_2) | instskip(NEXT) | instid1(VALU_DEP_1)
	v_mul_i32_i24_e32 v109, v109, v91
	v_add3_u32 v108, v115, v108, v109
	v_bfe_u32 v109, v118, 16, 2
	s_delay_alu instid0(VALU_DEP_1) | instskip(NEXT) | instid1(VALU_DEP_1)
	v_mul_i32_i24_e32 v109, v109, v94
	v_add3_u32 v109, v122, v109, v111
	v_bfe_u32 v111, v127, 16, 2
	s_delay_alu instid0(VALU_DEP_1) | instskip(NEXT) | instid1(VALU_DEP_1)
	v_mul_i32_i24_e32 v111, v111, v92
	v_add3_u32 v111, v123, v111, v114
	v_bfe_u32 v114, v22, 16, 2
	v_bfe_u32 v22, v22, 24, 2
	s_delay_alu instid0(VALU_DEP_2) | instskip(NEXT) | instid1(VALU_DEP_2)
	v_mul_i32_i24_e32 v114, v114, v94
	v_mul_i32_i24_e32 v22, v22, v93
	s_delay_alu instid0(VALU_DEP_1) | instskip(SKIP_1) | instid1(VALU_DEP_1)
	v_add3_u32 v22, v98, v114, v22
	v_bfe_u32 v98, v120, 16, 2
	v_mul_i32_i24_e32 v92, v98, v92
	v_bfe_u32 v98, v120, 24, 2
	s_delay_alu instid0(VALU_DEP_1) | instskip(NEXT) | instid1(VALU_DEP_1)
	v_mul_i32_i24_e32 v91, v98, v91
	v_add3_u32 v91, v95, v92, v91
	v_bfe_u32 v92, v103, 16, 2
	s_delay_alu instid0(VALU_DEP_1) | instskip(SKIP_1) | instid1(VALU_DEP_1)
	v_mul_i32_i24_e32 v92, v92, v94
	v_bfe_u32 v94, v103, 24, 2
	v_mul_i32_i24_e32 v93, v94, v93
	v_bfe_u32 v94, v21, 16, 2
	v_bfe_u32 v21, v21, 24, 2
	s_delay_alu instid0(VALU_DEP_3) | instskip(NEXT) | instid1(VALU_DEP_3)
	v_add3_u32 v92, v96, v92, v93
	v_mul_i32_i24_e32 v94, v94, v27
	s_delay_alu instid0(VALU_DEP_3) | instskip(SKIP_1) | instid1(VALU_DEP_2)
	v_mul_i32_i24_e32 v21, v21, v26
	v_add3_u32 v93, v110, v100, v101
	v_add3_u32 v20, v20, v94, v21
	v_bfe_u32 v21, v105, 16, 2
	v_bfe_u32 v94, v105, 24, 2
	;; [unrolled: 1-line block ×3, first 2 shown]
	v_cvt_f32_i32_e32 v93, v93
	s_delay_alu instid0(VALU_DEP_4) | instskip(NEXT) | instid1(VALU_DEP_4)
	v_mul_i32_i24_e32 v21, v21, v87
	v_mul_i32_i24_e32 v94, v94, v86
	s_delay_alu instid0(VALU_DEP_4) | instskip(NEXT) | instid1(VALU_DEP_2)
	v_mul_i32_i24_e32 v105, v105, v89
	v_add3_u32 v21, v107, v21, v94
	v_ashrrev_i32_e32 v94, s18, v117
	s_delay_alu instid0(VALU_DEP_1) | instskip(SKIP_1) | instid1(VALU_DEP_2)
	v_and_b32_e32 v95, 3, v94
	v_bfe_u32 v96, v94, 8, 2
	v_mul_i32_i24_e32 v95, v95, v88
	s_delay_alu instid0(VALU_DEP_2) | instskip(NEXT) | instid1(VALU_DEP_1)
	v_mul_i32_i24_e32 v96, v96, v113
	v_add3_u32 v95, v108, v95, v96
	v_ashrrev_i32_e32 v96, s18, v124
	s_delay_alu instid0(VALU_DEP_1) | instskip(SKIP_1) | instid1(VALU_DEP_2)
	v_and_b32_e32 v98, 3, v96
	v_bfe_u32 v100, v96, 8, 2
	v_mul_i32_i24_e32 v98, v98, v90
	s_delay_alu instid0(VALU_DEP_2) | instskip(NEXT) | instid1(VALU_DEP_1)
	;; [unrolled: 8-line block ×3, first 2 shown]
	v_mul_i32_i24_e32 v103, v103, v113
	v_add3_u32 v101, v111, v101, v103
	v_and_b32_e32 v103, 3, v23
	s_delay_alu instid0(VALU_DEP_1) | instskip(NEXT) | instid1(VALU_DEP_1)
	v_mul_i32_i24_e32 v103, v103, v90
	v_add3_u32 v22, v22, v103, v105
	v_ashrrev_i32_e32 v103, s18, v121
	s_delay_alu instid0(VALU_DEP_1) | instskip(NEXT) | instid1(VALU_DEP_1)
	v_and_b32_e32 v105, 3, v103
	v_mul_i32_i24_e32 v88, v105, v88
	v_bfe_u32 v105, v103, 8, 2
	s_delay_alu instid0(VALU_DEP_1) | instskip(NEXT) | instid1(VALU_DEP_1)
	v_mul_i32_i24_e32 v105, v105, v113
	v_add3_u32 v88, v91, v88, v105
	v_ashrrev_i32_e32 v91, s18, v135
	s_lshr_b32 s18, s1, 2
	s_wait_alu 0xfffe
	s_and_b32 s18, s18, 0x3ffffffc
	s_delay_alu instid0(VALU_DEP_1) | instskip(SKIP_2) | instid1(VALU_DEP_1)
	v_and_b32_e32 v105, 3, v91
	s_wait_alu 0xfffe
	s_addk_co_i32 s18, 0x5280
	v_mul_i32_i24_e32 v90, v105, v90
	v_bfe_u32 v105, v91, 8, 2
	s_delay_alu instid0(VALU_DEP_1) | instskip(NEXT) | instid1(VALU_DEP_1)
	v_mul_i32_i24_e32 v89, v105, v89
	v_add3_u32 v89, v92, v90, v89
	v_bfe_u32 v90, v94, 16, 2
	v_bfe_u32 v92, v94, 24, 2
	;; [unrolled: 1-line block ×3, first 2 shown]
	s_delay_alu instid0(VALU_DEP_3) | instskip(NEXT) | instid1(VALU_DEP_3)
	v_mul_i32_i24_e32 v90, v90, v27
	v_mul_i32_i24_e32 v92, v92, v26
	s_delay_alu instid0(VALU_DEP_3) | instskip(NEXT) | instid1(VALU_DEP_2)
	v_mul_i32_i24_e32 v94, v94, v86
	v_add3_u32 v90, v95, v90, v92
	v_bfe_u32 v92, v96, 16, 2
	v_bfe_u32 v95, v100, 24, 2
	v_and_b32_e32 v96, 15, v138
	s_delay_alu instid0(VALU_DEP_3) | instskip(NEXT) | instid1(VALU_DEP_3)
	v_mul_i32_i24_e32 v92, v92, v87
	v_mul_i32_i24_e32 v95, v95, v26
	s_delay_alu instid0(VALU_DEP_2) | instskip(SKIP_2) | instid1(VALU_DEP_2)
	v_add3_u32 v92, v98, v92, v94
	v_bfe_u32 v94, v100, 16, 2
	v_and_b32_e32 v98, 15, v139
	v_mul_i32_i24_e32 v94, v94, v27
	s_delay_alu instid0(VALU_DEP_1) | instskip(SKIP_2) | instid1(VALU_DEP_2)
	v_add3_u32 v94, v101, v94, v95
	v_bfe_u32 v95, v23, 16, 2
	v_bfe_u32 v23, v23, 24, 2
	v_mul_i32_i24_e32 v95, v95, v87
	s_delay_alu instid0(VALU_DEP_2) | instskip(NEXT) | instid1(VALU_DEP_1)
	v_mul_i32_i24_e32 v23, v23, v86
	v_add3_u32 v23, v22, v95, v23
	v_bfe_u32 v22, v103, 16, 2
	s_delay_alu instid0(VALU_DEP_1) | instskip(SKIP_1) | instid1(VALU_DEP_1)
	v_mul_i32_i24_e32 v22, v22, v27
	v_bfe_u32 v27, v103, 24, 2
	v_mul_i32_i24_e32 v26, v27, v26
	s_wait_alu 0xfffe
	v_add3_u32 v27, s18, v78, v79
	s_delay_alu instid0(VALU_DEP_2) | instskip(SKIP_1) | instid1(VALU_DEP_1)
	v_add3_u32 v26, v88, v22, v26
	v_bfe_u32 v22, v91, 16, 2
	v_mul_i32_i24_e32 v22, v22, v87
	v_bfe_u32 v87, v91, 24, 2
	v_and_b32_e32 v91, 15, v106
	s_delay_alu instid0(VALU_DEP_2)
	v_mul_i32_i24_e32 v86, v87, v86
	v_add3_u32 v87, s18, v82, v83
	ds_load_b32 v88, v27
	ds_load_b32 v87, v87
	v_add3_u32 v27, v89, v22, v86
	v_add3_u32 v22, s18, v84, v85
	;; [unrolled: 1-line block ×3, first 2 shown]
	ds_load_b32 v89, v22
	ds_load_b32 v86, v86
	v_and_b32_e32 v22, 15, v112
	s_add_co_i32 s18, s1, 2
	s_cmp_lt_u32 s1, 30
	s_wait_alu 0xfffe
	s_mov_b32 s1, s18
	v_mul_lo_u32 v20, v20, v22
	v_and_b32_e32 v22, 15, v132
	s_delay_alu instid0(VALU_DEP_2)
	v_mad_co_u64_u32 v[20:21], null, v21, v91, v[20:21]
	v_and_b32_e32 v21, 15, v119
	ds_load_b32 v91, v25
	v_add_nc_u32_e32 v25, 4, v25
	s_wait_dscnt 0x1
	v_lshrrev_b32_e32 v95, 16, v86
	v_mul_lo_u32 v21, v90, v21
	v_lshrrev_b32_e32 v90, 16, v89
	v_cvt_f32_i32_e32 v20, v20
	s_delay_alu instid0(VALU_DEP_4) | instskip(NEXT) | instid1(VALU_DEP_3)
	v_cvt_f32_f16_e32 v95, v95
	v_cvt_f32_f16_e32 v90, v90
	v_mad_co_u64_u32 v[21:22], null, v92, v22, v[21:22]
	v_and_b32_e32 v22, 15, v145
	v_lshrrev_b32_e32 v92, 16, v88
	s_delay_alu instid0(VALU_DEP_4) | instskip(NEXT) | instid1(VALU_DEP_3)
	v_mul_f32_e32 v90, v90, v93
	v_mul_lo_u32 v22, v94, v22
	v_lshrrev_b32_e32 v94, 16, v87
	s_delay_alu instid0(VALU_DEP_4) | instskip(SKIP_1) | instid1(VALU_DEP_3)
	v_cvt_f32_f16_e32 v92, v92
	v_cvt_f32_i32_e32 v21, v21
	v_cvt_f32_f16_e32 v94, v94
	v_mad_co_u64_u32 v[22:23], null, v23, v98, v[22:23]
	v_mul_lo_u32 v23, v26, v96
	v_and_b32_e32 v26, 15, v102
	v_cvt_f32_i32_e32 v96, v97
	v_cvt_f32_i32_e32 v97, v104
	v_cvt_f32_i32_e32 v98, v99
	v_cvt_f32_i32_e32 v22, v22
	v_mad_co_u64_u32 v[26:27], null, v27, v26, v[23:24]
	v_mul_f32_e32 v23, v92, v96
	s_delay_alu instid0(VALU_DEP_4) | instskip(SKIP_1) | instid1(VALU_DEP_3)
	v_dual_mul_f32 v27, v95, v97 :: v_dual_mul_f32 v92, v94, v98
	v_add_nc_u32_e32 v24, 32, v24
	v_fma_mix_f32 v20, v88, v20, -v23 op_sel_hi:[1,0,0]
	v_cvt_f32_i32_e32 v26, v26
	s_delay_alu instid0(VALU_DEP_4)
	v_fma_mix_f32 v21, v86, v21, -v27 op_sel_hi:[1,0,0]
	v_fma_mix_f32 v22, v87, v22, -v92 op_sel_hi:[1,0,0]
	s_wait_dscnt 0x0
	v_fmac_f32_e32 v30, v91, v20
	v_fma_mix_f32 v23, v89, v26, -v90 op_sel_hi:[1,0,0]
	v_fmac_f32_e32 v63, v91, v21
	v_fmac_f32_e32 v59, v91, v22
	s_delay_alu instid0(VALU_DEP_3)
	v_fmac_f32_e32 v17, v91, v23
	s_cbranch_scc1 .LBB208_35
; %bb.36:                               ;   in Loop: Header=BB208_5 Depth=1
	s_wait_loadcnt 0x0
	s_barrier_signal -1
	s_barrier_wait -1
	global_inv scope:SCOPE_SE
	s_branch .LBB208_4
.LBB208_37:
	s_mul_i32 s0, s10, s7
	s_wait_loadcnt 0x0
	s_wait_alu 0xfffe
	v_cmp_gt_i32_e32 vcc_lo, s0, v28
	s_and_saveexec_b32 s0, vcc_lo
	s_cbranch_execz .LBB208_46
; %bb.38:
	v_mul_lo_u32 v0, v28, s9
	v_add_nc_u32_e32 v1, s11, v29
	s_mov_b32 s0, exec_lo
	s_delay_alu instid0(VALU_DEP_1)
	v_cmpx_gt_u32_e64 s9, v1
	s_cbranch_execz .LBB208_40
; %bb.39:
	s_delay_alu instid0(VALU_DEP_3) | instskip(SKIP_1) | instid1(VALU_DEP_2)
	v_dual_mov_b32 v3, 0 :: v_dual_add_nc_u32 v2, v0, v1
	v_cvt_f16_f32_e32 v4, v30
	v_lshlrev_b64_e32 v[2:3], 1, v[2:3]
	s_delay_alu instid0(VALU_DEP_1) | instskip(SKIP_1) | instid1(VALU_DEP_2)
	v_add_co_u32 v2, vcc_lo, s12, v2
	s_wait_alu 0xfffd
	v_add_co_ci_u32_e64 v3, null, s13, v3, vcc_lo
	global_store_b16 v[2:3], v4, off
.LBB208_40:
	s_wait_alu 0xfffe
	s_or_b32 exec_lo, exec_lo, s0
	v_add_nc_u32_e32 v2, 32, v1
	s_mov_b32 s0, exec_lo
	s_delay_alu instid0(VALU_DEP_1)
	v_cmpx_gt_u32_e64 s9, v2
	s_cbranch_execz .LBB208_42
; %bb.41:
	v_dual_mov_b32 v3, 0 :: v_dual_add_nc_u32 v2, v0, v2
	v_cvt_f16_f32_e32 v4, v63
	s_delay_alu instid0(VALU_DEP_2) | instskip(NEXT) | instid1(VALU_DEP_1)
	v_lshlrev_b64_e32 v[2:3], 1, v[2:3]
	v_add_co_u32 v2, vcc_lo, s12, v2
	s_wait_alu 0xfffd
	s_delay_alu instid0(VALU_DEP_2)
	v_add_co_ci_u32_e64 v3, null, s13, v3, vcc_lo
	global_store_b16 v[2:3], v4, off
.LBB208_42:
	s_wait_alu 0xfffe
	s_or_b32 exec_lo, exec_lo, s0
	v_add_nc_u32_e32 v2, 64, v1
	s_mov_b32 s0, exec_lo
	s_delay_alu instid0(VALU_DEP_1)
	v_cmpx_gt_u32_e64 s9, v2
	s_cbranch_execz .LBB208_44
; %bb.43:
	v_dual_mov_b32 v3, 0 :: v_dual_add_nc_u32 v2, v0, v2
	v_cvt_f16_f32_e32 v4, v59
	s_delay_alu instid0(VALU_DEP_2) | instskip(NEXT) | instid1(VALU_DEP_1)
	v_lshlrev_b64_e32 v[2:3], 1, v[2:3]
	v_add_co_u32 v2, vcc_lo, s12, v2
	s_wait_alu 0xfffd
	s_delay_alu instid0(VALU_DEP_2)
	v_add_co_ci_u32_e64 v3, null, s13, v3, vcc_lo
	global_store_b16 v[2:3], v4, off
.LBB208_44:
	s_wait_alu 0xfffe
	s_or_b32 exec_lo, exec_lo, s0
	v_add_nc_u32_e32 v1, 0x60, v1
	s_delay_alu instid0(VALU_DEP_1)
	v_cmp_gt_u32_e32 vcc_lo, s9, v1
	s_and_b32 exec_lo, exec_lo, vcc_lo
	s_cbranch_execz .LBB208_46
; %bb.45:
	v_dual_mov_b32 v1, 0 :: v_dual_add_nc_u32 v0, v0, v1
	v_cvt_f16_f32_e32 v2, v17
	s_delay_alu instid0(VALU_DEP_2) | instskip(NEXT) | instid1(VALU_DEP_1)
	v_lshlrev_b64_e32 v[0:1], 1, v[0:1]
	v_add_co_u32 v0, vcc_lo, s12, v0
	s_wait_alu 0xfffd
	s_delay_alu instid0(VALU_DEP_2)
	v_add_co_ci_u32_e64 v1, null, s13, v1, vcc_lo
	global_store_b16 v[0:1], v2, off
.LBB208_46:
	s_nop 0
	s_sendmsg sendmsg(MSG_DEALLOC_VGPRS)
	s_endpgm
	.section	.rodata,"a",@progbits
	.p2align	6, 0x0
	.amdhsa_kernel _ZL8moe_q2_KIN3c104HalfELb1EEvPKvS3_PT_PKiS7_S7_iiiiiii
		.amdhsa_group_segment_fixed_size 23328
		.amdhsa_private_segment_fixed_size 0
		.amdhsa_kernarg_size 76
		.amdhsa_user_sgpr_count 2
		.amdhsa_user_sgpr_dispatch_ptr 0
		.amdhsa_user_sgpr_queue_ptr 0
		.amdhsa_user_sgpr_kernarg_segment_ptr 1
		.amdhsa_user_sgpr_dispatch_id 0
		.amdhsa_user_sgpr_private_segment_size 0
		.amdhsa_wavefront_size32 1
		.amdhsa_uses_dynamic_stack 0
		.amdhsa_enable_private_segment 0
		.amdhsa_system_sgpr_workgroup_id_x 1
		.amdhsa_system_sgpr_workgroup_id_y 1
		.amdhsa_system_sgpr_workgroup_id_z 0
		.amdhsa_system_sgpr_workgroup_info 0
		.amdhsa_system_vgpr_workitem_id 1
		.amdhsa_next_free_vgpr 151
		.amdhsa_next_free_sgpr 22
		.amdhsa_reserve_vcc 1
		.amdhsa_float_round_mode_32 0
		.amdhsa_float_round_mode_16_64 0
		.amdhsa_float_denorm_mode_32 3
		.amdhsa_float_denorm_mode_16_64 3
		.amdhsa_fp16_overflow 0
		.amdhsa_workgroup_processor_mode 1
		.amdhsa_memory_ordered 1
		.amdhsa_forward_progress 1
		.amdhsa_inst_pref_size 171
		.amdhsa_round_robin_scheduling 0
		.amdhsa_exception_fp_ieee_invalid_op 0
		.amdhsa_exception_fp_denorm_src 0
		.amdhsa_exception_fp_ieee_div_zero 0
		.amdhsa_exception_fp_ieee_overflow 0
		.amdhsa_exception_fp_ieee_underflow 0
		.amdhsa_exception_fp_ieee_inexact 0
		.amdhsa_exception_int_div_zero 0
	.end_amdhsa_kernel
	.section	.text._ZL8moe_q2_KIN3c104HalfELb1EEvPKvS3_PT_PKiS7_S7_iiiiiii,"axG",@progbits,_ZL8moe_q2_KIN3c104HalfELb1EEvPKvS3_PT_PKiS7_S7_iiiiiii,comdat
.Lfunc_end208:
	.size	_ZL8moe_q2_KIN3c104HalfELb1EEvPKvS3_PT_PKiS7_S7_iiiiiii, .Lfunc_end208-_ZL8moe_q2_KIN3c104HalfELb1EEvPKvS3_PT_PKiS7_S7_iiiiiii
                                        ; -- End function
	.set _ZL8moe_q2_KIN3c104HalfELb1EEvPKvS3_PT_PKiS7_S7_iiiiiii.num_vgpr, 151
	.set _ZL8moe_q2_KIN3c104HalfELb1EEvPKvS3_PT_PKiS7_S7_iiiiiii.num_agpr, 0
	.set _ZL8moe_q2_KIN3c104HalfELb1EEvPKvS3_PT_PKiS7_S7_iiiiiii.numbered_sgpr, 22
	.set _ZL8moe_q2_KIN3c104HalfELb1EEvPKvS3_PT_PKiS7_S7_iiiiiii.num_named_barrier, 0
	.set _ZL8moe_q2_KIN3c104HalfELb1EEvPKvS3_PT_PKiS7_S7_iiiiiii.private_seg_size, 0
	.set _ZL8moe_q2_KIN3c104HalfELb1EEvPKvS3_PT_PKiS7_S7_iiiiiii.uses_vcc, 1
	.set _ZL8moe_q2_KIN3c104HalfELb1EEvPKvS3_PT_PKiS7_S7_iiiiiii.uses_flat_scratch, 0
	.set _ZL8moe_q2_KIN3c104HalfELb1EEvPKvS3_PT_PKiS7_S7_iiiiiii.has_dyn_sized_stack, 0
	.set _ZL8moe_q2_KIN3c104HalfELb1EEvPKvS3_PT_PKiS7_S7_iiiiiii.has_recursion, 0
	.set _ZL8moe_q2_KIN3c104HalfELb1EEvPKvS3_PT_PKiS7_S7_iiiiiii.has_indirect_call, 0
	.section	.AMDGPU.csdata,"",@progbits
; Kernel info:
; codeLenInByte = 21792
; TotalNumSgprs: 24
; NumVgprs: 151
; ScratchSize: 0
; MemoryBound: 0
; FloatMode: 240
; IeeeMode: 1
; LDSByteSize: 23328 bytes/workgroup (compile time only)
; SGPRBlocks: 0
; VGPRBlocks: 18
; NumSGPRsForWavesPerEU: 24
; NumVGPRsForWavesPerEU: 151
; Occupancy: 9
; WaveLimiterHint : 1
; COMPUTE_PGM_RSRC2:SCRATCH_EN: 0
; COMPUTE_PGM_RSRC2:USER_SGPR: 2
; COMPUTE_PGM_RSRC2:TRAP_HANDLER: 0
; COMPUTE_PGM_RSRC2:TGID_X_EN: 1
; COMPUTE_PGM_RSRC2:TGID_Y_EN: 1
; COMPUTE_PGM_RSRC2:TGID_Z_EN: 0
; COMPUTE_PGM_RSRC2:TIDIG_COMP_CNT: 1
	.section	.text._ZL8moe_q3_KIN3c104HalfELb0EEvPKvS3_PT_PKiS7_S7_iiiiiii,"axG",@progbits,_ZL8moe_q3_KIN3c104HalfELb0EEvPKvS3_PT_PKiS7_S7_iiiiiii,comdat
	.globl	_ZL8moe_q3_KIN3c104HalfELb0EEvPKvS3_PT_PKiS7_S7_iiiiiii ; -- Begin function _ZL8moe_q3_KIN3c104HalfELb0EEvPKvS3_PT_PKiS7_S7_iiiiiii
	.p2align	8
	.type	_ZL8moe_q3_KIN3c104HalfELb0EEvPKvS3_PT_PKiS7_S7_iiiiiii,@function
_ZL8moe_q3_KIN3c104HalfELb0EEvPKvS3_PT_PKiS7_S7_iiiiiii: ; @_ZL8moe_q3_KIN3c104HalfELb0EEvPKvS3_PT_PKiS7_S7_iiiiiii
; %bb.0:
	s_load_b128 s[4:7], s[0:1], 0x18
	s_mov_b32 s2, ttmp7
	s_mov_b32 s3, 0
	s_delay_alu instid0(SALU_CYCLE_1)
	s_lshl_b64 s[2:3], s[2:3], 2
	s_wait_kmcnt 0x0
	s_add_nc_u64 s[2:3], s[6:7], s[2:3]
	s_load_b32 s12, s[2:3], 0x0
	s_wait_kmcnt 0x0
	s_cmp_gt_u32 s12, 0xff
	s_cbranch_scc1 .LBB209_46
; %bb.1:
	s_load_b64 s[2:3], s[0:1], 0x28
	s_wait_kmcnt 0x0
	s_load_b32 s3, s[2:3], 0x0
	s_lshl_b32 s2, ttmp7, 3
	s_wait_kmcnt 0x0
	s_cmp_gt_u32 s2, s3
	s_cbranch_scc1 .LBB209_46
; %bb.2:
	v_bfe_u32 v3, v0, 10, 10
	v_mov_b32_e32 v2, 0
	s_lshl_b32 s18, ttmp9, 7
	s_delay_alu instid0(VALU_DEP_2) | instskip(NEXT) | instid1(VALU_DEP_2)
	v_add_nc_u32_e32 v1, s2, v3
	v_dual_mov_b32 v87, v2 :: v_dual_and_b32 v24, 0x3ff, v0
	v_dual_mov_b32 v86, v2 :: v_dual_mov_b32 v25, v2
	s_delay_alu instid0(VALU_DEP_3) | instskip(NEXT) | instid1(VALU_DEP_1)
	v_lshlrev_b64_e32 v[4:5], 2, v[1:2]
	v_add_co_u32 v4, vcc_lo, s4, v4
	s_delay_alu instid0(VALU_DEP_1)
	v_add_co_ci_u32_e64 v5, null, s5, v5, vcc_lo
	global_load_b32 v23, v[4:5], off
	s_clause 0x2
	s_load_b64 s[10:11], s[0:1], 0x30
	s_load_b64 s[8:9], s[0:1], 0x10
	s_load_b128 s[4:7], s[0:1], 0x3c
	s_wait_kmcnt 0x0
	s_cmp_lt_i32 s11, 0x100
	s_cbranch_scc1 .LBB209_37
; %bb.3:
	v_bfe_u32 v73, v0, 3, 7
	s_ashr_i32 s2, s11, 31
	v_and_b32_e32 v7, 7, v0
	s_wait_alu 0xfffe
	s_lshr_b32 s13, s2, 24
	s_mul_i32 s12, s12, s10
	v_lshl_add_u32 v80, v3, 2, v73
	s_add_co_i32 s13, s11, s13
	v_lshlrev_b32_e32 v36, 2, v7
	s_ashr_i32 s19, s13, 8
	v_lshlrev_b32_e32 v86, 1, v24
	v_add_nc_u32_e32 v82, 64, v80
	v_add_nc_u32_e32 v84, 0x60, v80
	s_lshl_b32 s10, s19, 3
	v_lshlrev_b32_e32 v113, 4, v24
	v_mad_i32_i24 v27, s19, v3, s10
	v_and_b32_e32 v83, 0x3ffc, v82
	v_and_b32_e32 v85, 0x3ffc, v84
	v_lshlrev_b32_e32 v110, 5, v82
	v_lshlrev_b32_e32 v112, 5, v84
	v_add_nc_u32_e32 v29, s10, v27
	v_add3_u32 v109, v83, v36, 0x6300
	v_add3_u32 v111, v85, v36, 0x6300
	v_and_b32_e32 v75, 4, v86
	s_load_b128 s[0:3], s[0:1], 0x0
	s_ashr_i32 s14, s5, 31
	v_add_nc_u32_e32 v109, v109, v110
	v_add_nc_u32_e32 v110, v111, v112
	v_lshlrev_b32_e32 v112, 2, v113
	v_dual_mov_b32 v86, 0 :: v_dual_lshlrev_b32 v113, 2, v86
	v_add_nc_u32_e32 v30, s10, v29
	s_lshr_b32 s14, s14, 27
	v_and_b32_e32 v22, 3, v0
	s_add_co_i32 s5, s5, s14
	s_mul_i32 s14, s19, s18
	v_add_nc_u32_e32 v32, s10, v30
	s_ashr_i32 s13, s12, 31
	s_ashr_i32 s15, s14, 31
	v_add_nc_u16 v74, v22, -2
	s_mul_u64 s[14:15], s[14:15], 0x6e
	v_add_nc_u32_e32 v34, s10, v32
	v_and_b32_e32 v1, 15, v0
	v_lshlrev_b32_e32 v77, 1, v22
	s_wait_kmcnt 0x0
	s_add_nc_u64 s[0:1], s[0:1], s[12:13]
	v_dual_mov_b32 v25, 0 :: v_dual_lshlrev_b32 v2, 2, v24
	v_add_nc_u32_e32 v37, s10, v34
	s_add_nc_u64 s[12:13], s[0:1], s[14:15]
	s_abs_i32 s1, s7
	v_cmp_lt_u32_e32 vcc_lo, 7, v1
	s_cvt_f32_u32 s0, s1
	v_add_nc_u32_e32 v39, s10, v37
	s_sub_co_i32 s14, 0, s1
	v_lshlrev_b32_e32 v4, 4, v3
	v_rcp_iflag_f32_e32 v79, s0
	s_wait_alu 0xfffd
	v_cndmask_b32_e64 v35, 0, 1, vcc_lo
	v_add_nc_u32_e32 v44, s10, v39
	v_cmp_gt_u32_e32 vcc_lo, 2, v22
	v_lshlrev_b32_e32 v6, 1, v3
	v_mad_u32_u24 v33, 0x84, v3, v2
	v_mul_i32_i24_e32 v38, s19, v3
	s_wait_alu 0xfffd
	v_dual_cndmask_b32 v74, v74, v22 :: v_dual_add_nc_u32 v49, s10, v44
	v_add_nc_u32_e32 v22, 32, v80
	v_lshl_add_u32 v82, v3, 7, 0x77a0
	s_lshl_b32 s0, s19, 5
	s_delay_alu instid0(VALU_DEP_3)
	v_add_nc_u32_e32 v54, s10, v49
	v_cmp_lt_u32_e32 vcc_lo, 3, v7
	v_and_b32_e32 v81, 0x3ffc, v22
	v_and_b32_e32 v7, 0x1ffc, v80
	v_mul_i32_i24_e32 v78, s19, v80
	v_add_nc_u32_e32 v58, s10, v54
	v_lshlrev_b32_e32 v87, 5, v80
	v_add3_u32 v108, v81, v36, 0x6300
	s_wait_loadcnt 0x0
	v_sub_nc_u32_e32 v81, 0, v23
	v_bfe_u32 v26, v0, 4, 6
	v_add_nc_u32_e32 v60, s10, v58
	v_bfe_u32 v5, v0, 1, 9
	v_and_b32_e32 v28, 1, v0
	v_max_i32_e32 v88, v23, v81
	v_add_nc_u32_e32 v10, v26, v6
	v_add_nc_u32_e32 v62, s10, v60
	;; [unrolled: 1-line block ×3, first 2 shown]
	v_add3_u32 v7, v7, v36, 0x6300
	s_lshl_b32 s16, s19, 4
	v_lshlrev_b32_e32 v31, 2, v1
	v_add_nc_u32_e32 v63, s10, v62
	v_add_nc_u16 v1, v26, v6
	v_and_b32_e32 v6, 0x7f, v8
	v_lshrrev_b32_e32 v8, 2, v8
	v_add_nc_u32_e32 v11, 16, v10
	v_add_nc_u32_e32 v65, s10, v63
	v_readfirstlane_b32 s10, v79
	s_wait_alu 0xfffe
	v_mad_i32_i24 v79, s19, v80, s0
	v_mad_i32_i24 v66, s19, v10, s16
	v_add_nc_u32_e32 v107, v7, v87
	v_mov_b32_e32 v87, 0
	s_mul_f32 s10, s10, 0x4f7ffffe
	v_add_nc_u32_e32 v80, s0, v79
	v_lshlrev_b32_e32 v9, 2, v28
	v_mul_i32_i24_e32 v61, s19, v6
	s_wait_alu 0xfffe
	s_cvt_u32_f32 s10, s10
	v_and_b32_e32 v8, 28, v8
	v_add_nc_u32_e32 v81, s0, v80
	v_lshl_or_b32 v6, v6, 3, v9
	s_wait_alu 0xfffe
	s_mul_i32 s14, s14, s10
	v_lshlrev_b32_e32 v9, 1, v11
	s_mul_hi_u32 s14, s10, s14
	v_add_nc_u32_e32 v67, s16, v66
	s_add_co_i32 s10, s10, s14
	v_mul_i32_i24_e32 v59, s19, v10
	s_wait_alu 0xfffe
	v_mul_hi_u32 v89, v88, s10
	v_lshrrev_b16 v1, 1, v1
	v_add_nc_u32_e32 v12, 32, v10
	v_add3_u32 v64, v6, v8, 0x7380
	v_and_b32_e32 v6, 0x3ffc, v9
	v_add_nc_u32_e32 v9, 48, v10
	v_lshlrev_b32_e32 v13, 6, v10
	v_add_nc_u32_e32 v15, 64, v10
	v_mul_lo_u32 v3, v89, s1
	v_add_nc_u32_e32 v17, 0x50, v10
	v_add_nc_u32_e32 v68, s16, v67
	;; [unrolled: 1-line block ×4, first 2 shown]
	v_and_b32_e32 v1, 0xffff, v1
	v_lshlrev_b32_e32 v8, 1, v12
	v_lshlrev_b32_e32 v14, 1, v9
	v_sub_nc_u32_e32 v3, v88, v3
	v_add_nc_u32_e32 v88, 1, v89
	v_lshlrev_b32_e32 v16, 1, v15
	v_lshlrev_b32_e32 v18, 1, v17
	v_add_nc_u32_e32 v69, s16, v68
	v_subrev_nc_u32_e32 v90, s1, v3
	v_cmp_le_u32_e64 s0, s1, v3
	v_lshlrev_b32_e32 v20, 1, v19
	v_lshlrev_b32_e32 v21, 1, v10
	v_and_b32_e32 v85, 31, v0
	v_add_nc_u32_e32 v83, 0x7ba0, v4
	s_wait_alu 0xf1ff
	v_cndmask_b32_e64 v88, v89, v88, s0
	v_cndmask_b32_e64 v3, v3, v90, s0
	v_xor_b32_e32 v89, s7, v23
	v_add_nc_u32_e32 v92, 0x60, v24
	s_ashr_i32 s5, s5, 5
	v_add_nc_u32_e32 v90, 1, v88
	v_cmp_le_u32_e64 s0, s1, v3
	v_ashrrev_i32_e32 v89, 31, v89
	v_lshlrev_b32_e32 v1, 2, v1
	v_and_b32_e32 v8, 0x3ffc, v8
	v_and_b32_e32 v14, 0x3ffc, v14
	s_wait_alu 0xf1ff
	v_cndmask_b32_e64 v3, v88, v90, s0
	v_and_b32_e32 v16, 0x3ffc, v16
	v_and_b32_e32 v18, 0x3ffc, v18
	v_add_nc_u32_e32 v70, s16, v69
	v_and_b32_e32 v20, 0x3ffc, v20
	v_xor_b32_e32 v3, v3, v89
	v_and_b32_e32 v21, 0x3ffc, v21
	v_and_b32_e32 v4, 28, v2
	v_lshl_add_u32 v84, v85, 2, v82
	v_add_nc_u32_e32 v85, v83, v2
	v_sub_nc_u32_e32 v3, v3, v89
	v_mul_u32_u24_e32 v2, 33, v24
	v_add_nc_u32_e32 v94, 32, v24
	v_lshlrev_b32_e32 v98, 5, v24
	v_add_nc_u32_e32 v95, 64, v24
	v_and_b32_e32 v93, 0x1fc, v92
	s_wait_alu 0xfffe
	v_mul_lo_u32 v91, v3, s5
	v_add3_u32 v1, v1, v31, 0x4200
	v_add3_u32 v6, v6, v31, 0x4200
	v_lshlrev_b32_e32 v11, 6, v11
	v_add3_u32 v8, v8, v31, 0x4200
	v_lshlrev_b32_e32 v12, 6, v12
	;; [unrolled: 2-line block ×5, first 2 shown]
	v_add_nc_u32_e32 v71, s16, v70
	v_add3_u32 v20, v20, v31, 0x4200
	v_lshlrev_b32_e32 v19, 6, v19
	v_add3_u32 v21, v21, v31, 0x4200
	v_lshlrev_b32_e32 v10, 6, v10
	v_and_b32_e32 v76, 0xff, v74
	v_lshlrev_b32_e32 v22, 5, v22
	v_lshlrev_b32_e32 v115, 4, v94
	v_lshrrev_b32_e32 v114, 1, v94
	v_lshlrev_b32_e32 v117, 1, v94
	v_lshrrev_b32_e32 v116, 4, v94
	;; [unrolled: 2-line block ×6, first 2 shown]
	v_lshrrev_b32_e32 v90, 3, v92
	v_lshlrev_b32_e32 v92, 2, v2
	v_add_nc_u32_e32 v93, v98, v93
	v_and_b32_e32 v2, 0x1fc, v95
	v_and_b32_e32 v97, 0x1fc, v94
	;; [unrolled: 1-line block ×3, first 2 shown]
	s_wait_alu 0xfffd
	v_cndmask_b32_e64 v74, 0, 1, vcc_lo
	v_cmp_gt_u32_e32 vcc_lo, 4, v24
	v_cmp_gt_i32_e64 s0, s4, v3
	v_add_co_u32 v3, s1, s2, v4
	v_add_nc_u32_e32 v40, 0x420, v33
	v_add_nc_u32_e32 v41, 0x840, v33
	;; [unrolled: 1-line block ×16, first 2 shown]
	v_lshlrev_b32_e32 v76, 2, v76
	v_lshrrev_b32_e32 v88, 3, v94
	v_lshrrev_b32_e32 v89, 3, v95
	s_wait_alu 0xf1ff
	v_add_co_ci_u32_e64 v4, null, s3, 0, s1
	v_ashrrev_i32_e32 v94, 31, v91
	v_add_nc_u32_e32 v95, 0x6f00, v93
	v_add_nc_u32_e32 v96, v98, v2
	v_add_nc_u32_e32 v97, v98, v97
	v_add_nc_u32_e32 v98, v98, v0
	v_add_nc_u32_e32 v99, v1, v13
	v_add_nc_u32_e32 v100, v6, v11
	v_add_nc_u32_e32 v101, v8, v12
	v_add_nc_u32_e32 v102, v14, v9
	v_add_nc_u32_e32 v103, v16, v15
	v_add_nc_u32_e32 v104, v18, v17
	v_add_nc_u32_e32 v105, v20, v19
	v_add_nc_u32_e32 v106, v21, v10
	v_add_nc_u32_e32 v108, v108, v22
	v_lshlrev_b32_e32 v111, 2, v5
	v_lshlrev_b32_e32 v114, 2, v114
	;; [unrolled: 1-line block ×14, first 2 shown]
	v_mov_b32_e32 v2, 0
	s_mov_b32 s15, 0
	s_and_b32 s10, vcc_lo, s0
	s_mov_b32 s14, s15
	s_branch .LBB209_5
.LBB209_4:                              ;   in Loop: Header=BB209_5 Depth=1
	s_add_co_i32 s14, s14, 2
	s_delay_alu instid0(SALU_CYCLE_1)
	s_cmp_ge_i32 s14, s19
	s_cbranch_scc1 .LBB209_37
.LBB209_5:                              ; =>This Loop Header: Depth=1
                                        ;     Child Loop BB209_11 Depth 2
                                        ;     Child Loop BB209_19 Depth 2
	;; [unrolled: 1-line block ×4, first 2 shown]
	s_mul_u64 s[16:17], s[14:15], 0x6e
	s_wait_alu 0xfffe
	s_add_nc_u64 s[16:17], s[12:13], s[16:17]
	s_wait_alu 0xfffe
	v_mad_co_u64_u32 v[0:1], null, 0x6e, v26, s[16:17]
	s_delay_alu instid0(VALU_DEP_1) | instskip(SKIP_3) | instid1(VALU_DEP_4)
	v_mad_co_u64_u32 v[5:6], null, 0x6e, v38, v[0:1]
	v_mad_co_u64_u32 v[7:8], null, 0x6e, v27, v[0:1]
	;; [unrolled: 1-line block ×4, first 2 shown]
	v_add_co_u32 v5, s1, v5, v31
	v_mad_co_u64_u32 v[13:14], null, 0x6e, v32, v[0:1]
	s_wait_alu 0xf1ff
	v_add_co_ci_u32_e64 v6, null, 0, v6, s1
	v_add_co_u32 v7, s1, v7, v31
	v_mad_co_u64_u32 v[15:16], null, 0x6e, v34, v[0:1]
	s_wait_alu 0xf1ff
	v_add_co_ci_u32_e64 v8, null, 0, v8, s1
	;; [unrolled: 4-line block ×4, first 2 shown]
	v_add_co_u32 v13, s1, v13, v31
	s_wait_alu 0xf1ff
	v_add_co_ci_u32_e64 v14, null, 0, v14, s1
	v_add_co_u32 v15, s1, v15, v31
	s_wait_alu 0xf1ff
	v_add_co_ci_u32_e64 v16, null, 0, v16, s1
	v_add_co_u32 v17, s1, v17, v31
	s_wait_alu 0xf1ff
	v_add_co_ci_u32_e64 v18, null, 0, v18, s1
	v_add_co_u32 v19, s1, v19, v31
	v_mad_co_u64_u32 v[21:22], null, 0x6e, v44, v[0:1]
	s_wait_alu 0xf1ff
	v_add_co_ci_u32_e64 v20, null, 0, v20, s1
	s_clause 0x7
	global_load_b32 v129, v[5:6], off offset:32
	global_load_b32 v130, v[7:8], off offset:32
	;; [unrolled: 1-line block ×8, first 2 shown]
	v_mad_co_u64_u32 v[5:6], null, 0x6e, v49, v[0:1]
	v_mad_co_u64_u32 v[9:10], null, 0x6e, v54, v[0:1]
	;; [unrolled: 1-line block ×3, first 2 shown]
	v_add_co_u32 v7, s1, v21, v31
	v_mad_co_u64_u32 v[13:14], null, 0x6e, v60, v[0:1]
	s_wait_alu 0xf1ff
	v_add_co_ci_u32_e64 v8, null, 0, v22, s1
	v_add_co_u32 v5, s1, v5, v31
	v_mad_co_u64_u32 v[15:16], null, 0x6e, v62, v[0:1]
	s_wait_alu 0xf1ff
	v_add_co_ci_u32_e64 v6, null, 0, v6, s1
	;; [unrolled: 4-line block ×5, first 2 shown]
	v_add_co_u32 v15, s1, v15, v31
	s_wait_alu 0xf1ff
	v_add_co_ci_u32_e64 v16, null, 0, v16, s1
	v_add_co_u32 v17, s1, v17, v31
	s_wait_alu 0xf1ff
	v_add_co_ci_u32_e64 v18, null, 0, v18, s1
	v_add_co_u32 v0, s1, v0, v31
	v_mad_co_u64_u32 v[21:22], null, 0x6e, v61, s[16:17]
	s_wait_alu 0xf1ff
	v_add_co_ci_u32_e64 v1, null, 0, v1, s1
	v_add_co_u32 v19, s1, v19, v36
	s_wait_alu 0xf1ff
	v_add_co_ci_u32_e64 v20, null, 0, v20, s1
	s_clause 0x7
	global_load_b32 v137, v[7:8], off offset:32
	global_load_b32 v138, v[5:6], off offset:32
	;; [unrolled: 1-line block ×8, first 2 shown]
	v_mad_co_u64_u32 v[13:14], null, 0x6e, v74, s[16:17]
	v_mad_co_u64_u32 v[0:1], null, 0x6e, v28, v[21:22]
	;; [unrolled: 1-line block ×10, first 2 shown]
	s_clause 0x7
	global_load_u16 v145, v[0:1], off offset:108
	global_load_b32 v146, v[5:6], off
	global_load_b32 v147, v[7:8], off
	;; [unrolled: 1-line block ×7, first 2 shown]
	v_mad_co_u64_u32 v[5:6], null, 0x6e, v79, v[13:14]
	v_mad_co_u64_u32 v[9:10], null, 0x6e, v80, v[13:14]
	;; [unrolled: 1-line block ×4, first 2 shown]
	v_add_co_u32 v7, s1, v127, v76
	s_wait_alu 0xf1ff
	v_add_co_ci_u32_e64 v8, null, 0, v128, s1
	v_add_co_u32 v13, s1, v5, v76
	s_wait_alu 0xf1ff
	v_add_co_ci_u32_e64 v14, null, 0, v6, s1
	;; [unrolled: 3-line block ×4, first 2 shown]
	s_clause 0x8
	global_load_b32 v0, v[0:1], off
	global_load_b32 v1, v[7:8], off offset:96
	global_load_b32 v7, v[11:12], off offset:104
	global_load_b32 v8, v[9:10], off offset:104
	global_load_b32 v5, v[5:6], off offset:104
	global_load_b32 v6, v[127:128], off offset:104
	global_load_b32 v9, v[13:14], off offset:96
	global_load_b32 v10, v[15:16], off offset:96
	global_load_b32 v11, v[17:18], off offset:96
	s_lshl_b32 s16, s14, 8
	s_wait_loadcnt 0x20
	ds_store_b32 v33, v129
	s_wait_loadcnt 0x1f
	ds_store_b32 v40, v130
	;; [unrolled: 2-line block ×16, first 2 shown]
	s_wait_alu 0xfffe
	s_cmp_lt_i32 s16, s11
	s_wait_loadcnt 0x10
	v_cvt_f32_f16_e64 v12, v145
	s_wait_loadcnt 0xf
	v_not_b32_e32 v13, v146
	s_wait_loadcnt 0xe
	v_not_b32_e32 v14, v147
	;; [unrolled: 2-line block ×6, first 2 shown]
	ds_store_b32 v64, v12
	ds_store_b32 v99, v13
	;; [unrolled: 1-line block ×6, first 2 shown]
	s_wait_loadcnt 0x9
	v_not_b32_e32 v19, v21
	ds_store_b32 v104, v18
	ds_store_b32 v105, v19
	s_wait_loadcnt 0x8
	v_not_b32_e32 v0, v0
	s_wait_loadcnt 0x7
	v_ashrrev_i32_e32 v1, v75, v1
	s_wait_loadcnt 0x6
	v_ashrrev_i32_e32 v7, v77, v7
	;; [unrolled: 2-line block ×8, first 2 shown]
	v_and_b32_e32 v1, 0xf0f0f0f, v1
	v_lshlrev_b32_e32 v6, 4, v6
	v_and_b32_e32 v9, 0xf0f0f0f, v9
	v_lshlrev_b32_e32 v5, 4, v5
	;; [unrolled: 2-line block ×4, first 2 shown]
	v_and_or_b32 v1, 0x30303030, v6, v1
	v_and_or_b32 v5, 0x30303030, v5, v9
	;; [unrolled: 1-line block ×3, first 2 shown]
	s_delay_alu instid0(VALU_DEP_4) | instskip(NEXT) | instid1(VALU_DEP_4)
	v_and_or_b32 v7, 0x30303030, v7, v11
	v_lshrrev_b32_e32 v8, 16, v1
	v_and_b32_e32 v9, 0x3f00, v1
	v_lshlrev_b16 v1, 8, v1
	v_lshrrev_b32_e32 v10, 16, v5
	v_lshrrev_b32_e32 v12, 16, v6
	v_and_b32_e32 v11, 0x3f00, v5
	v_lshlrev_b16 v5, 8, v5
	v_lshrrev_b32_e32 v14, 16, v7
	v_and_b32_e32 v16, 0x3f00, v8
	v_lshlrev_b16 v8, 8, v8
	v_add_nc_u16 v1, 0xe000, v1
	v_and_b32_e32 v17, 0x3f00, v10
	v_lshlrev_b16 v10, 8, v10
	v_and_b32_e32 v13, 0x3f00, v6
	v_lshlrev_b16 v6, 8, v6
	v_and_b32_e32 v18, 0x3f00, v12
	v_lshlrev_b16 v12, 8, v12
	v_and_b32_e32 v15, 0x3f00, v7
	v_lshlrev_b16 v7, 8, v7
	v_add_nc_u16 v5, 0xe000, v5
	v_and_b32_e32 v20, 0x3f00, v14
	v_lshlrev_b16 v14, 8, v14
	v_add_nc_u16 v8, 0xe000, v8
	v_lshrrev_b16 v1, 8, v1
	v_add_nc_u16 v10, 0xe000, v10
	v_add_nc_u16 v6, 0xe000, v6
	;; [unrolled: 1-line block ×4, first 2 shown]
	v_lshrrev_b16 v5, 8, v5
	v_add_nc_u16 v14, 0xe000, v14
	v_lshrrev_b16 v8, 8, v8
	v_or_b32_e32 v1, v9, v1
	v_lshrrev_b16 v9, 8, v10
	v_lshrrev_b16 v6, 8, v6
	;; [unrolled: 1-line block ×4, first 2 shown]
	v_or_b32_e32 v5, v11, v5
	v_lshrrev_b16 v11, 8, v14
	v_or_b32_e32 v8, v16, v8
	v_or_b32_e32 v9, v17, v9
	v_or_b32_e32 v6, v13, v6
	v_or_b32_e32 v10, v18, v10
	v_or_b32_e32 v7, v15, v7
	v_or_b32_e32 v11, v20, v11
	v_add_nc_u16 v1, 0xe000, v1
	v_add_nc_u16 v8, 0xe000, v8
	;; [unrolled: 1-line block ×8, first 2 shown]
	v_and_b32_e32 v1, 0xffff, v1
	v_lshlrev_b32_e32 v8, 16, v8
	v_and_b32_e32 v5, 0xffff, v5
	v_lshlrev_b32_e32 v9, 16, v9
	;; [unrolled: 2-line block ×4, first 2 shown]
	v_or_b32_e32 v1, v1, v8
	v_or_b32_e32 v5, v5, v9
	;; [unrolled: 1-line block ×3, first 2 shown]
	s_delay_alu instid0(VALU_DEP_4)
	v_or_b32_e32 v7, v7, v11
	ds_store_b32 v106, v0
	ds_store_b32 v107, v1
	;; [unrolled: 1-line block ×5, first 2 shown]
	s_cbranch_scc0 .LBB209_4
; %bb.6:                                ;   in Loop: Header=BB209_5 Depth=1
	s_lshl_b32 s17, s14, 3
	s_wait_alu 0xfffe
	v_add_nc_u32_e32 v0, s17, v73
	s_delay_alu instid0(VALU_DEP_1)
	v_cmp_gt_i32_e64 s1, s5, v0
	s_and_b32 s20, s0, s1
	s_wait_alu 0xfffe
	s_and_saveexec_b32 s1, s20
	s_cbranch_execz .LBB209_8
; %bb.7:                                ;   in Loop: Header=BB209_5 Depth=1
	v_add_nc_u32_e32 v0, v91, v0
	s_delay_alu instid0(VALU_DEP_1)
	v_mad_co_i64_i32 v[0:1], null, v0, 36, v[3:4]
	global_load_b32 v0, v[0:1], off offset:4
	s_wait_loadcnt 0x0
	ds_store_b32 v84, v0
.LBB209_8:                              ;   in Loop: Header=BB209_5 Depth=1
	s_wait_alu 0xfffe
	s_or_b32 exec_lo, exec_lo, s1
	v_add_nc_u32_e32 v127, s17, v24
	s_delay_alu instid0(VALU_DEP_1)
	v_cmp_gt_i32_e64 s1, s5, v127
	s_and_b32 s20, s10, s1
	s_wait_alu 0xfffe
	s_and_saveexec_b32 s1, s20
	s_cbranch_execz .LBB209_10
; %bb.9:                                ;   in Loop: Header=BB209_5 Depth=1
	v_add_nc_u32_e32 v0, v91, v127
	s_delay_alu instid0(VALU_DEP_1)
	v_mad_co_i64_i32 v[0:1], null, v0, 36, s[2:3]
	global_load_b32 v0, v[0:1], off
	s_wait_loadcnt 0x0
	v_cvt_f32_f16_e32 v0, v0
	ds_store_b32 v85, v0
.LBB209_10:                             ;   in Loop: Header=BB209_5 Depth=1
	s_wait_alu 0xfffe
	s_or_b32 exec_lo, exec_lo, s1
	v_dual_mov_b32 v128, v83 :: v_dual_mov_b32 v129, v82
	s_mov_b32 s22, -2
	s_mov_b32 s1, 0
	s_mov_b32 s20, 0
	s_wait_dscnt 0x0
	s_barrier_signal -1
	s_barrier_wait -1
	global_inv scope:SCOPE_SE
.LBB209_11:                             ;   Parent Loop BB209_5 Depth=1
                                        ; =>  This Inner Loop Header: Depth=2
	ds_load_b128 v[5:8], v129
	ds_load_b128 v[16:19], v129 offset:16
	s_wait_alu 0xfffe
	s_add_co_i32 s21, s22, 2
	v_add_nc_u32_e32 v129, 32, v129
	s_wait_alu 0xfffe
	s_and_b32 s25, s21, 0x3ffffff8
	s_lshr_b32 s24, s21, 4
	s_wait_alu 0xfffe
	v_lshl_add_u32 v140, s25, 2, v92
	s_and_b32 s25, s20, -16
	s_lshl_b32 s23, s24, 5
	s_wait_alu 0xfffe
	s_add_co_i32 s22, s22, s25
	s_addk_co_i32 s23, 0x4200
	v_add_nc_u32_e32 v0, 0x3188, v140
	s_wait_alu 0xfffe
	v_add_nc_u32_e32 v20, s22, v95
	s_lshl_b32 s24, s24, 2
	v_add_nc_u32_e32 v22, 0x3198, v140
	s_wait_alu 0xfffe
	s_addk_co_i32 s24, 0x7380
	v_add3_u32 v180, s23, v111, v112
	v_add3_u32 v182, s23, v114, v115
	;; [unrolled: 1-line block ×3, first 2 shown]
	s_add_co_i32 s20, s20, 2
	s_wait_dscnt 0x1
	v_lshrrev_b16 v153, 8, v5
	s_wait_dscnt 0x0
	v_lshrrev_b16 v159, 8, v16
	v_lshrrev_b16 v161, 8, v17
	v_ashrrev_i32_e32 v15, 24, v16
	v_bfe_i32 v13, v16, 16, 8
	v_bfe_i32 v162, v16, 0, 8
	v_perm_b32 v145, v16, v16, 0xc0c0302
	v_ashrrev_i32_e32 v16, 24, v17
	v_bfe_i32 v14, v17, 16, 8
	v_bfe_i32 v142, v17, 0, 8
	v_perm_b32 v138, v17, v17, 0xc030201
	v_add3_u32 v17, s23, v122, v123
	v_lshrrev_b16 v155, 8, v6
	v_lshrrev_b16 v151, 8, v7
	;; [unrolled: 1-line block ×3, first 2 shown]
	v_ashrrev_i32_e32 v11, 24, v5
	v_bfe_i32 v9, v5, 16, 8
	v_bfe_i32 v156, v5, 0, 8
	v_perm_b32 v149, v5, v5, 0xc0c0302
	v_ashrrev_i32_e32 v12, 24, v6
	v_bfe_i32 v10, v6, 16, 8
	v_bfe_i32 v143, v6, 0, 8
	v_perm_b32 v139, v6, v6, 0xc030201
	;; [unrolled: 4-line block ×4, first 2 shown]
	v_lshrrev_b16 v160, 8, v18
	v_lshrrev_b16 v144, 8, v19
	v_ashrrev_i32_e32 v152, 24, v18
	v_bfe_i32 v157, v18, 16, 8
	v_bfe_i32 v136, v18, 0, 8
	v_perm_b32 v134, v18, v18, 0xc030201
	v_ashrrev_i32_e32 v154, 24, v19
	v_bfe_i32 v158, v19, 16, 8
	v_bfe_i32 v132, v19, 0, 8
	v_perm_b32 v130, v19, v19, 0xc030201
	ds_load_2addr_b32 v[0:1], v0 offset1:1
	ds_load_2addr_b32 v[18:19], v17 offset0:4 offset1:5
	ds_load_2addr_b32 v[7:8], v17 offset0:6 offset1:7
	;; [unrolled: 1-line block ×3, first 2 shown]
	ds_load_u16 v167, v20 offset:2
	s_wait_alu 0xfffe
	v_add3_u32 v20, s24, v124, v125
	v_bfe_i32 v159, v159, 0, 8
	v_bfe_i32 v161, v161, 0, 8
	;; [unrolled: 1-line block ×4, first 2 shown]
	ds_load_b32 v163, v20
	v_add_nc_u32_e32 v20, 0x3190, v140
	ds_load_2addr_b32 v[20:21], v20 offset1:1
	ds_load_2addr_b32 v[164:165], v22 offset1:1
	v_bfe_i32 v153, v153, 0, 8
	v_bfe_i32 v151, v151, 0, 8
	;; [unrolled: 1-line block ×3, first 2 shown]
	s_wait_dscnt 0x7
	v_ashrrev_i32_e32 v203, s21, v0
	s_wait_dscnt 0x6
	v_ashrrev_i32_e32 v19, s1, v19
	v_ashrrev_i32_e32 v18, s1, v18
	s_wait_dscnt 0x5
	v_ashrrev_i32_e32 v7, s1, v7
	v_ashrrev_i32_e32 v8, s1, v8
	;; [unrolled: 1-line block ×3, first 2 shown]
	v_lshlrev_b32_e32 v19, 2, v19
	v_lshlrev_b32_e32 v18, 2, v18
	;; [unrolled: 1-line block ×4, first 2 shown]
	s_wait_dscnt 0x4
	v_ashrrev_i32_e32 v5, s1, v5
	v_and_b32_e32 v19, 0x4040404, v19
	v_and_b32_e32 v18, 0x4040404, v18
	;; [unrolled: 1-line block ×4, first 2 shown]
	s_wait_dscnt 0x1
	v_ashrrev_i32_e32 v21, s21, v21
	v_ashrrev_i32_e32 v20, s21, v20
	v_lshrrev_b32_e32 v166, 24, v19
	v_lshrrev_b32_e32 v168, 24, v18
	s_wait_dscnt 0x0
	v_ashrrev_i32_e32 v190, s21, v164
	v_bfe_u32 v22, v21, 24, 2
	v_and_b32_e32 v21, 0x3030303, v21
	v_ashrrev_i32_e32 v191, s21, v165
	v_ashrrev_i32_e32 v6, s1, v6
	v_and_b32_e32 v194, 0x3030303, v190
	v_sub_nc_u16 v22, v22, v166
	v_bfe_u32 v166, v20, 24, 2
	v_and_b32_e32 v20, 0x3030303, v20
	v_and_b32_e32 v195, 0x3030303, v191
	v_sub_nc_u16 v7, v194, v192
	v_bfe_i32 v22, v22, 0, 16
	v_sub_nc_u16 v166, v166, v168
	v_and_b32_e32 v207, 0x3030303, v203
	v_sub_nc_u16 v8, v195, v193
	v_bfe_i32 v7, v7, 0, 8
	v_mul_i32_i24_e32 v16, v22, v16
	v_bfe_i32 v22, v166, 0, 16
	v_and_b32_e32 v208, 0x3030303, v204
	v_bfe_i32 v8, v8, 0, 8
	v_mul_i32_i24_e32 v7, v7, v136
	v_lshrrev_b16 v214, 8, v192
	v_mad_i32_i24 v188, v22, v15, v16
	v_lshrrev_b32_e32 v15, 16, v21
	v_lshrrev_b32_e32 v16, 16, v19
	;; [unrolled: 1-line block ×3, first 2 shown]
	v_mul_i32_i24_e32 v8, v8, v132
	v_bfe_i32 v141, v141, 0, 8
	s_delay_alu instid0(VALU_DEP_4) | instskip(SKIP_1) | instid1(VALU_DEP_2)
	v_sub_nc_u16 v15, v15, v16
	v_lshrrev_b32_e32 v16, 16, v20
	v_bfe_i32 v15, v15, 0, 8
	s_delay_alu instid0(VALU_DEP_2) | instskip(NEXT) | instid1(VALU_DEP_2)
	v_sub_nc_u16 v16, v16, v22
	v_mul_i32_i24_e32 v14, v15, v14
	s_delay_alu instid0(VALU_DEP_2) | instskip(NEXT) | instid1(VALU_DEP_1)
	v_bfe_i32 v15, v16, 0, 8
	v_mad_i32_i24 v189, v15, v13, v14
	v_sub_nc_u16 v13, v21, v19
	v_sub_nc_u16 v14, v20, v18
	v_add3_u32 v15, s24, v120, v121
	v_lshrrev_b16 v18, 8, v18
	s_delay_alu instid0(VALU_DEP_4) | instskip(NEXT) | instid1(VALU_DEP_4)
	v_bfe_i32 v13, v13, 0, 8
	v_bfe_i32 v14, v14, 0, 8
	s_delay_alu instid0(VALU_DEP_2) | instskip(NEXT) | instid1(VALU_DEP_1)
	v_mul_i32_i24_e32 v13, v13, v142
	v_mad_i32_i24 v13, v14, v162, v13
	s_delay_alu instid0(VALU_DEP_1)
	v_add3_u32 v196, v13, v7, v8
	v_add_nc_u32_e32 v13, 0x3180, v140
	ds_load_2addr_b32 v[7:8], v17 offset1:1
	ds_load_2addr_b32 v[13:14], v13 offset1:1
	ds_load_b32 v164, v15
	s_wait_dscnt 0x2
	v_ashrrev_i32_e32 v8, s1, v8
	v_ashrrev_i32_e32 v7, s1, v7
	s_wait_dscnt 0x1
	v_ashrrev_i32_e32 v14, s21, v14
	v_ashrrev_i32_e32 v13, s21, v13
	v_lshlrev_b32_e32 v8, 2, v8
	v_lshlrev_b32_e32 v7, 2, v7
	s_delay_alu instid0(VALU_DEP_4) | instskip(NEXT) | instid1(VALU_DEP_4)
	v_and_b32_e32 v200, 0x3030303, v14
	v_and_b32_e32 v201, 0x3030303, v13
	s_delay_alu instid0(VALU_DEP_4) | instskip(NEXT) | instid1(VALU_DEP_4)
	v_and_b32_e32 v197, 0x4040404, v8
	v_and_b32_e32 v198, 0x4040404, v7
	v_bfe_u32 v8, v14, 24, 2
	v_bfe_u32 v7, v13, 24, 2
	s_delay_alu instid0(VALU_DEP_4) | instskip(NEXT) | instid1(VALU_DEP_4)
	v_sub_nc_u16 v0, v200, v197
	v_sub_nc_u16 v1, v201, v198
	v_lshrrev_b32_e32 v15, 24, v197
	s_delay_alu instid0(VALU_DEP_3) | instskip(NEXT) | instid1(VALU_DEP_3)
	v_bfe_i32 v0, v0, 0, 8
	v_bfe_i32 v1, v1, 0, 8
	s_delay_alu instid0(VALU_DEP_3) | instskip(SKIP_1) | instid1(VALU_DEP_4)
	v_sub_nc_u16 v8, v8, v15
	v_lshrrev_b32_e32 v15, 24, v198
	v_mul_i32_i24_e32 v0, v0, v143
	s_delay_alu instid0(VALU_DEP_3) | instskip(NEXT) | instid1(VALU_DEP_3)
	v_bfe_i32 v8, v8, 0, 16
	v_sub_nc_u16 v7, v7, v15
	s_delay_alu instid0(VALU_DEP_3) | instskip(SKIP_4) | instid1(VALU_DEP_4)
	v_mad_i32_i24 v0, v1, v156, v0
	v_lshlrev_b32_e32 v1, 2, v5
	v_lshlrev_b32_e32 v5, 2, v6
	v_mul_i32_i24_e32 v8, v8, v12
	v_bfe_i32 v7, v7, 0, 16
	v_and_b32_e32 v205, 0x4040404, v1
	s_delay_alu instid0(VALU_DEP_4) | instskip(NEXT) | instid1(VALU_DEP_3)
	v_and_b32_e32 v206, 0x4040404, v5
	v_mad_i32_i24 v199, v7, v11, v8
	v_lshrrev_b32_e32 v7, 16, v200
	s_delay_alu instid0(VALU_DEP_4) | instskip(NEXT) | instid1(VALU_DEP_4)
	v_sub_nc_u16 v1, v207, v205
	v_sub_nc_u16 v5, v208, v206
	v_lshrrev_b32_e32 v8, 16, v197
	v_lshrrev_b32_e32 v11, 16, v198
	v_lshrrev_b16 v198, 8, v198
	v_bfe_i32 v1, v1, 0, 8
	v_bfe_i32 v5, v5, 0, 8
	v_sub_nc_u16 v7, v7, v8
	v_lshrrev_b32_e32 v8, 16, v201
	v_lshrrev_b16 v201, 8, v201
	v_mul_i32_i24_e32 v1, v1, v137
	v_mul_i32_i24_e32 v5, v5, v133
	v_bfe_i32 v7, v7, 0, 8
	v_sub_nc_u16 v8, v8, v11
	v_lshrrev_b16 v200, 8, v200
	v_lshrrev_b16 v197, 8, v197
	v_add3_u32 v209, v0, v1, v5
	ds_load_2addr_b32 v[168:169], v180 offset0:4 offset1:5
	ds_load_2addr_b32 v[0:1], v180 offset0:6 offset1:7
	;; [unrolled: 1-line block ×3, first 2 shown]
	v_mul_i32_i24_e32 v7, v7, v10
	v_bfe_i32 v8, v8, 0, 8
	v_add_nc_u32_e32 v10, 0x1098, v140
	v_sub_nc_u16 v198, v201, v198
	v_sub_nc_u16 v197, v200, v197
	v_lshrrev_b16 v200, 8, v207
	v_mad_i32_i24 v202, v8, v9, v7
	v_lshrrev_b16 v201, 8, v205
	v_bfe_i32 v198, v198, 0, 16
	v_bfe_i32 v197, v197, 0, 16
	s_delay_alu instid0(VALU_DEP_3) | instskip(NEXT) | instid1(VALU_DEP_2)
	v_sub_nc_u16 v200, v200, v201
	v_mul_i32_i24_e32 v155, v197, v155
	s_wait_dscnt 0x2
	v_ashrrev_i32_e32 v5, s1, v168
	s_wait_dscnt 0x1
	v_ashrrev_i32_e32 v0, s1, v0
	;; [unrolled: 2-line block ×3, first 2 shown]
	v_ashrrev_i32_e32 v12, s1, v12
	v_lshlrev_b32_e32 v5, 2, v5
	v_lshlrev_b32_e32 v0, 2, v0
	s_delay_alu instid0(VALU_DEP_4) | instskip(NEXT) | instid1(VALU_DEP_4)
	v_lshlrev_b32_e32 v11, 2, v11
	v_lshlrev_b32_e32 v12, 2, v12
	s_delay_alu instid0(VALU_DEP_4)
	v_and_b32_e32 v168, 0x4040404, v5
	ds_load_2addr_b32 v[170:171], v140 offset0:4 offset1:5
	ds_load_2addr_b32 v[5:6], v140 offset0:6 offset1:7
	;; [unrolled: 1-line block ×3, first 2 shown]
	v_and_b32_e32 v11, 0x4040404, v11
	v_and_b32_e32 v0, 0x4040404, v0
	;; [unrolled: 1-line block ×3, first 2 shown]
	v_lshrrev_b16 v8, 8, v168
	s_wait_dscnt 0x2
	v_ashrrev_i32_e32 v170, s21, v170
	s_wait_dscnt 0x1
	v_ashrrev_i32_e32 v5, s21, v5
	;; [unrolled: 2-line block ×3, first 2 shown]
	v_ashrrev_i32_e32 v6, s21, v6
	v_and_b32_e32 v210, 0x3030303, v170
	s_delay_alu instid0(VALU_DEP_1) | instskip(NEXT) | instid1(VALU_DEP_1)
	v_lshrrev_b16 v7, 8, v210
	v_sub_nc_u16 v181, v7, v8
	v_add_nc_u32_e32 v7, s22, v97
	s_delay_alu instid0(VALU_DEP_2)
	v_lshlrev_b16 v181, 8, v181
	ds_load_u16 v166, v7 offset:26370
	v_add3_u32 v7, s24, v116, v117
	v_bfe_i32 v181, v181, 8, 8
	ds_load_b32 v165, v7
	ds_load_2addr_b32 v[172:173], v182 offset0:4 offset1:5
	ds_load_2addr_b32 v[7:8], v182 offset0:6 offset1:7
	;; [unrolled: 1-line block ×3, first 2 shown]
	s_wait_dscnt 0x2
	v_ashrrev_i32_e32 v9, s1, v172
	s_wait_dscnt 0x1
	v_ashrrev_i32_e32 v7, s1, v7
	;; [unrolled: 2-line block ×3, first 2 shown]
	v_ashrrev_i32_e32 v16, s1, v16
	v_ashrrev_i32_e32 v8, s1, v8
	v_lshlrev_b32_e32 v9, 2, v9
	v_lshlrev_b32_e32 v7, 2, v7
	;; [unrolled: 1-line block ×5, first 2 shown]
	v_and_b32_e32 v172, 0x4040404, v9
	v_add_nc_u32_e32 v9, 0x1090, v140
	ds_load_2addr_b32 v[174:175], v9 offset1:1
	ds_load_2addr_b32 v[9:10], v10 offset1:1
	v_lshrrev_b16 v22, 8, v172
	v_and_b32_e32 v15, 0x4040404, v15
	v_and_b32_e32 v7, 0x4040404, v7
	v_and_b32_e32 v16, 0x4040404, v16
	v_and_b32_e32 v8, 0x4040404, v8
	s_wait_dscnt 0x1
	v_ashrrev_i32_e32 v174, s21, v174
	s_wait_dscnt 0x0
	v_ashrrev_i32_e32 v9, s21, v9
	v_ashrrev_i32_e32 v10, s21, v10
	s_delay_alu instid0(VALU_DEP_3) | instskip(NEXT) | instid1(VALU_DEP_1)
	v_and_b32_e32 v211, 0x3030303, v174
	v_lshrrev_b16 v17, 8, v211
	v_sub_nc_u16 v215, v211, v172
	s_delay_alu instid0(VALU_DEP_2) | instskip(SKIP_1) | instid1(VALU_DEP_3)
	v_sub_nc_u16 v183, v17, v22
	v_lshrrev_b16 v17, 8, v20
	v_bfe_i32 v215, v215, 0, 8
	s_delay_alu instid0(VALU_DEP_2)
	v_sub_nc_u16 v184, v17, v18
	v_lshrrev_b16 v18, 8, v19
	ds_load_2addr_b32 v[176:177], v212 offset0:4 offset1:5
	ds_load_2addr_b32 v[19:20], v212 offset0:2 offset1:3
	v_lshrrev_b16 v17, 8, v21
	v_add_nc_u32_e32 v21, 0x2108, v140
	v_mul_i32_i24_e32 v215, v162, v215
	s_delay_alu instid0(VALU_DEP_3) | instskip(SKIP_1) | instid1(VALU_DEP_2)
	v_sub_nc_u16 v185, v17, v18
	v_add_nc_u32_e32 v18, 0x2118, v140
	v_bfe_i32 v185, v185, 0, 16
	s_delay_alu instid0(VALU_DEP_1) | instskip(SKIP_4) | instid1(VALU_DEP_2)
	v_mul_i32_i24_e32 v161, v185, v161
	s_wait_dscnt 0x1
	v_ashrrev_i32_e32 v17, s1, v176
	s_wait_dscnt 0x0
	v_ashrrev_i32_e32 v19, s1, v19
	v_lshlrev_b32_e32 v17, 2, v17
	s_delay_alu instid0(VALU_DEP_2) | instskip(NEXT) | instid1(VALU_DEP_2)
	v_lshlrev_b32_e32 v19, 2, v19
	v_and_b32_e32 v176, 0x4040404, v17
	v_add_nc_u32_e32 v17, 0x2110, v140
	ds_load_2addr_b32 v[178:179], v17 offset1:1
	ds_load_2addr_b32 v[17:18], v18 offset1:1
	ds_load_2addr_b32 v[21:22], v21 offset1:1
	v_lshrrev_b16 v187, 8, v176
	v_and_b32_e32 v19, 0x4040404, v19
	s_wait_dscnt 0x2
	v_ashrrev_i32_e32 v178, s21, v178
	s_wait_dscnt 0x1
	v_ashrrev_i32_e32 v17, s21, v17
	;; [unrolled: 2-line block ×3, first 2 shown]
	v_ashrrev_i32_e32 v18, s21, v18
	v_and_b32_e32 v213, 0x3030303, v178
	s_delay_alu instid0(VALU_DEP_1) | instskip(SKIP_1) | instid1(VALU_DEP_2)
	v_lshrrev_b16 v186, 8, v213
	v_sub_nc_u16 v216, v213, v176
	v_sub_nc_u16 v186, v186, v187
	v_lshrrev_b16 v187, 8, v194
	s_delay_alu instid0(VALU_DEP_3) | instskip(NEXT) | instid1(VALU_DEP_2)
	v_bfe_i32 v216, v216, 0, 8
	v_sub_nc_u16 v187, v187, v214
	v_sub_nc_u16 v214, v210, v168
	s_delay_alu instid0(VALU_DEP_2) | instskip(NEXT) | instid1(VALU_DEP_2)
	v_bfe_i32 v185, v187, 0, 16
	v_bfe_i32 v214, v214, 0, 8
	s_delay_alu instid0(VALU_DEP_2) | instskip(NEXT) | instid1(VALU_DEP_2)
	v_mul_i32_i24_e32 v160, v185, v160
	v_mul_i32_i24_e32 v214, v162, v214
	v_mul_i32_i24_e32 v162, v162, v216
	s_delay_alu instid0(VALU_DEP_2) | instskip(SKIP_2) | instid1(VALU_DEP_2)
	v_mad_i32_i24 v214, v159, v181, v214
	v_lshlrev_b16 v181, 8, v183
	v_add_nc_u32_e32 v183, 0x1080, v140
	v_bfe_i32 v181, v181, 8, 8
	s_delay_alu instid0(VALU_DEP_1) | instskip(SKIP_1) | instid1(VALU_DEP_1)
	v_mad_i32_i24 v215, v159, v181, v215
	v_lshlrev_b16 v181, 8, v186
	v_bfe_i32 v181, v181, 8, 8
	s_delay_alu instid0(VALU_DEP_1) | instskip(SKIP_1) | instid1(VALU_DEP_1)
	v_mad_i32_i24 v216, v159, v181, v162
	v_bfe_i32 v162, v184, 0, 16
	v_mul_i32_i24_e32 v159, v162, v159
	s_delay_alu instid0(VALU_DEP_1)
	v_add3_u32 v217, v159, v161, v160
	ds_load_2addr_b32 v[159:160], v180 offset1:1
	ds_load_2addr_b32 v[161:162], v140 offset1:1
	s_wait_dscnt 0x1
	v_ashrrev_i32_e32 v159, s1, v159
	s_wait_dscnt 0x0
	v_ashrrev_i32_e32 v161, s21, v161
	s_delay_alu instid0(VALU_DEP_2) | instskip(NEXT) | instid1(VALU_DEP_2)
	v_lshlrev_b32_e32 v159, 2, v159
	v_and_b32_e32 v219, 0x3030303, v161
	s_delay_alu instid0(VALU_DEP_2) | instskip(NEXT) | instid1(VALU_DEP_2)
	v_and_b32_e32 v218, 0x4040404, v159
	v_lshrrev_b16 v159, 8, v219
	s_delay_alu instid0(VALU_DEP_2) | instskip(SKIP_1) | instid1(VALU_DEP_2)
	v_lshrrev_b16 v180, 8, v218
	v_sub_nc_u16 v201, v219, v218
	v_sub_nc_u16 v220, v159, v180
	v_add3_u32 v159, s24, v126, v113
	s_delay_alu instid0(VALU_DEP_3) | instskip(NEXT) | instid1(VALU_DEP_3)
	v_bfe_i32 v201, v201, 0, 8
	v_lshlrev_b16 v197, 8, v220
	ds_load_b32 v159, v159
	ds_load_2addr_b32 v[180:181], v182 offset1:1
	ds_load_2addr_b32 v[182:183], v183 offset1:1
	v_mul_i32_i24_e32 v201, v156, v201
	v_bfe_i32 v197, v197, 8, 8
	s_delay_alu instid0(VALU_DEP_1) | instskip(SKIP_4) | instid1(VALU_DEP_2)
	v_mad_i32_i24 v197, v153, v197, v201
	s_wait_dscnt 0x1
	v_ashrrev_i32_e32 v180, s1, v180
	s_wait_dscnt 0x0
	v_ashrrev_i32_e32 v182, s21, v182
	v_lshlrev_b32_e32 v180, 2, v180
	s_delay_alu instid0(VALU_DEP_2) | instskip(NEXT) | instid1(VALU_DEP_2)
	v_and_b32_e32 v221, 0x3030303, v182
	v_and_b32_e32 v180, 0x4040404, v180
	s_delay_alu instid0(VALU_DEP_2) | instskip(NEXT) | instid1(VALU_DEP_2)
	v_lshrrev_b16 v184, 8, v221
	v_lshrrev_b16 v185, 8, v180
	s_delay_alu instid0(VALU_DEP_1) | instskip(SKIP_4) | instid1(VALU_DEP_1)
	v_sub_nc_u16 v222, v184, v185
	v_add_nc_u32_e32 v184, 0x2100, v140
	ds_load_2addr_b32 v[184:185], v184 offset1:1
	ds_load_2addr_b32 v[186:187], v212 offset1:1
	v_lshlrev_b16 v201, 8, v222
	v_bfe_i32 v201, v201, 8, 8
	s_wait_dscnt 0x1
	v_ashrrev_i32_e32 v184, s21, v184
	s_wait_dscnt 0x0
	v_ashrrev_i32_e32 v186, s1, v186
	s_delay_alu instid0(VALU_DEP_2) | instskip(NEXT) | instid1(VALU_DEP_2)
	v_and_b32_e32 v223, 0x3030303, v184
	v_lshlrev_b32_e32 v186, 2, v186
	s_delay_alu instid0(VALU_DEP_2) | instskip(NEXT) | instid1(VALU_DEP_2)
	v_lshrrev_b16 v224, 8, v223
	v_and_b32_e32 v186, 0x4040404, v186
	s_delay_alu instid0(VALU_DEP_1) | instskip(SKIP_1) | instid1(VALU_DEP_2)
	v_lshrrev_b16 v225, 8, v186
	v_sub_nc_u16 v226, v223, v186
	v_sub_nc_u16 v224, v224, v225
	;; [unrolled: 1-line block ×3, first 2 shown]
	s_delay_alu instid0(VALU_DEP_3) | instskip(NEXT) | instid1(VALU_DEP_3)
	v_bfe_i32 v226, v226, 0, 8
	v_lshlrev_b16 v220, 8, v224
	s_delay_alu instid0(VALU_DEP_3) | instskip(NEXT) | instid1(VALU_DEP_2)
	v_bfe_i32 v225, v225, 0, 8
	v_bfe_i32 v220, v220, 8, 8
	s_delay_alu instid0(VALU_DEP_2) | instskip(SKIP_1) | instid1(VALU_DEP_2)
	v_mul_i32_i24_e32 v225, v156, v225
	v_mul_i32_i24_e32 v156, v156, v226
	v_mad_i32_i24 v201, v153, v201, v225
	s_delay_alu instid0(VALU_DEP_2) | instskip(SKIP_2) | instid1(VALU_DEP_1)
	v_mad_i32_i24 v156, v153, v220, v156
	v_mul_i32_i24_e32 v153, v198, v153
	v_bfe_i32 v198, v200, 0, 16
	v_mul_i32_i24_e32 v151, v198, v151
	s_delay_alu instid0(VALU_DEP_1) | instskip(SKIP_3) | instid1(VALU_DEP_2)
	v_add3_u32 v151, v153, v155, v151
	v_lshrrev_b32_e32 v153, 16, v194
	v_lshrrev_b32_e32 v155, 16, v192
	;; [unrolled: 1-line block ×3, first 2 shown]
	v_sub_nc_u16 v153, v153, v155
	v_lshrrev_b32_e32 v155, 16, v195
	s_delay_alu instid0(VALU_DEP_2) | instskip(NEXT) | instid1(VALU_DEP_2)
	v_bfe_i32 v153, v153, 0, 8
	v_sub_nc_u16 v155, v155, v194
	s_delay_alu instid0(VALU_DEP_2) | instskip(NEXT) | instid1(VALU_DEP_2)
	v_mul_i32_i24_e32 v153, v153, v157
	v_bfe_i32 v155, v155, 0, 8
	v_lshrrev_b32_e32 v157, 24, v192
	s_delay_alu instid0(VALU_DEP_2) | instskip(SKIP_1) | instid1(VALU_DEP_2)
	v_mul_i32_i24_e32 v155, v155, v158
	v_lshrrev_b32_e32 v158, 24, v193
	v_add3_u32 v153, v189, v153, v155
	v_bfe_u32 v155, v190, 24, 2
	s_delay_alu instid0(VALU_DEP_1) | instskip(SKIP_1) | instid1(VALU_DEP_2)
	v_sub_nc_u16 v155, v155, v157
	v_bfe_u32 v157, v191, 24, 2
	v_bfe_i32 v155, v155, 0, 16
	s_delay_alu instid0(VALU_DEP_2) | instskip(SKIP_1) | instid1(VALU_DEP_3)
	v_sub_nc_u16 v157, v157, v158
	v_lshrrev_b32_e32 v158, 24, v180
	v_mul_i32_i24_e32 v152, v155, v152
	s_delay_alu instid0(VALU_DEP_3) | instskip(SKIP_1) | instid1(VALU_DEP_2)
	v_bfe_i32 v155, v157, 0, 16
	v_lshrrev_b32_e32 v157, 16, v218
	v_mul_i32_i24_e32 v154, v155, v154
	v_lshrrev_b32_e32 v155, 24, v218
	s_delay_alu instid0(VALU_DEP_2) | instskip(SKIP_3) | instid1(VALU_DEP_3)
	v_add3_u32 v152, v188, v152, v154
	v_bfe_u32 v154, v161, 24, 2
	v_lshrrev_b32_e32 v161, 16, v180
	v_lshrrev_b32_e32 v180, 24, v186
	v_sub_nc_u16 v154, v154, v155
	v_lshrrev_b32_e32 v155, 16, v219
	s_delay_alu instid0(VALU_DEP_2) | instskip(NEXT) | instid1(VALU_DEP_2)
	v_lshlrev_b16 v154, 8, v154
	v_sub_nc_u16 v155, v155, v157
	v_bfe_u32 v157, v182, 24, 2
	v_lshrrev_b32_e32 v182, 16, v186
	s_delay_alu instid0(VALU_DEP_2) | instskip(SKIP_1) | instid1(VALU_DEP_2)
	v_sub_nc_u16 v157, v157, v158
	v_lshrrev_b32_e32 v158, 16, v221
	v_lshlrev_b16 v157, 8, v157
	s_delay_alu instid0(VALU_DEP_2) | instskip(SKIP_1) | instid1(VALU_DEP_1)
	v_sub_nc_u16 v158, v158, v161
	v_bfe_u32 v161, v184, 24, 2
	v_sub_nc_u16 v161, v161, v180
	v_lshrrev_b32_e32 v180, 16, v223
	s_delay_alu instid0(VALU_DEP_2) | instskip(NEXT) | instid1(VALU_DEP_2)
	v_lshlrev_b16 v161, 8, v161
	v_sub_nc_u16 v180, v180, v182
	v_and_b32_e32 v182, 0xff, v155
	s_delay_alu instid0(VALU_DEP_1) | instskip(SKIP_1) | instid1(VALU_DEP_2)
	v_or_b32_e32 v154, v182, v154
	v_and_b32_e32 v182, 0xff, v158
	v_perm_b32 v154, v154, v155, 0xc0c0500
	s_delay_alu instid0(VALU_DEP_2) | instskip(SKIP_1) | instid1(VALU_DEP_3)
	v_or_b32_e32 v157, v182, v157
	v_and_b32_e32 v182, 0xff, v180
	v_dot4_i32_iu8 v154, v149, v154, v197 neg_lo:[1,1,0]
	s_delay_alu instid0(VALU_DEP_3) | instskip(NEXT) | instid1(VALU_DEP_3)
	v_perm_b32 v155, v157, v158, 0xc0c0500
	v_or_b32_e32 v161, v182, v161
	v_lshrrev_b32_e32 v158, 16, v206
	s_delay_alu instid0(VALU_DEP_3) | instskip(NEXT) | instid1(VALU_DEP_3)
	v_dot4_i32_iu8 v155, v149, v155, v201 neg_lo:[1,1,0]
	v_perm_b32 v157, v161, v180, 0xc0c0500
	v_lshrrev_b32_e32 v161, 24, v176
	s_delay_alu instid0(VALU_DEP_2) | instskip(SKIP_2) | instid1(VALU_DEP_1)
	v_dot4_i32_iu8 v149, v149, v157, v156 neg_lo:[1,1,0]
	v_lshrrev_b32_e32 v156, 16, v207
	v_lshrrev_b32_e32 v157, 16, v205
	v_sub_nc_u16 v156, v156, v157
	v_lshrrev_b32_e32 v157, 16, v208
	s_delay_alu instid0(VALU_DEP_2) | instskip(NEXT) | instid1(VALU_DEP_2)
	v_bfe_i32 v156, v156, 0, 8
	v_sub_nc_u16 v157, v157, v158
	v_lshrrev_b32_e32 v158, 16, v172
	s_delay_alu instid0(VALU_DEP_3) | instskip(NEXT) | instid1(VALU_DEP_3)
	v_mul_i32_i24_e32 v148, v156, v148
	v_bfe_i32 v156, v157, 0, 8
	v_lshrrev_b32_e32 v157, 24, v206
	s_delay_alu instid0(VALU_DEP_2) | instskip(SKIP_1) | instid1(VALU_DEP_2)
	v_mul_i32_i24_e32 v150, v156, v150
	v_lshrrev_b32_e32 v156, 24, v205
	v_add3_u32 v148, v202, v148, v150
	v_bfe_u32 v150, v203, 24, 2
	s_delay_alu instid0(VALU_DEP_1) | instskip(SKIP_1) | instid1(VALU_DEP_2)
	v_sub_nc_u16 v150, v150, v156
	v_bfe_u32 v156, v204, 24, 2
	v_bfe_i32 v150, v150, 0, 16
	s_delay_alu instid0(VALU_DEP_2) | instskip(SKIP_1) | instid1(VALU_DEP_3)
	v_sub_nc_u16 v156, v156, v157
	v_lshrrev_b32_e32 v157, 24, v172
	v_mul_i32_i24_e32 v146, v150, v146
	s_delay_alu instid0(VALU_DEP_3) | instskip(SKIP_1) | instid1(VALU_DEP_2)
	v_bfe_i32 v150, v156, 0, 16
	v_lshrrev_b32_e32 v156, 16, v168
	v_mul_i32_i24_e32 v147, v150, v147
	v_lshrrev_b32_e32 v150, 24, v168
	v_lshrrev_b32_e32 v168, 16, v176
	s_delay_alu instid0(VALU_DEP_3) | instskip(SKIP_1) | instid1(VALU_DEP_1)
	v_add3_u32 v146, v199, v146, v147
	v_bfe_u32 v147, v170, 24, 2
	v_sub_nc_u16 v147, v147, v150
	v_lshrrev_b32_e32 v150, 16, v210
	s_delay_alu instid0(VALU_DEP_2) | instskip(NEXT) | instid1(VALU_DEP_2)
	v_lshlrev_b16 v147, 8, v147
	v_sub_nc_u16 v150, v150, v156
	v_bfe_u32 v156, v174, 24, 2
	s_delay_alu instid0(VALU_DEP_1) | instskip(SKIP_1) | instid1(VALU_DEP_2)
	v_sub_nc_u16 v156, v156, v157
	v_lshrrev_b32_e32 v157, 16, v211
	v_lshlrev_b16 v156, 8, v156
	s_delay_alu instid0(VALU_DEP_2) | instskip(SKIP_1) | instid1(VALU_DEP_1)
	v_sub_nc_u16 v157, v157, v158
	v_bfe_u32 v158, v178, 24, 2
	v_sub_nc_u16 v158, v158, v161
	v_lshrrev_b32_e32 v161, 16, v213
	s_delay_alu instid0(VALU_DEP_2) | instskip(NEXT) | instid1(VALU_DEP_2)
	v_lshlrev_b16 v158, 8, v158
	v_sub_nc_u16 v161, v161, v168
	v_and_b32_e32 v168, 0xff, v150
	s_delay_alu instid0(VALU_DEP_1) | instskip(SKIP_1) | instid1(VALU_DEP_2)
	v_or_b32_e32 v147, v168, v147
	v_and_b32_e32 v168, 0xff, v157
	v_perm_b32 v147, v147, v150, 0xc0c0500
	s_delay_alu instid0(VALU_DEP_2) | instskip(SKIP_1) | instid1(VALU_DEP_3)
	v_or_b32_e32 v156, v168, v156
	v_and_b32_e32 v168, 0xff, v161
	v_dot4_i32_iu8 v147, v145, v147, v214 neg_lo:[1,1,0]
	s_delay_alu instid0(VALU_DEP_3) | instskip(NEXT) | instid1(VALU_DEP_3)
	v_perm_b32 v150, v156, v157, 0xc0c0500
	v_or_b32_e32 v158, v168, v158
	v_lshrrev_b16 v157, 8, v193
	s_delay_alu instid0(VALU_DEP_3) | instskip(NEXT) | instid1(VALU_DEP_3)
	v_dot4_i32_iu8 v150, v145, v150, v215 neg_lo:[1,1,0]
	v_perm_b32 v156, v158, v161, 0xc0c0500
	v_ashrrev_i32_e32 v158, s1, v187
	v_ashrrev_i32_e32 v161, s21, v185
	s_delay_alu instid0(VALU_DEP_3) | instskip(SKIP_1) | instid1(VALU_DEP_4)
	v_dot4_i32_iu8 v145, v145, v156, v216 neg_lo:[1,1,0]
	v_lshrrev_b16 v156, 8, v195
	v_lshlrev_b32_e32 v158, 2, v158
	s_delay_alu instid0(VALU_DEP_2) | instskip(SKIP_1) | instid1(VALU_DEP_3)
	v_sub_nc_u16 v156, v156, v157
	v_ashrrev_i32_e32 v157, s1, v181
	v_and_b32_e32 v158, 0x4040404, v158
	s_delay_alu instid0(VALU_DEP_3) | instskip(NEXT) | instid1(VALU_DEP_3)
	v_bfe_i32 v156, v156, 0, 16
	v_lshlrev_b32_e32 v157, 2, v157
	s_delay_alu instid0(VALU_DEP_2) | instskip(SKIP_2) | instid1(VALU_DEP_4)
	v_mul_i32_i24_e32 v144, v156, v144
	v_ashrrev_i32_e32 v156, s1, v160
	v_ashrrev_i32_e32 v160, s21, v183
	v_and_b32_e32 v157, 0x4040404, v157
	s_delay_alu instid0(VALU_DEP_4) | instskip(SKIP_2) | instid1(VALU_DEP_3)
	v_add3_u32 v144, v217, v144, v152
	v_ashrrev_i32_e32 v152, s21, v162
	v_lshlrev_b32_e32 v156, 2, v156
	v_add3_u32 v144, v196, v153, v144
	s_delay_alu instid0(VALU_DEP_3) | instskip(NEXT) | instid1(VALU_DEP_3)
	v_and_b32_e32 v162, 0x3030303, v152
	v_and_b32_e32 v156, 0x4040404, v156
	s_delay_alu instid0(VALU_DEP_1) | instskip(SKIP_1) | instid1(VALU_DEP_2)
	v_sub_nc_u16 v168, v162, v156
	v_lshrrev_b32_e32 v153, 16, v156
	v_bfe_i32 v168, v168, 0, 8
	s_delay_alu instid0(VALU_DEP_1) | instskip(SKIP_1) | instid1(VALU_DEP_1)
	v_mad_i32_i24 v154, v143, v168, v154
	v_and_b32_e32 v168, 0x3030303, v160
	v_sub_nc_u16 v170, v168, v157
	s_delay_alu instid0(VALU_DEP_1) | instskip(NEXT) | instid1(VALU_DEP_1)
	v_bfe_i32 v170, v170, 0, 8
	v_mad_i32_i24 v155, v143, v170, v155
	v_and_b32_e32 v170, 0x3030303, v161
	v_bfe_u32 v161, v161, 24, 2
	s_delay_alu instid0(VALU_DEP_2) | instskip(NEXT) | instid1(VALU_DEP_1)
	v_sub_nc_u16 v172, v170, v158
	v_bfe_i32 v172, v172, 0, 8
	s_delay_alu instid0(VALU_DEP_1) | instskip(SKIP_2) | instid1(VALU_DEP_1)
	v_mad_i32_i24 v143, v143, v172, v149
	v_lshrrev_b16 v149, 8, v208
	v_lshrrev_b16 v172, 8, v206
	v_sub_nc_u16 v149, v149, v172
	v_ashrrev_i32_e32 v172, s21, v179
	s_delay_alu instid0(VALU_DEP_2) | instskip(NEXT) | instid1(VALU_DEP_1)
	v_bfe_i32 v149, v149, 0, 16
	v_mul_i32_i24_e32 v141, v149, v141
	v_ashrrev_i32_e32 v149, s1, v169
	v_ashrrev_i32_e32 v169, s1, v177
	s_delay_alu instid0(VALU_DEP_3) | instskip(SKIP_1) | instid1(VALU_DEP_4)
	v_add3_u32 v141, v151, v141, v146
	v_ashrrev_i32_e32 v146, s21, v171
	v_lshlrev_b32_e32 v149, 2, v149
	v_ashrrev_i32_e32 v151, s1, v173
	v_ashrrev_i32_e32 v171, s21, v175
	v_lshlrev_b32_e32 v169, 2, v169
	v_and_b32_e32 v173, 0x3030303, v146
	v_and_b32_e32 v149, 0x4040404, v149
	v_lshlrev_b32_e32 v151, 2, v151
	v_add3_u32 v148, v209, v148, v141
	v_and_b32_e32 v169, 0x4040404, v169
	s_delay_alu instid0(VALU_DEP_4) | instskip(NEXT) | instid1(VALU_DEP_4)
	v_sub_nc_u16 v174, v173, v149
	v_and_b32_e32 v151, 0x4040404, v151
	v_lshrrev_b32_e32 v141, 24, v149
	s_delay_alu instid0(VALU_DEP_3) | instskip(NEXT) | instid1(VALU_DEP_1)
	v_bfe_i32 v174, v174, 0, 8
	v_mad_i32_i24 v147, v142, v174, v147
	v_and_b32_e32 v174, 0x3030303, v171
	s_delay_alu instid0(VALU_DEP_1) | instskip(NEXT) | instid1(VALU_DEP_1)
	v_sub_nc_u16 v175, v174, v151
	v_bfe_i32 v175, v175, 0, 8
	s_delay_alu instid0(VALU_DEP_1) | instskip(SKIP_1) | instid1(VALU_DEP_1)
	v_mad_i32_i24 v150, v142, v175, v150
	v_and_b32_e32 v175, 0x3030303, v172
	v_sub_nc_u16 v176, v175, v169
	s_delay_alu instid0(VALU_DEP_1) | instskip(NEXT) | instid1(VALU_DEP_1)
	v_bfe_i32 v176, v176, 0, 8
	v_mad_i32_i24 v142, v142, v176, v145
	v_bfe_u32 v145, v152, 24, 2
	v_lshrrev_b32_e32 v152, 24, v156
	v_lshrrev_b16 v156, 8, v156
	s_delay_alu instid0(VALU_DEP_2) | instskip(SKIP_1) | instid1(VALU_DEP_2)
	v_sub_nc_u16 v145, v145, v152
	v_lshrrev_b32_e32 v152, 16, v162
	v_lshlrev_b16 v145, 8, v145
	s_delay_alu instid0(VALU_DEP_2) | instskip(SKIP_2) | instid1(VALU_DEP_2)
	v_sub_nc_u16 v152, v152, v153
	v_lshrrev_b16 v153, 8, v162
	v_lshrrev_b32_e32 v162, 16, v157
	v_sub_nc_u16 v153, v153, v156
	v_bfe_u32 v156, v160, 24, 2
	v_lshrrev_b32_e32 v160, 24, v157
	v_lshrrev_b16 v157, 8, v157
	s_delay_alu instid0(VALU_DEP_4) | instskip(NEXT) | instid1(VALU_DEP_3)
	v_lshlrev_b16 v153, 8, v153
	v_sub_nc_u16 v156, v156, v160
	v_lshrrev_b32_e32 v160, 16, v168
	s_delay_alu instid0(VALU_DEP_3) | instskip(NEXT) | instid1(VALU_DEP_3)
	v_perm_b32 v153, v153, v153, 0xc0c0c01
	v_lshlrev_b16 v156, 8, v156
	s_delay_alu instid0(VALU_DEP_3) | instskip(SKIP_2) | instid1(VALU_DEP_2)
	v_sub_nc_u16 v160, v160, v162
	v_lshrrev_b16 v162, 8, v168
	v_lshrrev_b32_e32 v168, 16, v158
	v_sub_nc_u16 v157, v162, v157
	v_lshrrev_b32_e32 v162, 24, v158
	v_lshrrev_b16 v158, 8, v158
	s_delay_alu instid0(VALU_DEP_2) | instskip(SKIP_1) | instid1(VALU_DEP_2)
	v_sub_nc_u16 v161, v161, v162
	v_lshrrev_b32_e32 v162, 16, v170
	v_lshlrev_b16 v161, 8, v161
	s_delay_alu instid0(VALU_DEP_2) | instskip(SKIP_1) | instid1(VALU_DEP_1)
	v_sub_nc_u16 v162, v162, v168
	v_lshrrev_b16 v168, 8, v170
	v_sub_nc_u16 v158, v168, v158
	v_and_b32_e32 v168, 0xff, v152
	s_delay_alu instid0(VALU_DEP_1) | instskip(SKIP_1) | instid1(VALU_DEP_2)
	v_or_b32_e32 v145, v168, v145
	v_and_b32_e32 v168, 0xff, v160
	v_perm_b32 v145, v145, v152, 0xc05000c
	s_delay_alu instid0(VALU_DEP_2) | instskip(SKIP_1) | instid1(VALU_DEP_3)
	v_or_b32_e32 v156, v168, v156
	v_and_b32_e32 v168, 0xff, v162
	v_or_b32_e32 v145, v145, v153
	v_lshlrev_b16 v153, 8, v157
	s_delay_alu instid0(VALU_DEP_4) | instskip(NEXT) | instid1(VALU_DEP_4)
	v_perm_b32 v152, v156, v160, 0xc05000c
	v_or_b32_e32 v161, v168, v161
	v_lshrrev_b16 v157, 8, v169
	v_dot4_i32_iu8 v145, v139, v145, v154 neg_lo:[1,1,0]
	v_perm_b32 v153, v153, v153, 0xc0c0c01
	v_lshrrev_b32_e32 v154, 16, v151
	v_perm_b32 v156, v161, v162, 0xc05000c
	s_delay_alu instid0(VALU_DEP_3) | instskip(SKIP_1) | instid1(VALU_DEP_2)
	v_or_b32_e32 v152, v152, v153
	v_lshlrev_b16 v153, 8, v158
	v_dot4_i32_iu8 v152, v139, v152, v155 neg_lo:[1,1,0]
	s_delay_alu instid0(VALU_DEP_2) | instskip(SKIP_1) | instid1(VALU_DEP_2)
	v_perm_b32 v153, v153, v153, 0xc0c0c01
	v_lshrrev_b32_e32 v155, 24, v169
	v_or_b32_e32 v153, v156, v153
	v_lshrrev_b32_e32 v156, 16, v169
	s_delay_alu instid0(VALU_DEP_2)
	v_dot4_i32_iu8 v143, v139, v153, v143 neg_lo:[1,1,0]
	v_bfe_u32 v139, v146, 24, 2
	v_lshrrev_b32_e32 v146, 16, v149
	v_lshrrev_b16 v149, 8, v149
	v_lshrrev_b32_e32 v153, 24, v151
	v_lshrrev_b16 v151, 8, v151
	v_sub_nc_u16 v139, v139, v141
	v_lshrrev_b32_e32 v141, 16, v173
	s_delay_alu instid0(VALU_DEP_2) | instskip(NEXT) | instid1(VALU_DEP_2)
	v_lshlrev_b16 v139, 8, v139
	v_sub_nc_u16 v141, v141, v146
	v_lshrrev_b16 v146, 8, v173
	s_delay_alu instid0(VALU_DEP_1) | instskip(SKIP_1) | instid1(VALU_DEP_2)
	v_sub_nc_u16 v146, v146, v149
	v_bfe_u32 v149, v171, 24, 2
	v_lshlrev_b16 v146, 8, v146
	s_delay_alu instid0(VALU_DEP_2) | instskip(SKIP_1) | instid1(VALU_DEP_3)
	v_sub_nc_u16 v149, v149, v153
	v_lshrrev_b32_e32 v153, 16, v174
	v_perm_b32 v146, v146, v146, 0xc0c0c01
	s_delay_alu instid0(VALU_DEP_3) | instskip(NEXT) | instid1(VALU_DEP_3)
	v_lshlrev_b16 v149, 8, v149
	v_sub_nc_u16 v153, v153, v154
	v_lshrrev_b16 v154, 8, v174
	s_delay_alu instid0(VALU_DEP_1) | instskip(SKIP_1) | instid1(VALU_DEP_1)
	v_sub_nc_u16 v151, v154, v151
	v_bfe_u32 v154, v172, 24, 2
	v_sub_nc_u16 v154, v154, v155
	v_lshrrev_b32_e32 v155, 16, v175
	s_delay_alu instid0(VALU_DEP_2) | instskip(NEXT) | instid1(VALU_DEP_2)
	v_lshlrev_b16 v154, 8, v154
	v_sub_nc_u16 v155, v155, v156
	v_lshrrev_b16 v156, 8, v175
	s_delay_alu instid0(VALU_DEP_1) | instskip(SKIP_1) | instid1(VALU_DEP_1)
	v_sub_nc_u16 v156, v156, v157
	v_and_b32_e32 v157, 0xff, v141
	v_or_b32_e32 v139, v157, v139
	v_and_b32_e32 v157, 0xff, v153
	s_delay_alu instid0(VALU_DEP_2) | instskip(NEXT) | instid1(VALU_DEP_2)
	v_perm_b32 v139, v139, v141, 0xc05000c
	v_or_b32_e32 v149, v157, v149
	v_and_b32_e32 v157, 0xff, v155
	s_delay_alu instid0(VALU_DEP_3) | instskip(SKIP_1) | instid1(VALU_DEP_4)
	v_or_b32_e32 v139, v139, v146
	v_lshlrev_b16 v146, 8, v151
	v_perm_b32 v141, v149, v153, 0xc05000c
	s_delay_alu instid0(VALU_DEP_4) | instskip(NEXT) | instid1(VALU_DEP_4)
	v_or_b32_e32 v154, v157, v154
	v_dot4_i32_iu8 v147, v138, v139, v147 neg_lo:[1,1,0]
	s_delay_alu instid0(VALU_DEP_4) | instskip(NEXT) | instid1(VALU_DEP_3)
	v_perm_b32 v146, v146, v146, 0xc0c0c01
	v_perm_b32 v149, v154, v155, 0xc05000c
	s_delay_alu instid0(VALU_DEP_2) | instskip(SKIP_1) | instid1(VALU_DEP_1)
	v_or_b32_e32 v141, v141, v146
	v_lshlrev_b16 v146, 8, v156
	v_perm_b32 v146, v146, v146, 0xc0c0c01
	s_delay_alu instid0(VALU_DEP_1) | instskip(NEXT) | instid1(VALU_DEP_4)
	v_or_b32_e32 v146, v149, v146
	v_dot4_i32_iu8 v149, v138, v141, v150 neg_lo:[1,1,0]
	s_delay_alu instid0(VALU_DEP_2) | instskip(SKIP_2) | instid1(VALU_DEP_2)
	v_dot4_i32_iu8 v142, v138, v146, v142 neg_lo:[1,1,0]
	v_and_b32_e32 v146, 0x3030303, v13
	v_bfe_u32 v13, v13, 24, 2
	v_sub_nc_u16 v138, v146, v11
	s_delay_alu instid0(VALU_DEP_1) | instskip(NEXT) | instid1(VALU_DEP_1)
	v_bfe_i32 v138, v138, 0, 8
	v_mad_i32_i24 v145, v137, v138, v145
	v_add_nc_u32_e32 v138, 0x1088, v140
	ds_load_2addr_b32 v[138:139], v138 offset1:1
	s_wait_dscnt 0x0
	v_ashrrev_i32_e32 v138, s21, v138
	s_delay_alu instid0(VALU_DEP_1) | instskip(SKIP_1) | instid1(VALU_DEP_2)
	v_and_b32_e32 v150, 0x3030303, v138
	v_bfe_u32 v138, v138, 24, 2
	v_sub_nc_u16 v140, v150, v15
	s_delay_alu instid0(VALU_DEP_1) | instskip(NEXT) | instid1(VALU_DEP_1)
	v_bfe_i32 v140, v140, 0, 8
	v_mad_i32_i24 v151, v137, v140, v152
	v_and_b32_e32 v152, 0x3030303, v21
	ds_load_2addr_b32 v[140:141], v212 offset0:6 offset1:7
	v_bfe_u32 v21, v21, 24, 2
	v_sub_nc_u16 v153, v152, v19
	s_delay_alu instid0(VALU_DEP_1) | instskip(NEXT) | instid1(VALU_DEP_1)
	v_bfe_i32 v153, v153, 0, 8
	v_mad_i32_i24 v137, v137, v153, v143
	v_and_b32_e32 v143, 0x3030303, v5
	v_bfe_u32 v5, v5, 24, 2
	s_delay_alu instid0(VALU_DEP_2) | instskip(SKIP_2) | instid1(VALU_DEP_2)
	v_sub_nc_u16 v153, v143, v0
	s_wait_dscnt 0x0
	v_ashrrev_i32_e32 v140, s1, v140
	v_bfe_i32 v153, v153, 0, 8
	s_delay_alu instid0(VALU_DEP_2) | instskip(NEXT) | instid1(VALU_DEP_2)
	v_lshlrev_b32_e32 v140, 2, v140
	v_mad_i32_i24 v147, v136, v153, v147
	v_and_b32_e32 v153, 0x3030303, v9
	s_delay_alu instid0(VALU_DEP_3) | instskip(SKIP_1) | instid1(VALU_DEP_3)
	v_and_b32_e32 v140, 0x4040404, v140
	v_bfe_u32 v9, v9, 24, 2
	v_sub_nc_u16 v154, v153, v7
	s_delay_alu instid0(VALU_DEP_1) | instskip(NEXT) | instid1(VALU_DEP_1)
	v_bfe_i32 v154, v154, 0, 8
	v_mad_i32_i24 v149, v136, v154, v149
	v_and_b32_e32 v154, 0x3030303, v17
	v_bfe_u32 v17, v17, 24, 2
	s_delay_alu instid0(VALU_DEP_2) | instskip(NEXT) | instid1(VALU_DEP_1)
	v_sub_nc_u16 v155, v154, v140
	v_bfe_i32 v155, v155, 0, 8
	s_delay_alu instid0(VALU_DEP_1) | instskip(SKIP_3) | instid1(VALU_DEP_3)
	v_mad_i32_i24 v136, v136, v155, v142
	v_lshrrev_b32_e32 v142, 24, v11
	v_lshrrev_b32_e32 v155, 16, v11
	v_lshrrev_b16 v11, 8, v11
	v_sub_nc_u16 v13, v13, v142
	v_lshrrev_b32_e32 v142, 16, v146
	v_lshrrev_b16 v146, 8, v146
	s_delay_alu instid0(VALU_DEP_3) | instskip(NEXT) | instid1(VALU_DEP_3)
	v_lshlrev_b16 v13, 8, v13
	v_sub_nc_u16 v142, v142, v155
	s_delay_alu instid0(VALU_DEP_3) | instskip(SKIP_3) | instid1(VALU_DEP_4)
	v_sub_nc_u16 v11, v146, v11
	v_lshrrev_b32_e32 v146, 24, v19
	v_lshrrev_b32_e32 v155, 16, v19
	v_lshrrev_b16 v19, 8, v19
	v_lshlrev_b16 v11, 8, v11
	s_delay_alu instid0(VALU_DEP_4) | instskip(SKIP_2) | instid1(VALU_DEP_4)
	v_sub_nc_u16 v21, v21, v146
	v_lshrrev_b32_e32 v146, 16, v152
	v_lshrrev_b16 v152, 8, v152
	v_perm_b32 v11, v11, v11, 0xc0c0c01
	s_delay_alu instid0(VALU_DEP_4) | instskip(NEXT) | instid1(VALU_DEP_4)
	v_lshlrev_b16 v21, 8, v21
	v_sub_nc_u16 v146, v146, v155
	s_delay_alu instid0(VALU_DEP_4) | instskip(SKIP_3) | instid1(VALU_DEP_3)
	v_sub_nc_u16 v19, v152, v19
	v_lshrrev_b32_e32 v152, 24, v15
	v_lshrrev_b32_e32 v155, 16, v15
	v_lshrrev_b16 v15, 8, v15
	v_sub_nc_u16 v138, v138, v152
	v_lshrrev_b32_e32 v152, 16, v150
	v_lshrrev_b16 v150, 8, v150
	s_delay_alu instid0(VALU_DEP_3) | instskip(NEXT) | instid1(VALU_DEP_3)
	v_lshlrev_b16 v138, 8, v138
	v_sub_nc_u16 v152, v152, v155
	s_delay_alu instid0(VALU_DEP_3) | instskip(SKIP_1) | instid1(VALU_DEP_2)
	v_sub_nc_u16 v15, v150, v15
	v_and_b32_e32 v150, 0xff, v142
	v_lshlrev_b16 v15, 8, v15
	s_delay_alu instid0(VALU_DEP_2) | instskip(SKIP_1) | instid1(VALU_DEP_3)
	v_or_b32_e32 v13, v150, v13
	v_and_b32_e32 v150, 0xff, v146
	v_perm_b32 v15, v15, v15, 0xc0c0c01
	s_delay_alu instid0(VALU_DEP_3) | instskip(NEXT) | instid1(VALU_DEP_3)
	v_perm_b32 v13, v13, v142, 0xc05000c
	v_or_b32_e32 v21, v150, v21
	v_and_b32_e32 v150, 0xff, v152
	s_delay_alu instid0(VALU_DEP_3) | instskip(SKIP_1) | instid1(VALU_DEP_4)
	v_or_b32_e32 v11, v13, v11
	v_lshlrev_b16 v13, 8, v19
	v_perm_b32 v21, v21, v146, 0xc05000c
	v_lshrrev_b32_e32 v19, 24, v0
	v_or_b32_e32 v138, v150, v138
	v_dot4_i32_iu8 v11, v135, v11, v145 neg_lo:[1,1,0]
	v_perm_b32 v13, v13, v13, 0xc0c0c01
	s_delay_alu instid0(VALU_DEP_4) | instskip(SKIP_2) | instid1(VALU_DEP_4)
	v_sub_nc_u16 v5, v5, v19
	v_lshrrev_b32_e32 v19, 16, v143
	v_perm_b32 v138, v138, v152, 0xc05000c
	v_or_b32_e32 v13, v21, v13
	v_lshrrev_b32_e32 v21, 16, v0
	v_lshrrev_b16 v0, 8, v0
	v_lshlrev_b16 v5, 8, v5
	v_or_b32_e32 v15, v138, v15
	v_dot4_i32_iu8 v13, v135, v13, v137 neg_lo:[1,1,0]
	v_sub_nc_u16 v19, v19, v21
	v_lshrrev_b16 v21, 8, v143
	v_lshrrev_b32_e32 v137, 16, v140
	v_dot4_i32_iu8 v15, v135, v15, v151 neg_lo:[1,1,0]
	v_lshrrev_b32_e32 v135, 16, v7
	v_lshrrev_b16 v138, 8, v140
	v_sub_nc_u16 v0, v21, v0
	v_lshrrev_b32_e32 v21, 24, v7
	v_lshrrev_b16 v7, 8, v7
	s_delay_alu instid0(VALU_DEP_3) | instskip(NEXT) | instid1(VALU_DEP_3)
	v_lshlrev_b16 v0, 8, v0
	v_sub_nc_u16 v9, v9, v21
	v_lshrrev_b32_e32 v21, 16, v153
	s_delay_alu instid0(VALU_DEP_3) | instskip(NEXT) | instid1(VALU_DEP_3)
	v_perm_b32 v0, v0, v0, 0xc0c0c01
	v_lshlrev_b16 v9, 8, v9
	s_delay_alu instid0(VALU_DEP_3) | instskip(SKIP_1) | instid1(VALU_DEP_1)
	v_sub_nc_u16 v21, v21, v135
	v_lshrrev_b16 v135, 8, v153
	v_sub_nc_u16 v7, v135, v7
	v_lshrrev_b32_e32 v135, 24, v140
	s_delay_alu instid0(VALU_DEP_1) | instskip(SKIP_1) | instid1(VALU_DEP_2)
	v_sub_nc_u16 v17, v17, v135
	v_lshrrev_b32_e32 v135, 16, v154
	v_lshlrev_b16 v17, 8, v17
	s_delay_alu instid0(VALU_DEP_2) | instskip(SKIP_1) | instid1(VALU_DEP_1)
	v_sub_nc_u16 v135, v135, v137
	v_lshrrev_b16 v137, 8, v154
	v_sub_nc_u16 v137, v137, v138
	v_and_b32_e32 v138, 0xff, v19
	s_delay_alu instid0(VALU_DEP_1) | instskip(SKIP_1) | instid1(VALU_DEP_2)
	v_or_b32_e32 v5, v138, v5
	v_and_b32_e32 v138, 0xff, v21
	v_perm_b32 v5, v5, v19, 0xc05000c
	s_delay_alu instid0(VALU_DEP_2) | instskip(SKIP_1) | instid1(VALU_DEP_3)
	v_or_b32_e32 v9, v138, v9
	v_and_b32_e32 v138, 0xff, v135
	v_or_b32_e32 v0, v5, v0
	v_lshlrev_b16 v5, 8, v7
	s_delay_alu instid0(VALU_DEP_3) | instskip(SKIP_2) | instid1(VALU_DEP_4)
	v_or_b32_e32 v17, v138, v17
	v_lshlrev_b16 v7, 8, v137
	v_perm_b32 v9, v9, v21, 0xc05000c
	v_perm_b32 v5, v5, v5, 0xc0c0c01
	s_delay_alu instid0(VALU_DEP_4) | instskip(NEXT) | instid1(VALU_DEP_4)
	v_perm_b32 v17, v17, v135, 0xc05000c
	v_perm_b32 v7, v7, v7, 0xc0c0c01
	s_delay_alu instid0(VALU_DEP_3) | instskip(SKIP_1) | instid1(VALU_DEP_3)
	v_or_b32_e32 v5, v9, v5
	v_dot4_i32_iu8 v9, v134, v0, v147 neg_lo:[1,1,0]
	v_or_b32_e32 v7, v17, v7
	v_lshrrev_b16 v0, 8, v167
	v_bfe_i32 v17, v167, 0, 8
	v_dot4_i32_iu8 v5, v134, v5, v149 neg_lo:[1,1,0]
	s_delay_alu instid0(VALU_DEP_4) | instskip(NEXT) | instid1(VALU_DEP_4)
	v_dot4_i32_iu8 v7, v134, v7, v136 neg_lo:[1,1,0]
	v_bfe_i32 v19, v0, 0, 8
	s_delay_alu instid0(VALU_DEP_4) | instskip(SKIP_1) | instid1(VALU_DEP_2)
	v_mul_lo_u32 v0, v148, v17
	v_ashrrev_i32_e32 v17, s21, v139
	v_mad_co_u64_u32 v[134:135], null, v144, v19, v[0:1]
	v_ashrrev_i32_e32 v0, s21, v14
	v_ashrrev_i32_e32 v14, s1, v20
	;; [unrolled: 1-line block ×4, first 2 shown]
	s_delay_alu instid0(VALU_DEP_4) | instskip(NEXT) | instid1(VALU_DEP_4)
	v_and_b32_e32 v20, 0x3030303, v0
	v_lshlrev_b32_e32 v14, 2, v14
	v_bfe_u32 v0, v0, 24, 2
	s_delay_alu instid0(VALU_DEP_4) | instskip(NEXT) | instid1(VALU_DEP_4)
	v_lshlrev_b32_e32 v1, 2, v1
	v_sub_nc_u16 v21, v20, v12
	s_delay_alu instid0(VALU_DEP_4) | instskip(NEXT) | instid1(VALU_DEP_3)
	v_and_b32_e32 v14, 0x4040404, v14
	v_and_b32_e32 v1, 0x4040404, v1
	s_delay_alu instid0(VALU_DEP_3) | instskip(NEXT) | instid1(VALU_DEP_1)
	v_bfe_i32 v21, v21, 0, 8
	v_mad_i32_i24 v11, v133, v21, v11
	v_and_b32_e32 v21, 0x3030303, v17
	v_bfe_u32 v17, v17, 24, 2
	s_delay_alu instid0(VALU_DEP_2) | instskip(NEXT) | instid1(VALU_DEP_1)
	v_sub_nc_u16 v22, v21, v16
	v_bfe_i32 v22, v22, 0, 8
	s_delay_alu instid0(VALU_DEP_1) | instskip(SKIP_2) | instid1(VALU_DEP_2)
	v_mad_i32_i24 v15, v133, v22, v15
	v_and_b32_e32 v22, 0x3030303, v19
	v_bfe_u32 v19, v19, 24, 2
	v_sub_nc_u16 v135, v22, v14
	s_delay_alu instid0(VALU_DEP_1) | instskip(NEXT) | instid1(VALU_DEP_1)
	v_bfe_i32 v135, v135, 0, 8
	v_mad_i32_i24 v13, v133, v135, v13
	v_and_b32_e32 v135, 0x3030303, v6
	v_ashrrev_i32_e32 v133, s1, v141
	v_bfe_u32 v6, v6, 24, 2
	s_add_co_i32 s1, s1, 1
	s_cmp_lt_u32 s21, 6
	v_sub_nc_u16 v136, v135, v1
	v_lshlrev_b32_e32 v133, 2, v133
	s_delay_alu instid0(VALU_DEP_2) | instskip(NEXT) | instid1(VALU_DEP_2)
	v_bfe_i32 v136, v136, 0, 8
	v_and_b32_e32 v133, 0x4040404, v133
	s_delay_alu instid0(VALU_DEP_2) | instskip(SKIP_2) | instid1(VALU_DEP_2)
	v_mad_i32_i24 v9, v132, v136, v9
	v_and_b32_e32 v136, 0x3030303, v10
	v_bfe_u32 v10, v10, 24, 2
	v_sub_nc_u16 v137, v136, v8
	s_delay_alu instid0(VALU_DEP_1) | instskip(NEXT) | instid1(VALU_DEP_1)
	v_bfe_i32 v137, v137, 0, 8
	v_mad_i32_i24 v5, v132, v137, v5
	v_and_b32_e32 v137, 0x3030303, v18
	s_delay_alu instid0(VALU_DEP_1) | instskip(NEXT) | instid1(VALU_DEP_1)
	v_sub_nc_u16 v138, v137, v133
	v_bfe_i32 v138, v138, 0, 8
	s_delay_alu instid0(VALU_DEP_1) | instskip(SKIP_3) | instid1(VALU_DEP_3)
	v_mad_i32_i24 v7, v132, v138, v7
	v_lshrrev_b32_e32 v132, 24, v12
	v_lshrrev_b32_e32 v138, 16, v12
	v_lshrrev_b16 v12, 8, v12
	v_sub_nc_u16 v0, v0, v132
	v_lshrrev_b32_e32 v132, 16, v20
	v_lshrrev_b16 v20, 8, v20
	s_delay_alu instid0(VALU_DEP_3) | instskip(NEXT) | instid1(VALU_DEP_3)
	v_lshlrev_b16 v0, 8, v0
	v_sub_nc_u16 v132, v132, v138
	s_delay_alu instid0(VALU_DEP_3) | instskip(SKIP_3) | instid1(VALU_DEP_4)
	v_sub_nc_u16 v12, v20, v12
	v_lshrrev_b32_e32 v20, 24, v14
	v_lshrrev_b32_e32 v138, 16, v14
	v_lshrrev_b16 v14, 8, v14
	v_lshlrev_b16 v12, 8, v12
	s_delay_alu instid0(VALU_DEP_4) | instskip(SKIP_2) | instid1(VALU_DEP_4)
	v_sub_nc_u16 v19, v19, v20
	v_lshrrev_b32_e32 v20, 16, v22
	v_lshrrev_b16 v22, 8, v22
	v_perm_b32 v12, v12, v12, 0xc0c0c01
	s_delay_alu instid0(VALU_DEP_4) | instskip(NEXT) | instid1(VALU_DEP_4)
	v_lshlrev_b16 v19, 8, v19
	v_sub_nc_u16 v20, v20, v138
	s_delay_alu instid0(VALU_DEP_4) | instskip(SKIP_3) | instid1(VALU_DEP_3)
	v_sub_nc_u16 v14, v22, v14
	v_lshrrev_b32_e32 v22, 24, v16
	v_lshrrev_b32_e32 v138, 16, v16
	v_lshrrev_b16 v16, 8, v16
	v_sub_nc_u16 v17, v17, v22
	v_lshrrev_b32_e32 v22, 16, v21
	v_lshrrev_b16 v21, 8, v21
	s_delay_alu instid0(VALU_DEP_3) | instskip(NEXT) | instid1(VALU_DEP_3)
	v_lshlrev_b16 v17, 8, v17
	v_sub_nc_u16 v22, v22, v138
	s_delay_alu instid0(VALU_DEP_3) | instskip(SKIP_1) | instid1(VALU_DEP_1)
	v_sub_nc_u16 v16, v21, v16
	v_and_b32_e32 v21, 0xff, v132
	v_or_b32_e32 v0, v21, v0
	v_and_b32_e32 v21, 0xff, v20
	s_delay_alu instid0(VALU_DEP_2) | instskip(NEXT) | instid1(VALU_DEP_2)
	v_perm_b32 v0, v0, v132, 0xc05000c
	v_or_b32_e32 v19, v21, v19
	v_and_b32_e32 v21, 0xff, v22
	s_delay_alu instid0(VALU_DEP_3) | instskip(SKIP_1) | instid1(VALU_DEP_3)
	v_or_b32_e32 v0, v0, v12
	v_lshlrev_b16 v12, 8, v14
	v_or_b32_e32 v17, v21, v17
	v_perm_b32 v19, v19, v20, 0xc05000c
	v_lshlrev_b16 v14, 8, v16
	v_dot4_i32_iu8 v0, v131, v0, v11 neg_lo:[1,1,0]
	v_perm_b32 v12, v12, v12, 0xc0c0c01
	v_perm_b32 v17, v17, v22, 0xc05000c
	v_lshrrev_b32_e32 v16, 24, v133
	v_perm_b32 v14, v14, v14, 0xc0c0c01
	s_delay_alu instid0(VALU_DEP_4) | instskip(NEXT) | instid1(VALU_DEP_2)
	v_or_b32_e32 v12, v19, v12
	v_or_b32_e32 v14, v17, v14
	v_lshrrev_b32_e32 v17, 16, v133
	s_delay_alu instid0(VALU_DEP_3) | instskip(SKIP_1) | instid1(VALU_DEP_4)
	v_dot4_i32_iu8 v12, v131, v12, v13 neg_lo:[1,1,0]
	v_lshrrev_b32_e32 v13, 24, v1
	v_dot4_i32_iu8 v11, v131, v14, v15 neg_lo:[1,1,0]
	v_lshrrev_b32_e32 v14, 16, v1
	v_lshrrev_b16 v1, 8, v1
	s_delay_alu instid0(VALU_DEP_4) | instskip(SKIP_2) | instid1(VALU_DEP_3)
	v_sub_nc_u16 v6, v6, v13
	v_lshrrev_b32_e32 v13, 16, v135
	v_lshrrev_b32_e32 v15, 16, v8
	v_lshlrev_b16 v6, 8, v6
	s_delay_alu instid0(VALU_DEP_3) | instskip(SKIP_1) | instid1(VALU_DEP_1)
	v_sub_nc_u16 v13, v13, v14
	v_lshrrev_b16 v14, 8, v135
	v_sub_nc_u16 v1, v14, v1
	v_lshrrev_b32_e32 v14, 24, v8
	v_lshrrev_b16 v8, 8, v8
	s_delay_alu instid0(VALU_DEP_3) | instskip(NEXT) | instid1(VALU_DEP_3)
	v_lshlrev_b16 v1, 8, v1
	v_sub_nc_u16 v10, v10, v14
	v_lshrrev_b32_e32 v14, 16, v136
	s_delay_alu instid0(VALU_DEP_3) | instskip(NEXT) | instid1(VALU_DEP_3)
	v_perm_b32 v1, v1, v1, 0xc0c0c01
	v_lshlrev_b16 v10, 8, v10
	s_delay_alu instid0(VALU_DEP_3) | instskip(SKIP_1) | instid1(VALU_DEP_1)
	v_sub_nc_u16 v14, v14, v15
	v_lshrrev_b16 v15, 8, v136
	v_sub_nc_u16 v8, v15, v8
	v_bfe_u32 v15, v18, 24, 2
	v_lshrrev_b16 v18, 8, v133
	s_delay_alu instid0(VALU_DEP_2) | instskip(SKIP_1) | instid1(VALU_DEP_2)
	v_sub_nc_u16 v15, v15, v16
	v_lshrrev_b32_e32 v16, 16, v137
	v_lshlrev_b16 v15, 8, v15
	s_delay_alu instid0(VALU_DEP_2) | instskip(SKIP_1) | instid1(VALU_DEP_1)
	v_sub_nc_u16 v16, v16, v17
	v_lshrrev_b16 v17, 8, v137
	v_sub_nc_u16 v17, v17, v18
	v_and_b32_e32 v18, 0xff, v13
	s_delay_alu instid0(VALU_DEP_1) | instskip(SKIP_1) | instid1(VALU_DEP_2)
	v_or_b32_e32 v6, v18, v6
	v_and_b32_e32 v18, 0xff, v14
	v_perm_b32 v6, v6, v13, 0xc05000c
	s_delay_alu instid0(VALU_DEP_2) | instskip(SKIP_1) | instid1(VALU_DEP_3)
	v_or_b32_e32 v10, v18, v10
	v_and_b32_e32 v18, 0xff, v16
	v_or_b32_e32 v1, v6, v1
	v_lshlrev_b16 v6, 8, v8
	s_delay_alu instid0(VALU_DEP_4) | instskip(NEXT) | instid1(VALU_DEP_4)
	v_perm_b32 v10, v10, v14, 0xc05000c
	v_or_b32_e32 v15, v18, v15
	v_lshlrev_b16 v8, 8, v17
	v_dot4_i32_iu8 v1, v130, v1, v9 neg_lo:[1,1,0]
	v_perm_b32 v6, v6, v6, 0xc0c0c01
	s_delay_alu instid0(VALU_DEP_4) | instskip(NEXT) | instid1(VALU_DEP_4)
	v_perm_b32 v13, v15, v16, 0xc05000c
	v_perm_b32 v8, v8, v8, 0xc0c0c01
	s_delay_alu instid0(VALU_DEP_3) | instskip(NEXT) | instid1(VALU_DEP_2)
	v_or_b32_e32 v6, v10, v6
	v_or_b32_e32 v8, v13, v8
	s_delay_alu instid0(VALU_DEP_2) | instskip(SKIP_1) | instid1(VALU_DEP_3)
	v_dot4_i32_iu8 v5, v130, v6, v5 neg_lo:[1,1,0]
	v_add_nc_u32_e32 v6, s22, v98
	v_dot4_i32_iu8 v7, v130, v8, v7 neg_lo:[1,1,0]
	v_add_nc_u32_e32 v8, s22, v96
	s_mov_b32 s22, s21
	ds_load_u16 v6, v6 offset:25346
	ds_load_u16 v8, v8 offset:27394
	s_wait_dscnt 0x1
	v_lshrrev_b16 v9, 8, v6
	v_bfe_i32 v6, v6, 0, 8
	s_delay_alu instid0(VALU_DEP_2) | instskip(NEXT) | instid1(VALU_DEP_2)
	v_bfe_i32 v9, v9, 0, 8
	v_mul_lo_u32 v0, v0, v6
	v_bfe_i32 v6, v166, 0, 8
	s_delay_alu instid0(VALU_DEP_2) | instskip(SKIP_3) | instid1(VALU_DEP_2)
	v_mad_co_u64_u32 v[0:1], null, v1, v9, v[0:1]
	v_lshrrev_b16 v1, 8, v166
	s_wait_dscnt 0x0
	v_bfe_i32 v9, v8, 0, 8
	v_bfe_i32 v10, v1, 0, 8
	v_mul_lo_u32 v1, v11, v6
	v_cvt_f32_i32_e32 v0, v0
	s_delay_alu instid0(VALU_DEP_2) | instskip(SKIP_4) | instid1(VALU_DEP_3)
	v_mad_co_u64_u32 v[5:6], null, v5, v10, v[1:2]
	ds_load_b32 v10, v128
	v_lshrrev_b16 v6, 8, v8
	v_mul_lo_u32 v1, v12, v9
	v_add_nc_u32_e32 v128, 4, v128
	v_bfe_i32 v6, v6, 0, 8
	v_cvt_f32_i32_e32 v5, v5
	s_delay_alu instid0(VALU_DEP_2) | instskip(NEXT) | instid1(VALU_DEP_1)
	v_mad_co_u64_u32 v[6:7], null, v7, v6, v[1:2]
	v_cvt_f32_i32_e32 v6, v6
	s_wait_dscnt 0x0
	v_mul_f32_e32 v1, v10, v159
	v_mul_f32_e32 v7, v10, v165
	;; [unrolled: 1-line block ×4, first 2 shown]
	v_cvt_f32_i32_e32 v10, v134
	v_fmac_f32_e32 v25, v1, v0
	s_delay_alu instid0(VALU_DEP_4) | instskip(NEXT) | instid1(VALU_DEP_3)
	v_dual_fmac_f32 v87, v7, v5 :: v_dual_fmac_f32 v86, v8, v6
	v_fmac_f32_e32 v2, v9, v10
	s_cbranch_scc1 .LBB209_11
; %bb.12:                               ;   in Loop: Header=BB209_5 Depth=1
	s_or_b32 s1, s16, 0x80
	s_wait_loadcnt 0x0
	s_wait_alu 0xfffe
	s_cmp_ge_i32 s1, s11
	s_barrier_signal -1
	s_barrier_wait -1
	global_inv scope:SCOPE_SE
	s_cbranch_scc1 .LBB209_4
; %bb.13:                               ;   in Loop: Header=BB209_5 Depth=1
	v_add_nc_u32_e32 v0, s17, v88
	s_delay_alu instid0(VALU_DEP_1)
	v_cmp_gt_i32_e64 s1, s5, v0
	s_and_b32 s20, s0, s1
	s_wait_alu 0xfffe
	s_and_saveexec_b32 s1, s20
	s_cbranch_execz .LBB209_15
; %bb.14:                               ;   in Loop: Header=BB209_5 Depth=1
	v_add_nc_u32_e32 v0, v91, v0
	s_delay_alu instid0(VALU_DEP_1)
	v_mad_co_i64_i32 v[0:1], null, v0, 36, v[3:4]
	global_load_b32 v0, v[0:1], off offset:4
	s_wait_loadcnt 0x0
	ds_store_b32 v84, v0
.LBB209_15:                             ;   in Loop: Header=BB209_5 Depth=1
	s_wait_alu 0xfffe
	s_or_b32 exec_lo, exec_lo, s1
	s_and_saveexec_b32 s20, vcc_lo
	s_cbranch_execz .LBB209_18
; %bb.16:                               ;   in Loop: Header=BB209_5 Depth=1
	v_or_b32_e32 v0, 4, v127
	s_delay_alu instid0(VALU_DEP_1)
	v_cmp_gt_i32_e64 s1, s5, v0
	s_and_b32 s1, s0, s1
	s_wait_alu 0xfffe
	s_and_b32 exec_lo, exec_lo, s1
	s_cbranch_execz .LBB209_18
; %bb.17:                               ;   in Loop: Header=BB209_5 Depth=1
	v_ashrrev_i32_e32 v0, 31, v127
	v_add_co_u32 v1, s1, v91, v127
	s_wait_alu 0xf1ff
	s_delay_alu instid0(VALU_DEP_2) | instskip(NEXT) | instid1(VALU_DEP_2)
	v_add_co_ci_u32_e64 v5, null, v94, v0, s1
	v_mad_co_u64_u32 v[0:1], null, v1, 36, s[2:3]
	s_delay_alu instid0(VALU_DEP_1)
	v_mad_i32_i24 v1, v5, 36, v1
	global_load_b32 v0, v[0:1], off offset:144
	s_wait_loadcnt 0x0
	v_cvt_f32_f16_e32 v0, v0
	ds_store_b32 v85, v0
.LBB209_18:                             ;   in Loop: Header=BB209_5 Depth=1
	s_wait_alu 0xfffe
	s_or_b32 exec_lo, exec_lo, s20
	v_dual_mov_b32 v128, v82 :: v_dual_mov_b32 v129, v83
	s_mov_b32 s1, 8
	s_mov_b32 s21, 6
	;; [unrolled: 1-line block ×3, first 2 shown]
	s_wait_loadcnt_dscnt 0x0
	s_barrier_signal -1
	s_barrier_wait -1
	global_inv scope:SCOPE_SE
.LBB209_19:                             ;   Parent Loop BB209_5 Depth=1
                                        ; =>  This Inner Loop Header: Depth=2
	ds_load_b128 v[5:8], v128
	ds_load_b128 v[16:19], v128 offset:16
	s_wait_alu 0xfffe
	s_add_co_i32 s22, s21, 2
	s_and_b32 s26, s1, -16
	s_wait_alu 0xfffe
	s_and_b32 s25, s22, 0x3ffffff8
	s_lshr_b32 s24, s22, 4
	s_wait_alu 0xfffe
	v_lshl_add_u32 v140, s25, 2, v92
	s_lshl_b32 s23, s24, 5
	s_add_co_i32 s25, s21, -6
	s_add_co_i32 s21, s21, s26
	s_wait_alu 0xfffe
	s_addk_co_i32 s23, 0x4200
	v_add_nc_u32_e32 v0, 0x3188, v140
	v_add_nc_u32_e32 v20, s21, v93
	s_lshl_b32 s24, s24, 2
	v_add_nc_u32_e32 v22, 0x3198, v140
	s_wait_alu 0xfffe
	s_addk_co_i32 s24, 0x7380
	v_add3_u32 v180, s23, v111, v112
	v_add3_u32 v182, s23, v114, v115
	;; [unrolled: 1-line block ×3, first 2 shown]
	v_add_nc_u32_e32 v128, 32, v128
	s_wait_dscnt 0x1
	v_lshrrev_b16 v155, 8, v5
	s_wait_dscnt 0x0
	v_lshrrev_b16 v161, 8, v16
	v_lshrrev_b16 v160, 8, v17
	v_ashrrev_i32_e32 v15, 24, v16
	v_bfe_i32 v13, v16, 16, 8
	v_bfe_i32 v162, v16, 0, 8
	v_perm_b32 v145, v16, v16, 0xc0c0302
	v_ashrrev_i32_e32 v16, 24, v17
	v_bfe_i32 v14, v17, 16, 8
	v_bfe_i32 v142, v17, 0, 8
	v_perm_b32 v138, v17, v17, 0xc030201
	v_add3_u32 v17, s23, v122, v123
	v_lshrrev_b16 v152, 8, v6
	v_lshrrev_b16 v151, 8, v7
	v_lshrrev_b16 v141, 8, v8
	v_ashrrev_i32_e32 v11, 24, v5
	v_bfe_i32 v9, v5, 16, 8
	v_bfe_i32 v156, v5, 0, 8
	v_perm_b32 v149, v5, v5, 0xc0c0302
	v_ashrrev_i32_e32 v12, 24, v6
	v_bfe_i32 v10, v6, 16, 8
	v_bfe_i32 v143, v6, 0, 8
	v_perm_b32 v139, v6, v6, 0xc030201
	;; [unrolled: 4-line block ×4, first 2 shown]
	v_lshrrev_b16 v159, 8, v18
	v_lshrrev_b16 v144, 8, v19
	v_ashrrev_i32_e32 v153, 24, v18
	v_bfe_i32 v157, v18, 16, 8
	v_bfe_i32 v136, v18, 0, 8
	v_perm_b32 v134, v18, v18, 0xc030201
	v_ashrrev_i32_e32 v154, 24, v19
	v_bfe_i32 v158, v19, 16, 8
	v_bfe_i32 v132, v19, 0, 8
	v_perm_b32 v130, v19, v19, 0xc030201
	ds_load_2addr_b32 v[0:1], v0 offset1:1
	ds_load_2addr_b32 v[18:19], v17 offset0:4 offset1:5
	ds_load_2addr_b32 v[7:8], v17 offset0:6 offset1:7
	;; [unrolled: 1-line block ×3, first 2 shown]
	ds_load_u16 v167, v20 offset:28418
	s_wait_alu 0xfffe
	v_add3_u32 v20, s24, v124, v125
	v_bfe_i32 v161, v161, 0, 8
	v_bfe_i32 v160, v160, 0, 8
	;; [unrolled: 1-line block ×4, first 2 shown]
	ds_load_b32 v163, v20
	v_add_nc_u32_e32 v20, 0x3190, v140
	ds_load_2addr_b32 v[20:21], v20 offset1:1
	ds_load_2addr_b32 v[164:165], v22 offset1:1
	v_bfe_i32 v152, v152, 0, 8
	v_bfe_i32 v151, v151, 0, 8
	;; [unrolled: 1-line block ×3, first 2 shown]
	s_wait_dscnt 0x7
	v_ashrrev_i32_e32 v203, s25, v0
	s_wait_dscnt 0x6
	v_ashrrev_i32_e32 v19, s20, v19
	v_ashrrev_i32_e32 v18, s20, v18
	s_wait_dscnt 0x5
	v_ashrrev_i32_e32 v7, s20, v7
	v_ashrrev_i32_e32 v8, s20, v8
	;; [unrolled: 1-line block ×3, first 2 shown]
	v_lshlrev_b32_e32 v19, 2, v19
	v_lshlrev_b32_e32 v18, 2, v18
	;; [unrolled: 1-line block ×4, first 2 shown]
	s_wait_dscnt 0x4
	v_ashrrev_i32_e32 v5, s20, v5
	v_and_b32_e32 v19, 0x4040404, v19
	v_and_b32_e32 v18, 0x4040404, v18
	v_and_b32_e32 v192, 0x4040404, v7
	v_and_b32_e32 v193, 0x4040404, v8
	s_wait_dscnt 0x1
	v_ashrrev_i32_e32 v21, s25, v21
	v_ashrrev_i32_e32 v20, s25, v20
	v_lshrrev_b32_e32 v166, 24, v19
	v_lshrrev_b32_e32 v168, 24, v18
	s_wait_dscnt 0x0
	v_ashrrev_i32_e32 v190, s25, v164
	v_bfe_u32 v22, v21, 24, 2
	v_and_b32_e32 v21, 0x3030303, v21
	v_ashrrev_i32_e32 v191, s25, v165
	v_ashrrev_i32_e32 v6, s20, v6
	v_and_b32_e32 v194, 0x3030303, v190
	v_sub_nc_u16 v22, v22, v166
	v_bfe_u32 v166, v20, 24, 2
	v_and_b32_e32 v20, 0x3030303, v20
	v_and_b32_e32 v195, 0x3030303, v191
	v_sub_nc_u16 v7, v194, v192
	v_bfe_i32 v22, v22, 0, 16
	v_sub_nc_u16 v166, v166, v168
	v_and_b32_e32 v207, 0x3030303, v203
	v_sub_nc_u16 v8, v195, v193
	v_bfe_i32 v7, v7, 0, 8
	v_mul_i32_i24_e32 v16, v22, v16
	v_bfe_i32 v22, v166, 0, 16
	v_and_b32_e32 v208, 0x3030303, v204
	v_bfe_i32 v8, v8, 0, 8
	v_mul_i32_i24_e32 v7, v7, v136
	v_lshrrev_b16 v214, 8, v192
	v_mad_i32_i24 v188, v22, v15, v16
	v_lshrrev_b32_e32 v15, 16, v21
	v_lshrrev_b32_e32 v16, 16, v19
	;; [unrolled: 1-line block ×3, first 2 shown]
	v_mul_i32_i24_e32 v8, v8, v132
	v_bfe_i32 v141, v141, 0, 8
	s_add_co_i32 s1, s1, 2
	v_sub_nc_u16 v15, v15, v16
	v_lshrrev_b32_e32 v16, 16, v20
	s_delay_alu instid0(VALU_DEP_2) | instskip(NEXT) | instid1(VALU_DEP_2)
	v_bfe_i32 v15, v15, 0, 8
	v_sub_nc_u16 v16, v16, v22
	s_delay_alu instid0(VALU_DEP_2) | instskip(NEXT) | instid1(VALU_DEP_2)
	v_mul_i32_i24_e32 v14, v15, v14
	v_bfe_i32 v15, v16, 0, 8
	s_delay_alu instid0(VALU_DEP_1) | instskip(SKIP_4) | instid1(VALU_DEP_4)
	v_mad_i32_i24 v189, v15, v13, v14
	v_sub_nc_u16 v13, v21, v19
	v_sub_nc_u16 v14, v20, v18
	v_add3_u32 v15, s24, v120, v121
	v_lshrrev_b16 v18, 8, v18
	v_bfe_i32 v13, v13, 0, 8
	s_delay_alu instid0(VALU_DEP_4) | instskip(NEXT) | instid1(VALU_DEP_2)
	v_bfe_i32 v14, v14, 0, 8
	v_mul_i32_i24_e32 v13, v13, v142
	s_delay_alu instid0(VALU_DEP_1) | instskip(NEXT) | instid1(VALU_DEP_1)
	v_mad_i32_i24 v13, v14, v162, v13
	v_add3_u32 v196, v13, v7, v8
	v_add_nc_u32_e32 v13, 0x3180, v140
	ds_load_2addr_b32 v[7:8], v17 offset1:1
	ds_load_2addr_b32 v[13:14], v13 offset1:1
	ds_load_b32 v164, v15
	s_wait_dscnt 0x2
	v_ashrrev_i32_e32 v8, s20, v8
	v_ashrrev_i32_e32 v7, s20, v7
	s_wait_dscnt 0x1
	v_ashrrev_i32_e32 v14, s25, v14
	v_ashrrev_i32_e32 v13, s25, v13
	v_lshlrev_b32_e32 v8, 2, v8
	v_lshlrev_b32_e32 v7, 2, v7
	s_delay_alu instid0(VALU_DEP_4) | instskip(NEXT) | instid1(VALU_DEP_4)
	v_and_b32_e32 v200, 0x3030303, v14
	v_and_b32_e32 v201, 0x3030303, v13
	s_delay_alu instid0(VALU_DEP_4) | instskip(NEXT) | instid1(VALU_DEP_4)
	v_and_b32_e32 v197, 0x4040404, v8
	v_and_b32_e32 v198, 0x4040404, v7
	v_bfe_u32 v8, v14, 24, 2
	v_bfe_u32 v7, v13, 24, 2
	s_delay_alu instid0(VALU_DEP_4) | instskip(NEXT) | instid1(VALU_DEP_4)
	v_sub_nc_u16 v0, v200, v197
	v_sub_nc_u16 v1, v201, v198
	v_lshrrev_b32_e32 v15, 24, v197
	s_delay_alu instid0(VALU_DEP_3) | instskip(NEXT) | instid1(VALU_DEP_3)
	v_bfe_i32 v0, v0, 0, 8
	v_bfe_i32 v1, v1, 0, 8
	s_delay_alu instid0(VALU_DEP_3) | instskip(SKIP_1) | instid1(VALU_DEP_4)
	v_sub_nc_u16 v8, v8, v15
	v_lshrrev_b32_e32 v15, 24, v198
	v_mul_i32_i24_e32 v0, v0, v143
	s_delay_alu instid0(VALU_DEP_3) | instskip(NEXT) | instid1(VALU_DEP_3)
	v_bfe_i32 v8, v8, 0, 16
	v_sub_nc_u16 v7, v7, v15
	s_delay_alu instid0(VALU_DEP_3) | instskip(SKIP_4) | instid1(VALU_DEP_4)
	v_mad_i32_i24 v0, v1, v156, v0
	v_lshlrev_b32_e32 v1, 2, v5
	v_lshlrev_b32_e32 v5, 2, v6
	v_mul_i32_i24_e32 v8, v8, v12
	v_bfe_i32 v7, v7, 0, 16
	v_and_b32_e32 v205, 0x4040404, v1
	s_delay_alu instid0(VALU_DEP_4) | instskip(NEXT) | instid1(VALU_DEP_3)
	v_and_b32_e32 v206, 0x4040404, v5
	v_mad_i32_i24 v199, v7, v11, v8
	v_lshrrev_b32_e32 v7, 16, v200
	s_delay_alu instid0(VALU_DEP_4) | instskip(NEXT) | instid1(VALU_DEP_4)
	v_sub_nc_u16 v1, v207, v205
	v_sub_nc_u16 v5, v208, v206
	v_lshrrev_b32_e32 v8, 16, v197
	v_lshrrev_b32_e32 v11, 16, v198
	v_lshrrev_b16 v198, 8, v198
	v_bfe_i32 v1, v1, 0, 8
	v_bfe_i32 v5, v5, 0, 8
	v_sub_nc_u16 v7, v7, v8
	v_lshrrev_b32_e32 v8, 16, v201
	v_lshrrev_b16 v201, 8, v201
	v_mul_i32_i24_e32 v1, v1, v137
	v_mul_i32_i24_e32 v5, v5, v133
	v_bfe_i32 v7, v7, 0, 8
	v_sub_nc_u16 v8, v8, v11
	v_lshrrev_b16 v200, 8, v200
	v_lshrrev_b16 v197, 8, v197
	v_add3_u32 v209, v0, v1, v5
	ds_load_2addr_b32 v[168:169], v180 offset0:4 offset1:5
	ds_load_2addr_b32 v[0:1], v180 offset0:6 offset1:7
	;; [unrolled: 1-line block ×3, first 2 shown]
	v_mul_i32_i24_e32 v7, v7, v10
	v_bfe_i32 v8, v8, 0, 8
	v_add_nc_u32_e32 v10, 0x1098, v140
	v_sub_nc_u16 v198, v201, v198
	v_sub_nc_u16 v197, v200, v197
	v_lshrrev_b16 v200, 8, v207
	v_mad_i32_i24 v202, v8, v9, v7
	v_lshrrev_b16 v201, 8, v205
	v_bfe_i32 v198, v198, 0, 16
	v_bfe_i32 v197, v197, 0, 16
	s_delay_alu instid0(VALU_DEP_3) | instskip(NEXT) | instid1(VALU_DEP_2)
	v_sub_nc_u16 v200, v200, v201
	v_mul_i32_i24_e32 v152, v197, v152
	s_wait_dscnt 0x2
	v_ashrrev_i32_e32 v5, s20, v168
	s_delay_alu instid0(VALU_DEP_3)
	v_bfe_i32 v197, v200, 0, 16
	s_wait_dscnt 0x0
	v_ashrrev_i32_e32 v11, s20, v11
	v_ashrrev_i32_e32 v0, s20, v0
	;; [unrolled: 1-line block ×3, first 2 shown]
	v_lshlrev_b32_e32 v5, 2, v5
	v_mul_i32_i24_e32 v151, v197, v151
	v_lshlrev_b32_e32 v11, 2, v11
	v_lshlrev_b32_e32 v0, 2, v0
	;; [unrolled: 1-line block ×3, first 2 shown]
	v_and_b32_e32 v168, 0x4040404, v5
	ds_load_2addr_b32 v[170:171], v140 offset0:4 offset1:5
	ds_load_2addr_b32 v[5:6], v140 offset0:6 offset1:7
	;; [unrolled: 1-line block ×3, first 2 shown]
	v_and_b32_e32 v11, 0x4040404, v11
	v_and_b32_e32 v0, 0x4040404, v0
	v_and_b32_e32 v12, 0x4040404, v12
	v_lshrrev_b16 v8, 8, v168
	s_wait_dscnt 0x2
	v_ashrrev_i32_e32 v170, s25, v170
	s_wait_dscnt 0x1
	v_ashrrev_i32_e32 v5, s25, v5
	s_wait_dscnt 0x0
	v_ashrrev_i32_e32 v13, s25, v13
	v_ashrrev_i32_e32 v6, s25, v6
	v_and_b32_e32 v210, 0x3030303, v170
	s_delay_alu instid0(VALU_DEP_1) | instskip(NEXT) | instid1(VALU_DEP_1)
	v_lshrrev_b16 v7, 8, v210
	v_sub_nc_u16 v181, v7, v8
	v_add_nc_u32_e32 v7, s21, v97
	s_delay_alu instid0(VALU_DEP_2)
	v_lshlrev_b16 v181, 8, v181
	ds_load_u16 v166, v7 offset:26370
	v_add3_u32 v7, s24, v116, v117
	v_bfe_i32 v181, v181, 8, 8
	ds_load_b32 v165, v7
	ds_load_2addr_b32 v[172:173], v182 offset0:4 offset1:5
	ds_load_2addr_b32 v[7:8], v182 offset0:6 offset1:7
	;; [unrolled: 1-line block ×3, first 2 shown]
	s_wait_dscnt 0x2
	v_ashrrev_i32_e32 v9, s20, v172
	s_wait_dscnt 0x1
	v_ashrrev_i32_e32 v7, s20, v7
	s_wait_dscnt 0x0
	v_ashrrev_i32_e32 v15, s20, v15
	v_ashrrev_i32_e32 v16, s20, v16
	v_ashrrev_i32_e32 v8, s20, v8
	v_lshlrev_b32_e32 v9, 2, v9
	v_lshlrev_b32_e32 v7, 2, v7
	;; [unrolled: 1-line block ×5, first 2 shown]
	v_and_b32_e32 v172, 0x4040404, v9
	v_add_nc_u32_e32 v9, 0x1090, v140
	ds_load_2addr_b32 v[174:175], v9 offset1:1
	ds_load_2addr_b32 v[9:10], v10 offset1:1
	v_lshrrev_b16 v22, 8, v172
	v_and_b32_e32 v15, 0x4040404, v15
	v_and_b32_e32 v7, 0x4040404, v7
	;; [unrolled: 1-line block ×4, first 2 shown]
	s_wait_dscnt 0x1
	v_ashrrev_i32_e32 v174, s25, v174
	s_wait_dscnt 0x0
	v_ashrrev_i32_e32 v9, s25, v9
	v_ashrrev_i32_e32 v10, s25, v10
	s_delay_alu instid0(VALU_DEP_3) | instskip(NEXT) | instid1(VALU_DEP_1)
	v_and_b32_e32 v211, 0x3030303, v174
	v_lshrrev_b16 v17, 8, v211
	v_sub_nc_u16 v215, v211, v172
	s_delay_alu instid0(VALU_DEP_2) | instskip(SKIP_1) | instid1(VALU_DEP_3)
	v_sub_nc_u16 v183, v17, v22
	v_lshrrev_b16 v17, 8, v20
	v_bfe_i32 v215, v215, 0, 8
	s_delay_alu instid0(VALU_DEP_2)
	v_sub_nc_u16 v184, v17, v18
	v_lshrrev_b16 v18, 8, v19
	ds_load_2addr_b32 v[176:177], v212 offset0:4 offset1:5
	ds_load_2addr_b32 v[19:20], v212 offset0:2 offset1:3
	v_lshrrev_b16 v17, 8, v21
	v_add_nc_u32_e32 v21, 0x2108, v140
	v_mul_i32_i24_e32 v215, v162, v215
	s_delay_alu instid0(VALU_DEP_3)
	v_sub_nc_u16 v185, v17, v18
	v_add_nc_u32_e32 v18, 0x2118, v140
	s_wait_dscnt 0x1
	v_ashrrev_i32_e32 v17, s20, v176
	s_wait_dscnt 0x0
	v_ashrrev_i32_e32 v19, s20, v19
	s_delay_alu instid0(VALU_DEP_2) | instskip(NEXT) | instid1(VALU_DEP_2)
	v_lshlrev_b32_e32 v17, 2, v17
	v_lshlrev_b32_e32 v19, 2, v19
	s_delay_alu instid0(VALU_DEP_2)
	v_and_b32_e32 v176, 0x4040404, v17
	v_add_nc_u32_e32 v17, 0x2110, v140
	ds_load_2addr_b32 v[178:179], v17 offset1:1
	ds_load_2addr_b32 v[17:18], v18 offset1:1
	;; [unrolled: 1-line block ×3, first 2 shown]
	v_lshrrev_b16 v187, 8, v176
	v_and_b32_e32 v19, 0x4040404, v19
	s_wait_dscnt 0x2
	v_ashrrev_i32_e32 v178, s25, v178
	s_wait_dscnt 0x1
	v_ashrrev_i32_e32 v17, s25, v17
	;; [unrolled: 2-line block ×3, first 2 shown]
	v_ashrrev_i32_e32 v18, s25, v18
	v_and_b32_e32 v213, 0x3030303, v178
	s_delay_alu instid0(VALU_DEP_1) | instskip(SKIP_1) | instid1(VALU_DEP_2)
	v_lshrrev_b16 v186, 8, v213
	v_sub_nc_u16 v216, v213, v176
	v_sub_nc_u16 v186, v186, v187
	v_lshrrev_b16 v187, 8, v194
	s_delay_alu instid0(VALU_DEP_3) | instskip(NEXT) | instid1(VALU_DEP_2)
	v_bfe_i32 v216, v216, 0, 8
	v_sub_nc_u16 v187, v187, v214
	v_sub_nc_u16 v214, v210, v168
	s_delay_alu instid0(VALU_DEP_1) | instskip(NEXT) | instid1(VALU_DEP_1)
	v_bfe_i32 v214, v214, 0, 8
	v_mul_i32_i24_e32 v214, v162, v214
	v_mul_i32_i24_e32 v162, v162, v216
	s_delay_alu instid0(VALU_DEP_2) | instskip(SKIP_2) | instid1(VALU_DEP_2)
	v_mad_i32_i24 v214, v161, v181, v214
	v_lshlrev_b16 v181, 8, v183
	v_add_nc_u32_e32 v183, 0x1080, v140
	v_bfe_i32 v181, v181, 8, 8
	s_delay_alu instid0(VALU_DEP_1) | instskip(SKIP_1) | instid1(VALU_DEP_1)
	v_mad_i32_i24 v215, v161, v181, v215
	v_lshlrev_b16 v181, 8, v186
	v_bfe_i32 v181, v181, 8, 8
	s_delay_alu instid0(VALU_DEP_1) | instskip(SKIP_1) | instid1(VALU_DEP_1)
	v_mad_i32_i24 v216, v161, v181, v162
	v_bfe_i32 v162, v184, 0, 16
	v_mul_i32_i24_e32 v161, v162, v161
	v_bfe_i32 v162, v185, 0, 16
	s_delay_alu instid0(VALU_DEP_1) | instskip(SKIP_1) | instid1(VALU_DEP_1)
	v_mul_i32_i24_e32 v160, v162, v160
	v_bfe_i32 v162, v187, 0, 16
	v_mul_i32_i24_e32 v159, v162, v159
	s_delay_alu instid0(VALU_DEP_1)
	v_add3_u32 v217, v161, v160, v159
	ds_load_2addr_b32 v[159:160], v180 offset1:1
	ds_load_2addr_b32 v[161:162], v140 offset1:1
	s_wait_dscnt 0x1
	v_ashrrev_i32_e32 v159, s20, v159
	s_wait_dscnt 0x0
	v_ashrrev_i32_e32 v161, s25, v161
	s_delay_alu instid0(VALU_DEP_2) | instskip(NEXT) | instid1(VALU_DEP_2)
	v_lshlrev_b32_e32 v159, 2, v159
	v_and_b32_e32 v219, 0x3030303, v161
	s_delay_alu instid0(VALU_DEP_2) | instskip(NEXT) | instid1(VALU_DEP_2)
	v_and_b32_e32 v218, 0x4040404, v159
	v_lshrrev_b16 v159, 8, v219
	s_delay_alu instid0(VALU_DEP_2) | instskip(SKIP_1) | instid1(VALU_DEP_2)
	v_lshrrev_b16 v180, 8, v218
	v_sub_nc_u16 v201, v219, v218
	v_sub_nc_u16 v220, v159, v180
	v_add3_u32 v159, s24, v126, v113
	s_delay_alu instid0(VALU_DEP_3) | instskip(NEXT) | instid1(VALU_DEP_3)
	v_bfe_i32 v201, v201, 0, 8
	v_lshlrev_b16 v220, 8, v220
	ds_load_b32 v159, v159
	ds_load_2addr_b32 v[180:181], v182 offset1:1
	ds_load_2addr_b32 v[182:183], v183 offset1:1
	v_mul_i32_i24_e32 v201, v156, v201
	v_bfe_i32 v220, v220, 8, 8
	s_delay_alu instid0(VALU_DEP_1) | instskip(SKIP_4) | instid1(VALU_DEP_2)
	v_mad_i32_i24 v201, v155, v220, v201
	s_wait_dscnt 0x1
	v_ashrrev_i32_e32 v180, s20, v180
	s_wait_dscnt 0x0
	v_ashrrev_i32_e32 v182, s25, v182
	v_lshlrev_b32_e32 v180, 2, v180
	s_delay_alu instid0(VALU_DEP_2) | instskip(NEXT) | instid1(VALU_DEP_2)
	v_and_b32_e32 v221, 0x3030303, v182
	v_and_b32_e32 v180, 0x4040404, v180
	s_delay_alu instid0(VALU_DEP_2) | instskip(NEXT) | instid1(VALU_DEP_2)
	v_lshrrev_b16 v184, 8, v221
	v_lshrrev_b16 v185, 8, v180
	s_delay_alu instid0(VALU_DEP_1) | instskip(SKIP_4) | instid1(VALU_DEP_1)
	v_sub_nc_u16 v222, v184, v185
	v_add_nc_u32_e32 v184, 0x2100, v140
	ds_load_2addr_b32 v[184:185], v184 offset1:1
	ds_load_2addr_b32 v[186:187], v212 offset1:1
	v_lshlrev_b16 v220, 8, v222
	v_bfe_i32 v220, v220, 8, 8
	s_wait_dscnt 0x1
	v_ashrrev_i32_e32 v184, s25, v184
	s_wait_dscnt 0x0
	v_ashrrev_i32_e32 v186, s20, v186
	s_delay_alu instid0(VALU_DEP_2) | instskip(NEXT) | instid1(VALU_DEP_2)
	v_and_b32_e32 v223, 0x3030303, v184
	v_lshlrev_b32_e32 v186, 2, v186
	s_delay_alu instid0(VALU_DEP_2) | instskip(NEXT) | instid1(VALU_DEP_2)
	v_lshrrev_b16 v224, 8, v223
	v_and_b32_e32 v186, 0x4040404, v186
	s_delay_alu instid0(VALU_DEP_1) | instskip(SKIP_1) | instid1(VALU_DEP_2)
	v_lshrrev_b16 v225, 8, v186
	v_sub_nc_u16 v226, v223, v186
	v_sub_nc_u16 v224, v224, v225
	;; [unrolled: 1-line block ×3, first 2 shown]
	s_delay_alu instid0(VALU_DEP_3) | instskip(NEXT) | instid1(VALU_DEP_3)
	v_bfe_i32 v226, v226, 0, 8
	v_lshlrev_b16 v222, 8, v224
	s_delay_alu instid0(VALU_DEP_3) | instskip(NEXT) | instid1(VALU_DEP_2)
	v_bfe_i32 v225, v225, 0, 8
	v_bfe_i32 v222, v222, 8, 8
	s_delay_alu instid0(VALU_DEP_2) | instskip(SKIP_1) | instid1(VALU_DEP_2)
	v_mul_i32_i24_e32 v225, v156, v225
	v_mul_i32_i24_e32 v156, v156, v226
	v_mad_i32_i24 v220, v155, v220, v225
	s_delay_alu instid0(VALU_DEP_2) | instskip(SKIP_1) | instid1(VALU_DEP_1)
	v_mad_i32_i24 v156, v155, v222, v156
	v_mul_i32_i24_e32 v155, v198, v155
	v_add3_u32 v151, v155, v152, v151
	v_lshrrev_b32_e32 v152, 16, v194
	v_lshrrev_b32_e32 v155, 16, v192
	;; [unrolled: 1-line block ×3, first 2 shown]
	s_delay_alu instid0(VALU_DEP_2) | instskip(SKIP_1) | instid1(VALU_DEP_2)
	v_sub_nc_u16 v152, v152, v155
	v_lshrrev_b32_e32 v155, 16, v195
	v_bfe_i32 v152, v152, 0, 8
	s_delay_alu instid0(VALU_DEP_2) | instskip(NEXT) | instid1(VALU_DEP_2)
	v_sub_nc_u16 v155, v155, v194
	v_mul_i32_i24_e32 v152, v152, v157
	s_delay_alu instid0(VALU_DEP_2) | instskip(SKIP_1) | instid1(VALU_DEP_2)
	v_bfe_i32 v155, v155, 0, 8
	v_lshrrev_b32_e32 v157, 24, v192
	v_mul_i32_i24_e32 v155, v155, v158
	v_lshrrev_b32_e32 v158, 24, v193
	s_delay_alu instid0(VALU_DEP_2) | instskip(SKIP_1) | instid1(VALU_DEP_1)
	v_add3_u32 v152, v189, v152, v155
	v_bfe_u32 v155, v190, 24, 2
	v_sub_nc_u16 v155, v155, v157
	v_bfe_u32 v157, v191, 24, 2
	s_delay_alu instid0(VALU_DEP_2) | instskip(NEXT) | instid1(VALU_DEP_2)
	v_bfe_i32 v155, v155, 0, 16
	v_sub_nc_u16 v157, v157, v158
	v_lshrrev_b32_e32 v158, 24, v180
	s_delay_alu instid0(VALU_DEP_3) | instskip(NEXT) | instid1(VALU_DEP_3)
	v_mul_i32_i24_e32 v153, v155, v153
	v_bfe_i32 v155, v157, 0, 16
	v_lshrrev_b32_e32 v157, 16, v218
	s_delay_alu instid0(VALU_DEP_2) | instskip(SKIP_1) | instid1(VALU_DEP_2)
	v_mul_i32_i24_e32 v154, v155, v154
	v_lshrrev_b32_e32 v155, 24, v218
	v_add3_u32 v153, v188, v153, v154
	v_bfe_u32 v154, v161, 24, 2
	v_lshrrev_b32_e32 v161, 16, v180
	v_lshrrev_b32_e32 v180, 24, v186
	s_delay_alu instid0(VALU_DEP_3) | instskip(SKIP_1) | instid1(VALU_DEP_2)
	v_sub_nc_u16 v154, v154, v155
	v_lshrrev_b32_e32 v155, 16, v219
	v_lshlrev_b16 v154, 8, v154
	s_delay_alu instid0(VALU_DEP_2) | instskip(SKIP_2) | instid1(VALU_DEP_2)
	v_sub_nc_u16 v155, v155, v157
	v_bfe_u32 v157, v182, 24, 2
	v_lshrrev_b32_e32 v182, 16, v186
	v_sub_nc_u16 v157, v157, v158
	v_lshrrev_b32_e32 v158, 16, v221
	s_delay_alu instid0(VALU_DEP_2) | instskip(NEXT) | instid1(VALU_DEP_2)
	v_lshlrev_b16 v157, 8, v157
	v_sub_nc_u16 v158, v158, v161
	v_bfe_u32 v161, v184, 24, 2
	s_delay_alu instid0(VALU_DEP_1) | instskip(SKIP_1) | instid1(VALU_DEP_2)
	v_sub_nc_u16 v161, v161, v180
	v_lshrrev_b32_e32 v180, 16, v223
	v_lshlrev_b16 v161, 8, v161
	s_delay_alu instid0(VALU_DEP_2) | instskip(SKIP_1) | instid1(VALU_DEP_1)
	v_sub_nc_u16 v180, v180, v182
	v_and_b32_e32 v182, 0xff, v155
	v_or_b32_e32 v154, v182, v154
	v_and_b32_e32 v182, 0xff, v158
	s_delay_alu instid0(VALU_DEP_2) | instskip(NEXT) | instid1(VALU_DEP_2)
	v_perm_b32 v154, v154, v155, 0xc0c0500
	v_or_b32_e32 v157, v182, v157
	v_and_b32_e32 v182, 0xff, v180
	s_delay_alu instid0(VALU_DEP_3) | instskip(NEXT) | instid1(VALU_DEP_3)
	v_dot4_i32_iu8 v154, v149, v154, v201 neg_lo:[1,1,0]
	v_perm_b32 v155, v157, v158, 0xc0c0500
	s_delay_alu instid0(VALU_DEP_3) | instskip(SKIP_1) | instid1(VALU_DEP_3)
	v_or_b32_e32 v161, v182, v161
	v_lshrrev_b32_e32 v158, 16, v206
	v_dot4_i32_iu8 v155, v149, v155, v220 neg_lo:[1,1,0]
	s_delay_alu instid0(VALU_DEP_3) | instskip(SKIP_1) | instid1(VALU_DEP_2)
	v_perm_b32 v157, v161, v180, 0xc0c0500
	v_lshrrev_b32_e32 v161, 24, v176
	v_dot4_i32_iu8 v149, v149, v157, v156 neg_lo:[1,1,0]
	v_lshrrev_b32_e32 v156, 16, v207
	v_lshrrev_b32_e32 v157, 16, v205
	s_delay_alu instid0(VALU_DEP_1) | instskip(SKIP_1) | instid1(VALU_DEP_2)
	v_sub_nc_u16 v156, v156, v157
	v_lshrrev_b32_e32 v157, 16, v208
	v_bfe_i32 v156, v156, 0, 8
	s_delay_alu instid0(VALU_DEP_2) | instskip(SKIP_1) | instid1(VALU_DEP_3)
	v_sub_nc_u16 v157, v157, v158
	v_lshrrev_b32_e32 v158, 16, v172
	v_mul_i32_i24_e32 v148, v156, v148
	s_delay_alu instid0(VALU_DEP_3) | instskip(SKIP_1) | instid1(VALU_DEP_2)
	v_bfe_i32 v156, v157, 0, 8
	v_lshrrev_b32_e32 v157, 24, v206
	v_mul_i32_i24_e32 v150, v156, v150
	v_lshrrev_b32_e32 v156, 24, v205
	s_delay_alu instid0(VALU_DEP_2) | instskip(SKIP_1) | instid1(VALU_DEP_1)
	v_add3_u32 v148, v202, v148, v150
	v_bfe_u32 v150, v203, 24, 2
	v_sub_nc_u16 v150, v150, v156
	v_bfe_u32 v156, v204, 24, 2
	s_delay_alu instid0(VALU_DEP_2) | instskip(NEXT) | instid1(VALU_DEP_2)
	v_bfe_i32 v150, v150, 0, 16
	v_sub_nc_u16 v156, v156, v157
	v_lshrrev_b32_e32 v157, 24, v172
	s_delay_alu instid0(VALU_DEP_3) | instskip(NEXT) | instid1(VALU_DEP_3)
	v_mul_i32_i24_e32 v146, v150, v146
	v_bfe_i32 v150, v156, 0, 16
	v_lshrrev_b32_e32 v156, 16, v168
	s_delay_alu instid0(VALU_DEP_2) | instskip(SKIP_2) | instid1(VALU_DEP_3)
	v_mul_i32_i24_e32 v147, v150, v147
	v_lshrrev_b32_e32 v150, 24, v168
	v_lshrrev_b32_e32 v168, 16, v176
	v_add3_u32 v146, v199, v146, v147
	v_bfe_u32 v147, v170, 24, 2
	s_delay_alu instid0(VALU_DEP_1) | instskip(SKIP_1) | instid1(VALU_DEP_2)
	v_sub_nc_u16 v147, v147, v150
	v_lshrrev_b32_e32 v150, 16, v210
	v_lshlrev_b16 v147, 8, v147
	s_delay_alu instid0(VALU_DEP_2) | instskip(SKIP_1) | instid1(VALU_DEP_1)
	v_sub_nc_u16 v150, v150, v156
	v_bfe_u32 v156, v174, 24, 2
	v_sub_nc_u16 v156, v156, v157
	v_lshrrev_b32_e32 v157, 16, v211
	s_delay_alu instid0(VALU_DEP_2) | instskip(NEXT) | instid1(VALU_DEP_2)
	v_lshlrev_b16 v156, 8, v156
	v_sub_nc_u16 v157, v157, v158
	v_bfe_u32 v158, v178, 24, 2
	s_delay_alu instid0(VALU_DEP_1) | instskip(SKIP_1) | instid1(VALU_DEP_2)
	v_sub_nc_u16 v158, v158, v161
	v_lshrrev_b32_e32 v161, 16, v213
	v_lshlrev_b16 v158, 8, v158
	s_delay_alu instid0(VALU_DEP_2) | instskip(SKIP_1) | instid1(VALU_DEP_1)
	v_sub_nc_u16 v161, v161, v168
	v_and_b32_e32 v168, 0xff, v150
	v_or_b32_e32 v147, v168, v147
	v_and_b32_e32 v168, 0xff, v157
	s_delay_alu instid0(VALU_DEP_2) | instskip(NEXT) | instid1(VALU_DEP_2)
	v_perm_b32 v147, v147, v150, 0xc0c0500
	v_or_b32_e32 v156, v168, v156
	v_and_b32_e32 v168, 0xff, v161
	s_delay_alu instid0(VALU_DEP_3) | instskip(NEXT) | instid1(VALU_DEP_3)
	v_dot4_i32_iu8 v147, v145, v147, v214 neg_lo:[1,1,0]
	v_perm_b32 v150, v156, v157, 0xc0c0500
	s_delay_alu instid0(VALU_DEP_3) | instskip(SKIP_1) | instid1(VALU_DEP_3)
	v_or_b32_e32 v158, v168, v158
	v_lshrrev_b16 v157, 8, v193
	v_dot4_i32_iu8 v150, v145, v150, v215 neg_lo:[1,1,0]
	s_delay_alu instid0(VALU_DEP_3) | instskip(SKIP_2) | instid1(VALU_DEP_3)
	v_perm_b32 v156, v158, v161, 0xc0c0500
	v_ashrrev_i32_e32 v158, s20, v187
	v_ashrrev_i32_e32 v161, s25, v185
	v_dot4_i32_iu8 v145, v145, v156, v216 neg_lo:[1,1,0]
	v_lshrrev_b16 v156, 8, v195
	s_delay_alu instid0(VALU_DEP_4) | instskip(NEXT) | instid1(VALU_DEP_2)
	v_lshlrev_b32_e32 v158, 2, v158
	v_sub_nc_u16 v156, v156, v157
	v_ashrrev_i32_e32 v157, s20, v181
	s_delay_alu instid0(VALU_DEP_3) | instskip(NEXT) | instid1(VALU_DEP_3)
	v_and_b32_e32 v158, 0x4040404, v158
	v_bfe_i32 v156, v156, 0, 16
	s_delay_alu instid0(VALU_DEP_3) | instskip(NEXT) | instid1(VALU_DEP_2)
	v_lshlrev_b32_e32 v157, 2, v157
	v_mul_i32_i24_e32 v144, v156, v144
	v_ashrrev_i32_e32 v156, s20, v160
	v_ashrrev_i32_e32 v160, s25, v183
	s_delay_alu instid0(VALU_DEP_4) | instskip(NEXT) | instid1(VALU_DEP_4)
	v_and_b32_e32 v157, 0x4040404, v157
	v_add3_u32 v144, v217, v144, v153
	v_ashrrev_i32_e32 v153, s25, v162
	v_lshlrev_b32_e32 v156, 2, v156
	s_delay_alu instid0(VALU_DEP_3) | instskip(NEXT) | instid1(VALU_DEP_3)
	v_add3_u32 v144, v196, v152, v144
	v_and_b32_e32 v162, 0x3030303, v153
	s_delay_alu instid0(VALU_DEP_3) | instskip(NEXT) | instid1(VALU_DEP_1)
	v_and_b32_e32 v156, 0x4040404, v156
	v_sub_nc_u16 v168, v162, v156
	v_lshrrev_b32_e32 v152, 24, v156
	s_delay_alu instid0(VALU_DEP_2) | instskip(NEXT) | instid1(VALU_DEP_1)
	v_bfe_i32 v168, v168, 0, 8
	v_mad_i32_i24 v154, v143, v168, v154
	v_and_b32_e32 v168, 0x3030303, v160
	s_delay_alu instid0(VALU_DEP_1) | instskip(NEXT) | instid1(VALU_DEP_1)
	v_sub_nc_u16 v170, v168, v157
	v_bfe_i32 v170, v170, 0, 8
	s_delay_alu instid0(VALU_DEP_1) | instskip(SKIP_2) | instid1(VALU_DEP_2)
	v_mad_i32_i24 v155, v143, v170, v155
	v_and_b32_e32 v170, 0x3030303, v161
	v_bfe_u32 v161, v161, 24, 2
	v_sub_nc_u16 v172, v170, v158
	s_delay_alu instid0(VALU_DEP_1) | instskip(NEXT) | instid1(VALU_DEP_1)
	v_bfe_i32 v172, v172, 0, 8
	v_mad_i32_i24 v143, v143, v172, v149
	v_lshrrev_b16 v149, 8, v208
	v_lshrrev_b16 v172, 8, v206
	s_delay_alu instid0(VALU_DEP_1) | instskip(SKIP_1) | instid1(VALU_DEP_2)
	v_sub_nc_u16 v149, v149, v172
	v_ashrrev_i32_e32 v172, s25, v179
	v_bfe_i32 v149, v149, 0, 16
	s_delay_alu instid0(VALU_DEP_1) | instskip(SKIP_2) | instid1(VALU_DEP_3)
	v_mul_i32_i24_e32 v141, v149, v141
	v_ashrrev_i32_e32 v149, s20, v169
	v_ashrrev_i32_e32 v169, s20, v177
	v_add3_u32 v141, v151, v141, v146
	v_ashrrev_i32_e32 v146, s25, v171
	s_delay_alu instid0(VALU_DEP_4)
	v_lshlrev_b32_e32 v149, 2, v149
	v_ashrrev_i32_e32 v151, s20, v173
	v_ashrrev_i32_e32 v171, s25, v175
	v_lshlrev_b32_e32 v169, 2, v169
	v_and_b32_e32 v173, 0x3030303, v146
	v_and_b32_e32 v149, 0x4040404, v149
	v_lshlrev_b32_e32 v151, 2, v151
	v_add3_u32 v148, v209, v148, v141
	v_and_b32_e32 v169, 0x4040404, v169
	s_delay_alu instid0(VALU_DEP_4) | instskip(NEXT) | instid1(VALU_DEP_4)
	v_sub_nc_u16 v174, v173, v149
	v_and_b32_e32 v151, 0x4040404, v151
	v_lshrrev_b32_e32 v141, 24, v149
	s_delay_alu instid0(VALU_DEP_3) | instskip(NEXT) | instid1(VALU_DEP_1)
	v_bfe_i32 v174, v174, 0, 8
	v_mad_i32_i24 v147, v142, v174, v147
	v_and_b32_e32 v174, 0x3030303, v171
	s_delay_alu instid0(VALU_DEP_1) | instskip(NEXT) | instid1(VALU_DEP_1)
	v_sub_nc_u16 v175, v174, v151
	v_bfe_i32 v175, v175, 0, 8
	s_delay_alu instid0(VALU_DEP_1) | instskip(SKIP_1) | instid1(VALU_DEP_1)
	v_mad_i32_i24 v150, v142, v175, v150
	v_and_b32_e32 v175, 0x3030303, v172
	v_sub_nc_u16 v176, v175, v169
	s_delay_alu instid0(VALU_DEP_1) | instskip(NEXT) | instid1(VALU_DEP_1)
	v_bfe_i32 v176, v176, 0, 8
	v_mad_i32_i24 v142, v142, v176, v145
	v_bfe_u32 v145, v153, 24, 2
	v_lshrrev_b32_e32 v153, 16, v156
	v_lshrrev_b16 v156, 8, v156
	s_delay_alu instid0(VALU_DEP_3) | instskip(SKIP_1) | instid1(VALU_DEP_2)
	v_sub_nc_u16 v145, v145, v152
	v_lshrrev_b32_e32 v152, 16, v162
	v_lshlrev_b16 v145, 8, v145
	s_delay_alu instid0(VALU_DEP_2) | instskip(SKIP_2) | instid1(VALU_DEP_2)
	v_sub_nc_u16 v152, v152, v153
	v_lshrrev_b16 v153, 8, v162
	v_lshrrev_b32_e32 v162, 16, v157
	v_sub_nc_u16 v153, v153, v156
	v_bfe_u32 v156, v160, 24, 2
	v_lshrrev_b32_e32 v160, 24, v157
	v_lshrrev_b16 v157, 8, v157
	s_delay_alu instid0(VALU_DEP_4) | instskip(NEXT) | instid1(VALU_DEP_3)
	v_lshlrev_b16 v153, 8, v153
	v_sub_nc_u16 v156, v156, v160
	v_lshrrev_b32_e32 v160, 16, v168
	s_delay_alu instid0(VALU_DEP_3) | instskip(NEXT) | instid1(VALU_DEP_3)
	v_perm_b32 v153, v153, v153, 0xc0c0c01
	v_lshlrev_b16 v156, 8, v156
	s_delay_alu instid0(VALU_DEP_3) | instskip(SKIP_2) | instid1(VALU_DEP_2)
	v_sub_nc_u16 v160, v160, v162
	v_lshrrev_b16 v162, 8, v168
	v_lshrrev_b32_e32 v168, 16, v158
	v_sub_nc_u16 v157, v162, v157
	v_lshrrev_b32_e32 v162, 24, v158
	v_lshrrev_b16 v158, 8, v158
	s_delay_alu instid0(VALU_DEP_2) | instskip(SKIP_1) | instid1(VALU_DEP_2)
	v_sub_nc_u16 v161, v161, v162
	v_lshrrev_b32_e32 v162, 16, v170
	v_lshlrev_b16 v161, 8, v161
	s_delay_alu instid0(VALU_DEP_2) | instskip(SKIP_1) | instid1(VALU_DEP_1)
	v_sub_nc_u16 v162, v162, v168
	v_lshrrev_b16 v168, 8, v170
	v_sub_nc_u16 v158, v168, v158
	v_and_b32_e32 v168, 0xff, v152
	s_delay_alu instid0(VALU_DEP_1) | instskip(SKIP_1) | instid1(VALU_DEP_2)
	v_or_b32_e32 v145, v168, v145
	v_and_b32_e32 v168, 0xff, v160
	v_perm_b32 v145, v145, v152, 0xc05000c
	s_delay_alu instid0(VALU_DEP_2) | instskip(SKIP_1) | instid1(VALU_DEP_3)
	v_or_b32_e32 v156, v168, v156
	v_and_b32_e32 v168, 0xff, v162
	v_or_b32_e32 v145, v145, v153
	v_lshlrev_b16 v153, 8, v157
	s_delay_alu instid0(VALU_DEP_4) | instskip(NEXT) | instid1(VALU_DEP_4)
	v_perm_b32 v152, v156, v160, 0xc05000c
	v_or_b32_e32 v161, v168, v161
	v_lshrrev_b16 v157, 8, v169
	v_dot4_i32_iu8 v145, v139, v145, v154 neg_lo:[1,1,0]
	v_perm_b32 v153, v153, v153, 0xc0c0c01
	v_lshrrev_b32_e32 v154, 16, v151
	v_perm_b32 v156, v161, v162, 0xc05000c
	s_delay_alu instid0(VALU_DEP_3) | instskip(SKIP_1) | instid1(VALU_DEP_2)
	v_or_b32_e32 v152, v152, v153
	v_lshlrev_b16 v153, 8, v158
	v_dot4_i32_iu8 v152, v139, v152, v155 neg_lo:[1,1,0]
	s_delay_alu instid0(VALU_DEP_2) | instskip(SKIP_1) | instid1(VALU_DEP_2)
	v_perm_b32 v153, v153, v153, 0xc0c0c01
	v_lshrrev_b32_e32 v155, 24, v169
	v_or_b32_e32 v153, v156, v153
	v_lshrrev_b32_e32 v156, 16, v169
	s_delay_alu instid0(VALU_DEP_2)
	v_dot4_i32_iu8 v143, v139, v153, v143 neg_lo:[1,1,0]
	v_bfe_u32 v139, v146, 24, 2
	v_lshrrev_b32_e32 v146, 16, v149
	v_lshrrev_b16 v149, 8, v149
	v_lshrrev_b32_e32 v153, 24, v151
	v_lshrrev_b16 v151, 8, v151
	v_sub_nc_u16 v139, v139, v141
	v_lshrrev_b32_e32 v141, 16, v173
	s_delay_alu instid0(VALU_DEP_2) | instskip(NEXT) | instid1(VALU_DEP_2)
	v_lshlrev_b16 v139, 8, v139
	v_sub_nc_u16 v141, v141, v146
	v_lshrrev_b16 v146, 8, v173
	s_delay_alu instid0(VALU_DEP_1) | instskip(SKIP_1) | instid1(VALU_DEP_2)
	v_sub_nc_u16 v146, v146, v149
	v_bfe_u32 v149, v171, 24, 2
	v_lshlrev_b16 v146, 8, v146
	s_delay_alu instid0(VALU_DEP_2) | instskip(SKIP_1) | instid1(VALU_DEP_3)
	v_sub_nc_u16 v149, v149, v153
	v_lshrrev_b32_e32 v153, 16, v174
	v_perm_b32 v146, v146, v146, 0xc0c0c01
	s_delay_alu instid0(VALU_DEP_3) | instskip(NEXT) | instid1(VALU_DEP_3)
	v_lshlrev_b16 v149, 8, v149
	v_sub_nc_u16 v153, v153, v154
	v_lshrrev_b16 v154, 8, v174
	s_delay_alu instid0(VALU_DEP_1) | instskip(SKIP_1) | instid1(VALU_DEP_1)
	v_sub_nc_u16 v151, v154, v151
	v_bfe_u32 v154, v172, 24, 2
	v_sub_nc_u16 v154, v154, v155
	v_lshrrev_b32_e32 v155, 16, v175
	s_delay_alu instid0(VALU_DEP_2) | instskip(NEXT) | instid1(VALU_DEP_2)
	v_lshlrev_b16 v154, 8, v154
	v_sub_nc_u16 v155, v155, v156
	v_lshrrev_b16 v156, 8, v175
	s_delay_alu instid0(VALU_DEP_1) | instskip(SKIP_1) | instid1(VALU_DEP_1)
	v_sub_nc_u16 v156, v156, v157
	v_and_b32_e32 v157, 0xff, v141
	v_or_b32_e32 v139, v157, v139
	v_and_b32_e32 v157, 0xff, v153
	s_delay_alu instid0(VALU_DEP_2) | instskip(NEXT) | instid1(VALU_DEP_2)
	v_perm_b32 v139, v139, v141, 0xc05000c
	v_or_b32_e32 v149, v157, v149
	v_and_b32_e32 v157, 0xff, v155
	s_delay_alu instid0(VALU_DEP_3) | instskip(SKIP_1) | instid1(VALU_DEP_4)
	v_or_b32_e32 v139, v139, v146
	v_lshlrev_b16 v146, 8, v151
	v_perm_b32 v141, v149, v153, 0xc05000c
	s_delay_alu instid0(VALU_DEP_4) | instskip(NEXT) | instid1(VALU_DEP_4)
	v_or_b32_e32 v154, v157, v154
	v_dot4_i32_iu8 v147, v138, v139, v147 neg_lo:[1,1,0]
	s_delay_alu instid0(VALU_DEP_4) | instskip(NEXT) | instid1(VALU_DEP_3)
	v_perm_b32 v146, v146, v146, 0xc0c0c01
	v_perm_b32 v149, v154, v155, 0xc05000c
	s_delay_alu instid0(VALU_DEP_2) | instskip(SKIP_1) | instid1(VALU_DEP_1)
	v_or_b32_e32 v141, v141, v146
	v_lshlrev_b16 v146, 8, v156
	v_perm_b32 v146, v146, v146, 0xc0c0c01
	s_delay_alu instid0(VALU_DEP_1) | instskip(NEXT) | instid1(VALU_DEP_4)
	v_or_b32_e32 v146, v149, v146
	v_dot4_i32_iu8 v149, v138, v141, v150 neg_lo:[1,1,0]
	s_delay_alu instid0(VALU_DEP_2) | instskip(SKIP_2) | instid1(VALU_DEP_2)
	v_dot4_i32_iu8 v142, v138, v146, v142 neg_lo:[1,1,0]
	v_and_b32_e32 v146, 0x3030303, v13
	v_bfe_u32 v13, v13, 24, 2
	v_sub_nc_u16 v138, v146, v11
	s_delay_alu instid0(VALU_DEP_1) | instskip(NEXT) | instid1(VALU_DEP_1)
	v_bfe_i32 v138, v138, 0, 8
	v_mad_i32_i24 v145, v137, v138, v145
	v_add_nc_u32_e32 v138, 0x1088, v140
	ds_load_2addr_b32 v[138:139], v138 offset1:1
	s_wait_dscnt 0x0
	v_ashrrev_i32_e32 v138, s25, v138
	s_delay_alu instid0(VALU_DEP_1) | instskip(SKIP_1) | instid1(VALU_DEP_2)
	v_and_b32_e32 v150, 0x3030303, v138
	v_bfe_u32 v138, v138, 24, 2
	v_sub_nc_u16 v140, v150, v15
	s_delay_alu instid0(VALU_DEP_1) | instskip(NEXT) | instid1(VALU_DEP_1)
	v_bfe_i32 v140, v140, 0, 8
	v_mad_i32_i24 v151, v137, v140, v152
	v_and_b32_e32 v152, 0x3030303, v21
	ds_load_2addr_b32 v[140:141], v212 offset0:6 offset1:7
	v_bfe_u32 v21, v21, 24, 2
	v_sub_nc_u16 v153, v152, v19
	s_delay_alu instid0(VALU_DEP_1) | instskip(NEXT) | instid1(VALU_DEP_1)
	v_bfe_i32 v153, v153, 0, 8
	v_mad_i32_i24 v137, v137, v153, v143
	v_and_b32_e32 v143, 0x3030303, v5
	v_bfe_u32 v5, v5, 24, 2
	s_delay_alu instid0(VALU_DEP_2) | instskip(SKIP_2) | instid1(VALU_DEP_2)
	v_sub_nc_u16 v153, v143, v0
	s_wait_dscnt 0x0
	v_ashrrev_i32_e32 v140, s20, v140
	v_bfe_i32 v153, v153, 0, 8
	s_delay_alu instid0(VALU_DEP_2) | instskip(NEXT) | instid1(VALU_DEP_2)
	v_lshlrev_b32_e32 v140, 2, v140
	v_mad_i32_i24 v147, v136, v153, v147
	v_and_b32_e32 v153, 0x3030303, v9
	s_delay_alu instid0(VALU_DEP_3) | instskip(SKIP_1) | instid1(VALU_DEP_3)
	v_and_b32_e32 v140, 0x4040404, v140
	v_bfe_u32 v9, v9, 24, 2
	v_sub_nc_u16 v154, v153, v7
	s_delay_alu instid0(VALU_DEP_1) | instskip(NEXT) | instid1(VALU_DEP_1)
	v_bfe_i32 v154, v154, 0, 8
	v_mad_i32_i24 v149, v136, v154, v149
	v_and_b32_e32 v154, 0x3030303, v17
	v_bfe_u32 v17, v17, 24, 2
	s_delay_alu instid0(VALU_DEP_2) | instskip(NEXT) | instid1(VALU_DEP_1)
	v_sub_nc_u16 v155, v154, v140
	v_bfe_i32 v155, v155, 0, 8
	s_delay_alu instid0(VALU_DEP_1) | instskip(SKIP_3) | instid1(VALU_DEP_3)
	v_mad_i32_i24 v136, v136, v155, v142
	v_lshrrev_b32_e32 v142, 24, v11
	v_lshrrev_b32_e32 v155, 16, v11
	v_lshrrev_b16 v11, 8, v11
	v_sub_nc_u16 v13, v13, v142
	v_lshrrev_b32_e32 v142, 16, v146
	v_lshrrev_b16 v146, 8, v146
	s_delay_alu instid0(VALU_DEP_3) | instskip(NEXT) | instid1(VALU_DEP_3)
	v_lshlrev_b16 v13, 8, v13
	v_sub_nc_u16 v142, v142, v155
	s_delay_alu instid0(VALU_DEP_3) | instskip(SKIP_3) | instid1(VALU_DEP_4)
	v_sub_nc_u16 v11, v146, v11
	v_lshrrev_b32_e32 v146, 24, v19
	v_lshrrev_b32_e32 v155, 16, v19
	v_lshrrev_b16 v19, 8, v19
	v_lshlrev_b16 v11, 8, v11
	s_delay_alu instid0(VALU_DEP_4) | instskip(SKIP_2) | instid1(VALU_DEP_4)
	v_sub_nc_u16 v21, v21, v146
	v_lshrrev_b32_e32 v146, 16, v152
	v_lshrrev_b16 v152, 8, v152
	v_perm_b32 v11, v11, v11, 0xc0c0c01
	s_delay_alu instid0(VALU_DEP_4) | instskip(NEXT) | instid1(VALU_DEP_4)
	v_lshlrev_b16 v21, 8, v21
	v_sub_nc_u16 v146, v146, v155
	s_delay_alu instid0(VALU_DEP_4) | instskip(SKIP_3) | instid1(VALU_DEP_3)
	v_sub_nc_u16 v19, v152, v19
	v_lshrrev_b32_e32 v152, 24, v15
	v_lshrrev_b32_e32 v155, 16, v15
	v_lshrrev_b16 v15, 8, v15
	v_sub_nc_u16 v138, v138, v152
	v_lshrrev_b32_e32 v152, 16, v150
	v_lshrrev_b16 v150, 8, v150
	s_delay_alu instid0(VALU_DEP_3) | instskip(NEXT) | instid1(VALU_DEP_3)
	v_lshlrev_b16 v138, 8, v138
	v_sub_nc_u16 v152, v152, v155
	s_delay_alu instid0(VALU_DEP_3) | instskip(SKIP_1) | instid1(VALU_DEP_2)
	v_sub_nc_u16 v15, v150, v15
	v_and_b32_e32 v150, 0xff, v142
	v_lshlrev_b16 v15, 8, v15
	s_delay_alu instid0(VALU_DEP_2) | instskip(SKIP_1) | instid1(VALU_DEP_3)
	v_or_b32_e32 v13, v150, v13
	v_and_b32_e32 v150, 0xff, v146
	v_perm_b32 v15, v15, v15, 0xc0c0c01
	s_delay_alu instid0(VALU_DEP_3) | instskip(NEXT) | instid1(VALU_DEP_3)
	v_perm_b32 v13, v13, v142, 0xc05000c
	v_or_b32_e32 v21, v150, v21
	v_and_b32_e32 v150, 0xff, v152
	s_delay_alu instid0(VALU_DEP_3) | instskip(SKIP_1) | instid1(VALU_DEP_4)
	v_or_b32_e32 v11, v13, v11
	v_lshlrev_b16 v13, 8, v19
	v_perm_b32 v21, v21, v146, 0xc05000c
	v_lshrrev_b32_e32 v19, 24, v0
	v_or_b32_e32 v138, v150, v138
	v_dot4_i32_iu8 v11, v135, v11, v145 neg_lo:[1,1,0]
	v_perm_b32 v13, v13, v13, 0xc0c0c01
	s_delay_alu instid0(VALU_DEP_4) | instskip(SKIP_2) | instid1(VALU_DEP_4)
	v_sub_nc_u16 v5, v5, v19
	v_lshrrev_b32_e32 v19, 16, v143
	v_perm_b32 v138, v138, v152, 0xc05000c
	v_or_b32_e32 v13, v21, v13
	v_lshrrev_b32_e32 v21, 16, v0
	v_lshrrev_b16 v0, 8, v0
	v_lshlrev_b16 v5, 8, v5
	v_or_b32_e32 v15, v138, v15
	v_dot4_i32_iu8 v13, v135, v13, v137 neg_lo:[1,1,0]
	v_sub_nc_u16 v19, v19, v21
	v_lshrrev_b16 v21, 8, v143
	v_lshrrev_b32_e32 v137, 16, v140
	v_dot4_i32_iu8 v15, v135, v15, v151 neg_lo:[1,1,0]
	v_lshrrev_b32_e32 v135, 16, v7
	v_lshrrev_b16 v138, 8, v140
	v_sub_nc_u16 v0, v21, v0
	v_lshrrev_b32_e32 v21, 24, v7
	v_lshrrev_b16 v7, 8, v7
	s_delay_alu instid0(VALU_DEP_3) | instskip(NEXT) | instid1(VALU_DEP_3)
	v_lshlrev_b16 v0, 8, v0
	v_sub_nc_u16 v9, v9, v21
	v_lshrrev_b32_e32 v21, 16, v153
	s_delay_alu instid0(VALU_DEP_3) | instskip(NEXT) | instid1(VALU_DEP_3)
	v_perm_b32 v0, v0, v0, 0xc0c0c01
	v_lshlrev_b16 v9, 8, v9
	s_delay_alu instid0(VALU_DEP_3) | instskip(SKIP_1) | instid1(VALU_DEP_1)
	v_sub_nc_u16 v21, v21, v135
	v_lshrrev_b16 v135, 8, v153
	v_sub_nc_u16 v7, v135, v7
	v_lshrrev_b32_e32 v135, 24, v140
	s_delay_alu instid0(VALU_DEP_1) | instskip(SKIP_1) | instid1(VALU_DEP_2)
	v_sub_nc_u16 v17, v17, v135
	v_lshrrev_b32_e32 v135, 16, v154
	v_lshlrev_b16 v17, 8, v17
	s_delay_alu instid0(VALU_DEP_2) | instskip(SKIP_1) | instid1(VALU_DEP_1)
	v_sub_nc_u16 v135, v135, v137
	v_lshrrev_b16 v137, 8, v154
	v_sub_nc_u16 v137, v137, v138
	v_and_b32_e32 v138, 0xff, v19
	s_delay_alu instid0(VALU_DEP_1) | instskip(SKIP_1) | instid1(VALU_DEP_2)
	v_or_b32_e32 v5, v138, v5
	v_and_b32_e32 v138, 0xff, v21
	v_perm_b32 v5, v5, v19, 0xc05000c
	s_delay_alu instid0(VALU_DEP_2) | instskip(SKIP_1) | instid1(VALU_DEP_3)
	v_or_b32_e32 v9, v138, v9
	v_and_b32_e32 v138, 0xff, v135
	v_or_b32_e32 v0, v5, v0
	v_lshlrev_b16 v5, 8, v7
	s_delay_alu instid0(VALU_DEP_3) | instskip(SKIP_2) | instid1(VALU_DEP_4)
	v_or_b32_e32 v17, v138, v17
	v_lshlrev_b16 v7, 8, v137
	v_perm_b32 v9, v9, v21, 0xc05000c
	v_perm_b32 v5, v5, v5, 0xc0c0c01
	s_delay_alu instid0(VALU_DEP_4) | instskip(NEXT) | instid1(VALU_DEP_4)
	v_perm_b32 v17, v17, v135, 0xc05000c
	v_perm_b32 v7, v7, v7, 0xc0c0c01
	s_delay_alu instid0(VALU_DEP_3) | instskip(SKIP_1) | instid1(VALU_DEP_3)
	v_or_b32_e32 v5, v9, v5
	v_dot4_i32_iu8 v9, v134, v0, v147 neg_lo:[1,1,0]
	v_or_b32_e32 v7, v17, v7
	v_lshrrev_b16 v0, 8, v167
	v_bfe_i32 v17, v167, 0, 8
	v_dot4_i32_iu8 v5, v134, v5, v149 neg_lo:[1,1,0]
	s_delay_alu instid0(VALU_DEP_4) | instskip(NEXT) | instid1(VALU_DEP_4)
	v_dot4_i32_iu8 v7, v134, v7, v136 neg_lo:[1,1,0]
	v_bfe_i32 v19, v0, 0, 8
	s_delay_alu instid0(VALU_DEP_4) | instskip(SKIP_1) | instid1(VALU_DEP_2)
	v_mul_lo_u32 v0, v148, v17
	v_ashrrev_i32_e32 v17, s25, v139
	v_mad_co_u64_u32 v[134:135], null, v144, v19, v[0:1]
	v_ashrrev_i32_e32 v0, s25, v14
	v_ashrrev_i32_e32 v14, s20, v20
	v_ashrrev_i32_e32 v19, s25, v22
	v_ashrrev_i32_e32 v1, s20, v1
	s_delay_alu instid0(VALU_DEP_4) | instskip(NEXT) | instid1(VALU_DEP_4)
	v_and_b32_e32 v20, 0x3030303, v0
	v_lshlrev_b32_e32 v14, 2, v14
	v_bfe_u32 v0, v0, 24, 2
	s_delay_alu instid0(VALU_DEP_4) | instskip(NEXT) | instid1(VALU_DEP_4)
	v_lshlrev_b32_e32 v1, 2, v1
	v_sub_nc_u16 v21, v20, v12
	s_delay_alu instid0(VALU_DEP_4) | instskip(NEXT) | instid1(VALU_DEP_3)
	v_and_b32_e32 v14, 0x4040404, v14
	v_and_b32_e32 v1, 0x4040404, v1
	s_delay_alu instid0(VALU_DEP_3) | instskip(NEXT) | instid1(VALU_DEP_1)
	v_bfe_i32 v21, v21, 0, 8
	v_mad_i32_i24 v11, v133, v21, v11
	v_and_b32_e32 v21, 0x3030303, v17
	v_bfe_u32 v17, v17, 24, 2
	s_delay_alu instid0(VALU_DEP_2) | instskip(NEXT) | instid1(VALU_DEP_1)
	v_sub_nc_u16 v22, v21, v16
	v_bfe_i32 v22, v22, 0, 8
	s_delay_alu instid0(VALU_DEP_1) | instskip(SKIP_2) | instid1(VALU_DEP_2)
	v_mad_i32_i24 v15, v133, v22, v15
	v_and_b32_e32 v22, 0x3030303, v19
	v_bfe_u32 v19, v19, 24, 2
	v_sub_nc_u16 v135, v22, v14
	s_delay_alu instid0(VALU_DEP_1) | instskip(NEXT) | instid1(VALU_DEP_1)
	v_bfe_i32 v135, v135, 0, 8
	v_mad_i32_i24 v13, v133, v135, v13
	v_and_b32_e32 v135, 0x3030303, v6
	v_ashrrev_i32_e32 v133, s20, v141
	v_bfe_u32 v6, v6, 24, 2
	s_add_co_i32 s20, s20, 1
	s_cmp_lt_u32 s22, 14
	v_sub_nc_u16 v136, v135, v1
	v_lshlrev_b32_e32 v133, 2, v133
	s_delay_alu instid0(VALU_DEP_2) | instskip(NEXT) | instid1(VALU_DEP_2)
	v_bfe_i32 v136, v136, 0, 8
	v_and_b32_e32 v133, 0x4040404, v133
	s_delay_alu instid0(VALU_DEP_2) | instskip(SKIP_2) | instid1(VALU_DEP_2)
	v_mad_i32_i24 v9, v132, v136, v9
	v_and_b32_e32 v136, 0x3030303, v10
	v_bfe_u32 v10, v10, 24, 2
	v_sub_nc_u16 v137, v136, v8
	s_delay_alu instid0(VALU_DEP_1) | instskip(NEXT) | instid1(VALU_DEP_1)
	v_bfe_i32 v137, v137, 0, 8
	v_mad_i32_i24 v5, v132, v137, v5
	v_and_b32_e32 v137, 0x3030303, v18
	s_delay_alu instid0(VALU_DEP_1) | instskip(NEXT) | instid1(VALU_DEP_1)
	v_sub_nc_u16 v138, v137, v133
	v_bfe_i32 v138, v138, 0, 8
	s_delay_alu instid0(VALU_DEP_1) | instskip(SKIP_3) | instid1(VALU_DEP_3)
	v_mad_i32_i24 v7, v132, v138, v7
	v_lshrrev_b32_e32 v132, 24, v12
	v_lshrrev_b32_e32 v138, 16, v12
	v_lshrrev_b16 v12, 8, v12
	v_sub_nc_u16 v0, v0, v132
	v_lshrrev_b32_e32 v132, 16, v20
	v_lshrrev_b16 v20, 8, v20
	s_delay_alu instid0(VALU_DEP_3) | instskip(NEXT) | instid1(VALU_DEP_3)
	v_lshlrev_b16 v0, 8, v0
	v_sub_nc_u16 v132, v132, v138
	s_delay_alu instid0(VALU_DEP_3) | instskip(SKIP_3) | instid1(VALU_DEP_4)
	v_sub_nc_u16 v12, v20, v12
	v_lshrrev_b32_e32 v20, 24, v14
	v_lshrrev_b32_e32 v138, 16, v14
	v_lshrrev_b16 v14, 8, v14
	v_lshlrev_b16 v12, 8, v12
	s_delay_alu instid0(VALU_DEP_4) | instskip(SKIP_2) | instid1(VALU_DEP_4)
	v_sub_nc_u16 v19, v19, v20
	v_lshrrev_b32_e32 v20, 16, v22
	v_lshrrev_b16 v22, 8, v22
	v_perm_b32 v12, v12, v12, 0xc0c0c01
	s_delay_alu instid0(VALU_DEP_4) | instskip(NEXT) | instid1(VALU_DEP_4)
	v_lshlrev_b16 v19, 8, v19
	v_sub_nc_u16 v20, v20, v138
	s_delay_alu instid0(VALU_DEP_4) | instskip(SKIP_3) | instid1(VALU_DEP_3)
	v_sub_nc_u16 v14, v22, v14
	v_lshrrev_b32_e32 v22, 24, v16
	v_lshrrev_b32_e32 v138, 16, v16
	v_lshrrev_b16 v16, 8, v16
	v_sub_nc_u16 v17, v17, v22
	v_lshrrev_b32_e32 v22, 16, v21
	v_lshrrev_b16 v21, 8, v21
	s_delay_alu instid0(VALU_DEP_3) | instskip(NEXT) | instid1(VALU_DEP_3)
	v_lshlrev_b16 v17, 8, v17
	v_sub_nc_u16 v22, v22, v138
	s_delay_alu instid0(VALU_DEP_3) | instskip(SKIP_1) | instid1(VALU_DEP_1)
	v_sub_nc_u16 v16, v21, v16
	v_and_b32_e32 v21, 0xff, v132
	v_or_b32_e32 v0, v21, v0
	v_and_b32_e32 v21, 0xff, v20
	s_delay_alu instid0(VALU_DEP_2) | instskip(NEXT) | instid1(VALU_DEP_2)
	v_perm_b32 v0, v0, v132, 0xc05000c
	v_or_b32_e32 v19, v21, v19
	v_and_b32_e32 v21, 0xff, v22
	s_delay_alu instid0(VALU_DEP_3) | instskip(SKIP_1) | instid1(VALU_DEP_3)
	v_or_b32_e32 v0, v0, v12
	v_lshlrev_b16 v12, 8, v14
	v_or_b32_e32 v17, v21, v17
	v_perm_b32 v19, v19, v20, 0xc05000c
	v_lshlrev_b16 v14, 8, v16
	v_dot4_i32_iu8 v0, v131, v0, v11 neg_lo:[1,1,0]
	v_perm_b32 v12, v12, v12, 0xc0c0c01
	v_perm_b32 v17, v17, v22, 0xc05000c
	v_lshrrev_b32_e32 v16, 24, v133
	v_perm_b32 v14, v14, v14, 0xc0c0c01
	s_delay_alu instid0(VALU_DEP_4) | instskip(NEXT) | instid1(VALU_DEP_2)
	v_or_b32_e32 v12, v19, v12
	v_or_b32_e32 v14, v17, v14
	v_lshrrev_b32_e32 v17, 16, v133
	s_delay_alu instid0(VALU_DEP_3) | instskip(SKIP_1) | instid1(VALU_DEP_4)
	v_dot4_i32_iu8 v12, v131, v12, v13 neg_lo:[1,1,0]
	v_lshrrev_b32_e32 v13, 24, v1
	v_dot4_i32_iu8 v11, v131, v14, v15 neg_lo:[1,1,0]
	v_lshrrev_b32_e32 v14, 16, v1
	v_lshrrev_b16 v1, 8, v1
	s_delay_alu instid0(VALU_DEP_4) | instskip(SKIP_2) | instid1(VALU_DEP_3)
	v_sub_nc_u16 v6, v6, v13
	v_lshrrev_b32_e32 v13, 16, v135
	v_lshrrev_b32_e32 v15, 16, v8
	v_lshlrev_b16 v6, 8, v6
	s_delay_alu instid0(VALU_DEP_3) | instskip(SKIP_1) | instid1(VALU_DEP_1)
	v_sub_nc_u16 v13, v13, v14
	v_lshrrev_b16 v14, 8, v135
	v_sub_nc_u16 v1, v14, v1
	v_lshrrev_b32_e32 v14, 24, v8
	v_lshrrev_b16 v8, 8, v8
	s_delay_alu instid0(VALU_DEP_3) | instskip(NEXT) | instid1(VALU_DEP_3)
	v_lshlrev_b16 v1, 8, v1
	v_sub_nc_u16 v10, v10, v14
	v_lshrrev_b32_e32 v14, 16, v136
	s_delay_alu instid0(VALU_DEP_3) | instskip(NEXT) | instid1(VALU_DEP_3)
	v_perm_b32 v1, v1, v1, 0xc0c0c01
	v_lshlrev_b16 v10, 8, v10
	s_delay_alu instid0(VALU_DEP_3) | instskip(SKIP_1) | instid1(VALU_DEP_1)
	v_sub_nc_u16 v14, v14, v15
	v_lshrrev_b16 v15, 8, v136
	v_sub_nc_u16 v8, v15, v8
	v_bfe_u32 v15, v18, 24, 2
	v_lshrrev_b16 v18, 8, v133
	s_delay_alu instid0(VALU_DEP_2) | instskip(SKIP_1) | instid1(VALU_DEP_2)
	v_sub_nc_u16 v15, v15, v16
	v_lshrrev_b32_e32 v16, 16, v137
	v_lshlrev_b16 v15, 8, v15
	s_delay_alu instid0(VALU_DEP_2) | instskip(SKIP_1) | instid1(VALU_DEP_1)
	v_sub_nc_u16 v16, v16, v17
	v_lshrrev_b16 v17, 8, v137
	v_sub_nc_u16 v17, v17, v18
	v_and_b32_e32 v18, 0xff, v13
	s_delay_alu instid0(VALU_DEP_1) | instskip(SKIP_1) | instid1(VALU_DEP_2)
	v_or_b32_e32 v6, v18, v6
	v_and_b32_e32 v18, 0xff, v14
	v_perm_b32 v6, v6, v13, 0xc05000c
	s_delay_alu instid0(VALU_DEP_2) | instskip(SKIP_1) | instid1(VALU_DEP_3)
	v_or_b32_e32 v10, v18, v10
	v_and_b32_e32 v18, 0xff, v16
	v_or_b32_e32 v1, v6, v1
	v_lshlrev_b16 v6, 8, v8
	s_delay_alu instid0(VALU_DEP_4) | instskip(NEXT) | instid1(VALU_DEP_4)
	v_perm_b32 v10, v10, v14, 0xc05000c
	v_or_b32_e32 v15, v18, v15
	v_lshlrev_b16 v8, 8, v17
	v_dot4_i32_iu8 v1, v130, v1, v9 neg_lo:[1,1,0]
	v_perm_b32 v6, v6, v6, 0xc0c0c01
	s_delay_alu instid0(VALU_DEP_4) | instskip(NEXT) | instid1(VALU_DEP_4)
	v_perm_b32 v13, v15, v16, 0xc05000c
	v_perm_b32 v8, v8, v8, 0xc0c0c01
	s_delay_alu instid0(VALU_DEP_3) | instskip(NEXT) | instid1(VALU_DEP_2)
	v_or_b32_e32 v6, v10, v6
	v_or_b32_e32 v8, v13, v8
	s_delay_alu instid0(VALU_DEP_2) | instskip(SKIP_1) | instid1(VALU_DEP_3)
	v_dot4_i32_iu8 v5, v130, v6, v5 neg_lo:[1,1,0]
	v_add_nc_u32_e32 v6, s21, v98
	v_dot4_i32_iu8 v7, v130, v8, v7 neg_lo:[1,1,0]
	v_add_nc_u32_e32 v8, s21, v96
	s_mov_b32 s21, s22
	ds_load_u16 v6, v6 offset:25346
	ds_load_u16 v8, v8 offset:27394
	s_wait_dscnt 0x1
	v_lshrrev_b16 v9, 8, v6
	v_bfe_i32 v6, v6, 0, 8
	s_delay_alu instid0(VALU_DEP_2) | instskip(NEXT) | instid1(VALU_DEP_2)
	v_bfe_i32 v9, v9, 0, 8
	v_mul_lo_u32 v0, v0, v6
	v_bfe_i32 v6, v166, 0, 8
	s_delay_alu instid0(VALU_DEP_2) | instskip(SKIP_3) | instid1(VALU_DEP_2)
	v_mad_co_u64_u32 v[0:1], null, v1, v9, v[0:1]
	v_lshrrev_b16 v1, 8, v166
	s_wait_dscnt 0x0
	v_bfe_i32 v9, v8, 0, 8
	v_bfe_i32 v10, v1, 0, 8
	v_mul_lo_u32 v1, v11, v6
	v_cvt_f32_i32_e32 v0, v0
	s_delay_alu instid0(VALU_DEP_2) | instskip(SKIP_4) | instid1(VALU_DEP_3)
	v_mad_co_u64_u32 v[5:6], null, v5, v10, v[1:2]
	ds_load_b32 v10, v129
	v_lshrrev_b16 v6, 8, v8
	v_mul_lo_u32 v1, v12, v9
	v_add_nc_u32_e32 v129, 4, v129
	v_bfe_i32 v6, v6, 0, 8
	v_cvt_f32_i32_e32 v5, v5
	s_delay_alu instid0(VALU_DEP_2) | instskip(NEXT) | instid1(VALU_DEP_1)
	v_mad_co_u64_u32 v[6:7], null, v7, v6, v[1:2]
	v_cvt_f32_i32_e32 v6, v6
	s_wait_dscnt 0x0
	v_mul_f32_e32 v1, v10, v159
	v_mul_f32_e32 v7, v10, v165
	;; [unrolled: 1-line block ×4, first 2 shown]
	v_cvt_f32_i32_e32 v10, v134
	v_fmac_f32_e32 v25, v1, v0
	s_delay_alu instid0(VALU_DEP_4) | instskip(NEXT) | instid1(VALU_DEP_3)
	v_dual_fmac_f32 v87, v7, v5 :: v_dual_fmac_f32 v86, v8, v6
	v_fmac_f32_e32 v2, v9, v10
	s_cbranch_scc1 .LBB209_19
; %bb.20:                               ;   in Loop: Header=BB209_5 Depth=1
	s_or_b32 s1, s16, 0x100
	s_wait_loadcnt 0x0
	s_wait_alu 0xfffe
	s_cmp_ge_i32 s1, s11
	s_barrier_signal -1
	s_barrier_wait -1
	global_inv scope:SCOPE_SE
	s_cbranch_scc1 .LBB209_4
; %bb.21:                               ;   in Loop: Header=BB209_5 Depth=1
	v_add_nc_u32_e32 v0, s17, v89
	s_delay_alu instid0(VALU_DEP_1)
	v_cmp_gt_i32_e64 s1, s5, v0
	s_and_b32 s20, s0, s1
	s_wait_alu 0xfffe
	s_and_saveexec_b32 s1, s20
	s_cbranch_execz .LBB209_23
; %bb.22:                               ;   in Loop: Header=BB209_5 Depth=1
	v_add_nc_u32_e32 v0, v91, v0
	s_delay_alu instid0(VALU_DEP_1)
	v_mad_co_i64_i32 v[0:1], null, v0, 36, v[3:4]
	global_load_b32 v0, v[0:1], off offset:4
	s_wait_loadcnt 0x0
	ds_store_b32 v84, v0
.LBB209_23:                             ;   in Loop: Header=BB209_5 Depth=1
	s_wait_alu 0xfffe
	s_or_b32 exec_lo, exec_lo, s1
	s_and_saveexec_b32 s20, vcc_lo
	s_cbranch_execz .LBB209_26
; %bb.24:                               ;   in Loop: Header=BB209_5 Depth=1
	v_or_b32_e32 v0, 8, v127
	s_delay_alu instid0(VALU_DEP_1)
	v_cmp_gt_i32_e64 s1, s5, v0
	s_and_b32 s1, s0, s1
	s_wait_alu 0xfffe
	s_and_b32 exec_lo, exec_lo, s1
	s_cbranch_execz .LBB209_26
; %bb.25:                               ;   in Loop: Header=BB209_5 Depth=1
	v_ashrrev_i32_e32 v0, 31, v127
	v_add_co_u32 v1, s1, v91, v127
	s_wait_alu 0xf1ff
	s_delay_alu instid0(VALU_DEP_2) | instskip(NEXT) | instid1(VALU_DEP_2)
	v_add_co_ci_u32_e64 v5, null, v94, v0, s1
	v_mad_co_u64_u32 v[0:1], null, v1, 36, s[2:3]
	s_delay_alu instid0(VALU_DEP_1)
	v_mad_i32_i24 v1, v5, 36, v1
	global_load_b32 v0, v[0:1], off offset:288
	s_wait_loadcnt 0x0
	v_cvt_f32_f16_e32 v0, v0
	ds_store_b32 v85, v0
.LBB209_26:                             ;   in Loop: Header=BB209_5 Depth=1
	s_wait_alu 0xfffe
	s_or_b32 exec_lo, exec_lo, s20
	v_dual_mov_b32 v128, v82 :: v_dual_mov_b32 v129, v83
	s_mov_b32 s1, 16
	s_mov_b32 s21, 14
	s_mov_b32 s20, 0
	s_wait_loadcnt_dscnt 0x0
	s_barrier_signal -1
	s_barrier_wait -1
	global_inv scope:SCOPE_SE
.LBB209_27:                             ;   Parent Loop BB209_5 Depth=1
                                        ; =>  This Inner Loop Header: Depth=2
	ds_load_b128 v[5:8], v128
	ds_load_b128 v[16:19], v128 offset:16
	s_wait_alu 0xfffe
	s_add_co_i32 s22, s21, 2
	s_and_b32 s26, s1, -16
	s_wait_alu 0xfffe
	s_and_b32 s25, s22, 0x3ffffff8
	s_lshr_b32 s24, s22, 4
	s_wait_alu 0xfffe
	v_lshl_add_u32 v140, s25, 2, v92
	s_lshl_b32 s23, s24, 5
	s_add_co_i32 s25, s21, -14
	s_add_co_i32 s21, s21, s26
	s_wait_alu 0xfffe
	s_addk_co_i32 s23, 0x4200
	v_add_nc_u32_e32 v0, 0x3188, v140
	v_add_nc_u32_e32 v20, s21, v93
	s_lshl_b32 s24, s24, 2
	v_add_nc_u32_e32 v22, 0x3198, v140
	s_wait_alu 0xfffe
	s_addk_co_i32 s24, 0x7380
	v_add3_u32 v180, s23, v111, v112
	v_add3_u32 v182, s23, v114, v115
	;; [unrolled: 1-line block ×3, first 2 shown]
	v_add_nc_u32_e32 v128, 32, v128
	s_wait_dscnt 0x1
	v_lshrrev_b16 v155, 8, v5
	s_wait_dscnt 0x0
	v_lshrrev_b16 v161, 8, v16
	v_lshrrev_b16 v160, 8, v17
	v_ashrrev_i32_e32 v15, 24, v16
	v_bfe_i32 v13, v16, 16, 8
	v_bfe_i32 v162, v16, 0, 8
	v_perm_b32 v145, v16, v16, 0xc0c0302
	v_ashrrev_i32_e32 v16, 24, v17
	v_bfe_i32 v14, v17, 16, 8
	v_bfe_i32 v142, v17, 0, 8
	v_perm_b32 v138, v17, v17, 0xc030201
	v_add3_u32 v17, s23, v122, v123
	v_lshrrev_b16 v152, 8, v6
	v_lshrrev_b16 v151, 8, v7
	;; [unrolled: 1-line block ×3, first 2 shown]
	v_ashrrev_i32_e32 v11, 24, v5
	v_bfe_i32 v9, v5, 16, 8
	v_bfe_i32 v156, v5, 0, 8
	v_perm_b32 v149, v5, v5, 0xc0c0302
	v_ashrrev_i32_e32 v12, 24, v6
	v_bfe_i32 v10, v6, 16, 8
	v_bfe_i32 v143, v6, 0, 8
	v_perm_b32 v139, v6, v6, 0xc030201
	;; [unrolled: 4-line block ×4, first 2 shown]
	v_lshrrev_b16 v159, 8, v18
	v_lshrrev_b16 v144, 8, v19
	v_ashrrev_i32_e32 v153, 24, v18
	v_bfe_i32 v157, v18, 16, 8
	v_bfe_i32 v136, v18, 0, 8
	v_perm_b32 v134, v18, v18, 0xc030201
	v_ashrrev_i32_e32 v154, 24, v19
	v_bfe_i32 v158, v19, 16, 8
	v_bfe_i32 v132, v19, 0, 8
	v_perm_b32 v130, v19, v19, 0xc030201
	ds_load_2addr_b32 v[0:1], v0 offset1:1
	ds_load_2addr_b32 v[18:19], v17 offset0:4 offset1:5
	ds_load_2addr_b32 v[7:8], v17 offset0:6 offset1:7
	;; [unrolled: 1-line block ×3, first 2 shown]
	ds_load_u16 v167, v20 offset:28402
	s_wait_alu 0xfffe
	v_add3_u32 v20, s24, v124, v125
	v_bfe_i32 v161, v161, 0, 8
	v_bfe_i32 v160, v160, 0, 8
	;; [unrolled: 1-line block ×4, first 2 shown]
	ds_load_b32 v163, v20
	v_add_nc_u32_e32 v20, 0x3190, v140
	ds_load_2addr_b32 v[20:21], v20 offset1:1
	ds_load_2addr_b32 v[164:165], v22 offset1:1
	v_bfe_i32 v152, v152, 0, 8
	v_bfe_i32 v151, v151, 0, 8
	;; [unrolled: 1-line block ×3, first 2 shown]
	s_wait_dscnt 0x7
	v_ashrrev_i32_e32 v203, s25, v0
	s_wait_dscnt 0x6
	v_ashrrev_i32_e32 v19, s20, v19
	v_ashrrev_i32_e32 v18, s20, v18
	s_wait_dscnt 0x5
	v_ashrrev_i32_e32 v7, s20, v7
	v_ashrrev_i32_e32 v8, s20, v8
	v_ashrrev_i32_e32 v204, s25, v1
	v_lshlrev_b32_e32 v19, 2, v19
	v_lshlrev_b32_e32 v18, 2, v18
	;; [unrolled: 1-line block ×4, first 2 shown]
	s_wait_dscnt 0x4
	v_ashrrev_i32_e32 v5, s20, v5
	v_and_b32_e32 v19, 0x4040404, v19
	v_and_b32_e32 v18, 0x4040404, v18
	;; [unrolled: 1-line block ×4, first 2 shown]
	s_wait_dscnt 0x1
	v_ashrrev_i32_e32 v21, s25, v21
	v_ashrrev_i32_e32 v20, s25, v20
	v_lshrrev_b32_e32 v166, 24, v19
	v_lshrrev_b32_e32 v168, 24, v18
	s_wait_dscnt 0x0
	v_ashrrev_i32_e32 v190, s25, v164
	v_bfe_u32 v22, v21, 24, 2
	v_and_b32_e32 v21, 0x3030303, v21
	v_ashrrev_i32_e32 v191, s25, v165
	v_ashrrev_i32_e32 v6, s20, v6
	v_and_b32_e32 v194, 0x3030303, v190
	v_sub_nc_u16 v22, v22, v166
	v_bfe_u32 v166, v20, 24, 2
	v_and_b32_e32 v20, 0x3030303, v20
	v_and_b32_e32 v195, 0x3030303, v191
	v_sub_nc_u16 v7, v194, v192
	v_bfe_i32 v22, v22, 0, 16
	v_sub_nc_u16 v166, v166, v168
	v_and_b32_e32 v207, 0x3030303, v203
	v_sub_nc_u16 v8, v195, v193
	v_bfe_i32 v7, v7, 0, 8
	v_mul_i32_i24_e32 v16, v22, v16
	v_bfe_i32 v22, v166, 0, 16
	v_and_b32_e32 v208, 0x3030303, v204
	v_bfe_i32 v8, v8, 0, 8
	v_mul_i32_i24_e32 v7, v7, v136
	v_lshrrev_b16 v214, 8, v192
	v_mad_i32_i24 v188, v22, v15, v16
	v_lshrrev_b32_e32 v15, 16, v21
	v_lshrrev_b32_e32 v16, 16, v19
	;; [unrolled: 1-line block ×3, first 2 shown]
	v_mul_i32_i24_e32 v8, v8, v132
	v_bfe_i32 v141, v141, 0, 8
	s_add_co_i32 s1, s1, 2
	v_sub_nc_u16 v15, v15, v16
	v_lshrrev_b32_e32 v16, 16, v20
	s_delay_alu instid0(VALU_DEP_2) | instskip(NEXT) | instid1(VALU_DEP_2)
	v_bfe_i32 v15, v15, 0, 8
	v_sub_nc_u16 v16, v16, v22
	s_delay_alu instid0(VALU_DEP_2) | instskip(NEXT) | instid1(VALU_DEP_2)
	v_mul_i32_i24_e32 v14, v15, v14
	v_bfe_i32 v15, v16, 0, 8
	s_delay_alu instid0(VALU_DEP_1) | instskip(SKIP_4) | instid1(VALU_DEP_4)
	v_mad_i32_i24 v189, v15, v13, v14
	v_sub_nc_u16 v13, v21, v19
	v_sub_nc_u16 v14, v20, v18
	v_add3_u32 v15, s24, v120, v121
	v_lshrrev_b16 v18, 8, v18
	v_bfe_i32 v13, v13, 0, 8
	s_delay_alu instid0(VALU_DEP_4) | instskip(NEXT) | instid1(VALU_DEP_2)
	v_bfe_i32 v14, v14, 0, 8
	v_mul_i32_i24_e32 v13, v13, v142
	s_delay_alu instid0(VALU_DEP_1) | instskip(NEXT) | instid1(VALU_DEP_1)
	v_mad_i32_i24 v13, v14, v162, v13
	v_add3_u32 v196, v13, v7, v8
	v_add_nc_u32_e32 v13, 0x3180, v140
	ds_load_2addr_b32 v[7:8], v17 offset1:1
	ds_load_2addr_b32 v[13:14], v13 offset1:1
	ds_load_b32 v164, v15
	s_wait_dscnt 0x2
	v_ashrrev_i32_e32 v8, s20, v8
	v_ashrrev_i32_e32 v7, s20, v7
	s_wait_dscnt 0x1
	v_ashrrev_i32_e32 v14, s25, v14
	v_ashrrev_i32_e32 v13, s25, v13
	v_lshlrev_b32_e32 v8, 2, v8
	v_lshlrev_b32_e32 v7, 2, v7
	s_delay_alu instid0(VALU_DEP_4) | instskip(NEXT) | instid1(VALU_DEP_4)
	v_and_b32_e32 v200, 0x3030303, v14
	v_and_b32_e32 v201, 0x3030303, v13
	s_delay_alu instid0(VALU_DEP_4) | instskip(NEXT) | instid1(VALU_DEP_4)
	v_and_b32_e32 v197, 0x4040404, v8
	v_and_b32_e32 v198, 0x4040404, v7
	v_bfe_u32 v8, v14, 24, 2
	v_bfe_u32 v7, v13, 24, 2
	s_delay_alu instid0(VALU_DEP_4) | instskip(NEXT) | instid1(VALU_DEP_4)
	v_sub_nc_u16 v0, v200, v197
	v_sub_nc_u16 v1, v201, v198
	v_lshrrev_b32_e32 v15, 24, v197
	s_delay_alu instid0(VALU_DEP_3) | instskip(NEXT) | instid1(VALU_DEP_3)
	v_bfe_i32 v0, v0, 0, 8
	v_bfe_i32 v1, v1, 0, 8
	s_delay_alu instid0(VALU_DEP_3) | instskip(SKIP_1) | instid1(VALU_DEP_4)
	v_sub_nc_u16 v8, v8, v15
	v_lshrrev_b32_e32 v15, 24, v198
	v_mul_i32_i24_e32 v0, v0, v143
	s_delay_alu instid0(VALU_DEP_3) | instskip(NEXT) | instid1(VALU_DEP_3)
	v_bfe_i32 v8, v8, 0, 16
	v_sub_nc_u16 v7, v7, v15
	s_delay_alu instid0(VALU_DEP_3) | instskip(SKIP_4) | instid1(VALU_DEP_4)
	v_mad_i32_i24 v0, v1, v156, v0
	v_lshlrev_b32_e32 v1, 2, v5
	v_lshlrev_b32_e32 v5, 2, v6
	v_mul_i32_i24_e32 v8, v8, v12
	v_bfe_i32 v7, v7, 0, 16
	v_and_b32_e32 v205, 0x4040404, v1
	s_delay_alu instid0(VALU_DEP_4) | instskip(NEXT) | instid1(VALU_DEP_3)
	v_and_b32_e32 v206, 0x4040404, v5
	v_mad_i32_i24 v199, v7, v11, v8
	v_lshrrev_b32_e32 v7, 16, v200
	s_delay_alu instid0(VALU_DEP_4) | instskip(NEXT) | instid1(VALU_DEP_4)
	v_sub_nc_u16 v1, v207, v205
	v_sub_nc_u16 v5, v208, v206
	v_lshrrev_b32_e32 v8, 16, v197
	v_lshrrev_b32_e32 v11, 16, v198
	v_lshrrev_b16 v198, 8, v198
	v_bfe_i32 v1, v1, 0, 8
	v_bfe_i32 v5, v5, 0, 8
	v_sub_nc_u16 v7, v7, v8
	v_lshrrev_b32_e32 v8, 16, v201
	v_lshrrev_b16 v201, 8, v201
	v_mul_i32_i24_e32 v1, v1, v137
	v_mul_i32_i24_e32 v5, v5, v133
	v_bfe_i32 v7, v7, 0, 8
	v_sub_nc_u16 v8, v8, v11
	v_lshrrev_b16 v200, 8, v200
	v_lshrrev_b16 v197, 8, v197
	v_add3_u32 v209, v0, v1, v5
	ds_load_2addr_b32 v[168:169], v180 offset0:4 offset1:5
	ds_load_2addr_b32 v[0:1], v180 offset0:6 offset1:7
	;; [unrolled: 1-line block ×3, first 2 shown]
	v_mul_i32_i24_e32 v7, v7, v10
	v_bfe_i32 v8, v8, 0, 8
	v_add_nc_u32_e32 v10, 0x1098, v140
	v_sub_nc_u16 v198, v201, v198
	v_sub_nc_u16 v197, v200, v197
	v_lshrrev_b16 v200, 8, v207
	v_mad_i32_i24 v202, v8, v9, v7
	v_lshrrev_b16 v201, 8, v205
	v_bfe_i32 v198, v198, 0, 16
	v_bfe_i32 v197, v197, 0, 16
	s_delay_alu instid0(VALU_DEP_3) | instskip(NEXT) | instid1(VALU_DEP_2)
	v_sub_nc_u16 v200, v200, v201
	v_mul_i32_i24_e32 v152, v197, v152
	s_wait_dscnt 0x2
	v_ashrrev_i32_e32 v5, s20, v168
	s_delay_alu instid0(VALU_DEP_3)
	v_bfe_i32 v197, v200, 0, 16
	s_wait_dscnt 0x0
	v_ashrrev_i32_e32 v11, s20, v11
	v_ashrrev_i32_e32 v0, s20, v0
	v_ashrrev_i32_e32 v12, s20, v12
	v_lshlrev_b32_e32 v5, 2, v5
	v_mul_i32_i24_e32 v151, v197, v151
	v_lshlrev_b32_e32 v11, 2, v11
	v_lshlrev_b32_e32 v0, 2, v0
	;; [unrolled: 1-line block ×3, first 2 shown]
	v_and_b32_e32 v168, 0x4040404, v5
	ds_load_2addr_b32 v[170:171], v140 offset0:4 offset1:5
	ds_load_2addr_b32 v[5:6], v140 offset0:6 offset1:7
	;; [unrolled: 1-line block ×3, first 2 shown]
	v_and_b32_e32 v11, 0x4040404, v11
	v_and_b32_e32 v0, 0x4040404, v0
	;; [unrolled: 1-line block ×3, first 2 shown]
	v_lshrrev_b16 v8, 8, v168
	s_wait_dscnt 0x2
	v_ashrrev_i32_e32 v170, s25, v170
	s_wait_dscnt 0x1
	v_ashrrev_i32_e32 v5, s25, v5
	;; [unrolled: 2-line block ×3, first 2 shown]
	v_ashrrev_i32_e32 v6, s25, v6
	v_and_b32_e32 v210, 0x3030303, v170
	s_delay_alu instid0(VALU_DEP_1) | instskip(NEXT) | instid1(VALU_DEP_1)
	v_lshrrev_b16 v7, 8, v210
	v_sub_nc_u16 v181, v7, v8
	v_add_nc_u32_e32 v7, s21, v97
	s_delay_alu instid0(VALU_DEP_2)
	v_lshlrev_b16 v181, 8, v181
	ds_load_u16 v166, v7 offset:26354
	v_add3_u32 v7, s24, v116, v117
	v_bfe_i32 v181, v181, 8, 8
	ds_load_b32 v165, v7
	ds_load_2addr_b32 v[172:173], v182 offset0:4 offset1:5
	ds_load_2addr_b32 v[7:8], v182 offset0:6 offset1:7
	;; [unrolled: 1-line block ×3, first 2 shown]
	s_wait_dscnt 0x2
	v_ashrrev_i32_e32 v9, s20, v172
	s_wait_dscnt 0x1
	v_ashrrev_i32_e32 v7, s20, v7
	;; [unrolled: 2-line block ×3, first 2 shown]
	v_ashrrev_i32_e32 v16, s20, v16
	v_ashrrev_i32_e32 v8, s20, v8
	v_lshlrev_b32_e32 v9, 2, v9
	v_lshlrev_b32_e32 v7, 2, v7
	;; [unrolled: 1-line block ×5, first 2 shown]
	v_and_b32_e32 v172, 0x4040404, v9
	v_add_nc_u32_e32 v9, 0x1090, v140
	ds_load_2addr_b32 v[174:175], v9 offset1:1
	ds_load_2addr_b32 v[9:10], v10 offset1:1
	v_lshrrev_b16 v22, 8, v172
	v_and_b32_e32 v15, 0x4040404, v15
	v_and_b32_e32 v7, 0x4040404, v7
	;; [unrolled: 1-line block ×4, first 2 shown]
	s_wait_dscnt 0x1
	v_ashrrev_i32_e32 v174, s25, v174
	s_wait_dscnt 0x0
	v_ashrrev_i32_e32 v9, s25, v9
	v_ashrrev_i32_e32 v10, s25, v10
	s_delay_alu instid0(VALU_DEP_3) | instskip(NEXT) | instid1(VALU_DEP_1)
	v_and_b32_e32 v211, 0x3030303, v174
	v_lshrrev_b16 v17, 8, v211
	v_sub_nc_u16 v215, v211, v172
	s_delay_alu instid0(VALU_DEP_2) | instskip(SKIP_1) | instid1(VALU_DEP_3)
	v_sub_nc_u16 v183, v17, v22
	v_lshrrev_b16 v17, 8, v20
	v_bfe_i32 v215, v215, 0, 8
	s_delay_alu instid0(VALU_DEP_2)
	v_sub_nc_u16 v184, v17, v18
	v_lshrrev_b16 v18, 8, v19
	ds_load_2addr_b32 v[176:177], v212 offset0:4 offset1:5
	ds_load_2addr_b32 v[19:20], v212 offset0:2 offset1:3
	v_lshrrev_b16 v17, 8, v21
	v_add_nc_u32_e32 v21, 0x2108, v140
	v_mul_i32_i24_e32 v215, v162, v215
	s_delay_alu instid0(VALU_DEP_3)
	v_sub_nc_u16 v185, v17, v18
	v_add_nc_u32_e32 v18, 0x2118, v140
	s_wait_dscnt 0x1
	v_ashrrev_i32_e32 v17, s20, v176
	s_wait_dscnt 0x0
	v_ashrrev_i32_e32 v19, s20, v19
	s_delay_alu instid0(VALU_DEP_2) | instskip(NEXT) | instid1(VALU_DEP_2)
	v_lshlrev_b32_e32 v17, 2, v17
	v_lshlrev_b32_e32 v19, 2, v19
	s_delay_alu instid0(VALU_DEP_2)
	v_and_b32_e32 v176, 0x4040404, v17
	v_add_nc_u32_e32 v17, 0x2110, v140
	ds_load_2addr_b32 v[178:179], v17 offset1:1
	ds_load_2addr_b32 v[17:18], v18 offset1:1
	ds_load_2addr_b32 v[21:22], v21 offset1:1
	v_lshrrev_b16 v187, 8, v176
	v_and_b32_e32 v19, 0x4040404, v19
	s_wait_dscnt 0x2
	v_ashrrev_i32_e32 v178, s25, v178
	s_wait_dscnt 0x1
	v_ashrrev_i32_e32 v17, s25, v17
	;; [unrolled: 2-line block ×3, first 2 shown]
	v_ashrrev_i32_e32 v18, s25, v18
	v_and_b32_e32 v213, 0x3030303, v178
	s_delay_alu instid0(VALU_DEP_1) | instskip(SKIP_1) | instid1(VALU_DEP_2)
	v_lshrrev_b16 v186, 8, v213
	v_sub_nc_u16 v216, v213, v176
	v_sub_nc_u16 v186, v186, v187
	v_lshrrev_b16 v187, 8, v194
	s_delay_alu instid0(VALU_DEP_3) | instskip(NEXT) | instid1(VALU_DEP_2)
	v_bfe_i32 v216, v216, 0, 8
	v_sub_nc_u16 v187, v187, v214
	v_sub_nc_u16 v214, v210, v168
	s_delay_alu instid0(VALU_DEP_1) | instskip(NEXT) | instid1(VALU_DEP_1)
	v_bfe_i32 v214, v214, 0, 8
	v_mul_i32_i24_e32 v214, v162, v214
	v_mul_i32_i24_e32 v162, v162, v216
	s_delay_alu instid0(VALU_DEP_2) | instskip(SKIP_2) | instid1(VALU_DEP_2)
	v_mad_i32_i24 v214, v161, v181, v214
	v_lshlrev_b16 v181, 8, v183
	v_add_nc_u32_e32 v183, 0x1080, v140
	v_bfe_i32 v181, v181, 8, 8
	s_delay_alu instid0(VALU_DEP_1) | instskip(SKIP_1) | instid1(VALU_DEP_1)
	v_mad_i32_i24 v215, v161, v181, v215
	v_lshlrev_b16 v181, 8, v186
	v_bfe_i32 v181, v181, 8, 8
	s_delay_alu instid0(VALU_DEP_1) | instskip(SKIP_1) | instid1(VALU_DEP_1)
	v_mad_i32_i24 v216, v161, v181, v162
	v_bfe_i32 v162, v184, 0, 16
	v_mul_i32_i24_e32 v161, v162, v161
	v_bfe_i32 v162, v185, 0, 16
	s_delay_alu instid0(VALU_DEP_1) | instskip(SKIP_1) | instid1(VALU_DEP_1)
	v_mul_i32_i24_e32 v160, v162, v160
	v_bfe_i32 v162, v187, 0, 16
	v_mul_i32_i24_e32 v159, v162, v159
	s_delay_alu instid0(VALU_DEP_1)
	v_add3_u32 v217, v161, v160, v159
	ds_load_2addr_b32 v[159:160], v180 offset1:1
	ds_load_2addr_b32 v[161:162], v140 offset1:1
	s_wait_dscnt 0x1
	v_ashrrev_i32_e32 v159, s20, v159
	s_wait_dscnt 0x0
	v_ashrrev_i32_e32 v161, s25, v161
	s_delay_alu instid0(VALU_DEP_2) | instskip(NEXT) | instid1(VALU_DEP_2)
	v_lshlrev_b32_e32 v159, 2, v159
	v_and_b32_e32 v219, 0x3030303, v161
	s_delay_alu instid0(VALU_DEP_2) | instskip(NEXT) | instid1(VALU_DEP_2)
	v_and_b32_e32 v218, 0x4040404, v159
	v_lshrrev_b16 v159, 8, v219
	s_delay_alu instid0(VALU_DEP_2) | instskip(SKIP_1) | instid1(VALU_DEP_2)
	v_lshrrev_b16 v180, 8, v218
	v_sub_nc_u16 v201, v219, v218
	v_sub_nc_u16 v220, v159, v180
	v_add3_u32 v159, s24, v126, v113
	s_delay_alu instid0(VALU_DEP_3) | instskip(NEXT) | instid1(VALU_DEP_3)
	v_bfe_i32 v201, v201, 0, 8
	v_lshlrev_b16 v220, 8, v220
	ds_load_b32 v159, v159
	ds_load_2addr_b32 v[180:181], v182 offset1:1
	ds_load_2addr_b32 v[182:183], v183 offset1:1
	v_mul_i32_i24_e32 v201, v156, v201
	v_bfe_i32 v220, v220, 8, 8
	s_delay_alu instid0(VALU_DEP_1) | instskip(SKIP_4) | instid1(VALU_DEP_2)
	v_mad_i32_i24 v201, v155, v220, v201
	s_wait_dscnt 0x1
	v_ashrrev_i32_e32 v180, s20, v180
	s_wait_dscnt 0x0
	v_ashrrev_i32_e32 v182, s25, v182
	v_lshlrev_b32_e32 v180, 2, v180
	s_delay_alu instid0(VALU_DEP_2) | instskip(NEXT) | instid1(VALU_DEP_2)
	v_and_b32_e32 v221, 0x3030303, v182
	v_and_b32_e32 v180, 0x4040404, v180
	s_delay_alu instid0(VALU_DEP_2) | instskip(NEXT) | instid1(VALU_DEP_2)
	v_lshrrev_b16 v184, 8, v221
	v_lshrrev_b16 v185, 8, v180
	s_delay_alu instid0(VALU_DEP_1) | instskip(SKIP_4) | instid1(VALU_DEP_1)
	v_sub_nc_u16 v222, v184, v185
	v_add_nc_u32_e32 v184, 0x2100, v140
	ds_load_2addr_b32 v[184:185], v184 offset1:1
	ds_load_2addr_b32 v[186:187], v212 offset1:1
	v_lshlrev_b16 v220, 8, v222
	v_bfe_i32 v220, v220, 8, 8
	s_wait_dscnt 0x1
	v_ashrrev_i32_e32 v184, s25, v184
	s_wait_dscnt 0x0
	v_ashrrev_i32_e32 v186, s20, v186
	s_delay_alu instid0(VALU_DEP_2) | instskip(NEXT) | instid1(VALU_DEP_2)
	v_and_b32_e32 v223, 0x3030303, v184
	v_lshlrev_b32_e32 v186, 2, v186
	s_delay_alu instid0(VALU_DEP_2) | instskip(NEXT) | instid1(VALU_DEP_2)
	v_lshrrev_b16 v224, 8, v223
	v_and_b32_e32 v186, 0x4040404, v186
	s_delay_alu instid0(VALU_DEP_1) | instskip(SKIP_1) | instid1(VALU_DEP_2)
	v_lshrrev_b16 v225, 8, v186
	v_sub_nc_u16 v226, v223, v186
	v_sub_nc_u16 v224, v224, v225
	v_sub_nc_u16 v225, v221, v180
	s_delay_alu instid0(VALU_DEP_3) | instskip(NEXT) | instid1(VALU_DEP_3)
	v_bfe_i32 v226, v226, 0, 8
	v_lshlrev_b16 v222, 8, v224
	s_delay_alu instid0(VALU_DEP_3) | instskip(NEXT) | instid1(VALU_DEP_2)
	v_bfe_i32 v225, v225, 0, 8
	v_bfe_i32 v222, v222, 8, 8
	s_delay_alu instid0(VALU_DEP_2) | instskip(SKIP_1) | instid1(VALU_DEP_2)
	v_mul_i32_i24_e32 v225, v156, v225
	v_mul_i32_i24_e32 v156, v156, v226
	v_mad_i32_i24 v220, v155, v220, v225
	s_delay_alu instid0(VALU_DEP_2) | instskip(SKIP_1) | instid1(VALU_DEP_1)
	v_mad_i32_i24 v156, v155, v222, v156
	v_mul_i32_i24_e32 v155, v198, v155
	v_add3_u32 v151, v155, v152, v151
	v_lshrrev_b32_e32 v152, 16, v194
	v_lshrrev_b32_e32 v155, 16, v192
	;; [unrolled: 1-line block ×3, first 2 shown]
	s_delay_alu instid0(VALU_DEP_2) | instskip(SKIP_1) | instid1(VALU_DEP_2)
	v_sub_nc_u16 v152, v152, v155
	v_lshrrev_b32_e32 v155, 16, v195
	v_bfe_i32 v152, v152, 0, 8
	s_delay_alu instid0(VALU_DEP_2) | instskip(NEXT) | instid1(VALU_DEP_2)
	v_sub_nc_u16 v155, v155, v194
	v_mul_i32_i24_e32 v152, v152, v157
	s_delay_alu instid0(VALU_DEP_2) | instskip(SKIP_1) | instid1(VALU_DEP_2)
	v_bfe_i32 v155, v155, 0, 8
	v_lshrrev_b32_e32 v157, 24, v192
	v_mul_i32_i24_e32 v155, v155, v158
	v_lshrrev_b32_e32 v158, 24, v193
	s_delay_alu instid0(VALU_DEP_2) | instskip(SKIP_1) | instid1(VALU_DEP_1)
	v_add3_u32 v152, v189, v152, v155
	v_bfe_u32 v155, v190, 24, 2
	v_sub_nc_u16 v155, v155, v157
	v_bfe_u32 v157, v191, 24, 2
	s_delay_alu instid0(VALU_DEP_2) | instskip(NEXT) | instid1(VALU_DEP_2)
	v_bfe_i32 v155, v155, 0, 16
	v_sub_nc_u16 v157, v157, v158
	v_lshrrev_b32_e32 v158, 24, v180
	s_delay_alu instid0(VALU_DEP_3) | instskip(NEXT) | instid1(VALU_DEP_3)
	v_mul_i32_i24_e32 v153, v155, v153
	v_bfe_i32 v155, v157, 0, 16
	v_lshrrev_b32_e32 v157, 16, v218
	s_delay_alu instid0(VALU_DEP_2) | instskip(SKIP_1) | instid1(VALU_DEP_2)
	v_mul_i32_i24_e32 v154, v155, v154
	v_lshrrev_b32_e32 v155, 24, v218
	v_add3_u32 v153, v188, v153, v154
	v_bfe_u32 v154, v161, 24, 2
	v_lshrrev_b32_e32 v161, 16, v180
	v_lshrrev_b32_e32 v180, 24, v186
	s_delay_alu instid0(VALU_DEP_3) | instskip(SKIP_1) | instid1(VALU_DEP_2)
	v_sub_nc_u16 v154, v154, v155
	v_lshrrev_b32_e32 v155, 16, v219
	v_lshlrev_b16 v154, 8, v154
	s_delay_alu instid0(VALU_DEP_2) | instskip(SKIP_2) | instid1(VALU_DEP_2)
	v_sub_nc_u16 v155, v155, v157
	v_bfe_u32 v157, v182, 24, 2
	v_lshrrev_b32_e32 v182, 16, v186
	v_sub_nc_u16 v157, v157, v158
	v_lshrrev_b32_e32 v158, 16, v221
	s_delay_alu instid0(VALU_DEP_2) | instskip(NEXT) | instid1(VALU_DEP_2)
	v_lshlrev_b16 v157, 8, v157
	v_sub_nc_u16 v158, v158, v161
	v_bfe_u32 v161, v184, 24, 2
	s_delay_alu instid0(VALU_DEP_1) | instskip(SKIP_1) | instid1(VALU_DEP_2)
	v_sub_nc_u16 v161, v161, v180
	v_lshrrev_b32_e32 v180, 16, v223
	v_lshlrev_b16 v161, 8, v161
	s_delay_alu instid0(VALU_DEP_2) | instskip(SKIP_1) | instid1(VALU_DEP_1)
	v_sub_nc_u16 v180, v180, v182
	v_and_b32_e32 v182, 0xff, v155
	v_or_b32_e32 v154, v182, v154
	v_and_b32_e32 v182, 0xff, v158
	s_delay_alu instid0(VALU_DEP_2) | instskip(NEXT) | instid1(VALU_DEP_2)
	v_perm_b32 v154, v154, v155, 0xc0c0500
	v_or_b32_e32 v157, v182, v157
	v_and_b32_e32 v182, 0xff, v180
	s_delay_alu instid0(VALU_DEP_3) | instskip(NEXT) | instid1(VALU_DEP_3)
	v_dot4_i32_iu8 v154, v149, v154, v201 neg_lo:[1,1,0]
	v_perm_b32 v155, v157, v158, 0xc0c0500
	s_delay_alu instid0(VALU_DEP_3) | instskip(SKIP_1) | instid1(VALU_DEP_3)
	v_or_b32_e32 v161, v182, v161
	v_lshrrev_b32_e32 v158, 16, v206
	v_dot4_i32_iu8 v155, v149, v155, v220 neg_lo:[1,1,0]
	s_delay_alu instid0(VALU_DEP_3) | instskip(SKIP_1) | instid1(VALU_DEP_2)
	v_perm_b32 v157, v161, v180, 0xc0c0500
	v_lshrrev_b32_e32 v161, 24, v176
	v_dot4_i32_iu8 v149, v149, v157, v156 neg_lo:[1,1,0]
	v_lshrrev_b32_e32 v156, 16, v207
	v_lshrrev_b32_e32 v157, 16, v205
	s_delay_alu instid0(VALU_DEP_1) | instskip(SKIP_1) | instid1(VALU_DEP_2)
	v_sub_nc_u16 v156, v156, v157
	v_lshrrev_b32_e32 v157, 16, v208
	v_bfe_i32 v156, v156, 0, 8
	s_delay_alu instid0(VALU_DEP_2) | instskip(SKIP_1) | instid1(VALU_DEP_3)
	v_sub_nc_u16 v157, v157, v158
	v_lshrrev_b32_e32 v158, 16, v172
	v_mul_i32_i24_e32 v148, v156, v148
	s_delay_alu instid0(VALU_DEP_3) | instskip(SKIP_1) | instid1(VALU_DEP_2)
	v_bfe_i32 v156, v157, 0, 8
	v_lshrrev_b32_e32 v157, 24, v206
	v_mul_i32_i24_e32 v150, v156, v150
	v_lshrrev_b32_e32 v156, 24, v205
	s_delay_alu instid0(VALU_DEP_2) | instskip(SKIP_1) | instid1(VALU_DEP_1)
	v_add3_u32 v148, v202, v148, v150
	v_bfe_u32 v150, v203, 24, 2
	v_sub_nc_u16 v150, v150, v156
	v_bfe_u32 v156, v204, 24, 2
	s_delay_alu instid0(VALU_DEP_2) | instskip(NEXT) | instid1(VALU_DEP_2)
	v_bfe_i32 v150, v150, 0, 16
	v_sub_nc_u16 v156, v156, v157
	v_lshrrev_b32_e32 v157, 24, v172
	s_delay_alu instid0(VALU_DEP_3) | instskip(NEXT) | instid1(VALU_DEP_3)
	v_mul_i32_i24_e32 v146, v150, v146
	v_bfe_i32 v150, v156, 0, 16
	v_lshrrev_b32_e32 v156, 16, v168
	s_delay_alu instid0(VALU_DEP_2) | instskip(SKIP_2) | instid1(VALU_DEP_3)
	v_mul_i32_i24_e32 v147, v150, v147
	v_lshrrev_b32_e32 v150, 24, v168
	v_lshrrev_b32_e32 v168, 16, v176
	v_add3_u32 v146, v199, v146, v147
	v_bfe_u32 v147, v170, 24, 2
	s_delay_alu instid0(VALU_DEP_1) | instskip(SKIP_1) | instid1(VALU_DEP_2)
	v_sub_nc_u16 v147, v147, v150
	v_lshrrev_b32_e32 v150, 16, v210
	v_lshlrev_b16 v147, 8, v147
	s_delay_alu instid0(VALU_DEP_2) | instskip(SKIP_1) | instid1(VALU_DEP_1)
	v_sub_nc_u16 v150, v150, v156
	v_bfe_u32 v156, v174, 24, 2
	v_sub_nc_u16 v156, v156, v157
	v_lshrrev_b32_e32 v157, 16, v211
	s_delay_alu instid0(VALU_DEP_2) | instskip(NEXT) | instid1(VALU_DEP_2)
	v_lshlrev_b16 v156, 8, v156
	v_sub_nc_u16 v157, v157, v158
	v_bfe_u32 v158, v178, 24, 2
	s_delay_alu instid0(VALU_DEP_1) | instskip(SKIP_1) | instid1(VALU_DEP_2)
	v_sub_nc_u16 v158, v158, v161
	v_lshrrev_b32_e32 v161, 16, v213
	v_lshlrev_b16 v158, 8, v158
	s_delay_alu instid0(VALU_DEP_2) | instskip(SKIP_1) | instid1(VALU_DEP_1)
	v_sub_nc_u16 v161, v161, v168
	v_and_b32_e32 v168, 0xff, v150
	v_or_b32_e32 v147, v168, v147
	v_and_b32_e32 v168, 0xff, v157
	s_delay_alu instid0(VALU_DEP_2) | instskip(NEXT) | instid1(VALU_DEP_2)
	v_perm_b32 v147, v147, v150, 0xc0c0500
	v_or_b32_e32 v156, v168, v156
	v_and_b32_e32 v168, 0xff, v161
	s_delay_alu instid0(VALU_DEP_3) | instskip(NEXT) | instid1(VALU_DEP_3)
	v_dot4_i32_iu8 v147, v145, v147, v214 neg_lo:[1,1,0]
	v_perm_b32 v150, v156, v157, 0xc0c0500
	s_delay_alu instid0(VALU_DEP_3) | instskip(SKIP_1) | instid1(VALU_DEP_3)
	v_or_b32_e32 v158, v168, v158
	v_lshrrev_b16 v157, 8, v193
	v_dot4_i32_iu8 v150, v145, v150, v215 neg_lo:[1,1,0]
	s_delay_alu instid0(VALU_DEP_3) | instskip(SKIP_2) | instid1(VALU_DEP_3)
	v_perm_b32 v156, v158, v161, 0xc0c0500
	v_ashrrev_i32_e32 v158, s20, v187
	v_ashrrev_i32_e32 v161, s25, v185
	v_dot4_i32_iu8 v145, v145, v156, v216 neg_lo:[1,1,0]
	v_lshrrev_b16 v156, 8, v195
	s_delay_alu instid0(VALU_DEP_4) | instskip(NEXT) | instid1(VALU_DEP_2)
	v_lshlrev_b32_e32 v158, 2, v158
	v_sub_nc_u16 v156, v156, v157
	v_ashrrev_i32_e32 v157, s20, v181
	s_delay_alu instid0(VALU_DEP_3) | instskip(NEXT) | instid1(VALU_DEP_3)
	v_and_b32_e32 v158, 0x4040404, v158
	v_bfe_i32 v156, v156, 0, 16
	s_delay_alu instid0(VALU_DEP_3) | instskip(NEXT) | instid1(VALU_DEP_2)
	v_lshlrev_b32_e32 v157, 2, v157
	v_mul_i32_i24_e32 v144, v156, v144
	v_ashrrev_i32_e32 v156, s20, v160
	v_ashrrev_i32_e32 v160, s25, v183
	s_delay_alu instid0(VALU_DEP_4) | instskip(NEXT) | instid1(VALU_DEP_4)
	v_and_b32_e32 v157, 0x4040404, v157
	v_add3_u32 v144, v217, v144, v153
	v_ashrrev_i32_e32 v153, s25, v162
	v_lshlrev_b32_e32 v156, 2, v156
	s_delay_alu instid0(VALU_DEP_3) | instskip(NEXT) | instid1(VALU_DEP_3)
	v_add3_u32 v144, v196, v152, v144
	v_and_b32_e32 v162, 0x3030303, v153
	s_delay_alu instid0(VALU_DEP_3) | instskip(NEXT) | instid1(VALU_DEP_1)
	v_and_b32_e32 v156, 0x4040404, v156
	v_sub_nc_u16 v168, v162, v156
	v_lshrrev_b32_e32 v152, 24, v156
	s_delay_alu instid0(VALU_DEP_2) | instskip(NEXT) | instid1(VALU_DEP_1)
	v_bfe_i32 v168, v168, 0, 8
	v_mad_i32_i24 v154, v143, v168, v154
	v_and_b32_e32 v168, 0x3030303, v160
	s_delay_alu instid0(VALU_DEP_1) | instskip(NEXT) | instid1(VALU_DEP_1)
	v_sub_nc_u16 v170, v168, v157
	v_bfe_i32 v170, v170, 0, 8
	s_delay_alu instid0(VALU_DEP_1) | instskip(SKIP_2) | instid1(VALU_DEP_2)
	v_mad_i32_i24 v155, v143, v170, v155
	v_and_b32_e32 v170, 0x3030303, v161
	v_bfe_u32 v161, v161, 24, 2
	v_sub_nc_u16 v172, v170, v158
	s_delay_alu instid0(VALU_DEP_1) | instskip(NEXT) | instid1(VALU_DEP_1)
	v_bfe_i32 v172, v172, 0, 8
	v_mad_i32_i24 v143, v143, v172, v149
	v_lshrrev_b16 v149, 8, v208
	v_lshrrev_b16 v172, 8, v206
	s_delay_alu instid0(VALU_DEP_1) | instskip(SKIP_1) | instid1(VALU_DEP_2)
	v_sub_nc_u16 v149, v149, v172
	v_ashrrev_i32_e32 v172, s25, v179
	v_bfe_i32 v149, v149, 0, 16
	s_delay_alu instid0(VALU_DEP_1) | instskip(SKIP_2) | instid1(VALU_DEP_3)
	v_mul_i32_i24_e32 v141, v149, v141
	v_ashrrev_i32_e32 v149, s20, v169
	v_ashrrev_i32_e32 v169, s20, v177
	v_add3_u32 v141, v151, v141, v146
	v_ashrrev_i32_e32 v146, s25, v171
	s_delay_alu instid0(VALU_DEP_4)
	v_lshlrev_b32_e32 v149, 2, v149
	v_ashrrev_i32_e32 v151, s20, v173
	v_ashrrev_i32_e32 v171, s25, v175
	v_lshlrev_b32_e32 v169, 2, v169
	v_and_b32_e32 v173, 0x3030303, v146
	v_and_b32_e32 v149, 0x4040404, v149
	v_lshlrev_b32_e32 v151, 2, v151
	v_add3_u32 v148, v209, v148, v141
	v_and_b32_e32 v169, 0x4040404, v169
	s_delay_alu instid0(VALU_DEP_4) | instskip(NEXT) | instid1(VALU_DEP_4)
	v_sub_nc_u16 v174, v173, v149
	v_and_b32_e32 v151, 0x4040404, v151
	v_lshrrev_b32_e32 v141, 24, v149
	s_delay_alu instid0(VALU_DEP_3) | instskip(NEXT) | instid1(VALU_DEP_1)
	v_bfe_i32 v174, v174, 0, 8
	v_mad_i32_i24 v147, v142, v174, v147
	v_and_b32_e32 v174, 0x3030303, v171
	s_delay_alu instid0(VALU_DEP_1) | instskip(NEXT) | instid1(VALU_DEP_1)
	v_sub_nc_u16 v175, v174, v151
	v_bfe_i32 v175, v175, 0, 8
	s_delay_alu instid0(VALU_DEP_1) | instskip(SKIP_1) | instid1(VALU_DEP_1)
	v_mad_i32_i24 v150, v142, v175, v150
	v_and_b32_e32 v175, 0x3030303, v172
	v_sub_nc_u16 v176, v175, v169
	s_delay_alu instid0(VALU_DEP_1) | instskip(NEXT) | instid1(VALU_DEP_1)
	v_bfe_i32 v176, v176, 0, 8
	v_mad_i32_i24 v142, v142, v176, v145
	v_bfe_u32 v145, v153, 24, 2
	v_lshrrev_b32_e32 v153, 16, v156
	v_lshrrev_b16 v156, 8, v156
	s_delay_alu instid0(VALU_DEP_3) | instskip(SKIP_1) | instid1(VALU_DEP_2)
	v_sub_nc_u16 v145, v145, v152
	v_lshrrev_b32_e32 v152, 16, v162
	v_lshlrev_b16 v145, 8, v145
	s_delay_alu instid0(VALU_DEP_2) | instskip(SKIP_2) | instid1(VALU_DEP_2)
	v_sub_nc_u16 v152, v152, v153
	v_lshrrev_b16 v153, 8, v162
	v_lshrrev_b32_e32 v162, 16, v157
	v_sub_nc_u16 v153, v153, v156
	v_bfe_u32 v156, v160, 24, 2
	v_lshrrev_b32_e32 v160, 24, v157
	v_lshrrev_b16 v157, 8, v157
	s_delay_alu instid0(VALU_DEP_4) | instskip(NEXT) | instid1(VALU_DEP_3)
	v_lshlrev_b16 v153, 8, v153
	v_sub_nc_u16 v156, v156, v160
	v_lshrrev_b32_e32 v160, 16, v168
	s_delay_alu instid0(VALU_DEP_3) | instskip(NEXT) | instid1(VALU_DEP_3)
	v_perm_b32 v153, v153, v153, 0xc0c0c01
	v_lshlrev_b16 v156, 8, v156
	s_delay_alu instid0(VALU_DEP_3) | instskip(SKIP_2) | instid1(VALU_DEP_2)
	v_sub_nc_u16 v160, v160, v162
	v_lshrrev_b16 v162, 8, v168
	v_lshrrev_b32_e32 v168, 16, v158
	v_sub_nc_u16 v157, v162, v157
	v_lshrrev_b32_e32 v162, 24, v158
	v_lshrrev_b16 v158, 8, v158
	s_delay_alu instid0(VALU_DEP_2) | instskip(SKIP_1) | instid1(VALU_DEP_2)
	v_sub_nc_u16 v161, v161, v162
	v_lshrrev_b32_e32 v162, 16, v170
	v_lshlrev_b16 v161, 8, v161
	s_delay_alu instid0(VALU_DEP_2) | instskip(SKIP_1) | instid1(VALU_DEP_1)
	v_sub_nc_u16 v162, v162, v168
	v_lshrrev_b16 v168, 8, v170
	v_sub_nc_u16 v158, v168, v158
	v_and_b32_e32 v168, 0xff, v152
	s_delay_alu instid0(VALU_DEP_1) | instskip(SKIP_1) | instid1(VALU_DEP_2)
	v_or_b32_e32 v145, v168, v145
	v_and_b32_e32 v168, 0xff, v160
	v_perm_b32 v145, v145, v152, 0xc05000c
	s_delay_alu instid0(VALU_DEP_2) | instskip(SKIP_1) | instid1(VALU_DEP_3)
	v_or_b32_e32 v156, v168, v156
	v_and_b32_e32 v168, 0xff, v162
	v_or_b32_e32 v145, v145, v153
	v_lshlrev_b16 v153, 8, v157
	s_delay_alu instid0(VALU_DEP_4) | instskip(NEXT) | instid1(VALU_DEP_4)
	v_perm_b32 v152, v156, v160, 0xc05000c
	v_or_b32_e32 v161, v168, v161
	v_lshrrev_b16 v157, 8, v169
	v_dot4_i32_iu8 v145, v139, v145, v154 neg_lo:[1,1,0]
	v_perm_b32 v153, v153, v153, 0xc0c0c01
	v_lshrrev_b32_e32 v154, 16, v151
	v_perm_b32 v156, v161, v162, 0xc05000c
	s_delay_alu instid0(VALU_DEP_3) | instskip(SKIP_1) | instid1(VALU_DEP_2)
	v_or_b32_e32 v152, v152, v153
	v_lshlrev_b16 v153, 8, v158
	v_dot4_i32_iu8 v152, v139, v152, v155 neg_lo:[1,1,0]
	s_delay_alu instid0(VALU_DEP_2) | instskip(SKIP_1) | instid1(VALU_DEP_2)
	v_perm_b32 v153, v153, v153, 0xc0c0c01
	v_lshrrev_b32_e32 v155, 24, v169
	v_or_b32_e32 v153, v156, v153
	v_lshrrev_b32_e32 v156, 16, v169
	s_delay_alu instid0(VALU_DEP_2)
	v_dot4_i32_iu8 v143, v139, v153, v143 neg_lo:[1,1,0]
	v_bfe_u32 v139, v146, 24, 2
	v_lshrrev_b32_e32 v146, 16, v149
	v_lshrrev_b16 v149, 8, v149
	v_lshrrev_b32_e32 v153, 24, v151
	v_lshrrev_b16 v151, 8, v151
	v_sub_nc_u16 v139, v139, v141
	v_lshrrev_b32_e32 v141, 16, v173
	s_delay_alu instid0(VALU_DEP_2) | instskip(NEXT) | instid1(VALU_DEP_2)
	v_lshlrev_b16 v139, 8, v139
	v_sub_nc_u16 v141, v141, v146
	v_lshrrev_b16 v146, 8, v173
	s_delay_alu instid0(VALU_DEP_1) | instskip(SKIP_1) | instid1(VALU_DEP_2)
	v_sub_nc_u16 v146, v146, v149
	v_bfe_u32 v149, v171, 24, 2
	v_lshlrev_b16 v146, 8, v146
	s_delay_alu instid0(VALU_DEP_2) | instskip(SKIP_1) | instid1(VALU_DEP_3)
	v_sub_nc_u16 v149, v149, v153
	v_lshrrev_b32_e32 v153, 16, v174
	v_perm_b32 v146, v146, v146, 0xc0c0c01
	s_delay_alu instid0(VALU_DEP_3) | instskip(NEXT) | instid1(VALU_DEP_3)
	v_lshlrev_b16 v149, 8, v149
	v_sub_nc_u16 v153, v153, v154
	v_lshrrev_b16 v154, 8, v174
	s_delay_alu instid0(VALU_DEP_1) | instskip(SKIP_1) | instid1(VALU_DEP_1)
	v_sub_nc_u16 v151, v154, v151
	v_bfe_u32 v154, v172, 24, 2
	v_sub_nc_u16 v154, v154, v155
	v_lshrrev_b32_e32 v155, 16, v175
	s_delay_alu instid0(VALU_DEP_2) | instskip(NEXT) | instid1(VALU_DEP_2)
	v_lshlrev_b16 v154, 8, v154
	v_sub_nc_u16 v155, v155, v156
	v_lshrrev_b16 v156, 8, v175
	s_delay_alu instid0(VALU_DEP_1) | instskip(SKIP_1) | instid1(VALU_DEP_1)
	v_sub_nc_u16 v156, v156, v157
	v_and_b32_e32 v157, 0xff, v141
	v_or_b32_e32 v139, v157, v139
	v_and_b32_e32 v157, 0xff, v153
	s_delay_alu instid0(VALU_DEP_2) | instskip(NEXT) | instid1(VALU_DEP_2)
	v_perm_b32 v139, v139, v141, 0xc05000c
	v_or_b32_e32 v149, v157, v149
	v_and_b32_e32 v157, 0xff, v155
	s_delay_alu instid0(VALU_DEP_3) | instskip(SKIP_1) | instid1(VALU_DEP_4)
	v_or_b32_e32 v139, v139, v146
	v_lshlrev_b16 v146, 8, v151
	v_perm_b32 v141, v149, v153, 0xc05000c
	s_delay_alu instid0(VALU_DEP_4) | instskip(NEXT) | instid1(VALU_DEP_4)
	v_or_b32_e32 v154, v157, v154
	v_dot4_i32_iu8 v147, v138, v139, v147 neg_lo:[1,1,0]
	s_delay_alu instid0(VALU_DEP_4) | instskip(NEXT) | instid1(VALU_DEP_3)
	v_perm_b32 v146, v146, v146, 0xc0c0c01
	v_perm_b32 v149, v154, v155, 0xc05000c
	s_delay_alu instid0(VALU_DEP_2) | instskip(SKIP_1) | instid1(VALU_DEP_1)
	v_or_b32_e32 v141, v141, v146
	v_lshlrev_b16 v146, 8, v156
	v_perm_b32 v146, v146, v146, 0xc0c0c01
	s_delay_alu instid0(VALU_DEP_1) | instskip(NEXT) | instid1(VALU_DEP_4)
	v_or_b32_e32 v146, v149, v146
	v_dot4_i32_iu8 v149, v138, v141, v150 neg_lo:[1,1,0]
	s_delay_alu instid0(VALU_DEP_2) | instskip(SKIP_2) | instid1(VALU_DEP_2)
	v_dot4_i32_iu8 v142, v138, v146, v142 neg_lo:[1,1,0]
	v_and_b32_e32 v146, 0x3030303, v13
	v_bfe_u32 v13, v13, 24, 2
	v_sub_nc_u16 v138, v146, v11
	s_delay_alu instid0(VALU_DEP_1) | instskip(NEXT) | instid1(VALU_DEP_1)
	v_bfe_i32 v138, v138, 0, 8
	v_mad_i32_i24 v145, v137, v138, v145
	v_add_nc_u32_e32 v138, 0x1088, v140
	ds_load_2addr_b32 v[138:139], v138 offset1:1
	s_wait_dscnt 0x0
	v_ashrrev_i32_e32 v138, s25, v138
	s_delay_alu instid0(VALU_DEP_1) | instskip(SKIP_1) | instid1(VALU_DEP_2)
	v_and_b32_e32 v150, 0x3030303, v138
	v_bfe_u32 v138, v138, 24, 2
	v_sub_nc_u16 v140, v150, v15
	s_delay_alu instid0(VALU_DEP_1) | instskip(NEXT) | instid1(VALU_DEP_1)
	v_bfe_i32 v140, v140, 0, 8
	v_mad_i32_i24 v151, v137, v140, v152
	v_and_b32_e32 v152, 0x3030303, v21
	ds_load_2addr_b32 v[140:141], v212 offset0:6 offset1:7
	v_bfe_u32 v21, v21, 24, 2
	v_sub_nc_u16 v153, v152, v19
	s_delay_alu instid0(VALU_DEP_1) | instskip(NEXT) | instid1(VALU_DEP_1)
	v_bfe_i32 v153, v153, 0, 8
	v_mad_i32_i24 v137, v137, v153, v143
	v_and_b32_e32 v143, 0x3030303, v5
	v_bfe_u32 v5, v5, 24, 2
	s_delay_alu instid0(VALU_DEP_2) | instskip(SKIP_2) | instid1(VALU_DEP_2)
	v_sub_nc_u16 v153, v143, v0
	s_wait_dscnt 0x0
	v_ashrrev_i32_e32 v140, s20, v140
	v_bfe_i32 v153, v153, 0, 8
	s_delay_alu instid0(VALU_DEP_2) | instskip(NEXT) | instid1(VALU_DEP_2)
	v_lshlrev_b32_e32 v140, 2, v140
	v_mad_i32_i24 v147, v136, v153, v147
	v_and_b32_e32 v153, 0x3030303, v9
	s_delay_alu instid0(VALU_DEP_3) | instskip(SKIP_1) | instid1(VALU_DEP_3)
	v_and_b32_e32 v140, 0x4040404, v140
	v_bfe_u32 v9, v9, 24, 2
	v_sub_nc_u16 v154, v153, v7
	s_delay_alu instid0(VALU_DEP_1) | instskip(NEXT) | instid1(VALU_DEP_1)
	v_bfe_i32 v154, v154, 0, 8
	v_mad_i32_i24 v149, v136, v154, v149
	v_and_b32_e32 v154, 0x3030303, v17
	v_bfe_u32 v17, v17, 24, 2
	s_delay_alu instid0(VALU_DEP_2) | instskip(NEXT) | instid1(VALU_DEP_1)
	v_sub_nc_u16 v155, v154, v140
	v_bfe_i32 v155, v155, 0, 8
	s_delay_alu instid0(VALU_DEP_1) | instskip(SKIP_3) | instid1(VALU_DEP_3)
	v_mad_i32_i24 v136, v136, v155, v142
	v_lshrrev_b32_e32 v142, 24, v11
	v_lshrrev_b32_e32 v155, 16, v11
	v_lshrrev_b16 v11, 8, v11
	v_sub_nc_u16 v13, v13, v142
	v_lshrrev_b32_e32 v142, 16, v146
	v_lshrrev_b16 v146, 8, v146
	s_delay_alu instid0(VALU_DEP_3) | instskip(NEXT) | instid1(VALU_DEP_3)
	v_lshlrev_b16 v13, 8, v13
	v_sub_nc_u16 v142, v142, v155
	s_delay_alu instid0(VALU_DEP_3) | instskip(SKIP_3) | instid1(VALU_DEP_4)
	v_sub_nc_u16 v11, v146, v11
	v_lshrrev_b32_e32 v146, 24, v19
	v_lshrrev_b32_e32 v155, 16, v19
	v_lshrrev_b16 v19, 8, v19
	v_lshlrev_b16 v11, 8, v11
	s_delay_alu instid0(VALU_DEP_4) | instskip(SKIP_2) | instid1(VALU_DEP_4)
	v_sub_nc_u16 v21, v21, v146
	v_lshrrev_b32_e32 v146, 16, v152
	v_lshrrev_b16 v152, 8, v152
	v_perm_b32 v11, v11, v11, 0xc0c0c01
	s_delay_alu instid0(VALU_DEP_4) | instskip(NEXT) | instid1(VALU_DEP_4)
	v_lshlrev_b16 v21, 8, v21
	v_sub_nc_u16 v146, v146, v155
	s_delay_alu instid0(VALU_DEP_4) | instskip(SKIP_3) | instid1(VALU_DEP_3)
	v_sub_nc_u16 v19, v152, v19
	v_lshrrev_b32_e32 v152, 24, v15
	v_lshrrev_b32_e32 v155, 16, v15
	v_lshrrev_b16 v15, 8, v15
	v_sub_nc_u16 v138, v138, v152
	v_lshrrev_b32_e32 v152, 16, v150
	v_lshrrev_b16 v150, 8, v150
	s_delay_alu instid0(VALU_DEP_3) | instskip(NEXT) | instid1(VALU_DEP_3)
	v_lshlrev_b16 v138, 8, v138
	v_sub_nc_u16 v152, v152, v155
	s_delay_alu instid0(VALU_DEP_3) | instskip(SKIP_1) | instid1(VALU_DEP_2)
	v_sub_nc_u16 v15, v150, v15
	v_and_b32_e32 v150, 0xff, v142
	v_lshlrev_b16 v15, 8, v15
	s_delay_alu instid0(VALU_DEP_2) | instskip(SKIP_1) | instid1(VALU_DEP_3)
	v_or_b32_e32 v13, v150, v13
	v_and_b32_e32 v150, 0xff, v146
	v_perm_b32 v15, v15, v15, 0xc0c0c01
	s_delay_alu instid0(VALU_DEP_3) | instskip(NEXT) | instid1(VALU_DEP_3)
	v_perm_b32 v13, v13, v142, 0xc05000c
	v_or_b32_e32 v21, v150, v21
	v_and_b32_e32 v150, 0xff, v152
	s_delay_alu instid0(VALU_DEP_3) | instskip(SKIP_1) | instid1(VALU_DEP_4)
	v_or_b32_e32 v11, v13, v11
	v_lshlrev_b16 v13, 8, v19
	v_perm_b32 v21, v21, v146, 0xc05000c
	v_lshrrev_b32_e32 v19, 24, v0
	v_or_b32_e32 v138, v150, v138
	v_dot4_i32_iu8 v11, v135, v11, v145 neg_lo:[1,1,0]
	v_perm_b32 v13, v13, v13, 0xc0c0c01
	s_delay_alu instid0(VALU_DEP_4) | instskip(SKIP_2) | instid1(VALU_DEP_4)
	v_sub_nc_u16 v5, v5, v19
	v_lshrrev_b32_e32 v19, 16, v143
	v_perm_b32 v138, v138, v152, 0xc05000c
	v_or_b32_e32 v13, v21, v13
	v_lshrrev_b32_e32 v21, 16, v0
	v_lshrrev_b16 v0, 8, v0
	v_lshlrev_b16 v5, 8, v5
	v_or_b32_e32 v15, v138, v15
	v_dot4_i32_iu8 v13, v135, v13, v137 neg_lo:[1,1,0]
	v_sub_nc_u16 v19, v19, v21
	v_lshrrev_b16 v21, 8, v143
	v_lshrrev_b32_e32 v137, 16, v140
	v_dot4_i32_iu8 v15, v135, v15, v151 neg_lo:[1,1,0]
	v_lshrrev_b32_e32 v135, 16, v7
	v_lshrrev_b16 v138, 8, v140
	v_sub_nc_u16 v0, v21, v0
	v_lshrrev_b32_e32 v21, 24, v7
	v_lshrrev_b16 v7, 8, v7
	s_delay_alu instid0(VALU_DEP_3) | instskip(NEXT) | instid1(VALU_DEP_3)
	v_lshlrev_b16 v0, 8, v0
	v_sub_nc_u16 v9, v9, v21
	v_lshrrev_b32_e32 v21, 16, v153
	s_delay_alu instid0(VALU_DEP_3) | instskip(NEXT) | instid1(VALU_DEP_3)
	v_perm_b32 v0, v0, v0, 0xc0c0c01
	v_lshlrev_b16 v9, 8, v9
	s_delay_alu instid0(VALU_DEP_3) | instskip(SKIP_1) | instid1(VALU_DEP_1)
	v_sub_nc_u16 v21, v21, v135
	v_lshrrev_b16 v135, 8, v153
	v_sub_nc_u16 v7, v135, v7
	v_lshrrev_b32_e32 v135, 24, v140
	s_delay_alu instid0(VALU_DEP_1) | instskip(SKIP_1) | instid1(VALU_DEP_2)
	v_sub_nc_u16 v17, v17, v135
	v_lshrrev_b32_e32 v135, 16, v154
	v_lshlrev_b16 v17, 8, v17
	s_delay_alu instid0(VALU_DEP_2) | instskip(SKIP_1) | instid1(VALU_DEP_1)
	v_sub_nc_u16 v135, v135, v137
	v_lshrrev_b16 v137, 8, v154
	v_sub_nc_u16 v137, v137, v138
	v_and_b32_e32 v138, 0xff, v19
	s_delay_alu instid0(VALU_DEP_1) | instskip(SKIP_1) | instid1(VALU_DEP_2)
	v_or_b32_e32 v5, v138, v5
	v_and_b32_e32 v138, 0xff, v21
	v_perm_b32 v5, v5, v19, 0xc05000c
	s_delay_alu instid0(VALU_DEP_2) | instskip(SKIP_1) | instid1(VALU_DEP_3)
	v_or_b32_e32 v9, v138, v9
	v_and_b32_e32 v138, 0xff, v135
	v_or_b32_e32 v0, v5, v0
	v_lshlrev_b16 v5, 8, v7
	s_delay_alu instid0(VALU_DEP_3) | instskip(SKIP_2) | instid1(VALU_DEP_4)
	v_or_b32_e32 v17, v138, v17
	v_lshlrev_b16 v7, 8, v137
	v_perm_b32 v9, v9, v21, 0xc05000c
	v_perm_b32 v5, v5, v5, 0xc0c0c01
	s_delay_alu instid0(VALU_DEP_4) | instskip(NEXT) | instid1(VALU_DEP_4)
	v_perm_b32 v17, v17, v135, 0xc05000c
	v_perm_b32 v7, v7, v7, 0xc0c0c01
	s_delay_alu instid0(VALU_DEP_3) | instskip(SKIP_1) | instid1(VALU_DEP_3)
	v_or_b32_e32 v5, v9, v5
	v_dot4_i32_iu8 v9, v134, v0, v147 neg_lo:[1,1,0]
	v_or_b32_e32 v7, v17, v7
	v_lshrrev_b16 v0, 8, v167
	v_bfe_i32 v17, v167, 0, 8
	v_dot4_i32_iu8 v5, v134, v5, v149 neg_lo:[1,1,0]
	s_delay_alu instid0(VALU_DEP_4) | instskip(NEXT) | instid1(VALU_DEP_4)
	v_dot4_i32_iu8 v7, v134, v7, v136 neg_lo:[1,1,0]
	v_bfe_i32 v19, v0, 0, 8
	s_delay_alu instid0(VALU_DEP_4) | instskip(SKIP_1) | instid1(VALU_DEP_2)
	v_mul_lo_u32 v0, v148, v17
	v_ashrrev_i32_e32 v17, s25, v139
	v_mad_co_u64_u32 v[134:135], null, v144, v19, v[0:1]
	v_ashrrev_i32_e32 v0, s25, v14
	v_ashrrev_i32_e32 v14, s20, v20
	;; [unrolled: 1-line block ×4, first 2 shown]
	s_delay_alu instid0(VALU_DEP_4) | instskip(NEXT) | instid1(VALU_DEP_4)
	v_and_b32_e32 v20, 0x3030303, v0
	v_lshlrev_b32_e32 v14, 2, v14
	v_bfe_u32 v0, v0, 24, 2
	s_delay_alu instid0(VALU_DEP_4) | instskip(NEXT) | instid1(VALU_DEP_4)
	v_lshlrev_b32_e32 v1, 2, v1
	v_sub_nc_u16 v21, v20, v12
	s_delay_alu instid0(VALU_DEP_4) | instskip(NEXT) | instid1(VALU_DEP_3)
	v_and_b32_e32 v14, 0x4040404, v14
	v_and_b32_e32 v1, 0x4040404, v1
	s_delay_alu instid0(VALU_DEP_3) | instskip(NEXT) | instid1(VALU_DEP_1)
	v_bfe_i32 v21, v21, 0, 8
	v_mad_i32_i24 v11, v133, v21, v11
	v_and_b32_e32 v21, 0x3030303, v17
	v_bfe_u32 v17, v17, 24, 2
	s_delay_alu instid0(VALU_DEP_2) | instskip(NEXT) | instid1(VALU_DEP_1)
	v_sub_nc_u16 v22, v21, v16
	v_bfe_i32 v22, v22, 0, 8
	s_delay_alu instid0(VALU_DEP_1) | instskip(SKIP_2) | instid1(VALU_DEP_2)
	v_mad_i32_i24 v15, v133, v22, v15
	v_and_b32_e32 v22, 0x3030303, v19
	v_bfe_u32 v19, v19, 24, 2
	v_sub_nc_u16 v135, v22, v14
	s_delay_alu instid0(VALU_DEP_1) | instskip(NEXT) | instid1(VALU_DEP_1)
	v_bfe_i32 v135, v135, 0, 8
	v_mad_i32_i24 v13, v133, v135, v13
	v_and_b32_e32 v135, 0x3030303, v6
	v_ashrrev_i32_e32 v133, s20, v141
	v_bfe_u32 v6, v6, 24, 2
	s_add_co_i32 s20, s20, 1
	s_cmp_lt_u32 s22, 22
	v_sub_nc_u16 v136, v135, v1
	v_lshlrev_b32_e32 v133, 2, v133
	s_delay_alu instid0(VALU_DEP_2) | instskip(NEXT) | instid1(VALU_DEP_2)
	v_bfe_i32 v136, v136, 0, 8
	v_and_b32_e32 v133, 0x4040404, v133
	s_delay_alu instid0(VALU_DEP_2) | instskip(SKIP_2) | instid1(VALU_DEP_2)
	v_mad_i32_i24 v9, v132, v136, v9
	v_and_b32_e32 v136, 0x3030303, v10
	v_bfe_u32 v10, v10, 24, 2
	v_sub_nc_u16 v137, v136, v8
	s_delay_alu instid0(VALU_DEP_1) | instskip(NEXT) | instid1(VALU_DEP_1)
	v_bfe_i32 v137, v137, 0, 8
	v_mad_i32_i24 v5, v132, v137, v5
	v_and_b32_e32 v137, 0x3030303, v18
	s_delay_alu instid0(VALU_DEP_1) | instskip(NEXT) | instid1(VALU_DEP_1)
	v_sub_nc_u16 v138, v137, v133
	v_bfe_i32 v138, v138, 0, 8
	s_delay_alu instid0(VALU_DEP_1) | instskip(SKIP_3) | instid1(VALU_DEP_3)
	v_mad_i32_i24 v7, v132, v138, v7
	v_lshrrev_b32_e32 v132, 24, v12
	v_lshrrev_b32_e32 v138, 16, v12
	v_lshrrev_b16 v12, 8, v12
	v_sub_nc_u16 v0, v0, v132
	v_lshrrev_b32_e32 v132, 16, v20
	v_lshrrev_b16 v20, 8, v20
	s_delay_alu instid0(VALU_DEP_3) | instskip(NEXT) | instid1(VALU_DEP_3)
	v_lshlrev_b16 v0, 8, v0
	v_sub_nc_u16 v132, v132, v138
	s_delay_alu instid0(VALU_DEP_3) | instskip(SKIP_3) | instid1(VALU_DEP_4)
	v_sub_nc_u16 v12, v20, v12
	v_lshrrev_b32_e32 v20, 24, v14
	v_lshrrev_b32_e32 v138, 16, v14
	v_lshrrev_b16 v14, 8, v14
	v_lshlrev_b16 v12, 8, v12
	s_delay_alu instid0(VALU_DEP_4) | instskip(SKIP_2) | instid1(VALU_DEP_4)
	v_sub_nc_u16 v19, v19, v20
	v_lshrrev_b32_e32 v20, 16, v22
	v_lshrrev_b16 v22, 8, v22
	v_perm_b32 v12, v12, v12, 0xc0c0c01
	s_delay_alu instid0(VALU_DEP_4) | instskip(NEXT) | instid1(VALU_DEP_4)
	v_lshlrev_b16 v19, 8, v19
	v_sub_nc_u16 v20, v20, v138
	s_delay_alu instid0(VALU_DEP_4) | instskip(SKIP_3) | instid1(VALU_DEP_3)
	v_sub_nc_u16 v14, v22, v14
	v_lshrrev_b32_e32 v22, 24, v16
	v_lshrrev_b32_e32 v138, 16, v16
	v_lshrrev_b16 v16, 8, v16
	v_sub_nc_u16 v17, v17, v22
	v_lshrrev_b32_e32 v22, 16, v21
	v_lshrrev_b16 v21, 8, v21
	s_delay_alu instid0(VALU_DEP_3) | instskip(NEXT) | instid1(VALU_DEP_3)
	v_lshlrev_b16 v17, 8, v17
	v_sub_nc_u16 v22, v22, v138
	s_delay_alu instid0(VALU_DEP_3) | instskip(SKIP_1) | instid1(VALU_DEP_1)
	v_sub_nc_u16 v16, v21, v16
	v_and_b32_e32 v21, 0xff, v132
	v_or_b32_e32 v0, v21, v0
	v_and_b32_e32 v21, 0xff, v20
	s_delay_alu instid0(VALU_DEP_2) | instskip(NEXT) | instid1(VALU_DEP_2)
	v_perm_b32 v0, v0, v132, 0xc05000c
	v_or_b32_e32 v19, v21, v19
	v_and_b32_e32 v21, 0xff, v22
	s_delay_alu instid0(VALU_DEP_3) | instskip(SKIP_1) | instid1(VALU_DEP_3)
	v_or_b32_e32 v0, v0, v12
	v_lshlrev_b16 v12, 8, v14
	v_or_b32_e32 v17, v21, v17
	v_perm_b32 v19, v19, v20, 0xc05000c
	v_lshlrev_b16 v14, 8, v16
	v_dot4_i32_iu8 v0, v131, v0, v11 neg_lo:[1,1,0]
	v_perm_b32 v12, v12, v12, 0xc0c0c01
	v_perm_b32 v17, v17, v22, 0xc05000c
	v_lshrrev_b32_e32 v16, 24, v133
	v_perm_b32 v14, v14, v14, 0xc0c0c01
	s_delay_alu instid0(VALU_DEP_4) | instskip(NEXT) | instid1(VALU_DEP_2)
	v_or_b32_e32 v12, v19, v12
	v_or_b32_e32 v14, v17, v14
	v_lshrrev_b32_e32 v17, 16, v133
	s_delay_alu instid0(VALU_DEP_3) | instskip(SKIP_1) | instid1(VALU_DEP_4)
	v_dot4_i32_iu8 v12, v131, v12, v13 neg_lo:[1,1,0]
	v_lshrrev_b32_e32 v13, 24, v1
	v_dot4_i32_iu8 v11, v131, v14, v15 neg_lo:[1,1,0]
	v_lshrrev_b32_e32 v14, 16, v1
	v_lshrrev_b16 v1, 8, v1
	s_delay_alu instid0(VALU_DEP_4) | instskip(SKIP_2) | instid1(VALU_DEP_3)
	v_sub_nc_u16 v6, v6, v13
	v_lshrrev_b32_e32 v13, 16, v135
	v_lshrrev_b32_e32 v15, 16, v8
	v_lshlrev_b16 v6, 8, v6
	s_delay_alu instid0(VALU_DEP_3) | instskip(SKIP_1) | instid1(VALU_DEP_1)
	v_sub_nc_u16 v13, v13, v14
	v_lshrrev_b16 v14, 8, v135
	v_sub_nc_u16 v1, v14, v1
	v_lshrrev_b32_e32 v14, 24, v8
	v_lshrrev_b16 v8, 8, v8
	s_delay_alu instid0(VALU_DEP_3) | instskip(NEXT) | instid1(VALU_DEP_3)
	v_lshlrev_b16 v1, 8, v1
	v_sub_nc_u16 v10, v10, v14
	v_lshrrev_b32_e32 v14, 16, v136
	s_delay_alu instid0(VALU_DEP_3) | instskip(NEXT) | instid1(VALU_DEP_3)
	v_perm_b32 v1, v1, v1, 0xc0c0c01
	v_lshlrev_b16 v10, 8, v10
	s_delay_alu instid0(VALU_DEP_3) | instskip(SKIP_1) | instid1(VALU_DEP_1)
	v_sub_nc_u16 v14, v14, v15
	v_lshrrev_b16 v15, 8, v136
	v_sub_nc_u16 v8, v15, v8
	v_bfe_u32 v15, v18, 24, 2
	v_lshrrev_b16 v18, 8, v133
	s_delay_alu instid0(VALU_DEP_2) | instskip(SKIP_1) | instid1(VALU_DEP_2)
	v_sub_nc_u16 v15, v15, v16
	v_lshrrev_b32_e32 v16, 16, v137
	v_lshlrev_b16 v15, 8, v15
	s_delay_alu instid0(VALU_DEP_2) | instskip(SKIP_1) | instid1(VALU_DEP_1)
	v_sub_nc_u16 v16, v16, v17
	v_lshrrev_b16 v17, 8, v137
	v_sub_nc_u16 v17, v17, v18
	v_and_b32_e32 v18, 0xff, v13
	s_delay_alu instid0(VALU_DEP_1) | instskip(SKIP_1) | instid1(VALU_DEP_2)
	v_or_b32_e32 v6, v18, v6
	v_and_b32_e32 v18, 0xff, v14
	v_perm_b32 v6, v6, v13, 0xc05000c
	s_delay_alu instid0(VALU_DEP_2) | instskip(SKIP_1) | instid1(VALU_DEP_3)
	v_or_b32_e32 v10, v18, v10
	v_and_b32_e32 v18, 0xff, v16
	v_or_b32_e32 v1, v6, v1
	v_lshlrev_b16 v6, 8, v8
	s_delay_alu instid0(VALU_DEP_4) | instskip(NEXT) | instid1(VALU_DEP_4)
	v_perm_b32 v10, v10, v14, 0xc05000c
	v_or_b32_e32 v15, v18, v15
	v_lshlrev_b16 v8, 8, v17
	v_dot4_i32_iu8 v1, v130, v1, v9 neg_lo:[1,1,0]
	v_perm_b32 v6, v6, v6, 0xc0c0c01
	s_delay_alu instid0(VALU_DEP_4) | instskip(NEXT) | instid1(VALU_DEP_4)
	v_perm_b32 v13, v15, v16, 0xc05000c
	v_perm_b32 v8, v8, v8, 0xc0c0c01
	s_delay_alu instid0(VALU_DEP_3) | instskip(NEXT) | instid1(VALU_DEP_2)
	v_or_b32_e32 v6, v10, v6
	v_or_b32_e32 v8, v13, v8
	s_delay_alu instid0(VALU_DEP_2) | instskip(SKIP_1) | instid1(VALU_DEP_3)
	v_dot4_i32_iu8 v5, v130, v6, v5 neg_lo:[1,1,0]
	v_add_nc_u32_e32 v6, s21, v98
	v_dot4_i32_iu8 v7, v130, v8, v7 neg_lo:[1,1,0]
	v_add_nc_u32_e32 v8, s21, v96
	s_mov_b32 s21, s22
	ds_load_u16 v6, v6 offset:25330
	ds_load_u16 v8, v8 offset:27378
	s_wait_dscnt 0x1
	v_lshrrev_b16 v9, 8, v6
	v_bfe_i32 v6, v6, 0, 8
	s_delay_alu instid0(VALU_DEP_2) | instskip(NEXT) | instid1(VALU_DEP_2)
	v_bfe_i32 v9, v9, 0, 8
	v_mul_lo_u32 v0, v0, v6
	v_bfe_i32 v6, v166, 0, 8
	s_delay_alu instid0(VALU_DEP_2) | instskip(SKIP_3) | instid1(VALU_DEP_2)
	v_mad_co_u64_u32 v[0:1], null, v1, v9, v[0:1]
	v_lshrrev_b16 v1, 8, v166
	s_wait_dscnt 0x0
	v_bfe_i32 v9, v8, 0, 8
	v_bfe_i32 v10, v1, 0, 8
	v_mul_lo_u32 v1, v11, v6
	v_cvt_f32_i32_e32 v0, v0
	s_delay_alu instid0(VALU_DEP_2) | instskip(SKIP_4) | instid1(VALU_DEP_3)
	v_mad_co_u64_u32 v[5:6], null, v5, v10, v[1:2]
	ds_load_b32 v10, v129
	v_lshrrev_b16 v6, 8, v8
	v_mul_lo_u32 v1, v12, v9
	v_add_nc_u32_e32 v129, 4, v129
	v_bfe_i32 v6, v6, 0, 8
	v_cvt_f32_i32_e32 v5, v5
	s_delay_alu instid0(VALU_DEP_2) | instskip(NEXT) | instid1(VALU_DEP_1)
	v_mad_co_u64_u32 v[6:7], null, v7, v6, v[1:2]
	v_cvt_f32_i32_e32 v6, v6
	s_wait_dscnt 0x0
	v_mul_f32_e32 v1, v10, v159
	v_mul_f32_e32 v7, v10, v165
	;; [unrolled: 1-line block ×4, first 2 shown]
	v_cvt_f32_i32_e32 v10, v134
	v_fmac_f32_e32 v25, v1, v0
	s_delay_alu instid0(VALU_DEP_4) | instskip(NEXT) | instid1(VALU_DEP_3)
	v_dual_fmac_f32 v87, v7, v5 :: v_dual_fmac_f32 v86, v8, v6
	v_fmac_f32_e32 v2, v9, v10
	s_cbranch_scc1 .LBB209_27
; %bb.28:                               ;   in Loop: Header=BB209_5 Depth=1
	s_or_b32 s1, s16, 0x180
	s_wait_loadcnt 0x0
	s_wait_alu 0xfffe
	s_cmp_ge_i32 s1, s11
	s_barrier_signal -1
	s_barrier_wait -1
	global_inv scope:SCOPE_SE
	s_cbranch_scc1 .LBB209_4
; %bb.29:                               ;   in Loop: Header=BB209_5 Depth=1
	v_add_nc_u32_e32 v0, s17, v90
	s_delay_alu instid0(VALU_DEP_1)
	v_cmp_gt_i32_e64 s1, s5, v0
	s_and_b32 s16, s0, s1
	s_wait_alu 0xfffe
	s_and_saveexec_b32 s1, s16
	s_cbranch_execz .LBB209_31
; %bb.30:                               ;   in Loop: Header=BB209_5 Depth=1
	v_add_nc_u32_e32 v0, v91, v0
	s_delay_alu instid0(VALU_DEP_1)
	v_mad_co_i64_i32 v[0:1], null, v0, 36, v[3:4]
	global_load_b32 v0, v[0:1], off offset:4
	s_wait_loadcnt 0x0
	ds_store_b32 v84, v0
.LBB209_31:                             ;   in Loop: Header=BB209_5 Depth=1
	s_wait_alu 0xfffe
	s_or_b32 exec_lo, exec_lo, s1
	s_and_saveexec_b32 s16, vcc_lo
	s_cbranch_execz .LBB209_34
; %bb.32:                               ;   in Loop: Header=BB209_5 Depth=1
	v_or_b32_e32 v0, 12, v127
	s_delay_alu instid0(VALU_DEP_1)
	v_cmp_gt_i32_e64 s1, s5, v0
	s_and_b32 s1, s0, s1
	s_wait_alu 0xfffe
	s_and_b32 exec_lo, exec_lo, s1
	s_cbranch_execz .LBB209_34
; %bb.33:                               ;   in Loop: Header=BB209_5 Depth=1
	v_ashrrev_i32_e32 v0, 31, v127
	v_add_co_u32 v1, s1, v91, v127
	s_wait_alu 0xf1ff
	s_delay_alu instid0(VALU_DEP_2) | instskip(NEXT) | instid1(VALU_DEP_2)
	v_add_co_ci_u32_e64 v5, null, v94, v0, s1
	v_mad_co_u64_u32 v[0:1], null, v1, 36, s[2:3]
	s_delay_alu instid0(VALU_DEP_1)
	v_mad_i32_i24 v1, v5, 36, v1
	global_load_b32 v0, v[0:1], off offset:432
	s_wait_loadcnt 0x0
	v_cvt_f32_f16_e32 v0, v0
	ds_store_b32 v85, v0
.LBB209_34:                             ;   in Loop: Header=BB209_5 Depth=1
	s_wait_alu 0xfffe
	s_or_b32 exec_lo, exec_lo, s16
	v_dual_mov_b32 v127, v82 :: v_dual_mov_b32 v128, v83
	s_mov_b32 s1, 24
	s_mov_b32 s17, 22
	;; [unrolled: 1-line block ×3, first 2 shown]
	s_wait_loadcnt_dscnt 0x0
	s_barrier_signal -1
	s_barrier_wait -1
	global_inv scope:SCOPE_SE
.LBB209_35:                             ;   Parent Loop BB209_5 Depth=1
                                        ; =>  This Inner Loop Header: Depth=2
	ds_load_b128 v[5:8], v127
	ds_load_b128 v[16:19], v127 offset:16
	s_wait_alu 0xfffe
	s_add_co_i32 s20, s17, 2
	s_and_b32 s24, s1, -16
	s_wait_alu 0xfffe
	s_and_b32 s23, s20, 0x3ffffff8
	s_lshr_b32 s22, s20, 4
	s_wait_alu 0xfffe
	v_lshl_add_u32 v139, s23, 2, v92
	s_lshl_b32 s21, s22, 5
	s_sub_co_i32 s23, s17, 22
	s_add_co_i32 s17, s17, s24
	s_wait_alu 0xfffe
	s_addk_co_i32 s21, 0x4200
	v_add_nc_u32_e32 v0, 0x3188, v139
	v_add_nc_u32_e32 v20, s17, v93
	s_lshl_b32 s22, s22, 2
	v_add_nc_u32_e32 v22, 0x3198, v139
	s_wait_alu 0xfffe
	s_addk_co_i32 s22, 0x7380
	v_add3_u32 v179, s21, v111, v112
	v_add3_u32 v181, s21, v114, v115
	;; [unrolled: 1-line block ×3, first 2 shown]
	v_add_nc_u32_e32 v127, 32, v127
	s_wait_dscnt 0x1
	v_lshrrev_b16 v154, 8, v5
	s_wait_dscnt 0x0
	v_lshrrev_b16 v160, 8, v16
	v_lshrrev_b16 v159, 8, v17
	v_ashrrev_i32_e32 v15, 24, v16
	v_bfe_i32 v13, v16, 16, 8
	v_bfe_i32 v161, v16, 0, 8
	v_perm_b32 v144, v16, v16, 0xc0c0302
	v_ashrrev_i32_e32 v16, 24, v17
	v_bfe_i32 v14, v17, 16, 8
	v_bfe_i32 v141, v17, 0, 8
	v_perm_b32 v137, v17, v17, 0xc030201
	v_add3_u32 v17, s21, v122, v123
	v_lshrrev_b16 v151, 8, v6
	v_lshrrev_b16 v150, 8, v7
	;; [unrolled: 1-line block ×3, first 2 shown]
	v_ashrrev_i32_e32 v11, 24, v5
	v_bfe_i32 v9, v5, 16, 8
	v_bfe_i32 v155, v5, 0, 8
	v_perm_b32 v148, v5, v5, 0xc0c0302
	v_ashrrev_i32_e32 v12, 24, v6
	v_bfe_i32 v10, v6, 16, 8
	v_bfe_i32 v142, v6, 0, 8
	v_perm_b32 v138, v6, v6, 0xc030201
	;; [unrolled: 4-line block ×4, first 2 shown]
	v_lshrrev_b16 v158, 8, v18
	v_lshrrev_b16 v143, 8, v19
	v_ashrrev_i32_e32 v152, 24, v18
	v_bfe_i32 v156, v18, 16, 8
	v_bfe_i32 v135, v18, 0, 8
	v_perm_b32 v133, v18, v18, 0xc030201
	v_ashrrev_i32_e32 v153, 24, v19
	v_bfe_i32 v157, v19, 16, 8
	v_bfe_i32 v131, v19, 0, 8
	v_perm_b32 v129, v19, v19, 0xc030201
	ds_load_2addr_b32 v[0:1], v0 offset1:1
	ds_load_2addr_b32 v[18:19], v17 offset0:4 offset1:5
	ds_load_2addr_b32 v[7:8], v17 offset0:6 offset1:7
	;; [unrolled: 1-line block ×3, first 2 shown]
	ds_load_u16 v166, v20 offset:28402
	s_wait_alu 0xfffe
	v_add3_u32 v20, s22, v124, v125
	v_bfe_i32 v160, v160, 0, 8
	v_bfe_i32 v159, v159, 0, 8
	;; [unrolled: 1-line block ×4, first 2 shown]
	ds_load_b32 v162, v20
	v_add_nc_u32_e32 v20, 0x3190, v139
	ds_load_2addr_b32 v[20:21], v20 offset1:1
	ds_load_2addr_b32 v[163:164], v22 offset1:1
	v_bfe_i32 v151, v151, 0, 8
	v_bfe_i32 v150, v150, 0, 8
	;; [unrolled: 1-line block ×3, first 2 shown]
	s_wait_dscnt 0x7
	v_ashrrev_i32_e32 v202, s23, v0
	s_wait_dscnt 0x6
	v_ashrrev_i32_e32 v19, s16, v19
	v_ashrrev_i32_e32 v18, s16, v18
	s_wait_dscnt 0x5
	v_ashrrev_i32_e32 v7, s16, v7
	v_ashrrev_i32_e32 v8, s16, v8
	v_ashrrev_i32_e32 v203, s23, v1
	v_lshlrev_b32_e32 v19, 2, v19
	v_lshlrev_b32_e32 v18, 2, v18
	;; [unrolled: 1-line block ×4, first 2 shown]
	s_wait_dscnt 0x4
	v_ashrrev_i32_e32 v5, s16, v5
	v_and_b32_e32 v19, 0x4040404, v19
	v_and_b32_e32 v18, 0x4040404, v18
	;; [unrolled: 1-line block ×4, first 2 shown]
	s_wait_dscnt 0x1
	v_ashrrev_i32_e32 v21, s23, v21
	v_ashrrev_i32_e32 v20, s23, v20
	v_lshrrev_b32_e32 v165, 24, v19
	v_lshrrev_b32_e32 v167, 24, v18
	s_wait_dscnt 0x0
	v_ashrrev_i32_e32 v189, s23, v163
	v_bfe_u32 v22, v21, 24, 2
	v_and_b32_e32 v21, 0x3030303, v21
	v_ashrrev_i32_e32 v190, s23, v164
	v_ashrrev_i32_e32 v6, s16, v6
	v_and_b32_e32 v193, 0x3030303, v189
	v_sub_nc_u16 v22, v22, v165
	v_bfe_u32 v165, v20, 24, 2
	v_and_b32_e32 v20, 0x3030303, v20
	v_and_b32_e32 v194, 0x3030303, v190
	v_sub_nc_u16 v7, v193, v191
	v_bfe_i32 v22, v22, 0, 16
	v_sub_nc_u16 v165, v165, v167
	v_and_b32_e32 v206, 0x3030303, v202
	v_sub_nc_u16 v8, v194, v192
	v_bfe_i32 v7, v7, 0, 8
	v_mul_i32_i24_e32 v16, v22, v16
	v_bfe_i32 v22, v165, 0, 16
	v_and_b32_e32 v207, 0x3030303, v203
	v_bfe_i32 v8, v8, 0, 8
	v_mul_i32_i24_e32 v7, v7, v135
	v_lshrrev_b16 v213, 8, v191
	v_mad_i32_i24 v187, v22, v15, v16
	v_lshrrev_b32_e32 v15, 16, v21
	v_lshrrev_b32_e32 v16, 16, v19
	;; [unrolled: 1-line block ×3, first 2 shown]
	v_mul_i32_i24_e32 v8, v8, v131
	v_bfe_i32 v140, v140, 0, 8
	s_add_co_i32 s1, s1, 2
	v_sub_nc_u16 v15, v15, v16
	v_lshrrev_b32_e32 v16, 16, v20
	s_delay_alu instid0(VALU_DEP_2) | instskip(NEXT) | instid1(VALU_DEP_2)
	v_bfe_i32 v15, v15, 0, 8
	v_sub_nc_u16 v16, v16, v22
	s_delay_alu instid0(VALU_DEP_2) | instskip(NEXT) | instid1(VALU_DEP_2)
	v_mul_i32_i24_e32 v14, v15, v14
	v_bfe_i32 v15, v16, 0, 8
	s_delay_alu instid0(VALU_DEP_1) | instskip(SKIP_4) | instid1(VALU_DEP_4)
	v_mad_i32_i24 v188, v15, v13, v14
	v_sub_nc_u16 v13, v21, v19
	v_sub_nc_u16 v14, v20, v18
	v_add3_u32 v15, s22, v120, v121
	v_lshrrev_b16 v18, 8, v18
	v_bfe_i32 v13, v13, 0, 8
	s_delay_alu instid0(VALU_DEP_4) | instskip(NEXT) | instid1(VALU_DEP_2)
	v_bfe_i32 v14, v14, 0, 8
	v_mul_i32_i24_e32 v13, v13, v141
	s_delay_alu instid0(VALU_DEP_1) | instskip(NEXT) | instid1(VALU_DEP_1)
	v_mad_i32_i24 v13, v14, v161, v13
	v_add3_u32 v195, v13, v7, v8
	v_add_nc_u32_e32 v13, 0x3180, v139
	ds_load_2addr_b32 v[7:8], v17 offset1:1
	ds_load_2addr_b32 v[13:14], v13 offset1:1
	ds_load_b32 v163, v15
	s_wait_dscnt 0x2
	v_ashrrev_i32_e32 v8, s16, v8
	v_ashrrev_i32_e32 v7, s16, v7
	s_wait_dscnt 0x1
	v_ashrrev_i32_e32 v14, s23, v14
	v_ashrrev_i32_e32 v13, s23, v13
	v_lshlrev_b32_e32 v8, 2, v8
	v_lshlrev_b32_e32 v7, 2, v7
	s_delay_alu instid0(VALU_DEP_4) | instskip(NEXT) | instid1(VALU_DEP_4)
	v_and_b32_e32 v199, 0x3030303, v14
	v_and_b32_e32 v200, 0x3030303, v13
	s_delay_alu instid0(VALU_DEP_4) | instskip(NEXT) | instid1(VALU_DEP_4)
	v_and_b32_e32 v196, 0x4040404, v8
	v_and_b32_e32 v197, 0x4040404, v7
	v_bfe_u32 v8, v14, 24, 2
	v_bfe_u32 v7, v13, 24, 2
	s_delay_alu instid0(VALU_DEP_4) | instskip(NEXT) | instid1(VALU_DEP_4)
	v_sub_nc_u16 v0, v199, v196
	v_sub_nc_u16 v1, v200, v197
	v_lshrrev_b32_e32 v15, 24, v196
	s_delay_alu instid0(VALU_DEP_3) | instskip(NEXT) | instid1(VALU_DEP_3)
	v_bfe_i32 v0, v0, 0, 8
	v_bfe_i32 v1, v1, 0, 8
	s_delay_alu instid0(VALU_DEP_3) | instskip(SKIP_1) | instid1(VALU_DEP_4)
	v_sub_nc_u16 v8, v8, v15
	v_lshrrev_b32_e32 v15, 24, v197
	v_mul_i32_i24_e32 v0, v0, v142
	s_delay_alu instid0(VALU_DEP_3) | instskip(NEXT) | instid1(VALU_DEP_3)
	v_bfe_i32 v8, v8, 0, 16
	v_sub_nc_u16 v7, v7, v15
	s_delay_alu instid0(VALU_DEP_3) | instskip(SKIP_4) | instid1(VALU_DEP_4)
	v_mad_i32_i24 v0, v1, v155, v0
	v_lshlrev_b32_e32 v1, 2, v5
	v_lshlrev_b32_e32 v5, 2, v6
	v_mul_i32_i24_e32 v8, v8, v12
	v_bfe_i32 v7, v7, 0, 16
	v_and_b32_e32 v204, 0x4040404, v1
	s_delay_alu instid0(VALU_DEP_4) | instskip(NEXT) | instid1(VALU_DEP_3)
	v_and_b32_e32 v205, 0x4040404, v5
	v_mad_i32_i24 v198, v7, v11, v8
	v_lshrrev_b32_e32 v7, 16, v199
	s_delay_alu instid0(VALU_DEP_4) | instskip(NEXT) | instid1(VALU_DEP_4)
	v_sub_nc_u16 v1, v206, v204
	v_sub_nc_u16 v5, v207, v205
	v_lshrrev_b32_e32 v8, 16, v196
	v_lshrrev_b32_e32 v11, 16, v197
	v_lshrrev_b16 v197, 8, v197
	v_bfe_i32 v1, v1, 0, 8
	v_bfe_i32 v5, v5, 0, 8
	v_sub_nc_u16 v7, v7, v8
	v_lshrrev_b32_e32 v8, 16, v200
	v_lshrrev_b16 v200, 8, v200
	v_mul_i32_i24_e32 v1, v1, v136
	v_mul_i32_i24_e32 v5, v5, v132
	v_bfe_i32 v7, v7, 0, 8
	v_sub_nc_u16 v8, v8, v11
	v_lshrrev_b16 v199, 8, v199
	v_lshrrev_b16 v196, 8, v196
	v_add3_u32 v208, v0, v1, v5
	ds_load_2addr_b32 v[167:168], v179 offset0:4 offset1:5
	ds_load_2addr_b32 v[0:1], v179 offset0:6 offset1:7
	ds_load_2addr_b32 v[11:12], v179 offset0:2 offset1:3
	v_mul_i32_i24_e32 v7, v7, v10
	v_bfe_i32 v8, v8, 0, 8
	v_add_nc_u32_e32 v10, 0x1098, v139
	v_sub_nc_u16 v197, v200, v197
	v_sub_nc_u16 v196, v199, v196
	v_lshrrev_b16 v199, 8, v206
	v_mad_i32_i24 v201, v8, v9, v7
	v_lshrrev_b16 v200, 8, v204
	v_bfe_i32 v197, v197, 0, 16
	v_bfe_i32 v196, v196, 0, 16
	s_delay_alu instid0(VALU_DEP_3) | instskip(NEXT) | instid1(VALU_DEP_2)
	v_sub_nc_u16 v199, v199, v200
	v_mul_i32_i24_e32 v151, v196, v151
	s_wait_dscnt 0x2
	v_ashrrev_i32_e32 v5, s16, v167
	s_delay_alu instid0(VALU_DEP_3)
	v_bfe_i32 v196, v199, 0, 16
	s_wait_dscnt 0x0
	v_ashrrev_i32_e32 v11, s16, v11
	v_ashrrev_i32_e32 v0, s16, v0
	;; [unrolled: 1-line block ×3, first 2 shown]
	v_lshlrev_b32_e32 v5, 2, v5
	v_mul_i32_i24_e32 v150, v196, v150
	v_lshlrev_b32_e32 v11, 2, v11
	v_lshlrev_b32_e32 v0, 2, v0
	;; [unrolled: 1-line block ×3, first 2 shown]
	v_and_b32_e32 v167, 0x4040404, v5
	ds_load_2addr_b32 v[169:170], v139 offset0:4 offset1:5
	ds_load_2addr_b32 v[5:6], v139 offset0:6 offset1:7
	;; [unrolled: 1-line block ×3, first 2 shown]
	v_and_b32_e32 v11, 0x4040404, v11
	v_and_b32_e32 v0, 0x4040404, v0
	;; [unrolled: 1-line block ×3, first 2 shown]
	v_lshrrev_b16 v8, 8, v167
	s_wait_dscnt 0x2
	v_ashrrev_i32_e32 v169, s23, v169
	s_wait_dscnt 0x1
	v_ashrrev_i32_e32 v5, s23, v5
	s_wait_dscnt 0x0
	v_ashrrev_i32_e32 v13, s23, v13
	v_ashrrev_i32_e32 v6, s23, v6
	v_and_b32_e32 v209, 0x3030303, v169
	s_delay_alu instid0(VALU_DEP_1) | instskip(NEXT) | instid1(VALU_DEP_1)
	v_lshrrev_b16 v7, 8, v209
	v_sub_nc_u16 v180, v7, v8
	v_add_nc_u32_e32 v7, s17, v97
	s_delay_alu instid0(VALU_DEP_2)
	v_lshlrev_b16 v180, 8, v180
	ds_load_u16 v165, v7 offset:26354
	v_add3_u32 v7, s22, v116, v117
	v_bfe_i32 v180, v180, 8, 8
	ds_load_b32 v164, v7
	ds_load_2addr_b32 v[171:172], v181 offset0:4 offset1:5
	ds_load_2addr_b32 v[7:8], v181 offset0:6 offset1:7
	;; [unrolled: 1-line block ×3, first 2 shown]
	s_wait_dscnt 0x2
	v_ashrrev_i32_e32 v9, s16, v171
	s_wait_dscnt 0x1
	v_ashrrev_i32_e32 v7, s16, v7
	;; [unrolled: 2-line block ×3, first 2 shown]
	v_ashrrev_i32_e32 v16, s16, v16
	v_ashrrev_i32_e32 v8, s16, v8
	v_lshlrev_b32_e32 v9, 2, v9
	v_lshlrev_b32_e32 v7, 2, v7
	v_lshlrev_b32_e32 v15, 2, v15
	v_lshlrev_b32_e32 v16, 2, v16
	v_lshlrev_b32_e32 v8, 2, v8
	v_and_b32_e32 v171, 0x4040404, v9
	v_add_nc_u32_e32 v9, 0x1090, v139
	ds_load_2addr_b32 v[173:174], v9 offset1:1
	ds_load_2addr_b32 v[9:10], v10 offset1:1
	v_lshrrev_b16 v22, 8, v171
	v_and_b32_e32 v15, 0x4040404, v15
	v_and_b32_e32 v7, 0x4040404, v7
	;; [unrolled: 1-line block ×4, first 2 shown]
	s_wait_dscnt 0x1
	v_ashrrev_i32_e32 v173, s23, v173
	s_wait_dscnt 0x0
	v_ashrrev_i32_e32 v9, s23, v9
	v_ashrrev_i32_e32 v10, s23, v10
	s_delay_alu instid0(VALU_DEP_3) | instskip(NEXT) | instid1(VALU_DEP_1)
	v_and_b32_e32 v210, 0x3030303, v173
	v_lshrrev_b16 v17, 8, v210
	v_sub_nc_u16 v214, v210, v171
	s_delay_alu instid0(VALU_DEP_2) | instskip(SKIP_1) | instid1(VALU_DEP_3)
	v_sub_nc_u16 v182, v17, v22
	v_lshrrev_b16 v17, 8, v20
	v_bfe_i32 v214, v214, 0, 8
	s_delay_alu instid0(VALU_DEP_2)
	v_sub_nc_u16 v183, v17, v18
	v_lshrrev_b16 v18, 8, v19
	ds_load_2addr_b32 v[175:176], v211 offset0:4 offset1:5
	ds_load_2addr_b32 v[19:20], v211 offset0:2 offset1:3
	v_lshrrev_b16 v17, 8, v21
	v_add_nc_u32_e32 v21, 0x2108, v139
	v_mul_i32_i24_e32 v214, v161, v214
	s_delay_alu instid0(VALU_DEP_3)
	v_sub_nc_u16 v184, v17, v18
	v_add_nc_u32_e32 v18, 0x2118, v139
	s_wait_dscnt 0x1
	v_ashrrev_i32_e32 v17, s16, v175
	s_wait_dscnt 0x0
	v_ashrrev_i32_e32 v19, s16, v19
	s_delay_alu instid0(VALU_DEP_2) | instskip(NEXT) | instid1(VALU_DEP_2)
	v_lshlrev_b32_e32 v17, 2, v17
	v_lshlrev_b32_e32 v19, 2, v19
	s_delay_alu instid0(VALU_DEP_2)
	v_and_b32_e32 v175, 0x4040404, v17
	v_add_nc_u32_e32 v17, 0x2110, v139
	ds_load_2addr_b32 v[177:178], v17 offset1:1
	ds_load_2addr_b32 v[17:18], v18 offset1:1
	;; [unrolled: 1-line block ×3, first 2 shown]
	v_lshrrev_b16 v186, 8, v175
	v_and_b32_e32 v19, 0x4040404, v19
	s_wait_dscnt 0x2
	v_ashrrev_i32_e32 v177, s23, v177
	s_wait_dscnt 0x1
	v_ashrrev_i32_e32 v17, s23, v17
	;; [unrolled: 2-line block ×3, first 2 shown]
	v_ashrrev_i32_e32 v18, s23, v18
	v_and_b32_e32 v212, 0x3030303, v177
	s_delay_alu instid0(VALU_DEP_1) | instskip(SKIP_1) | instid1(VALU_DEP_2)
	v_lshrrev_b16 v185, 8, v212
	v_sub_nc_u16 v215, v212, v175
	v_sub_nc_u16 v185, v185, v186
	v_lshrrev_b16 v186, 8, v193
	s_delay_alu instid0(VALU_DEP_3) | instskip(NEXT) | instid1(VALU_DEP_2)
	v_bfe_i32 v215, v215, 0, 8
	v_sub_nc_u16 v186, v186, v213
	v_sub_nc_u16 v213, v209, v167
	s_delay_alu instid0(VALU_DEP_1) | instskip(NEXT) | instid1(VALU_DEP_1)
	v_bfe_i32 v213, v213, 0, 8
	v_mul_i32_i24_e32 v213, v161, v213
	v_mul_i32_i24_e32 v161, v161, v215
	s_delay_alu instid0(VALU_DEP_2) | instskip(SKIP_2) | instid1(VALU_DEP_2)
	v_mad_i32_i24 v213, v160, v180, v213
	v_lshlrev_b16 v180, 8, v182
	v_add_nc_u32_e32 v182, 0x1080, v139
	v_bfe_i32 v180, v180, 8, 8
	s_delay_alu instid0(VALU_DEP_1) | instskip(SKIP_1) | instid1(VALU_DEP_1)
	v_mad_i32_i24 v214, v160, v180, v214
	v_lshlrev_b16 v180, 8, v185
	v_bfe_i32 v180, v180, 8, 8
	s_delay_alu instid0(VALU_DEP_1) | instskip(SKIP_1) | instid1(VALU_DEP_1)
	v_mad_i32_i24 v215, v160, v180, v161
	v_bfe_i32 v161, v183, 0, 16
	v_mul_i32_i24_e32 v160, v161, v160
	v_bfe_i32 v161, v184, 0, 16
	s_delay_alu instid0(VALU_DEP_1) | instskip(SKIP_1) | instid1(VALU_DEP_1)
	v_mul_i32_i24_e32 v159, v161, v159
	v_bfe_i32 v161, v186, 0, 16
	v_mul_i32_i24_e32 v158, v161, v158
	s_delay_alu instid0(VALU_DEP_1)
	v_add3_u32 v216, v160, v159, v158
	ds_load_2addr_b32 v[158:159], v179 offset1:1
	ds_load_2addr_b32 v[160:161], v139 offset1:1
	s_wait_dscnt 0x1
	v_ashrrev_i32_e32 v158, s16, v158
	s_wait_dscnt 0x0
	v_ashrrev_i32_e32 v160, s23, v160
	s_delay_alu instid0(VALU_DEP_2) | instskip(NEXT) | instid1(VALU_DEP_2)
	v_lshlrev_b32_e32 v158, 2, v158
	v_and_b32_e32 v218, 0x3030303, v160
	s_delay_alu instid0(VALU_DEP_2) | instskip(NEXT) | instid1(VALU_DEP_2)
	v_and_b32_e32 v217, 0x4040404, v158
	v_lshrrev_b16 v158, 8, v218
	s_delay_alu instid0(VALU_DEP_2) | instskip(SKIP_1) | instid1(VALU_DEP_2)
	v_lshrrev_b16 v179, 8, v217
	v_sub_nc_u16 v200, v218, v217
	v_sub_nc_u16 v219, v158, v179
	v_add3_u32 v158, s22, v126, v113
	s_delay_alu instid0(VALU_DEP_3) | instskip(NEXT) | instid1(VALU_DEP_3)
	v_bfe_i32 v200, v200, 0, 8
	v_lshlrev_b16 v219, 8, v219
	ds_load_b32 v158, v158
	ds_load_2addr_b32 v[179:180], v181 offset1:1
	ds_load_2addr_b32 v[181:182], v182 offset1:1
	v_mul_i32_i24_e32 v200, v155, v200
	v_bfe_i32 v219, v219, 8, 8
	s_delay_alu instid0(VALU_DEP_1) | instskip(SKIP_4) | instid1(VALU_DEP_2)
	v_mad_i32_i24 v200, v154, v219, v200
	s_wait_dscnt 0x1
	v_ashrrev_i32_e32 v179, s16, v179
	s_wait_dscnt 0x0
	v_ashrrev_i32_e32 v181, s23, v181
	v_lshlrev_b32_e32 v179, 2, v179
	s_delay_alu instid0(VALU_DEP_2) | instskip(NEXT) | instid1(VALU_DEP_2)
	v_and_b32_e32 v220, 0x3030303, v181
	v_and_b32_e32 v179, 0x4040404, v179
	s_delay_alu instid0(VALU_DEP_2) | instskip(NEXT) | instid1(VALU_DEP_2)
	v_lshrrev_b16 v183, 8, v220
	v_lshrrev_b16 v184, 8, v179
	s_delay_alu instid0(VALU_DEP_1) | instskip(SKIP_4) | instid1(VALU_DEP_1)
	v_sub_nc_u16 v221, v183, v184
	v_add_nc_u32_e32 v183, 0x2100, v139
	ds_load_2addr_b32 v[183:184], v183 offset1:1
	ds_load_2addr_b32 v[185:186], v211 offset1:1
	v_lshlrev_b16 v219, 8, v221
	v_bfe_i32 v219, v219, 8, 8
	s_wait_dscnt 0x1
	v_ashrrev_i32_e32 v183, s23, v183
	s_wait_dscnt 0x0
	v_ashrrev_i32_e32 v185, s16, v185
	s_delay_alu instid0(VALU_DEP_2) | instskip(NEXT) | instid1(VALU_DEP_2)
	v_and_b32_e32 v222, 0x3030303, v183
	v_lshlrev_b32_e32 v185, 2, v185
	s_delay_alu instid0(VALU_DEP_2) | instskip(NEXT) | instid1(VALU_DEP_2)
	v_lshrrev_b16 v223, 8, v222
	v_and_b32_e32 v185, 0x4040404, v185
	s_delay_alu instid0(VALU_DEP_1) | instskip(SKIP_1) | instid1(VALU_DEP_2)
	v_lshrrev_b16 v224, 8, v185
	v_sub_nc_u16 v225, v222, v185
	v_sub_nc_u16 v223, v223, v224
	;; [unrolled: 1-line block ×3, first 2 shown]
	s_delay_alu instid0(VALU_DEP_3) | instskip(NEXT) | instid1(VALU_DEP_3)
	v_bfe_i32 v225, v225, 0, 8
	v_lshlrev_b16 v221, 8, v223
	s_delay_alu instid0(VALU_DEP_3) | instskip(NEXT) | instid1(VALU_DEP_2)
	v_bfe_i32 v224, v224, 0, 8
	v_bfe_i32 v221, v221, 8, 8
	s_delay_alu instid0(VALU_DEP_2) | instskip(SKIP_1) | instid1(VALU_DEP_2)
	v_mul_i32_i24_e32 v224, v155, v224
	v_mul_i32_i24_e32 v155, v155, v225
	v_mad_i32_i24 v219, v154, v219, v224
	s_delay_alu instid0(VALU_DEP_2) | instskip(SKIP_1) | instid1(VALU_DEP_1)
	v_mad_i32_i24 v155, v154, v221, v155
	v_mul_i32_i24_e32 v154, v197, v154
	v_add3_u32 v150, v154, v151, v150
	v_lshrrev_b32_e32 v151, 16, v193
	v_lshrrev_b32_e32 v154, 16, v191
	;; [unrolled: 1-line block ×3, first 2 shown]
	s_delay_alu instid0(VALU_DEP_2) | instskip(SKIP_1) | instid1(VALU_DEP_2)
	v_sub_nc_u16 v151, v151, v154
	v_lshrrev_b32_e32 v154, 16, v194
	v_bfe_i32 v151, v151, 0, 8
	s_delay_alu instid0(VALU_DEP_2) | instskip(NEXT) | instid1(VALU_DEP_2)
	v_sub_nc_u16 v154, v154, v193
	v_mul_i32_i24_e32 v151, v151, v156
	s_delay_alu instid0(VALU_DEP_2) | instskip(SKIP_1) | instid1(VALU_DEP_2)
	v_bfe_i32 v154, v154, 0, 8
	v_lshrrev_b32_e32 v156, 24, v191
	v_mul_i32_i24_e32 v154, v154, v157
	v_lshrrev_b32_e32 v157, 24, v192
	s_delay_alu instid0(VALU_DEP_2) | instskip(SKIP_1) | instid1(VALU_DEP_1)
	v_add3_u32 v151, v188, v151, v154
	v_bfe_u32 v154, v189, 24, 2
	v_sub_nc_u16 v154, v154, v156
	v_bfe_u32 v156, v190, 24, 2
	s_delay_alu instid0(VALU_DEP_2) | instskip(NEXT) | instid1(VALU_DEP_2)
	v_bfe_i32 v154, v154, 0, 16
	v_sub_nc_u16 v156, v156, v157
	v_lshrrev_b32_e32 v157, 24, v179
	s_delay_alu instid0(VALU_DEP_3) | instskip(NEXT) | instid1(VALU_DEP_3)
	v_mul_i32_i24_e32 v152, v154, v152
	v_bfe_i32 v154, v156, 0, 16
	v_lshrrev_b32_e32 v156, 16, v217
	s_delay_alu instid0(VALU_DEP_2) | instskip(SKIP_1) | instid1(VALU_DEP_2)
	v_mul_i32_i24_e32 v153, v154, v153
	v_lshrrev_b32_e32 v154, 24, v217
	v_add3_u32 v152, v187, v152, v153
	v_bfe_u32 v153, v160, 24, 2
	v_lshrrev_b32_e32 v160, 16, v179
	v_lshrrev_b32_e32 v179, 24, v185
	s_delay_alu instid0(VALU_DEP_3) | instskip(SKIP_1) | instid1(VALU_DEP_2)
	v_sub_nc_u16 v153, v153, v154
	v_lshrrev_b32_e32 v154, 16, v218
	v_lshlrev_b16 v153, 8, v153
	s_delay_alu instid0(VALU_DEP_2) | instskip(SKIP_2) | instid1(VALU_DEP_2)
	v_sub_nc_u16 v154, v154, v156
	v_bfe_u32 v156, v181, 24, 2
	v_lshrrev_b32_e32 v181, 16, v185
	v_sub_nc_u16 v156, v156, v157
	v_lshrrev_b32_e32 v157, 16, v220
	s_delay_alu instid0(VALU_DEP_2) | instskip(NEXT) | instid1(VALU_DEP_2)
	v_lshlrev_b16 v156, 8, v156
	v_sub_nc_u16 v157, v157, v160
	v_bfe_u32 v160, v183, 24, 2
	s_delay_alu instid0(VALU_DEP_1) | instskip(SKIP_1) | instid1(VALU_DEP_2)
	v_sub_nc_u16 v160, v160, v179
	v_lshrrev_b32_e32 v179, 16, v222
	v_lshlrev_b16 v160, 8, v160
	s_delay_alu instid0(VALU_DEP_2) | instskip(SKIP_1) | instid1(VALU_DEP_1)
	v_sub_nc_u16 v179, v179, v181
	v_and_b32_e32 v181, 0xff, v154
	v_or_b32_e32 v153, v181, v153
	v_and_b32_e32 v181, 0xff, v157
	s_delay_alu instid0(VALU_DEP_2) | instskip(NEXT) | instid1(VALU_DEP_2)
	v_perm_b32 v153, v153, v154, 0xc0c0500
	v_or_b32_e32 v156, v181, v156
	v_and_b32_e32 v181, 0xff, v179
	s_delay_alu instid0(VALU_DEP_3) | instskip(NEXT) | instid1(VALU_DEP_3)
	v_dot4_i32_iu8 v153, v148, v153, v200 neg_lo:[1,1,0]
	v_perm_b32 v154, v156, v157, 0xc0c0500
	s_delay_alu instid0(VALU_DEP_3) | instskip(SKIP_1) | instid1(VALU_DEP_3)
	v_or_b32_e32 v160, v181, v160
	v_lshrrev_b32_e32 v157, 16, v205
	v_dot4_i32_iu8 v154, v148, v154, v219 neg_lo:[1,1,0]
	s_delay_alu instid0(VALU_DEP_3) | instskip(SKIP_1) | instid1(VALU_DEP_2)
	v_perm_b32 v156, v160, v179, 0xc0c0500
	v_lshrrev_b32_e32 v160, 24, v175
	v_dot4_i32_iu8 v148, v148, v156, v155 neg_lo:[1,1,0]
	v_lshrrev_b32_e32 v155, 16, v206
	v_lshrrev_b32_e32 v156, 16, v204
	s_delay_alu instid0(VALU_DEP_1) | instskip(SKIP_1) | instid1(VALU_DEP_2)
	v_sub_nc_u16 v155, v155, v156
	v_lshrrev_b32_e32 v156, 16, v207
	v_bfe_i32 v155, v155, 0, 8
	s_delay_alu instid0(VALU_DEP_2) | instskip(SKIP_1) | instid1(VALU_DEP_3)
	v_sub_nc_u16 v156, v156, v157
	v_lshrrev_b32_e32 v157, 16, v171
	v_mul_i32_i24_e32 v147, v155, v147
	s_delay_alu instid0(VALU_DEP_3) | instskip(SKIP_1) | instid1(VALU_DEP_2)
	v_bfe_i32 v155, v156, 0, 8
	v_lshrrev_b32_e32 v156, 24, v205
	v_mul_i32_i24_e32 v149, v155, v149
	v_lshrrev_b32_e32 v155, 24, v204
	s_delay_alu instid0(VALU_DEP_2) | instskip(SKIP_1) | instid1(VALU_DEP_1)
	v_add3_u32 v147, v201, v147, v149
	v_bfe_u32 v149, v202, 24, 2
	v_sub_nc_u16 v149, v149, v155
	v_bfe_u32 v155, v203, 24, 2
	s_delay_alu instid0(VALU_DEP_2) | instskip(NEXT) | instid1(VALU_DEP_2)
	v_bfe_i32 v149, v149, 0, 16
	v_sub_nc_u16 v155, v155, v156
	v_lshrrev_b32_e32 v156, 24, v171
	s_delay_alu instid0(VALU_DEP_3) | instskip(NEXT) | instid1(VALU_DEP_3)
	v_mul_i32_i24_e32 v145, v149, v145
	v_bfe_i32 v149, v155, 0, 16
	v_lshrrev_b32_e32 v155, 16, v167
	s_delay_alu instid0(VALU_DEP_2) | instskip(SKIP_2) | instid1(VALU_DEP_3)
	v_mul_i32_i24_e32 v146, v149, v146
	v_lshrrev_b32_e32 v149, 24, v167
	v_lshrrev_b32_e32 v167, 16, v175
	v_add3_u32 v145, v198, v145, v146
	v_bfe_u32 v146, v169, 24, 2
	s_delay_alu instid0(VALU_DEP_1) | instskip(SKIP_1) | instid1(VALU_DEP_2)
	v_sub_nc_u16 v146, v146, v149
	v_lshrrev_b32_e32 v149, 16, v209
	v_lshlrev_b16 v146, 8, v146
	s_delay_alu instid0(VALU_DEP_2) | instskip(SKIP_1) | instid1(VALU_DEP_1)
	v_sub_nc_u16 v149, v149, v155
	v_bfe_u32 v155, v173, 24, 2
	v_sub_nc_u16 v155, v155, v156
	v_lshrrev_b32_e32 v156, 16, v210
	s_delay_alu instid0(VALU_DEP_2) | instskip(NEXT) | instid1(VALU_DEP_2)
	v_lshlrev_b16 v155, 8, v155
	v_sub_nc_u16 v156, v156, v157
	v_bfe_u32 v157, v177, 24, 2
	s_delay_alu instid0(VALU_DEP_1) | instskip(SKIP_1) | instid1(VALU_DEP_2)
	v_sub_nc_u16 v157, v157, v160
	v_lshrrev_b32_e32 v160, 16, v212
	v_lshlrev_b16 v157, 8, v157
	s_delay_alu instid0(VALU_DEP_2) | instskip(SKIP_1) | instid1(VALU_DEP_1)
	v_sub_nc_u16 v160, v160, v167
	v_and_b32_e32 v167, 0xff, v149
	v_or_b32_e32 v146, v167, v146
	v_and_b32_e32 v167, 0xff, v156
	s_delay_alu instid0(VALU_DEP_2) | instskip(NEXT) | instid1(VALU_DEP_2)
	v_perm_b32 v146, v146, v149, 0xc0c0500
	v_or_b32_e32 v155, v167, v155
	v_and_b32_e32 v167, 0xff, v160
	s_delay_alu instid0(VALU_DEP_3) | instskip(NEXT) | instid1(VALU_DEP_3)
	v_dot4_i32_iu8 v146, v144, v146, v213 neg_lo:[1,1,0]
	v_perm_b32 v149, v155, v156, 0xc0c0500
	s_delay_alu instid0(VALU_DEP_3) | instskip(SKIP_1) | instid1(VALU_DEP_3)
	v_or_b32_e32 v157, v167, v157
	v_lshrrev_b16 v156, 8, v192
	v_dot4_i32_iu8 v149, v144, v149, v214 neg_lo:[1,1,0]
	s_delay_alu instid0(VALU_DEP_3) | instskip(SKIP_2) | instid1(VALU_DEP_3)
	v_perm_b32 v155, v157, v160, 0xc0c0500
	v_ashrrev_i32_e32 v157, s16, v186
	v_ashrrev_i32_e32 v160, s23, v184
	v_dot4_i32_iu8 v144, v144, v155, v215 neg_lo:[1,1,0]
	v_lshrrev_b16 v155, 8, v194
	s_delay_alu instid0(VALU_DEP_4) | instskip(NEXT) | instid1(VALU_DEP_2)
	v_lshlrev_b32_e32 v157, 2, v157
	v_sub_nc_u16 v155, v155, v156
	v_ashrrev_i32_e32 v156, s16, v180
	s_delay_alu instid0(VALU_DEP_3) | instskip(NEXT) | instid1(VALU_DEP_3)
	v_and_b32_e32 v157, 0x4040404, v157
	v_bfe_i32 v155, v155, 0, 16
	s_delay_alu instid0(VALU_DEP_3) | instskip(NEXT) | instid1(VALU_DEP_2)
	v_lshlrev_b32_e32 v156, 2, v156
	v_mul_i32_i24_e32 v143, v155, v143
	v_ashrrev_i32_e32 v155, s16, v159
	v_ashrrev_i32_e32 v159, s23, v182
	s_delay_alu instid0(VALU_DEP_4) | instskip(NEXT) | instid1(VALU_DEP_4)
	v_and_b32_e32 v156, 0x4040404, v156
	v_add3_u32 v143, v216, v143, v152
	v_ashrrev_i32_e32 v152, s23, v161
	v_lshlrev_b32_e32 v155, 2, v155
	s_delay_alu instid0(VALU_DEP_3) | instskip(NEXT) | instid1(VALU_DEP_3)
	v_add3_u32 v143, v195, v151, v143
	v_and_b32_e32 v161, 0x3030303, v152
	s_delay_alu instid0(VALU_DEP_3) | instskip(NEXT) | instid1(VALU_DEP_1)
	v_and_b32_e32 v155, 0x4040404, v155
	v_sub_nc_u16 v167, v161, v155
	v_lshrrev_b32_e32 v151, 24, v155
	s_delay_alu instid0(VALU_DEP_2) | instskip(NEXT) | instid1(VALU_DEP_1)
	v_bfe_i32 v167, v167, 0, 8
	v_mad_i32_i24 v153, v142, v167, v153
	v_and_b32_e32 v167, 0x3030303, v159
	s_delay_alu instid0(VALU_DEP_1) | instskip(NEXT) | instid1(VALU_DEP_1)
	v_sub_nc_u16 v169, v167, v156
	v_bfe_i32 v169, v169, 0, 8
	s_delay_alu instid0(VALU_DEP_1) | instskip(SKIP_2) | instid1(VALU_DEP_2)
	v_mad_i32_i24 v154, v142, v169, v154
	v_and_b32_e32 v169, 0x3030303, v160
	v_bfe_u32 v160, v160, 24, 2
	v_sub_nc_u16 v171, v169, v157
	s_delay_alu instid0(VALU_DEP_1) | instskip(NEXT) | instid1(VALU_DEP_1)
	v_bfe_i32 v171, v171, 0, 8
	v_mad_i32_i24 v142, v142, v171, v148
	v_lshrrev_b16 v148, 8, v207
	v_lshrrev_b16 v171, 8, v205
	s_delay_alu instid0(VALU_DEP_1) | instskip(SKIP_1) | instid1(VALU_DEP_2)
	v_sub_nc_u16 v148, v148, v171
	v_ashrrev_i32_e32 v171, s23, v178
	v_bfe_i32 v148, v148, 0, 16
	s_delay_alu instid0(VALU_DEP_1) | instskip(SKIP_2) | instid1(VALU_DEP_3)
	v_mul_i32_i24_e32 v140, v148, v140
	v_ashrrev_i32_e32 v148, s16, v168
	v_ashrrev_i32_e32 v168, s16, v176
	v_add3_u32 v140, v150, v140, v145
	v_ashrrev_i32_e32 v145, s23, v170
	s_delay_alu instid0(VALU_DEP_4)
	v_lshlrev_b32_e32 v148, 2, v148
	v_ashrrev_i32_e32 v150, s16, v172
	v_ashrrev_i32_e32 v170, s23, v174
	v_lshlrev_b32_e32 v168, 2, v168
	v_and_b32_e32 v172, 0x3030303, v145
	v_and_b32_e32 v148, 0x4040404, v148
	v_lshlrev_b32_e32 v150, 2, v150
	v_add3_u32 v147, v208, v147, v140
	v_and_b32_e32 v168, 0x4040404, v168
	s_delay_alu instid0(VALU_DEP_4) | instskip(NEXT) | instid1(VALU_DEP_4)
	v_sub_nc_u16 v173, v172, v148
	v_and_b32_e32 v150, 0x4040404, v150
	v_lshrrev_b32_e32 v140, 24, v148
	s_delay_alu instid0(VALU_DEP_3) | instskip(NEXT) | instid1(VALU_DEP_1)
	v_bfe_i32 v173, v173, 0, 8
	v_mad_i32_i24 v146, v141, v173, v146
	v_and_b32_e32 v173, 0x3030303, v170
	s_delay_alu instid0(VALU_DEP_1) | instskip(NEXT) | instid1(VALU_DEP_1)
	v_sub_nc_u16 v174, v173, v150
	v_bfe_i32 v174, v174, 0, 8
	s_delay_alu instid0(VALU_DEP_1) | instskip(SKIP_1) | instid1(VALU_DEP_1)
	v_mad_i32_i24 v149, v141, v174, v149
	v_and_b32_e32 v174, 0x3030303, v171
	v_sub_nc_u16 v175, v174, v168
	s_delay_alu instid0(VALU_DEP_1) | instskip(NEXT) | instid1(VALU_DEP_1)
	v_bfe_i32 v175, v175, 0, 8
	v_mad_i32_i24 v141, v141, v175, v144
	v_bfe_u32 v144, v152, 24, 2
	v_lshrrev_b32_e32 v152, 16, v155
	v_lshrrev_b16 v155, 8, v155
	s_delay_alu instid0(VALU_DEP_3) | instskip(SKIP_1) | instid1(VALU_DEP_2)
	v_sub_nc_u16 v144, v144, v151
	v_lshrrev_b32_e32 v151, 16, v161
	v_lshlrev_b16 v144, 8, v144
	s_delay_alu instid0(VALU_DEP_2) | instskip(SKIP_2) | instid1(VALU_DEP_2)
	v_sub_nc_u16 v151, v151, v152
	v_lshrrev_b16 v152, 8, v161
	v_lshrrev_b32_e32 v161, 16, v156
	v_sub_nc_u16 v152, v152, v155
	v_bfe_u32 v155, v159, 24, 2
	v_lshrrev_b32_e32 v159, 24, v156
	v_lshrrev_b16 v156, 8, v156
	s_delay_alu instid0(VALU_DEP_4) | instskip(NEXT) | instid1(VALU_DEP_3)
	v_lshlrev_b16 v152, 8, v152
	v_sub_nc_u16 v155, v155, v159
	v_lshrrev_b32_e32 v159, 16, v167
	s_delay_alu instid0(VALU_DEP_3) | instskip(NEXT) | instid1(VALU_DEP_3)
	v_perm_b32 v152, v152, v152, 0xc0c0c01
	v_lshlrev_b16 v155, 8, v155
	s_delay_alu instid0(VALU_DEP_3) | instskip(SKIP_2) | instid1(VALU_DEP_2)
	v_sub_nc_u16 v159, v159, v161
	v_lshrrev_b16 v161, 8, v167
	v_lshrrev_b32_e32 v167, 16, v157
	v_sub_nc_u16 v156, v161, v156
	v_lshrrev_b32_e32 v161, 24, v157
	v_lshrrev_b16 v157, 8, v157
	s_delay_alu instid0(VALU_DEP_2) | instskip(SKIP_1) | instid1(VALU_DEP_2)
	v_sub_nc_u16 v160, v160, v161
	v_lshrrev_b32_e32 v161, 16, v169
	v_lshlrev_b16 v160, 8, v160
	s_delay_alu instid0(VALU_DEP_2) | instskip(SKIP_1) | instid1(VALU_DEP_1)
	v_sub_nc_u16 v161, v161, v167
	v_lshrrev_b16 v167, 8, v169
	v_sub_nc_u16 v157, v167, v157
	v_and_b32_e32 v167, 0xff, v151
	s_delay_alu instid0(VALU_DEP_1) | instskip(SKIP_1) | instid1(VALU_DEP_2)
	v_or_b32_e32 v144, v167, v144
	v_and_b32_e32 v167, 0xff, v159
	v_perm_b32 v144, v144, v151, 0xc05000c
	s_delay_alu instid0(VALU_DEP_2) | instskip(SKIP_1) | instid1(VALU_DEP_3)
	v_or_b32_e32 v155, v167, v155
	v_and_b32_e32 v167, 0xff, v161
	v_or_b32_e32 v144, v144, v152
	v_lshlrev_b16 v152, 8, v156
	s_delay_alu instid0(VALU_DEP_4) | instskip(NEXT) | instid1(VALU_DEP_4)
	v_perm_b32 v151, v155, v159, 0xc05000c
	v_or_b32_e32 v160, v167, v160
	v_lshrrev_b16 v156, 8, v168
	v_dot4_i32_iu8 v144, v138, v144, v153 neg_lo:[1,1,0]
	v_perm_b32 v152, v152, v152, 0xc0c0c01
	v_lshrrev_b32_e32 v153, 16, v150
	v_perm_b32 v155, v160, v161, 0xc05000c
	s_delay_alu instid0(VALU_DEP_3) | instskip(SKIP_1) | instid1(VALU_DEP_2)
	v_or_b32_e32 v151, v151, v152
	v_lshlrev_b16 v152, 8, v157
	v_dot4_i32_iu8 v151, v138, v151, v154 neg_lo:[1,1,0]
	s_delay_alu instid0(VALU_DEP_2) | instskip(SKIP_1) | instid1(VALU_DEP_2)
	v_perm_b32 v152, v152, v152, 0xc0c0c01
	v_lshrrev_b32_e32 v154, 24, v168
	v_or_b32_e32 v152, v155, v152
	v_lshrrev_b32_e32 v155, 16, v168
	s_delay_alu instid0(VALU_DEP_2)
	v_dot4_i32_iu8 v142, v138, v152, v142 neg_lo:[1,1,0]
	v_bfe_u32 v138, v145, 24, 2
	v_lshrrev_b32_e32 v145, 16, v148
	v_lshrrev_b16 v148, 8, v148
	v_lshrrev_b32_e32 v152, 24, v150
	v_lshrrev_b16 v150, 8, v150
	v_sub_nc_u16 v138, v138, v140
	v_lshrrev_b32_e32 v140, 16, v172
	s_delay_alu instid0(VALU_DEP_2) | instskip(NEXT) | instid1(VALU_DEP_2)
	v_lshlrev_b16 v138, 8, v138
	v_sub_nc_u16 v140, v140, v145
	v_lshrrev_b16 v145, 8, v172
	s_delay_alu instid0(VALU_DEP_1) | instskip(SKIP_1) | instid1(VALU_DEP_2)
	v_sub_nc_u16 v145, v145, v148
	v_bfe_u32 v148, v170, 24, 2
	v_lshlrev_b16 v145, 8, v145
	s_delay_alu instid0(VALU_DEP_2) | instskip(SKIP_1) | instid1(VALU_DEP_3)
	v_sub_nc_u16 v148, v148, v152
	v_lshrrev_b32_e32 v152, 16, v173
	v_perm_b32 v145, v145, v145, 0xc0c0c01
	s_delay_alu instid0(VALU_DEP_3) | instskip(NEXT) | instid1(VALU_DEP_3)
	v_lshlrev_b16 v148, 8, v148
	v_sub_nc_u16 v152, v152, v153
	v_lshrrev_b16 v153, 8, v173
	s_delay_alu instid0(VALU_DEP_1) | instskip(SKIP_1) | instid1(VALU_DEP_1)
	v_sub_nc_u16 v150, v153, v150
	v_bfe_u32 v153, v171, 24, 2
	v_sub_nc_u16 v153, v153, v154
	v_lshrrev_b32_e32 v154, 16, v174
	s_delay_alu instid0(VALU_DEP_2) | instskip(NEXT) | instid1(VALU_DEP_2)
	v_lshlrev_b16 v153, 8, v153
	v_sub_nc_u16 v154, v154, v155
	v_lshrrev_b16 v155, 8, v174
	s_delay_alu instid0(VALU_DEP_1) | instskip(SKIP_1) | instid1(VALU_DEP_1)
	v_sub_nc_u16 v155, v155, v156
	v_and_b32_e32 v156, 0xff, v140
	v_or_b32_e32 v138, v156, v138
	v_and_b32_e32 v156, 0xff, v152
	s_delay_alu instid0(VALU_DEP_2) | instskip(NEXT) | instid1(VALU_DEP_2)
	v_perm_b32 v138, v138, v140, 0xc05000c
	v_or_b32_e32 v148, v156, v148
	v_and_b32_e32 v156, 0xff, v154
	s_delay_alu instid0(VALU_DEP_3) | instskip(SKIP_1) | instid1(VALU_DEP_4)
	v_or_b32_e32 v138, v138, v145
	v_lshlrev_b16 v145, 8, v150
	v_perm_b32 v140, v148, v152, 0xc05000c
	s_delay_alu instid0(VALU_DEP_4) | instskip(NEXT) | instid1(VALU_DEP_4)
	v_or_b32_e32 v153, v156, v153
	v_dot4_i32_iu8 v146, v137, v138, v146 neg_lo:[1,1,0]
	s_delay_alu instid0(VALU_DEP_4) | instskip(NEXT) | instid1(VALU_DEP_3)
	v_perm_b32 v145, v145, v145, 0xc0c0c01
	v_perm_b32 v148, v153, v154, 0xc05000c
	s_delay_alu instid0(VALU_DEP_2) | instskip(SKIP_1) | instid1(VALU_DEP_1)
	v_or_b32_e32 v140, v140, v145
	v_lshlrev_b16 v145, 8, v155
	v_perm_b32 v145, v145, v145, 0xc0c0c01
	s_delay_alu instid0(VALU_DEP_1) | instskip(NEXT) | instid1(VALU_DEP_4)
	v_or_b32_e32 v145, v148, v145
	v_dot4_i32_iu8 v148, v137, v140, v149 neg_lo:[1,1,0]
	s_delay_alu instid0(VALU_DEP_2) | instskip(SKIP_2) | instid1(VALU_DEP_2)
	v_dot4_i32_iu8 v141, v137, v145, v141 neg_lo:[1,1,0]
	v_and_b32_e32 v145, 0x3030303, v13
	v_bfe_u32 v13, v13, 24, 2
	v_sub_nc_u16 v137, v145, v11
	s_delay_alu instid0(VALU_DEP_1) | instskip(NEXT) | instid1(VALU_DEP_1)
	v_bfe_i32 v137, v137, 0, 8
	v_mad_i32_i24 v144, v136, v137, v144
	v_add_nc_u32_e32 v137, 0x1088, v139
	ds_load_2addr_b32 v[137:138], v137 offset1:1
	s_wait_dscnt 0x0
	v_ashrrev_i32_e32 v137, s23, v137
	s_delay_alu instid0(VALU_DEP_1) | instskip(SKIP_1) | instid1(VALU_DEP_2)
	v_and_b32_e32 v149, 0x3030303, v137
	v_bfe_u32 v137, v137, 24, 2
	v_sub_nc_u16 v139, v149, v15
	s_delay_alu instid0(VALU_DEP_1) | instskip(NEXT) | instid1(VALU_DEP_1)
	v_bfe_i32 v139, v139, 0, 8
	v_mad_i32_i24 v150, v136, v139, v151
	v_and_b32_e32 v151, 0x3030303, v21
	ds_load_2addr_b32 v[139:140], v211 offset0:6 offset1:7
	v_bfe_u32 v21, v21, 24, 2
	v_sub_nc_u16 v152, v151, v19
	s_delay_alu instid0(VALU_DEP_1) | instskip(NEXT) | instid1(VALU_DEP_1)
	v_bfe_i32 v152, v152, 0, 8
	v_mad_i32_i24 v136, v136, v152, v142
	v_and_b32_e32 v142, 0x3030303, v5
	v_bfe_u32 v5, v5, 24, 2
	s_delay_alu instid0(VALU_DEP_2) | instskip(SKIP_2) | instid1(VALU_DEP_2)
	v_sub_nc_u16 v152, v142, v0
	s_wait_dscnt 0x0
	v_ashrrev_i32_e32 v139, s16, v139
	v_bfe_i32 v152, v152, 0, 8
	s_delay_alu instid0(VALU_DEP_2) | instskip(NEXT) | instid1(VALU_DEP_2)
	v_lshlrev_b32_e32 v139, 2, v139
	v_mad_i32_i24 v146, v135, v152, v146
	v_and_b32_e32 v152, 0x3030303, v9
	s_delay_alu instid0(VALU_DEP_3) | instskip(SKIP_1) | instid1(VALU_DEP_3)
	v_and_b32_e32 v139, 0x4040404, v139
	v_bfe_u32 v9, v9, 24, 2
	v_sub_nc_u16 v153, v152, v7
	s_delay_alu instid0(VALU_DEP_1) | instskip(NEXT) | instid1(VALU_DEP_1)
	v_bfe_i32 v153, v153, 0, 8
	v_mad_i32_i24 v148, v135, v153, v148
	v_and_b32_e32 v153, 0x3030303, v17
	v_bfe_u32 v17, v17, 24, 2
	s_delay_alu instid0(VALU_DEP_2) | instskip(NEXT) | instid1(VALU_DEP_1)
	v_sub_nc_u16 v154, v153, v139
	v_bfe_i32 v154, v154, 0, 8
	s_delay_alu instid0(VALU_DEP_1) | instskip(SKIP_3) | instid1(VALU_DEP_3)
	v_mad_i32_i24 v135, v135, v154, v141
	v_lshrrev_b32_e32 v141, 24, v11
	v_lshrrev_b32_e32 v154, 16, v11
	v_lshrrev_b16 v11, 8, v11
	v_sub_nc_u16 v13, v13, v141
	v_lshrrev_b32_e32 v141, 16, v145
	v_lshrrev_b16 v145, 8, v145
	s_delay_alu instid0(VALU_DEP_3) | instskip(NEXT) | instid1(VALU_DEP_3)
	v_lshlrev_b16 v13, 8, v13
	v_sub_nc_u16 v141, v141, v154
	s_delay_alu instid0(VALU_DEP_3) | instskip(SKIP_3) | instid1(VALU_DEP_4)
	v_sub_nc_u16 v11, v145, v11
	v_lshrrev_b32_e32 v145, 24, v19
	v_lshrrev_b32_e32 v154, 16, v19
	v_lshrrev_b16 v19, 8, v19
	v_lshlrev_b16 v11, 8, v11
	s_delay_alu instid0(VALU_DEP_4) | instskip(SKIP_2) | instid1(VALU_DEP_4)
	v_sub_nc_u16 v21, v21, v145
	v_lshrrev_b32_e32 v145, 16, v151
	v_lshrrev_b16 v151, 8, v151
	v_perm_b32 v11, v11, v11, 0xc0c0c01
	s_delay_alu instid0(VALU_DEP_4) | instskip(NEXT) | instid1(VALU_DEP_4)
	v_lshlrev_b16 v21, 8, v21
	v_sub_nc_u16 v145, v145, v154
	s_delay_alu instid0(VALU_DEP_4) | instskip(SKIP_3) | instid1(VALU_DEP_3)
	v_sub_nc_u16 v19, v151, v19
	v_lshrrev_b32_e32 v151, 24, v15
	v_lshrrev_b32_e32 v154, 16, v15
	v_lshrrev_b16 v15, 8, v15
	v_sub_nc_u16 v137, v137, v151
	v_lshrrev_b32_e32 v151, 16, v149
	v_lshrrev_b16 v149, 8, v149
	s_delay_alu instid0(VALU_DEP_3) | instskip(NEXT) | instid1(VALU_DEP_3)
	v_lshlrev_b16 v137, 8, v137
	v_sub_nc_u16 v151, v151, v154
	s_delay_alu instid0(VALU_DEP_3) | instskip(SKIP_1) | instid1(VALU_DEP_2)
	v_sub_nc_u16 v15, v149, v15
	v_and_b32_e32 v149, 0xff, v141
	v_lshlrev_b16 v15, 8, v15
	s_delay_alu instid0(VALU_DEP_2) | instskip(SKIP_1) | instid1(VALU_DEP_3)
	v_or_b32_e32 v13, v149, v13
	v_and_b32_e32 v149, 0xff, v145
	v_perm_b32 v15, v15, v15, 0xc0c0c01
	s_delay_alu instid0(VALU_DEP_3) | instskip(NEXT) | instid1(VALU_DEP_3)
	v_perm_b32 v13, v13, v141, 0xc05000c
	v_or_b32_e32 v21, v149, v21
	v_and_b32_e32 v149, 0xff, v151
	s_delay_alu instid0(VALU_DEP_3) | instskip(SKIP_1) | instid1(VALU_DEP_4)
	v_or_b32_e32 v11, v13, v11
	v_lshlrev_b16 v13, 8, v19
	v_perm_b32 v21, v21, v145, 0xc05000c
	v_lshrrev_b32_e32 v19, 24, v0
	v_or_b32_e32 v137, v149, v137
	v_dot4_i32_iu8 v11, v134, v11, v144 neg_lo:[1,1,0]
	v_perm_b32 v13, v13, v13, 0xc0c0c01
	s_delay_alu instid0(VALU_DEP_4) | instskip(SKIP_2) | instid1(VALU_DEP_4)
	v_sub_nc_u16 v5, v5, v19
	v_lshrrev_b32_e32 v19, 16, v142
	v_perm_b32 v137, v137, v151, 0xc05000c
	v_or_b32_e32 v13, v21, v13
	v_lshrrev_b32_e32 v21, 16, v0
	v_lshrrev_b16 v0, 8, v0
	v_lshlrev_b16 v5, 8, v5
	v_or_b32_e32 v15, v137, v15
	v_dot4_i32_iu8 v13, v134, v13, v136 neg_lo:[1,1,0]
	v_sub_nc_u16 v19, v19, v21
	v_lshrrev_b16 v21, 8, v142
	v_lshrrev_b32_e32 v136, 16, v139
	v_dot4_i32_iu8 v15, v134, v15, v150 neg_lo:[1,1,0]
	v_lshrrev_b32_e32 v134, 16, v7
	v_lshrrev_b16 v137, 8, v139
	v_sub_nc_u16 v0, v21, v0
	v_lshrrev_b32_e32 v21, 24, v7
	v_lshrrev_b16 v7, 8, v7
	s_delay_alu instid0(VALU_DEP_3) | instskip(NEXT) | instid1(VALU_DEP_3)
	v_lshlrev_b16 v0, 8, v0
	v_sub_nc_u16 v9, v9, v21
	v_lshrrev_b32_e32 v21, 16, v152
	s_delay_alu instid0(VALU_DEP_3) | instskip(NEXT) | instid1(VALU_DEP_3)
	v_perm_b32 v0, v0, v0, 0xc0c0c01
	v_lshlrev_b16 v9, 8, v9
	s_delay_alu instid0(VALU_DEP_3) | instskip(SKIP_1) | instid1(VALU_DEP_1)
	v_sub_nc_u16 v21, v21, v134
	v_lshrrev_b16 v134, 8, v152
	v_sub_nc_u16 v7, v134, v7
	v_lshrrev_b32_e32 v134, 24, v139
	s_delay_alu instid0(VALU_DEP_1) | instskip(SKIP_1) | instid1(VALU_DEP_2)
	v_sub_nc_u16 v17, v17, v134
	v_lshrrev_b32_e32 v134, 16, v153
	v_lshlrev_b16 v17, 8, v17
	s_delay_alu instid0(VALU_DEP_2) | instskip(SKIP_1) | instid1(VALU_DEP_1)
	v_sub_nc_u16 v134, v134, v136
	v_lshrrev_b16 v136, 8, v153
	v_sub_nc_u16 v136, v136, v137
	v_and_b32_e32 v137, 0xff, v19
	s_delay_alu instid0(VALU_DEP_1) | instskip(SKIP_1) | instid1(VALU_DEP_2)
	v_or_b32_e32 v5, v137, v5
	v_and_b32_e32 v137, 0xff, v21
	v_perm_b32 v5, v5, v19, 0xc05000c
	s_delay_alu instid0(VALU_DEP_2) | instskip(SKIP_1) | instid1(VALU_DEP_3)
	v_or_b32_e32 v9, v137, v9
	v_and_b32_e32 v137, 0xff, v134
	v_or_b32_e32 v0, v5, v0
	v_lshlrev_b16 v5, 8, v7
	s_delay_alu instid0(VALU_DEP_3) | instskip(SKIP_2) | instid1(VALU_DEP_4)
	v_or_b32_e32 v17, v137, v17
	v_lshlrev_b16 v7, 8, v136
	v_perm_b32 v9, v9, v21, 0xc05000c
	v_perm_b32 v5, v5, v5, 0xc0c0c01
	s_delay_alu instid0(VALU_DEP_4) | instskip(NEXT) | instid1(VALU_DEP_4)
	v_perm_b32 v17, v17, v134, 0xc05000c
	v_perm_b32 v7, v7, v7, 0xc0c0c01
	s_delay_alu instid0(VALU_DEP_3) | instskip(SKIP_1) | instid1(VALU_DEP_3)
	v_or_b32_e32 v5, v9, v5
	v_dot4_i32_iu8 v9, v133, v0, v146 neg_lo:[1,1,0]
	v_or_b32_e32 v7, v17, v7
	v_lshrrev_b16 v0, 8, v166
	v_bfe_i32 v17, v166, 0, 8
	v_dot4_i32_iu8 v5, v133, v5, v148 neg_lo:[1,1,0]
	s_delay_alu instid0(VALU_DEP_4) | instskip(NEXT) | instid1(VALU_DEP_4)
	v_dot4_i32_iu8 v7, v133, v7, v135 neg_lo:[1,1,0]
	v_bfe_i32 v19, v0, 0, 8
	s_delay_alu instid0(VALU_DEP_4) | instskip(SKIP_1) | instid1(VALU_DEP_2)
	v_mul_lo_u32 v0, v147, v17
	v_ashrrev_i32_e32 v17, s23, v138
	v_mad_co_u64_u32 v[133:134], null, v143, v19, v[0:1]
	v_ashrrev_i32_e32 v0, s23, v14
	v_ashrrev_i32_e32 v14, s16, v20
	;; [unrolled: 1-line block ×4, first 2 shown]
	s_delay_alu instid0(VALU_DEP_4) | instskip(NEXT) | instid1(VALU_DEP_4)
	v_and_b32_e32 v20, 0x3030303, v0
	v_lshlrev_b32_e32 v14, 2, v14
	v_bfe_u32 v0, v0, 24, 2
	s_delay_alu instid0(VALU_DEP_4) | instskip(NEXT) | instid1(VALU_DEP_4)
	v_lshlrev_b32_e32 v1, 2, v1
	v_sub_nc_u16 v21, v20, v12
	s_delay_alu instid0(VALU_DEP_4) | instskip(NEXT) | instid1(VALU_DEP_3)
	v_and_b32_e32 v14, 0x4040404, v14
	v_and_b32_e32 v1, 0x4040404, v1
	s_delay_alu instid0(VALU_DEP_3) | instskip(NEXT) | instid1(VALU_DEP_1)
	v_bfe_i32 v21, v21, 0, 8
	v_mad_i32_i24 v11, v132, v21, v11
	v_and_b32_e32 v21, 0x3030303, v17
	v_bfe_u32 v17, v17, 24, 2
	s_delay_alu instid0(VALU_DEP_2) | instskip(NEXT) | instid1(VALU_DEP_1)
	v_sub_nc_u16 v22, v21, v16
	v_bfe_i32 v22, v22, 0, 8
	s_delay_alu instid0(VALU_DEP_1) | instskip(SKIP_2) | instid1(VALU_DEP_2)
	v_mad_i32_i24 v15, v132, v22, v15
	v_and_b32_e32 v22, 0x3030303, v19
	v_bfe_u32 v19, v19, 24, 2
	v_sub_nc_u16 v134, v22, v14
	s_delay_alu instid0(VALU_DEP_1) | instskip(NEXT) | instid1(VALU_DEP_1)
	v_bfe_i32 v134, v134, 0, 8
	v_mad_i32_i24 v13, v132, v134, v13
	v_and_b32_e32 v134, 0x3030303, v6
	v_ashrrev_i32_e32 v132, s16, v140
	v_bfe_u32 v6, v6, 24, 2
	s_add_co_i32 s16, s16, 1
	s_cmp_lt_u32 s20, 30
	v_sub_nc_u16 v135, v134, v1
	v_lshlrev_b32_e32 v132, 2, v132
	s_delay_alu instid0(VALU_DEP_2) | instskip(NEXT) | instid1(VALU_DEP_2)
	v_bfe_i32 v135, v135, 0, 8
	v_and_b32_e32 v132, 0x4040404, v132
	s_delay_alu instid0(VALU_DEP_2) | instskip(SKIP_2) | instid1(VALU_DEP_2)
	v_mad_i32_i24 v9, v131, v135, v9
	v_and_b32_e32 v135, 0x3030303, v10
	v_bfe_u32 v10, v10, 24, 2
	v_sub_nc_u16 v136, v135, v8
	s_delay_alu instid0(VALU_DEP_1) | instskip(NEXT) | instid1(VALU_DEP_1)
	v_bfe_i32 v136, v136, 0, 8
	v_mad_i32_i24 v5, v131, v136, v5
	v_and_b32_e32 v136, 0x3030303, v18
	s_delay_alu instid0(VALU_DEP_1) | instskip(NEXT) | instid1(VALU_DEP_1)
	v_sub_nc_u16 v137, v136, v132
	v_bfe_i32 v137, v137, 0, 8
	s_delay_alu instid0(VALU_DEP_1) | instskip(SKIP_3) | instid1(VALU_DEP_3)
	v_mad_i32_i24 v7, v131, v137, v7
	v_lshrrev_b32_e32 v131, 24, v12
	v_lshrrev_b32_e32 v137, 16, v12
	v_lshrrev_b16 v12, 8, v12
	v_sub_nc_u16 v0, v0, v131
	v_lshrrev_b32_e32 v131, 16, v20
	v_lshrrev_b16 v20, 8, v20
	s_delay_alu instid0(VALU_DEP_3) | instskip(NEXT) | instid1(VALU_DEP_3)
	v_lshlrev_b16 v0, 8, v0
	v_sub_nc_u16 v131, v131, v137
	s_delay_alu instid0(VALU_DEP_3) | instskip(SKIP_3) | instid1(VALU_DEP_4)
	v_sub_nc_u16 v12, v20, v12
	v_lshrrev_b32_e32 v20, 24, v14
	v_lshrrev_b32_e32 v137, 16, v14
	v_lshrrev_b16 v14, 8, v14
	v_lshlrev_b16 v12, 8, v12
	s_delay_alu instid0(VALU_DEP_4) | instskip(SKIP_2) | instid1(VALU_DEP_4)
	v_sub_nc_u16 v19, v19, v20
	v_lshrrev_b32_e32 v20, 16, v22
	v_lshrrev_b16 v22, 8, v22
	v_perm_b32 v12, v12, v12, 0xc0c0c01
	s_delay_alu instid0(VALU_DEP_4) | instskip(NEXT) | instid1(VALU_DEP_4)
	v_lshlrev_b16 v19, 8, v19
	v_sub_nc_u16 v20, v20, v137
	s_delay_alu instid0(VALU_DEP_4) | instskip(SKIP_3) | instid1(VALU_DEP_3)
	v_sub_nc_u16 v14, v22, v14
	v_lshrrev_b32_e32 v22, 24, v16
	v_lshrrev_b32_e32 v137, 16, v16
	v_lshrrev_b16 v16, 8, v16
	v_sub_nc_u16 v17, v17, v22
	v_lshrrev_b32_e32 v22, 16, v21
	v_lshrrev_b16 v21, 8, v21
	s_delay_alu instid0(VALU_DEP_3) | instskip(NEXT) | instid1(VALU_DEP_3)
	v_lshlrev_b16 v17, 8, v17
	v_sub_nc_u16 v22, v22, v137
	s_delay_alu instid0(VALU_DEP_3) | instskip(SKIP_1) | instid1(VALU_DEP_1)
	v_sub_nc_u16 v16, v21, v16
	v_and_b32_e32 v21, 0xff, v131
	v_or_b32_e32 v0, v21, v0
	v_and_b32_e32 v21, 0xff, v20
	s_delay_alu instid0(VALU_DEP_2) | instskip(NEXT) | instid1(VALU_DEP_2)
	v_perm_b32 v0, v0, v131, 0xc05000c
	v_or_b32_e32 v19, v21, v19
	v_and_b32_e32 v21, 0xff, v22
	s_delay_alu instid0(VALU_DEP_3) | instskip(SKIP_1) | instid1(VALU_DEP_3)
	v_or_b32_e32 v0, v0, v12
	v_lshlrev_b16 v12, 8, v14
	v_or_b32_e32 v17, v21, v17
	v_perm_b32 v19, v19, v20, 0xc05000c
	v_lshlrev_b16 v14, 8, v16
	v_dot4_i32_iu8 v0, v130, v0, v11 neg_lo:[1,1,0]
	v_perm_b32 v12, v12, v12, 0xc0c0c01
	v_perm_b32 v17, v17, v22, 0xc05000c
	v_lshrrev_b32_e32 v16, 24, v132
	v_perm_b32 v14, v14, v14, 0xc0c0c01
	s_delay_alu instid0(VALU_DEP_4) | instskip(NEXT) | instid1(VALU_DEP_2)
	v_or_b32_e32 v12, v19, v12
	v_or_b32_e32 v14, v17, v14
	v_lshrrev_b32_e32 v17, 16, v132
	s_delay_alu instid0(VALU_DEP_3) | instskip(SKIP_1) | instid1(VALU_DEP_4)
	v_dot4_i32_iu8 v12, v130, v12, v13 neg_lo:[1,1,0]
	v_lshrrev_b32_e32 v13, 24, v1
	v_dot4_i32_iu8 v11, v130, v14, v15 neg_lo:[1,1,0]
	v_lshrrev_b32_e32 v14, 16, v1
	v_lshrrev_b16 v1, 8, v1
	s_delay_alu instid0(VALU_DEP_4) | instskip(SKIP_2) | instid1(VALU_DEP_3)
	v_sub_nc_u16 v6, v6, v13
	v_lshrrev_b32_e32 v13, 16, v134
	v_lshrrev_b32_e32 v15, 16, v8
	v_lshlrev_b16 v6, 8, v6
	s_delay_alu instid0(VALU_DEP_3) | instskip(SKIP_1) | instid1(VALU_DEP_1)
	v_sub_nc_u16 v13, v13, v14
	v_lshrrev_b16 v14, 8, v134
	v_sub_nc_u16 v1, v14, v1
	v_lshrrev_b32_e32 v14, 24, v8
	v_lshrrev_b16 v8, 8, v8
	s_delay_alu instid0(VALU_DEP_3) | instskip(NEXT) | instid1(VALU_DEP_3)
	v_lshlrev_b16 v1, 8, v1
	v_sub_nc_u16 v10, v10, v14
	v_lshrrev_b32_e32 v14, 16, v135
	s_delay_alu instid0(VALU_DEP_3) | instskip(NEXT) | instid1(VALU_DEP_3)
	v_perm_b32 v1, v1, v1, 0xc0c0c01
	v_lshlrev_b16 v10, 8, v10
	s_delay_alu instid0(VALU_DEP_3) | instskip(SKIP_1) | instid1(VALU_DEP_1)
	v_sub_nc_u16 v14, v14, v15
	v_lshrrev_b16 v15, 8, v135
	v_sub_nc_u16 v8, v15, v8
	v_bfe_u32 v15, v18, 24, 2
	v_lshrrev_b16 v18, 8, v132
	s_delay_alu instid0(VALU_DEP_2) | instskip(SKIP_1) | instid1(VALU_DEP_2)
	v_sub_nc_u16 v15, v15, v16
	v_lshrrev_b32_e32 v16, 16, v136
	v_lshlrev_b16 v15, 8, v15
	s_delay_alu instid0(VALU_DEP_2) | instskip(SKIP_1) | instid1(VALU_DEP_1)
	v_sub_nc_u16 v16, v16, v17
	v_lshrrev_b16 v17, 8, v136
	v_sub_nc_u16 v17, v17, v18
	v_and_b32_e32 v18, 0xff, v13
	s_delay_alu instid0(VALU_DEP_1) | instskip(SKIP_1) | instid1(VALU_DEP_2)
	v_or_b32_e32 v6, v18, v6
	v_and_b32_e32 v18, 0xff, v14
	v_perm_b32 v6, v6, v13, 0xc05000c
	s_delay_alu instid0(VALU_DEP_2) | instskip(SKIP_1) | instid1(VALU_DEP_3)
	v_or_b32_e32 v10, v18, v10
	v_and_b32_e32 v18, 0xff, v16
	v_or_b32_e32 v1, v6, v1
	v_lshlrev_b16 v6, 8, v8
	s_delay_alu instid0(VALU_DEP_4) | instskip(NEXT) | instid1(VALU_DEP_4)
	v_perm_b32 v10, v10, v14, 0xc05000c
	v_or_b32_e32 v15, v18, v15
	v_lshlrev_b16 v8, 8, v17
	v_dot4_i32_iu8 v1, v129, v1, v9 neg_lo:[1,1,0]
	v_perm_b32 v6, v6, v6, 0xc0c0c01
	s_delay_alu instid0(VALU_DEP_4) | instskip(NEXT) | instid1(VALU_DEP_4)
	v_perm_b32 v13, v15, v16, 0xc05000c
	v_perm_b32 v8, v8, v8, 0xc0c0c01
	s_delay_alu instid0(VALU_DEP_3) | instskip(NEXT) | instid1(VALU_DEP_2)
	v_or_b32_e32 v6, v10, v6
	v_or_b32_e32 v8, v13, v8
	s_delay_alu instid0(VALU_DEP_2) | instskip(SKIP_1) | instid1(VALU_DEP_3)
	v_dot4_i32_iu8 v5, v129, v6, v5 neg_lo:[1,1,0]
	v_add_nc_u32_e32 v6, s17, v98
	v_dot4_i32_iu8 v7, v129, v8, v7 neg_lo:[1,1,0]
	v_add_nc_u32_e32 v8, s17, v96
	s_mov_b32 s17, s20
	ds_load_u16 v6, v6 offset:25330
	ds_load_u16 v8, v8 offset:27378
	s_wait_dscnt 0x1
	v_lshrrev_b16 v9, 8, v6
	v_bfe_i32 v6, v6, 0, 8
	s_delay_alu instid0(VALU_DEP_2) | instskip(NEXT) | instid1(VALU_DEP_2)
	v_bfe_i32 v9, v9, 0, 8
	v_mul_lo_u32 v0, v0, v6
	v_bfe_i32 v6, v165, 0, 8
	s_delay_alu instid0(VALU_DEP_2) | instskip(SKIP_3) | instid1(VALU_DEP_2)
	v_mad_co_u64_u32 v[0:1], null, v1, v9, v[0:1]
	v_lshrrev_b16 v1, 8, v165
	s_wait_dscnt 0x0
	v_bfe_i32 v9, v8, 0, 8
	v_bfe_i32 v10, v1, 0, 8
	v_mul_lo_u32 v1, v11, v6
	v_cvt_f32_i32_e32 v0, v0
	s_delay_alu instid0(VALU_DEP_2) | instskip(SKIP_4) | instid1(VALU_DEP_3)
	v_mad_co_u64_u32 v[5:6], null, v5, v10, v[1:2]
	ds_load_b32 v10, v128
	v_lshrrev_b16 v6, 8, v8
	v_mul_lo_u32 v1, v12, v9
	v_add_nc_u32_e32 v128, 4, v128
	v_bfe_i32 v6, v6, 0, 8
	v_cvt_f32_i32_e32 v5, v5
	s_delay_alu instid0(VALU_DEP_2) | instskip(NEXT) | instid1(VALU_DEP_1)
	v_mad_co_u64_u32 v[6:7], null, v7, v6, v[1:2]
	v_cvt_f32_i32_e32 v6, v6
	s_wait_dscnt 0x0
	v_mul_f32_e32 v1, v10, v158
	v_mul_f32_e32 v7, v10, v164
	;; [unrolled: 1-line block ×4, first 2 shown]
	v_cvt_f32_i32_e32 v10, v133
	v_fmac_f32_e32 v25, v1, v0
	s_delay_alu instid0(VALU_DEP_4) | instskip(NEXT) | instid1(VALU_DEP_3)
	v_dual_fmac_f32 v87, v7, v5 :: v_dual_fmac_f32 v86, v8, v6
	v_fmac_f32_e32 v2, v9, v10
	s_cbranch_scc1 .LBB209_35
; %bb.36:                               ;   in Loop: Header=BB209_5 Depth=1
	s_wait_loadcnt 0x0
	s_barrier_signal -1
	s_barrier_wait -1
	global_inv scope:SCOPE_SE
	s_branch .LBB209_4
.LBB209_37:
	s_mul_i32 s0, s7, s4
	s_wait_loadcnt 0x0
	s_wait_alu 0xfffe
	v_cmp_gt_i32_e32 vcc_lo, s0, v23
	s_and_saveexec_b32 s0, vcc_lo
	s_cbranch_execz .LBB209_46
; %bb.38:
	v_mul_lo_u32 v0, v23, s6
	v_add_nc_u32_e32 v1, s18, v24
	s_mov_b32 s0, exec_lo
	s_delay_alu instid0(VALU_DEP_1)
	v_cmpx_gt_u32_e64 s6, v1
	s_cbranch_execz .LBB209_40
; %bb.39:
	s_delay_alu instid0(VALU_DEP_3) | instskip(SKIP_1) | instid1(VALU_DEP_2)
	v_dual_mov_b32 v4, 0 :: v_dual_add_nc_u32 v3, v0, v1
	v_cvt_f16_f32_e32 v5, v25
	v_lshlrev_b64_e32 v[3:4], 1, v[3:4]
	s_delay_alu instid0(VALU_DEP_1) | instskip(SKIP_1) | instid1(VALU_DEP_2)
	v_add_co_u32 v3, vcc_lo, s8, v3
	s_wait_alu 0xfffd
	v_add_co_ci_u32_e64 v4, null, s9, v4, vcc_lo
	global_store_b16 v[3:4], v5, off
.LBB209_40:
	s_wait_alu 0xfffe
	s_or_b32 exec_lo, exec_lo, s0
	v_add_nc_u32_e32 v3, 32, v1
	s_mov_b32 s0, exec_lo
	s_delay_alu instid0(VALU_DEP_1)
	v_cmpx_gt_u32_e64 s6, v3
	s_cbranch_execz .LBB209_42
; %bb.41:
	v_dual_mov_b32 v4, 0 :: v_dual_add_nc_u32 v3, v0, v3
	v_cvt_f16_f32_e32 v5, v87
	s_delay_alu instid0(VALU_DEP_2) | instskip(NEXT) | instid1(VALU_DEP_1)
	v_lshlrev_b64_e32 v[3:4], 1, v[3:4]
	v_add_co_u32 v3, vcc_lo, s8, v3
	s_wait_alu 0xfffd
	s_delay_alu instid0(VALU_DEP_2)
	v_add_co_ci_u32_e64 v4, null, s9, v4, vcc_lo
	global_store_b16 v[3:4], v5, off
.LBB209_42:
	s_wait_alu 0xfffe
	s_or_b32 exec_lo, exec_lo, s0
	v_add_nc_u32_e32 v3, 64, v1
	s_mov_b32 s0, exec_lo
	s_delay_alu instid0(VALU_DEP_1)
	v_cmpx_gt_u32_e64 s6, v3
	s_cbranch_execz .LBB209_44
; %bb.43:
	v_dual_mov_b32 v4, 0 :: v_dual_add_nc_u32 v3, v0, v3
	v_cvt_f16_f32_e32 v5, v86
	s_delay_alu instid0(VALU_DEP_2) | instskip(NEXT) | instid1(VALU_DEP_1)
	v_lshlrev_b64_e32 v[3:4], 1, v[3:4]
	v_add_co_u32 v3, vcc_lo, s8, v3
	s_wait_alu 0xfffd
	s_delay_alu instid0(VALU_DEP_2)
	v_add_co_ci_u32_e64 v4, null, s9, v4, vcc_lo
	global_store_b16 v[3:4], v5, off
.LBB209_44:
	s_wait_alu 0xfffe
	s_or_b32 exec_lo, exec_lo, s0
	v_add_nc_u32_e32 v1, 0x60, v1
	s_delay_alu instid0(VALU_DEP_1)
	v_cmp_gt_u32_e32 vcc_lo, s6, v1
	s_and_b32 exec_lo, exec_lo, vcc_lo
	s_cbranch_execz .LBB209_46
; %bb.45:
	v_dual_mov_b32 v1, 0 :: v_dual_add_nc_u32 v0, v0, v1
	v_cvt_f16_f32_e32 v2, v2
	s_delay_alu instid0(VALU_DEP_2) | instskip(NEXT) | instid1(VALU_DEP_1)
	v_lshlrev_b64_e32 v[0:1], 1, v[0:1]
	v_add_co_u32 v0, vcc_lo, s8, v0
	s_wait_alu 0xfffd
	s_delay_alu instid0(VALU_DEP_2)
	v_add_co_ci_u32_e64 v1, null, s9, v1, vcc_lo
	global_store_b16 v[0:1], v2, off
.LBB209_46:
	s_nop 0
	s_sendmsg sendmsg(MSG_DEALLOC_VGPRS)
	s_endpgm
	.section	.rodata,"a",@progbits
	.p2align	6, 0x0
	.amdhsa_kernel _ZL8moe_q3_KIN3c104HalfELb0EEvPKvS3_PT_PKiS7_S7_iiiiiii
		.amdhsa_group_segment_fixed_size 31776
		.amdhsa_private_segment_fixed_size 0
		.amdhsa_kernarg_size 76
		.amdhsa_user_sgpr_count 2
		.amdhsa_user_sgpr_dispatch_ptr 0
		.amdhsa_user_sgpr_queue_ptr 0
		.amdhsa_user_sgpr_kernarg_segment_ptr 1
		.amdhsa_user_sgpr_dispatch_id 0
		.amdhsa_user_sgpr_private_segment_size 0
		.amdhsa_wavefront_size32 1
		.amdhsa_uses_dynamic_stack 0
		.amdhsa_enable_private_segment 0
		.amdhsa_system_sgpr_workgroup_id_x 1
		.amdhsa_system_sgpr_workgroup_id_y 1
		.amdhsa_system_sgpr_workgroup_id_z 0
		.amdhsa_system_sgpr_workgroup_info 0
		.amdhsa_system_vgpr_workitem_id 1
		.amdhsa_next_free_vgpr 227
		.amdhsa_next_free_sgpr 27
		.amdhsa_reserve_vcc 1
		.amdhsa_float_round_mode_32 0
		.amdhsa_float_round_mode_16_64 0
		.amdhsa_float_denorm_mode_32 3
		.amdhsa_float_denorm_mode_16_64 3
		.amdhsa_fp16_overflow 0
		.amdhsa_workgroup_processor_mode 1
		.amdhsa_memory_ordered 1
		.amdhsa_forward_progress 1
		.amdhsa_inst_pref_size 255
		.amdhsa_round_robin_scheduling 0
		.amdhsa_exception_fp_ieee_invalid_op 0
		.amdhsa_exception_fp_denorm_src 0
		.amdhsa_exception_fp_ieee_div_zero 0
		.amdhsa_exception_fp_ieee_overflow 0
		.amdhsa_exception_fp_ieee_underflow 0
		.amdhsa_exception_fp_ieee_inexact 0
		.amdhsa_exception_int_div_zero 0
	.end_amdhsa_kernel
	.section	.text._ZL8moe_q3_KIN3c104HalfELb0EEvPKvS3_PT_PKiS7_S7_iiiiiii,"axG",@progbits,_ZL8moe_q3_KIN3c104HalfELb0EEvPKvS3_PT_PKiS7_S7_iiiiiii,comdat
.Lfunc_end209:
	.size	_ZL8moe_q3_KIN3c104HalfELb0EEvPKvS3_PT_PKiS7_S7_iiiiiii, .Lfunc_end209-_ZL8moe_q3_KIN3c104HalfELb0EEvPKvS3_PT_PKiS7_S7_iiiiiii
                                        ; -- End function
	.set _ZL8moe_q3_KIN3c104HalfELb0EEvPKvS3_PT_PKiS7_S7_iiiiiii.num_vgpr, 227
	.set _ZL8moe_q3_KIN3c104HalfELb0EEvPKvS3_PT_PKiS7_S7_iiiiiii.num_agpr, 0
	.set _ZL8moe_q3_KIN3c104HalfELb0EEvPKvS3_PT_PKiS7_S7_iiiiiii.numbered_sgpr, 27
	.set _ZL8moe_q3_KIN3c104HalfELb0EEvPKvS3_PT_PKiS7_S7_iiiiiii.num_named_barrier, 0
	.set _ZL8moe_q3_KIN3c104HalfELb0EEvPKvS3_PT_PKiS7_S7_iiiiiii.private_seg_size, 0
	.set _ZL8moe_q3_KIN3c104HalfELb0EEvPKvS3_PT_PKiS7_S7_iiiiiii.uses_vcc, 1
	.set _ZL8moe_q3_KIN3c104HalfELb0EEvPKvS3_PT_PKiS7_S7_iiiiiii.uses_flat_scratch, 0
	.set _ZL8moe_q3_KIN3c104HalfELb0EEvPKvS3_PT_PKiS7_S7_iiiiiii.has_dyn_sized_stack, 0
	.set _ZL8moe_q3_KIN3c104HalfELb0EEvPKvS3_PT_PKiS7_S7_iiiiiii.has_recursion, 0
	.set _ZL8moe_q3_KIN3c104HalfELb0EEvPKvS3_PT_PKiS7_S7_iiiiiii.has_indirect_call, 0
	.section	.AMDGPU.csdata,"",@progbits
; Kernel info:
; codeLenInByte = 36044
; TotalNumSgprs: 29
; NumVgprs: 227
; ScratchSize: 0
; MemoryBound: 0
; FloatMode: 240
; IeeeMode: 1
; LDSByteSize: 31776 bytes/workgroup (compile time only)
; SGPRBlocks: 0
; VGPRBlocks: 28
; NumSGPRsForWavesPerEU: 29
; NumVGPRsForWavesPerEU: 227
; Occupancy: 6
; WaveLimiterHint : 1
; COMPUTE_PGM_RSRC2:SCRATCH_EN: 0
; COMPUTE_PGM_RSRC2:USER_SGPR: 2
; COMPUTE_PGM_RSRC2:TRAP_HANDLER: 0
; COMPUTE_PGM_RSRC2:TGID_X_EN: 1
; COMPUTE_PGM_RSRC2:TGID_Y_EN: 1
; COMPUTE_PGM_RSRC2:TGID_Z_EN: 0
; COMPUTE_PGM_RSRC2:TIDIG_COMP_CNT: 1
	.section	.text._ZL8moe_q3_KIN3c104HalfELb1EEvPKvS3_PT_PKiS7_S7_iiiiiii,"axG",@progbits,_ZL8moe_q3_KIN3c104HalfELb1EEvPKvS3_PT_PKiS7_S7_iiiiiii,comdat
	.globl	_ZL8moe_q3_KIN3c104HalfELb1EEvPKvS3_PT_PKiS7_S7_iiiiiii ; -- Begin function _ZL8moe_q3_KIN3c104HalfELb1EEvPKvS3_PT_PKiS7_S7_iiiiiii
	.p2align	8
	.type	_ZL8moe_q3_KIN3c104HalfELb1EEvPKvS3_PT_PKiS7_S7_iiiiiii,@function
_ZL8moe_q3_KIN3c104HalfELb1EEvPKvS3_PT_PKiS7_S7_iiiiiii: ; @_ZL8moe_q3_KIN3c104HalfELb1EEvPKvS3_PT_PKiS7_S7_iiiiiii
; %bb.0:
	s_load_b128 s[4:7], s[0:1], 0x18
	s_mov_b32 s2, ttmp7
	s_mov_b32 s3, 0
	s_delay_alu instid0(SALU_CYCLE_1)
	s_lshl_b64 s[2:3], s[2:3], 2
	s_wait_kmcnt 0x0
	s_add_nc_u64 s[2:3], s[6:7], s[2:3]
	s_load_b32 s14, s[2:3], 0x0
	s_wait_kmcnt 0x0
	s_cmp_gt_u32 s14, 0xff
	s_cbranch_scc1 .LBB210_46
; %bb.1:
	s_load_b64 s[2:3], s[0:1], 0x28
	s_wait_kmcnt 0x0
	s_load_b32 s3, s[2:3], 0x0
	s_lshl_b32 s2, ttmp7, 3
	s_wait_kmcnt 0x0
	s_cmp_gt_u32 s2, s3
	s_cbranch_scc1 .LBB210_46
; %bb.2:
	v_bfe_u32 v18, v0, 10, 10
	v_mov_b32_e32 v17, 0
	s_lshl_b32 s11, ttmp9, 7
	s_delay_alu instid0(VALU_DEP_2) | instskip(NEXT) | instid1(VALU_DEP_2)
	v_add_nc_u32_e32 v16, s2, v18
	v_dual_mov_b32 v88, v17 :: v_dual_and_b32 v41, 0x3ff, v0
	v_dual_mov_b32 v89, v17 :: v_dual_mov_b32 v42, v17
	s_delay_alu instid0(VALU_DEP_3) | instskip(NEXT) | instid1(VALU_DEP_1)
	v_lshlrev_b64_e32 v[1:2], 2, v[16:17]
	v_add_co_u32 v1, vcc_lo, s4, v1
	s_delay_alu instid0(VALU_DEP_1)
	v_add_co_ci_u32_e64 v2, null, s5, v2, vcc_lo
	global_load_b32 v40, v[1:2], off
	s_clause 0x2
	s_load_b128 s[4:7], s[0:1], 0x30
	s_load_b64 s[12:13], s[0:1], 0x10
	s_load_b96 s[8:10], s[0:1], 0x40
	s_wait_kmcnt 0x0
	s_cmp_lt_i32 s5, 0x100
	s_cbranch_scc1 .LBB210_37
; %bb.3:
	v_lshlrev_b32_e32 v21, 4, v18
	v_bfe_u32 v53, v0, 1, 9
	s_ashr_i32 s16, s8, 31
	s_not_b32 s17, s11
	v_and_b32_e32 v20, 15, v0
	s_load_b128 s[0:3], s[0:1], 0x0
	v_add_nc_u32_e32 v13, v53, v21
	s_lshr_b32 s20, s16, 27
	s_add_co_i32 s16, s6, s17
	v_cmp_lt_u32_e32 vcc_lo, 7, v20
	v_and_b32_e32 v39, 3, v0
	v_dual_mov_b32 v42, 0 :: v_dual_and_b32 v13, 0x7f, v13
	v_add_nc_u32_e32 v1, 8, v18
	s_ashr_i32 s15, s5, 31
	v_add_nc_u32_e32 v4, 16, v18
	s_delay_alu instid0(VALU_DEP_3)
	v_min_i32_e32 v22, s16, v13
	v_add_nc_u32_e32 v5, 24, v18
	s_mul_i32 s14, s14, s4
	s_lshr_b32 s4, s15, 24
	v_add_nc_u32_e32 v6, 32, v18
	v_ashrrev_i32_e32 v17, 31, v22
	v_min_i32_e32 v2, s16, v18
	v_add_nc_u32_e32 v7, 40, v18
	s_wait_alu 0xfffd
	v_cndmask_b32_e64 v64, 0, 1, vcc_lo
	v_add_nc_u16 v75, v39, -2
	v_cmp_gt_u32_e32 vcc_lo, 2, v39
	v_lshlrev_b32_e32 v19, 2, v41
	s_wait_alu 0xfffe
	s_add_co_i32 s4, s5, s4
	v_min_i32_e32 v3, s16, v1
	v_add_nc_u32_e32 v8, 48, v18
	v_min_i32_e32 v4, s16, v4
	v_add_nc_u32_e32 v9, 56, v18
	s_wait_alu 0xfffe
	s_ashr_i32 s4, s4, 8
	v_min_i32_e32 v5, s16, v5
	v_add_nc_u32_e32 v10, 64, v18
	v_min_i32_e32 v6, s16, v6
	v_add_nc_u32_e32 v11, 0x48, v18
	v_lshrrev_b32_e32 v17, 28, v17
	v_bfe_u32 v72, v0, 3, 7
	s_wait_alu 0xfffe
	v_mul_lo_u32 v45, v2, s4
	v_min_i32_e32 v7, s16, v7
	v_add_nc_u32_e32 v12, 0x50, v18
	s_wait_alu 0xfffd
	v_cndmask_b32_e32 v76, v75, v39, vcc_lo
	v_mad_co_u64_u32 v[1:2], null, 0x84, v2, v[19:20]
	v_mul_lo_u32 v46, v3, s4
	v_mad_co_u64_u32 v[2:3], null, 0x84, v3, v[19:20]
	v_min_i32_e32 v8, s16, v8
	v_add_nc_u32_e32 v14, 0x58, v18
	v_mul_lo_u32 v47, v4, s4
	v_mad_co_u64_u32 v[3:4], null, 0x84, v4, v[19:20]
	v_min_i32_e32 v9, s16, v9
	v_add_nc_u32_e32 v15, 0x60, v18
	s_mul_i32 s18, s4, s11
	v_mul_lo_u32 v48, v5, s4
	v_mad_co_u64_u32 v[4:5], null, 0x84, v5, v[19:20]
	v_min_i32_e32 v10, s16, v10
	v_add_nc_u32_e32 v16, 0x68, v18
	v_mul_lo_u32 v49, v6, s4
	v_mad_co_u64_u32 v[5:6], null, 0x84, v6, v[19:20]
	v_min_i32_e32 v11, s16, v11
	v_add_nc_u32_e32 v23, 0x70, v18
	v_add_nc_u32_e32 v17, v22, v17
	v_lshl_add_u32 v81, v18, 2, v72
	s_ashr_i32 s15, s14, 31
	s_ashr_i32 s19, s18, 31
	v_mul_lo_u32 v50, v7, s4
	v_mad_co_u64_u32 v[6:7], null, 0x84, v7, v[19:20]
	v_min_i32_e32 v12, s16, v12
	v_mul_lo_u32 v51, v8, s4
	v_mad_co_u64_u32 v[7:8], null, 0x84, v8, v[19:20]
	v_min_i32_e32 v14, s16, v14
	s_mul_u64 s[18:19], s[18:19], 0x6e
	s_wait_kmcnt 0x0
	s_add_nc_u64 s[0:1], s[0:1], s[14:15]
	v_mul_lo_u32 v52, v9, s4
	v_mad_co_u64_u32 v[8:9], null, 0x84, v9, v[19:20]
	v_min_i32_e32 v15, s16, v15
	v_mul_lo_u32 v54, v10, s4
	v_mad_co_u64_u32 v[9:10], null, 0x84, v10, v[19:20]
	v_min_i32_e32 v16, s16, v16
	s_add_nc_u64 s[14:15], s[0:1], s[18:19]
	v_mul_lo_u32 v55, v11, s4
	v_mad_co_u64_u32 v[10:11], null, 0x84, v11, v[19:20]
	v_min_i32_e32 v23, s16, v23
	v_and_b32_e32 v61, 1, v0
	v_ashrrev_i32_e32 v17, 4, v17
	v_min_i32_e32 v82, s16, v81
	s_abs_i32 s1, s10
	v_mul_lo_u32 v56, v12, s4
	v_mad_co_u64_u32 v[11:12], null, 0x84, v12, v[19:20]
	v_mad_co_u64_u32 v[12:13], null, 0x84, v14, v[19:20]
	s_cvt_f32_u32 s0, s1
	v_mul_lo_u32 v57, v14, s4
	v_mad_co_u64_u32 v[13:14], null, 0x84, v15, v[19:20]
	v_mul_lo_u32 v58, v15, s4
	v_mad_co_u64_u32 v[14:15], null, 0x84, v16, v[19:20]
	v_mul_lo_u32 v59, v16, s4
	v_mul_lo_u32 v60, v23, s4
	v_mad_co_u64_u32 v[15:16], null, 0x84, v23, v[19:20]
	v_lshlrev_b32_e32 v23, 2, v17
	v_lshlrev_b32_e32 v26, 2, v61
	v_ashrrev_i32_e32 v77, 31, v82
	v_add_nc_u32_e32 v78, 32, v81
	v_rcp_iflag_f32_e32 v85, s0
	v_add_nc_u32_e32 v84, 64, v81
	v_add3_u32 v23, v23, v26, 0x7380
	v_and_b32_e32 v26, 7, v0
	v_lshrrev_b32_e32 v80, 30, v77
	v_min_i32_e32 v83, s16, v78
	v_add_nc_u32_e32 v81, 0x60, v81
	v_and_b32_e32 v79, 0xff, v76
	v_lshlrev_b32_e32 v65, 2, v26
	v_cmp_lt_u32_e32 vcc_lo, 3, v26
	v_add_nc_u32_e32 v26, v82, v80
	v_ashrrev_i32_e32 v80, 31, v83
	v_min_i32_e32 v87, s16, v81
	v_readfirstlane_b32 s0, v85
	v_lshlrev_b32_e32 v78, 2, v79
	v_lshlrev_b32_e32 v79, 1, v39
	v_lshrrev_b32_e32 v39, 30, v80
	v_ashrrev_i32_e32 v85, 31, v87
	s_mul_f32 s0, s0, 0x4f7ffffe
	v_min_i32_e32 v84, s16, v84
	v_mul_lo_u32 v81, v83, s4
	v_add_nc_u32_e32 v39, v83, v39
	v_lshlrev_b32_e32 v89, 5, v83
	v_lshrrev_b32_e32 v83, 30, v85
	s_wait_loadcnt 0x0
	v_sub_nc_u32_e32 v85, 0, v40
	s_wait_alu 0xfffe
	s_cvt_u32_f32 s0, s0
	s_add_co_i32 s6, s8, s20
	s_sub_co_i32 s8, 0, s1
	v_ashrrev_i32_e32 v86, 31, v84
	s_wait_alu 0xfffe
	s_mul_i32 s8, s8, s0
	v_max_i32_e32 v90, v40, v85
	s_mul_hi_u32 s8, s0, s8
	v_mul_lo_u32 v80, v82, s4
	v_lshlrev_b32_e32 v88, 5, v82
	v_lshrrev_b32_e32 v82, 30, v86
	s_add_co_i32 s0, s0, s8
	v_bfe_u32 v43, v0, 4, 6
	s_wait_alu 0xfffe
	v_mul_hi_u32 v91, v90, s0
	v_add_nc_u32_e32 v83, v87, v83
	v_add_nc_u32_e32 v82, v84, v82
	;; [unrolled: 1-line block ×3, first 2 shown]
	v_lshl_add_u32 v25, v18, 1, v43
	v_lshlrev_b32_e32 v112, 5, v84
	v_and_b32_e32 v39, -4, v39
	v_and_b32_e32 v86, -4, v82
	v_mul_lo_u32 v82, v84, s4
	v_lshl_add_u32 v84, v18, 7, 0x77a0
	v_mul_lo_u32 v18, v91, s1
	v_and_b32_e32 v85, -4, v83
	v_min_i32_e32 v24, s16, v24
	v_add3_u32 v39, v39, v65, 0x6300
	v_mul_lo_u32 v83, v87, s4
	v_and_b32_e32 v94, 28, v19
	v_add3_u32 v113, v85, v65, 0x6300
	v_add_nc_u32_e32 v85, 0x7ba0, v21
	v_sub_nc_u32_e32 v18, v90, v18
	v_lshlrev_b32_e32 v21, 5, v87
	v_dual_mov_b32 v89, 0 :: v_dual_add_nc_u32 v110, v39, v89
	v_mad_co_u64_u32 v[16:17], null, 0x84, v24, v[19:20]
	v_add_nc_u32_e32 v87, v85, v19
	v_add_nc_u32_e32 v19, 1, v91
	v_subrev_nc_u32_e32 v90, s1, v18
	v_cmp_le_u32_e64 s0, s1, v18
	v_add_nc_u32_e32 v17, 16, v25
	v_min_i32_e32 v27, s16, v25
	v_add_nc_u32_e32 v28, 32, v25
	v_add_nc_u32_e32 v29, 48, v25
	s_wait_alu 0xf1ff
	v_cndmask_b32_e64 v19, v91, v19, s0
	v_cndmask_b32_e64 v18, v18, v90, s0
	v_min_i32_e32 v17, s16, v17
	v_add_nc_u32_e32 v31, 64, v25
	v_add_nc_u32_e32 v33, 0x50, v25
	;; [unrolled: 1-line block ×4, first 2 shown]
	v_xor_b32_e32 v91, s10, v40
	v_add_nc_u32_e32 v90, 1, v19
	v_cmp_le_u32_e64 s0, s1, v18
	v_lshlrev_b32_e32 v44, 2, v20
	v_lshrrev_b32_e32 v20, 31, v17
	v_min_i32_e32 v28, s16, v28
	v_min_i32_e32 v29, s16, v29
	v_min_i32_e32 v31, s16, v31
	v_min_i32_e32 v33, s16, v33
	v_min_i32_e32 v35, s16, v35
	v_min_i32_e32 v25, s16, v25
	v_ashrrev_i32_e32 v91, 31, v91
	s_wait_alu 0xf1ff
	v_cndmask_b32_e64 v18, v19, v90, s0
	v_mul_lo_u32 v62, v24, s4
	v_lshrrev_b32_e32 v24, 31, v27
	v_add_lshl_u32 v20, v17, v20, 1
	v_lshrrev_b32_e32 v30, 31, v28
	v_lshrrev_b32_e32 v32, 31, v29
	;; [unrolled: 1-line block ×6, first 2 shown]
	v_xor_b32_e32 v18, v18, v91
	v_add_lshl_u32 v24, v27, v24, 1
	v_and_b32_e32 v20, -4, v20
	v_add_lshl_u32 v30, v28, v30, 1
	v_add_lshl_u32 v32, v29, v32, 1
	;; [unrolled: 1-line block ×6, first 2 shown]
	v_add_nc_u32_e32 v19, 0x60, v41
	v_sub_nc_u32_e32 v18, v18, v91
	s_ashr_i32 s6, s6, 5
	v_and_b32_e32 v24, -4, v24
	v_mul_lo_u32 v67, v17, s4
	v_add3_u32 v20, v20, v44, 0x4200
	v_lshlrev_b32_e32 v17, 6, v17
	v_and_b32_e32 v30, -4, v30
	v_and_b32_e32 v32, -4, v32
	;; [unrolled: 1-line block ×7, first 2 shown]
	v_mul_u32_u24_e32 v95, 33, v41
	v_add_nc_u32_e32 v96, 32, v41
	v_lshlrev_b32_e32 v99, 5, v41
	v_add_nc_u32_e32 v97, 64, v41
	v_and_b32_e32 v98, 0x1fc, v19
	v_mul_lo_u32 v93, v18, s6
	v_mul_lo_u32 v63, v22, s4
	v_lshlrev_b32_e32 v22, 3, v22
	v_mul_lo_u32 v66, v27, s4
	v_lshlrev_b32_e32 v27, 6, v27
	;; [unrolled: 2-line block ×8, first 2 shown]
	v_lshlrev_b32_e32 v75, 1, v41
	v_add3_u32 v26, v26, v65, 0x6300
	v_add3_u32 v111, v86, v65, 0x6300
	v_and_b32_e32 v86, 31, v0
	v_lshlrev_b32_e32 v114, 4, v41
	v_lshlrev_b32_e32 v115, 4, v96
	v_lshrrev_b32_e32 v116, 1, v96
	v_lshlrev_b32_e32 v117, 1, v96
	v_lshrrev_b32_e32 v118, 4, v96
	;; [unrolled: 2-line block ×6, first 2 shown]
	v_lshrrev_b32_e32 v91, 3, v97
	v_cmp_gt_i32_e64 s0, s7, v18
	v_add_co_u32 v18, s1, s2, v94
	v_lshlrev_b32_e32 v94, 2, v95
	v_add_nc_u32_e32 v95, v99, v98
	v_and_b32_e32 v97, 0x1fc, v97
	v_and_b32_e32 v98, 0x1fc, v96
	;; [unrolled: 1-line block ×3, first 2 shown]
	v_dual_mov_b32 v17, 0 :: v_dual_add_nc_u32 v102, v20, v17
	v_add3_u32 v24, v24, v44, 0x4200
	v_add3_u32 v30, v30, v44, 0x4200
	;; [unrolled: 1-line block ×7, first 2 shown]
	s_wait_alu 0xfffd
	v_cndmask_b32_e64 v76, 0, 1, vcc_lo
	v_cmp_gt_u32_e32 vcc_lo, 4, v41
	v_and_b32_e32 v77, 4, v75
	v_lshl_add_u32 v86, v86, 2, v84
	v_lshrrev_b32_e32 v90, 3, v96
	v_lshrrev_b32_e32 v92, 3, v19
	s_wait_alu 0xf1ff
	v_add_co_ci_u32_e64 v19, null, s3, 0, s1
	v_ashrrev_i32_e32 v0, 31, v93
	v_add_nc_u32_e32 v96, 0x6f00, v95
	v_add_nc_u32_e32 v97, v99, v97
	;; [unrolled: 1-line block ×15, first 2 shown]
	v_lshlrev_b32_e32 v113, 2, v114
	v_lshlrev_b32_e32 v114, 2, v116
	;; [unrolled: 1-line block ×12, first 2 shown]
	v_dual_mov_b32 v88, 0 :: v_dual_lshlrev_b32 v125, 2, v125
	s_mov_b32 s17, 0
	s_and_b32 s8, vcc_lo, s0
	s_wait_alu 0xfffe
	s_mov_b32 s16, s17
	s_branch .LBB210_5
.LBB210_4:                              ;   in Loop: Header=BB210_5 Depth=1
	s_add_co_i32 s16, s16, 2
	s_wait_alu 0xfffe
	s_cmp_ge_i32 s16, s4
	s_cbranch_scc1 .LBB210_37
.LBB210_5:                              ; =>This Loop Header: Depth=1
                                        ;     Child Loop BB210_11 Depth 2
                                        ;     Child Loop BB210_19 Depth 2
	;; [unrolled: 1-line block ×4, first 2 shown]
	s_wait_alu 0xfffe
	s_mul_u64 s[18:19], s[16:17], 0x6e
	s_wait_alu 0xfffe
	s_add_nc_u64 s[18:19], s[14:15], s[18:19]
	s_wait_alu 0xfffe
	v_mad_co_u64_u32 v[20:21], null, 0x6e, v43, s[18:19]
	s_delay_alu instid0(VALU_DEP_1) | instskip(SKIP_3) | instid1(VALU_DEP_4)
	v_mad_co_i64_i32 v[22:23], null, 0x6e, v45, v[20:21]
	v_mad_co_i64_i32 v[24:25], null, 0x6e, v46, v[20:21]
	;; [unrolled: 1-line block ×4, first 2 shown]
	v_add_co_u32 v22, s1, v22, v44
	v_mad_co_i64_i32 v[30:31], null, 0x6e, v49, v[20:21]
	s_wait_alu 0xf1ff
	v_add_co_ci_u32_e64 v23, null, 0, v23, s1
	v_add_co_u32 v24, s1, v24, v44
	v_mad_co_i64_i32 v[32:33], null, 0x6e, v50, v[20:21]
	s_wait_alu 0xf1ff
	v_add_co_ci_u32_e64 v25, null, 0, v25, s1
	;; [unrolled: 4-line block ×4, first 2 shown]
	v_add_co_u32 v30, s1, v30, v44
	s_wait_alu 0xf1ff
	v_add_co_ci_u32_e64 v31, null, 0, v31, s1
	v_add_co_u32 v32, s1, v32, v44
	s_wait_alu 0xf1ff
	v_add_co_ci_u32_e64 v33, null, 0, v33, s1
	;; [unrolled: 3-line block ×3, first 2 shown]
	v_add_co_u32 v36, s1, v36, v44
	v_mad_co_i64_i32 v[38:39], null, 0x6e, v54, v[20:21]
	s_wait_alu 0xf1ff
	v_add_co_ci_u32_e64 v37, null, 0, v37, s1
	s_clause 0x7
	global_load_b32 v128, v[22:23], off offset:32
	global_load_b32 v129, v[24:25], off offset:32
	global_load_b32 v130, v[26:27], off offset:32
	global_load_b32 v131, v[28:29], off offset:32
	global_load_b32 v132, v[30:31], off offset:32
	global_load_b32 v133, v[32:33], off offset:32
	global_load_b32 v134, v[34:35], off offset:32
	global_load_b32 v135, v[36:37], off offset:32
	v_mad_co_i64_i32 v[22:23], null, 0x6e, v55, v[20:21]
	v_mad_co_i64_i32 v[26:27], null, 0x6e, v56, v[20:21]
	v_mad_co_i64_i32 v[28:29], null, 0x6e, v57, v[20:21]
	v_add_co_u32 v24, s1, v38, v44
	v_mad_co_i64_i32 v[30:31], null, 0x6e, v58, v[20:21]
	s_wait_alu 0xf1ff
	v_add_co_ci_u32_e64 v25, null, 0, v39, s1
	v_add_co_u32 v22, s1, v22, v44
	v_mad_co_i64_i32 v[32:33], null, 0x6e, v59, v[20:21]
	s_wait_alu 0xf1ff
	v_add_co_ci_u32_e64 v23, null, 0, v23, s1
	;; [unrolled: 4-line block ×4, first 2 shown]
	v_add_co_u32 v30, s1, v30, v44
	v_mad_co_u64_u32 v[36:37], null, 0x6e, v64, s[18:19]
	s_wait_alu 0xf1ff
	v_add_co_ci_u32_e64 v31, null, 0, v31, s1
	v_add_co_u32 v32, s1, v32, v44
	s_wait_alu 0xf1ff
	v_add_co_ci_u32_e64 v33, null, 0, v33, s1
	v_add_co_u32 v34, s1, v34, v44
	;; [unrolled: 3-line block ×3, first 2 shown]
	v_mad_co_i64_i32 v[38:39], null, 0x6e, v63, s[18:19]
	s_wait_alu 0xf1ff
	v_add_co_ci_u32_e64 v21, null, 0, v21, s1
	v_add_co_u32 v36, s1, v36, v65
	s_wait_alu 0xf1ff
	v_add_co_ci_u32_e64 v37, null, 0, v37, s1
	s_clause 0x7
	global_load_b32 v136, v[24:25], off offset:32
	global_load_b32 v137, v[22:23], off offset:32
	;; [unrolled: 1-line block ×8, first 2 shown]
	v_mad_co_u64_u32 v[30:31], null, 0x6e, v76, s[18:19]
	v_mad_co_u64_u32 v[20:21], null, 0x6e, v61, v[38:39]
	v_mad_co_i64_i32 v[22:23], null, 0x6e, v66, v[36:37]
	v_mad_co_i64_i32 v[24:25], null, 0x6e, v67, v[36:37]
	;; [unrolled: 1-line block ×8, first 2 shown]
	s_clause 0x7
	global_load_u16 v144, v[20:21], off offset:108
	global_load_b32 v145, v[22:23], off
	global_load_b32 v146, v[24:25], off
	;; [unrolled: 1-line block ×7, first 2 shown]
	v_mad_co_i64_i32 v[22:23], null, 0x6e, v81, v[30:31]
	v_mad_co_i64_i32 v[26:27], null, 0x6e, v82, v[30:31]
	;; [unrolled: 1-line block ×4, first 2 shown]
	v_add_co_u32 v24, s1, v126, v78
	s_wait_alu 0xf1ff
	v_add_co_ci_u32_e64 v25, null, 0, v127, s1
	v_add_co_u32 v30, s1, v22, v78
	s_wait_alu 0xf1ff
	v_add_co_ci_u32_e64 v31, null, 0, v23, s1
	;; [unrolled: 3-line block ×4, first 2 shown]
	s_clause 0x8
	global_load_b32 v20, v[20:21], off
	global_load_b32 v21, v[24:25], off offset:96
	global_load_b32 v24, v[28:29], off offset:104
	;; [unrolled: 1-line block ×8, first 2 shown]
	s_lshl_b32 s18, s16, 8
	s_wait_loadcnt 0x20
	ds_store_b32 v1, v128
	s_wait_loadcnt 0x1f
	ds_store_b32 v2, v129
	;; [unrolled: 2-line block ×16, first 2 shown]
	s_wait_alu 0xfffe
	s_cmp_lt_i32 s18, s5
	s_wait_loadcnt 0x10
	v_cvt_f32_f16_e64 v29, v144
	s_wait_loadcnt 0xf
	v_not_b32_e32 v30, v145
	s_wait_loadcnt 0xe
	v_not_b32_e32 v31, v146
	;; [unrolled: 2-line block ×6, first 2 shown]
	ds_store_b32 v100, v29
	ds_store_b32 v101, v30
	;; [unrolled: 1-line block ×6, first 2 shown]
	s_wait_loadcnt 0x9
	v_not_b32_e32 v36, v38
	ds_store_b32 v106, v35
	ds_store_b32 v107, v36
	s_wait_loadcnt 0x8
	v_not_b32_e32 v20, v20
	s_wait_loadcnt 0x7
	v_ashrrev_i32_e32 v21, v77, v21
	s_wait_loadcnt 0x6
	v_ashrrev_i32_e32 v24, v79, v24
	;; [unrolled: 2-line block ×8, first 2 shown]
	v_and_b32_e32 v21, 0xf0f0f0f, v21
	v_lshlrev_b32_e32 v23, 4, v23
	v_and_b32_e32 v26, 0xf0f0f0f, v26
	v_lshlrev_b32_e32 v22, 4, v22
	;; [unrolled: 2-line block ×4, first 2 shown]
	v_and_or_b32 v21, 0x30303030, v23, v21
	v_and_or_b32 v22, 0x30303030, v22, v26
	;; [unrolled: 1-line block ×3, first 2 shown]
	s_delay_alu instid0(VALU_DEP_4) | instskip(NEXT) | instid1(VALU_DEP_4)
	v_and_or_b32 v24, 0x30303030, v24, v28
	v_lshrrev_b32_e32 v25, 16, v21
	v_and_b32_e32 v26, 0x3f00, v21
	v_lshlrev_b16 v21, 8, v21
	v_lshrrev_b32_e32 v27, 16, v22
	v_lshrrev_b32_e32 v29, 16, v23
	v_and_b32_e32 v28, 0x3f00, v22
	v_lshlrev_b16 v22, 8, v22
	v_lshrrev_b32_e32 v31, 16, v24
	v_and_b32_e32 v33, 0x3f00, v25
	v_lshlrev_b16 v25, 8, v25
	v_add_nc_u16 v21, 0xe000, v21
	v_and_b32_e32 v34, 0x3f00, v27
	v_lshlrev_b16 v27, 8, v27
	v_and_b32_e32 v30, 0x3f00, v23
	v_lshlrev_b16 v23, 8, v23
	;; [unrolled: 2-line block ×4, first 2 shown]
	v_add_nc_u16 v22, 0xe000, v22
	v_and_b32_e32 v37, 0x3f00, v31
	v_lshlrev_b16 v31, 8, v31
	v_add_nc_u16 v25, 0xe000, v25
	v_lshrrev_b16 v21, 8, v21
	v_add_nc_u16 v27, 0xe000, v27
	v_add_nc_u16 v23, 0xe000, v23
	;; [unrolled: 1-line block ×4, first 2 shown]
	v_lshrrev_b16 v22, 8, v22
	v_add_nc_u16 v31, 0xe000, v31
	v_lshrrev_b16 v25, 8, v25
	v_or_b32_e32 v21, v26, v21
	v_lshrrev_b16 v26, 8, v27
	v_lshrrev_b16 v23, 8, v23
	;; [unrolled: 1-line block ×4, first 2 shown]
	v_or_b32_e32 v22, v28, v22
	v_lshrrev_b16 v28, 8, v31
	v_or_b32_e32 v25, v33, v25
	v_or_b32_e32 v26, v34, v26
	;; [unrolled: 1-line block ×6, first 2 shown]
	v_add_nc_u16 v21, 0xe000, v21
	v_add_nc_u16 v25, 0xe000, v25
	;; [unrolled: 1-line block ×8, first 2 shown]
	v_and_b32_e32 v21, 0xffff, v21
	v_lshlrev_b32_e32 v25, 16, v25
	v_and_b32_e32 v22, 0xffff, v22
	v_lshlrev_b32_e32 v26, 16, v26
	;; [unrolled: 2-line block ×4, first 2 shown]
	v_or_b32_e32 v21, v21, v25
	v_or_b32_e32 v22, v22, v26
	;; [unrolled: 1-line block ×3, first 2 shown]
	s_delay_alu instid0(VALU_DEP_4)
	v_or_b32_e32 v24, v24, v28
	ds_store_b32 v108, v20
	ds_store_b32 v109, v21
	;; [unrolled: 1-line block ×5, first 2 shown]
	s_cbranch_scc0 .LBB210_4
; %bb.6:                                ;   in Loop: Header=BB210_5 Depth=1
	s_lshl_b32 s19, s16, 3
	s_wait_alu 0xfffe
	v_add_nc_u32_e32 v20, s19, v72
	s_delay_alu instid0(VALU_DEP_1)
	v_cmp_gt_i32_e64 s1, s6, v20
	s_and_b32 s20, s0, s1
	s_wait_alu 0xfffe
	s_and_saveexec_b32 s1, s20
	s_cbranch_execz .LBB210_8
; %bb.7:                                ;   in Loop: Header=BB210_5 Depth=1
	v_add_nc_u32_e32 v20, v93, v20
	s_delay_alu instid0(VALU_DEP_1)
	v_mad_co_i64_i32 v[20:21], null, v20, 36, v[18:19]
	global_load_b32 v20, v[20:21], off offset:4
	s_wait_loadcnt 0x0
	ds_store_b32 v86, v20
.LBB210_8:                              ;   in Loop: Header=BB210_5 Depth=1
	s_wait_alu 0xfffe
	s_or_b32 exec_lo, exec_lo, s1
	v_add_nc_u32_e32 v129, s19, v41
	s_delay_alu instid0(VALU_DEP_1)
	v_cmp_gt_i32_e64 s1, s6, v129
	s_and_b32 s20, s8, s1
	s_wait_alu 0xfffe
	s_and_saveexec_b32 s1, s20
	s_cbranch_execz .LBB210_10
; %bb.9:                                ;   in Loop: Header=BB210_5 Depth=1
	v_add_nc_u32_e32 v20, v93, v129
	s_delay_alu instid0(VALU_DEP_1)
	v_mad_co_i64_i32 v[20:21], null, v20, 36, s[2:3]
	global_load_b32 v20, v[20:21], off
	s_wait_loadcnt 0x0
	v_cvt_f32_f16_e32 v20, v20
	ds_store_b32 v87, v20
.LBB210_10:                             ;   in Loop: Header=BB210_5 Depth=1
	s_wait_alu 0xfffe
	s_or_b32 exec_lo, exec_lo, s1
	v_dual_mov_b32 v130, v85 :: v_dual_mov_b32 v131, v84
	s_mov_b32 s22, -2
	s_mov_b32 s1, 0
	s_mov_b32 s20, 0
	s_wait_dscnt 0x0
	s_barrier_signal -1
	s_barrier_wait -1
	global_inv scope:SCOPE_SE
.LBB210_11:                             ;   Parent Loop BB210_5 Depth=1
                                        ; =>  This Inner Loop Header: Depth=2
	ds_load_b128 v[20:23], v131
	ds_load_b128 v[33:36], v131 offset:16
	s_wait_alu 0xfffe
	s_add_co_i32 s21, s22, 2
	v_add_nc_u32_e32 v131, 32, v131
	s_wait_alu 0xfffe
	s_and_b32 s25, s21, 0x3ffffff8
	s_lshr_b32 s24, s21, 4
	s_wait_alu 0xfffe
	v_lshl_add_u32 v142, s25, 2, v94
	s_and_b32 s25, s20, -16
	s_lshl_b32 s23, s24, 5
	s_wait_alu 0xfffe
	s_add_co_i32 s22, s22, s25
	s_addk_co_i32 s23, 0x4200
	s_wait_alu 0xfffe
	v_add_nc_u32_e32 v37, s22, v96
	s_lshl_b32 s24, s24, 2
	v_add_nc_u32_e32 v39, 0x3198, v142
	s_wait_alu 0xfffe
	s_addk_co_i32 s24, 0x7380
	v_add3_u32 v181, s23, v114, v115
	v_add3_u32 v214, s23, v118, v119
	s_add_co_i32 s20, s20, 2
	s_wait_dscnt 0x1
	v_lshrrev_b16 v155, 8, v20
	v_ashrrev_i32_e32 v28, 24, v20
	v_bfe_i32 v26, v20, 16, 8
	v_bfe_i32 v158, v20, 0, 8
	v_perm_b32 v151, v20, v20, 0xc0c0302
	v_add_nc_u32_e32 v20, 0x3188, v142
	s_wait_dscnt 0x0
	v_lshrrev_b16 v127, 8, v33
	v_lshrrev_b16 v161, 8, v34
	v_ashrrev_i32_e32 v32, 24, v33
	v_bfe_i32 v30, v33, 16, 8
	v_bfe_i32 v162, v33, 0, 8
	v_perm_b32 v147, v33, v33, 0xc0c0302
	v_ashrrev_i32_e32 v33, 24, v34
	v_bfe_i32 v31, v34, 16, 8
	v_bfe_i32 v144, v34, 0, 8
	v_perm_b32 v140, v34, v34, 0xc030201
	v_add3_u32 v34, s23, v122, v123
	v_lshrrev_b16 v157, 8, v21
	v_lshrrev_b16 v153, 8, v22
	;; [unrolled: 1-line block ×3, first 2 shown]
	v_ashrrev_i32_e32 v29, 24, v21
	v_bfe_i32 v27, v21, 16, 8
	v_bfe_i32 v145, v21, 0, 8
	v_perm_b32 v141, v21, v21, 0xc030201
	v_ashrrev_i32_e32 v148, 24, v22
	v_bfe_i32 v150, v22, 16, 8
	v_bfe_i32 v139, v22, 0, 8
	v_perm_b32 v137, v22, v22, 0xc030201
	;; [unrolled: 4-line block ×3, first 2 shown]
	v_lshrrev_b16 v128, 8, v35
	v_lshrrev_b16 v146, 8, v36
	v_ashrrev_i32_e32 v154, 24, v35
	v_bfe_i32 v159, v35, 16, 8
	v_bfe_i32 v138, v35, 0, 8
	v_perm_b32 v136, v35, v35, 0xc030201
	v_ashrrev_i32_e32 v156, 24, v36
	v_bfe_i32 v160, v36, 16, 8
	v_bfe_i32 v134, v36, 0, 8
	v_perm_b32 v132, v36, v36, 0xc030201
	ds_load_2addr_b32 v[20:21], v20 offset1:1
	ds_load_2addr_b32 v[35:36], v34 offset0:4 offset1:5
	ds_load_2addr_b32 v[24:25], v34 offset0:6 offset1:7
	;; [unrolled: 1-line block ×3, first 2 shown]
	ds_load_u16 v166, v37 offset:2
	s_wait_alu 0xfffe
	v_add3_u32 v37, s24, v124, v125
	v_bfe_i32 v127, v127, 0, 8
	v_bfe_i32 v161, v161, 0, 8
	;; [unrolled: 1-line block ×4, first 2 shown]
	ds_load_b32 v163, v37
	v_add_nc_u32_e32 v37, 0x3190, v142
	ds_load_2addr_b32 v[37:38], v37 offset1:1
	ds_load_2addr_b32 v[164:165], v39 offset1:1
	v_bfe_i32 v155, v155, 0, 8
	v_bfe_i32 v153, v153, 0, 8
	;; [unrolled: 1-line block ×3, first 2 shown]
	s_wait_dscnt 0x7
	v_ashrrev_i32_e32 v204, s21, v20
	s_wait_dscnt 0x6
	v_ashrrev_i32_e32 v36, s1, v36
	v_ashrrev_i32_e32 v35, s1, v35
	s_wait_dscnt 0x5
	v_ashrrev_i32_e32 v24, s1, v24
	v_ashrrev_i32_e32 v25, s1, v25
	v_ashrrev_i32_e32 v205, s21, v21
	v_lshlrev_b32_e32 v36, 2, v36
	v_lshlrev_b32_e32 v35, 2, v35
	;; [unrolled: 1-line block ×4, first 2 shown]
	s_wait_dscnt 0x4
	v_ashrrev_i32_e32 v22, s1, v22
	v_and_b32_e32 v36, 0x4040404, v36
	v_and_b32_e32 v35, 0x4040404, v35
	;; [unrolled: 1-line block ×4, first 2 shown]
	s_wait_dscnt 0x1
	v_ashrrev_i32_e32 v38, s21, v38
	v_ashrrev_i32_e32 v37, s21, v37
	v_lshrrev_b32_e32 v126, 24, v36
	v_lshrrev_b32_e32 v167, 24, v35
	s_wait_dscnt 0x0
	v_ashrrev_i32_e32 v191, s21, v164
	v_bfe_u32 v39, v38, 24, 2
	v_and_b32_e32 v38, 0x3030303, v38
	v_ashrrev_i32_e32 v192, s21, v165
	v_ashrrev_i32_e32 v23, s1, v23
	v_and_b32_e32 v195, 0x3030303, v191
	v_sub_nc_u16 v39, v39, v126
	v_bfe_u32 v126, v37, 24, 2
	v_and_b32_e32 v37, 0x3030303, v37
	v_and_b32_e32 v196, 0x3030303, v192
	v_sub_nc_u16 v24, v195, v193
	v_bfe_i32 v39, v39, 0, 16
	v_sub_nc_u16 v126, v126, v167
	v_and_b32_e32 v208, 0x3030303, v204
	v_sub_nc_u16 v25, v196, v194
	v_bfe_i32 v24, v24, 0, 8
	v_mul_i32_i24_e32 v33, v39, v33
	v_bfe_i32 v39, v126, 0, 16
	v_and_b32_e32 v209, 0x3030303, v205
	v_bfe_i32 v25, v25, 0, 8
	v_mul_i32_i24_e32 v24, v24, v138
	v_lshlrev_b32_e32 v126, 2, v53
	v_mad_i32_i24 v189, v39, v32, v33
	v_lshrrev_b32_e32 v32, 16, v38
	v_lshrrev_b32_e32 v33, 16, v36
	;; [unrolled: 1-line block ×3, first 2 shown]
	v_mul_i32_i24_e32 v25, v25, v134
	v_add3_u32 v179, s23, v126, v113
	v_lshrrev_b16 v187, 8, v193
	v_sub_nc_u16 v32, v32, v33
	v_lshrrev_b32_e32 v33, 16, v37
	v_bfe_i32 v143, v143, 0, 8
	s_delay_alu instid0(VALU_DEP_3) | instskip(NEXT) | instid1(VALU_DEP_3)
	v_bfe_i32 v32, v32, 0, 8
	v_sub_nc_u16 v33, v33, v39
	s_delay_alu instid0(VALU_DEP_2) | instskip(NEXT) | instid1(VALU_DEP_2)
	v_mul_i32_i24_e32 v31, v32, v31
	v_bfe_i32 v32, v33, 0, 8
	s_delay_alu instid0(VALU_DEP_1) | instskip(SKIP_4) | instid1(VALU_DEP_4)
	v_mad_i32_i24 v190, v32, v30, v31
	v_sub_nc_u16 v30, v38, v36
	v_sub_nc_u16 v31, v37, v35
	v_add3_u32 v32, s24, v120, v121
	v_lshrrev_b16 v35, 8, v35
	v_bfe_i32 v30, v30, 0, 8
	s_delay_alu instid0(VALU_DEP_4) | instskip(NEXT) | instid1(VALU_DEP_2)
	v_bfe_i32 v31, v31, 0, 8
	v_mul_i32_i24_e32 v30, v30, v144
	s_delay_alu instid0(VALU_DEP_1) | instskip(NEXT) | instid1(VALU_DEP_1)
	v_mad_i32_i24 v30, v31, v162, v30
	v_add3_u32 v197, v30, v24, v25
	v_add_nc_u32_e32 v30, 0x3180, v142
	ds_load_2addr_b32 v[24:25], v34 offset1:1
	ds_load_2addr_b32 v[30:31], v30 offset1:1
	ds_load_b32 v164, v32
	s_wait_dscnt 0x2
	v_ashrrev_i32_e32 v25, s1, v25
	v_ashrrev_i32_e32 v24, s1, v24
	s_wait_dscnt 0x1
	v_ashrrev_i32_e32 v31, s21, v31
	v_ashrrev_i32_e32 v30, s21, v30
	v_lshlrev_b32_e32 v25, 2, v25
	v_lshlrev_b32_e32 v24, 2, v24
	s_delay_alu instid0(VALU_DEP_4) | instskip(NEXT) | instid1(VALU_DEP_4)
	v_and_b32_e32 v201, 0x3030303, v31
	v_and_b32_e32 v202, 0x3030303, v30
	s_delay_alu instid0(VALU_DEP_4) | instskip(NEXT) | instid1(VALU_DEP_4)
	v_and_b32_e32 v198, 0x4040404, v25
	v_and_b32_e32 v199, 0x4040404, v24
	v_bfe_u32 v25, v31, 24, 2
	v_bfe_u32 v24, v30, 24, 2
	s_delay_alu instid0(VALU_DEP_4) | instskip(NEXT) | instid1(VALU_DEP_4)
	v_sub_nc_u16 v20, v201, v198
	v_sub_nc_u16 v21, v202, v199
	v_lshrrev_b32_e32 v32, 24, v198
	s_delay_alu instid0(VALU_DEP_3) | instskip(NEXT) | instid1(VALU_DEP_3)
	v_bfe_i32 v20, v20, 0, 8
	v_bfe_i32 v21, v21, 0, 8
	s_delay_alu instid0(VALU_DEP_3) | instskip(SKIP_1) | instid1(VALU_DEP_4)
	v_sub_nc_u16 v25, v25, v32
	v_lshrrev_b32_e32 v32, 24, v199
	v_mul_i32_i24_e32 v20, v20, v145
	s_delay_alu instid0(VALU_DEP_3) | instskip(NEXT) | instid1(VALU_DEP_3)
	v_bfe_i32 v25, v25, 0, 16
	v_sub_nc_u16 v24, v24, v32
	s_delay_alu instid0(VALU_DEP_3) | instskip(SKIP_4) | instid1(VALU_DEP_4)
	v_mad_i32_i24 v20, v21, v158, v20
	v_lshlrev_b32_e32 v21, 2, v22
	v_lshlrev_b32_e32 v22, 2, v23
	v_mul_i32_i24_e32 v25, v25, v29
	v_bfe_i32 v24, v24, 0, 16
	v_and_b32_e32 v206, 0x4040404, v21
	s_delay_alu instid0(VALU_DEP_4) | instskip(NEXT) | instid1(VALU_DEP_3)
	v_and_b32_e32 v207, 0x4040404, v22
	v_mad_i32_i24 v200, v24, v28, v25
	v_lshrrev_b32_e32 v24, 16, v201
	s_delay_alu instid0(VALU_DEP_4) | instskip(NEXT) | instid1(VALU_DEP_4)
	v_sub_nc_u16 v21, v208, v206
	v_sub_nc_u16 v22, v209, v207
	v_lshrrev_b32_e32 v25, 16, v198
	v_lshrrev_b32_e32 v28, 16, v199
	v_lshrrev_b16 v199, 8, v199
	v_bfe_i32 v21, v21, 0, 8
	v_bfe_i32 v22, v22, 0, 8
	v_sub_nc_u16 v24, v24, v25
	v_lshrrev_b32_e32 v25, 16, v202
	v_lshrrev_b16 v202, 8, v202
	v_mul_i32_i24_e32 v21, v21, v139
	v_mul_i32_i24_e32 v22, v22, v135
	v_bfe_i32 v24, v24, 0, 8
	v_sub_nc_u16 v25, v25, v28
	v_lshrrev_b16 v201, 8, v201
	v_lshrrev_b16 v198, 8, v198
	v_add3_u32 v210, v20, v21, v22
	ds_load_2addr_b32 v[167:168], v179 offset0:4 offset1:5
	ds_load_2addr_b32 v[20:21], v179 offset0:6 offset1:7
	;; [unrolled: 1-line block ×3, first 2 shown]
	v_mul_i32_i24_e32 v24, v24, v27
	v_bfe_i32 v25, v25, 0, 8
	v_add_nc_u32_e32 v27, 0x1098, v142
	v_sub_nc_u16 v199, v202, v199
	v_sub_nc_u16 v198, v201, v198
	v_lshrrev_b16 v201, 8, v208
	v_mad_i32_i24 v203, v25, v26, v24
	v_lshrrev_b16 v202, 8, v206
	v_bfe_i32 v199, v199, 0, 16
	v_bfe_i32 v198, v198, 0, 16
	s_delay_alu instid0(VALU_DEP_3) | instskip(NEXT) | instid1(VALU_DEP_2)
	v_sub_nc_u16 v201, v201, v202
	v_mul_i32_i24_e32 v157, v198, v157
	s_wait_dscnt 0x2
	v_ashrrev_i32_e32 v22, s1, v167
	s_wait_dscnt 0x1
	v_ashrrev_i32_e32 v20, s1, v20
	;; [unrolled: 2-line block ×3, first 2 shown]
	v_ashrrev_i32_e32 v29, s1, v29
	v_lshlrev_b32_e32 v22, 2, v22
	v_lshlrev_b32_e32 v20, 2, v20
	s_delay_alu instid0(VALU_DEP_4) | instskip(NEXT) | instid1(VALU_DEP_4)
	v_lshlrev_b32_e32 v28, 2, v28
	v_lshlrev_b32_e32 v29, 2, v29
	s_delay_alu instid0(VALU_DEP_4)
	v_and_b32_e32 v211, 0x4040404, v22
	ds_load_2addr_b32 v[169:170], v142 offset0:4 offset1:5
	ds_load_2addr_b32 v[22:23], v142 offset0:6 offset1:7
	;; [unrolled: 1-line block ×3, first 2 shown]
	v_and_b32_e32 v28, 0x4040404, v28
	v_and_b32_e32 v20, 0x4040404, v20
	v_and_b32_e32 v29, 0x4040404, v29
	v_lshrrev_b16 v25, 8, v211
	s_wait_dscnt 0x2
	v_ashrrev_i32_e32 v169, s21, v169
	s_wait_dscnt 0x1
	v_ashrrev_i32_e32 v22, s21, v22
	;; [unrolled: 2-line block ×3, first 2 shown]
	v_ashrrev_i32_e32 v23, s21, v23
	v_and_b32_e32 v212, 0x3030303, v169
	s_delay_alu instid0(VALU_DEP_1) | instskip(NEXT) | instid1(VALU_DEP_1)
	v_lshrrev_b16 v24, 8, v212
	v_sub_nc_u16 v180, v24, v25
	v_add_nc_u32_e32 v24, s22, v98
	s_delay_alu instid0(VALU_DEP_2)
	v_lshlrev_b16 v180, 8, v180
	ds_load_u16 v167, v24 offset:26370
	v_add3_u32 v24, s24, v116, v117
	v_bfe_i32 v180, v180, 8, 8
	ds_load_b32 v165, v24
	ds_load_2addr_b32 v[171:172], v181 offset0:4 offset1:5
	ds_load_2addr_b32 v[24:25], v181 offset0:6 offset1:7
	;; [unrolled: 1-line block ×3, first 2 shown]
	s_wait_dscnt 0x2
	v_ashrrev_i32_e32 v26, s1, v171
	s_wait_dscnt 0x1
	v_ashrrev_i32_e32 v24, s1, v24
	;; [unrolled: 2-line block ×3, first 2 shown]
	v_ashrrev_i32_e32 v33, s1, v33
	v_ashrrev_i32_e32 v25, s1, v25
	v_lshlrev_b32_e32 v26, 2, v26
	v_lshlrev_b32_e32 v24, 2, v24
	;; [unrolled: 1-line block ×5, first 2 shown]
	v_and_b32_e32 v171, 0x4040404, v26
	v_add_nc_u32_e32 v26, 0x1090, v142
	ds_load_2addr_b32 v[173:174], v26 offset1:1
	ds_load_2addr_b32 v[26:27], v27 offset1:1
	v_lshrrev_b16 v39, 8, v171
	v_and_b32_e32 v32, 0x4040404, v32
	v_and_b32_e32 v24, 0x4040404, v24
	v_and_b32_e32 v33, 0x4040404, v33
	v_and_b32_e32 v25, 0x4040404, v25
	s_wait_dscnt 0x1
	v_ashrrev_i32_e32 v173, s21, v173
	s_wait_dscnt 0x0
	v_ashrrev_i32_e32 v26, s21, v26
	v_ashrrev_i32_e32 v27, s21, v27
	s_delay_alu instid0(VALU_DEP_3) | instskip(NEXT) | instid1(VALU_DEP_1)
	v_and_b32_e32 v213, 0x3030303, v173
	v_lshrrev_b16 v34, 8, v213
	v_sub_nc_u16 v188, v213, v171
	s_delay_alu instid0(VALU_DEP_2) | instskip(SKIP_1) | instid1(VALU_DEP_3)
	v_sub_nc_u16 v182, v34, v39
	v_lshrrev_b16 v34, 8, v37
	v_bfe_i32 v188, v188, 0, 8
	s_delay_alu instid0(VALU_DEP_2)
	v_sub_nc_u16 v183, v34, v35
	v_lshrrev_b16 v35, 8, v36
	ds_load_2addr_b32 v[175:176], v214 offset0:4 offset1:5
	ds_load_2addr_b32 v[36:37], v214 offset0:2 offset1:3
	v_lshrrev_b16 v34, 8, v38
	v_add_nc_u32_e32 v38, 0x2108, v142
	v_mul_i32_i24_e32 v188, v162, v188
	s_delay_alu instid0(VALU_DEP_3) | instskip(SKIP_1) | instid1(VALU_DEP_2)
	v_sub_nc_u16 v184, v34, v35
	v_add_nc_u32_e32 v35, 0x2118, v142
	v_bfe_i32 v184, v184, 0, 16
	s_delay_alu instid0(VALU_DEP_1) | instskip(SKIP_4) | instid1(VALU_DEP_2)
	v_mul_i32_i24_e32 v161, v184, v161
	s_wait_dscnt 0x1
	v_ashrrev_i32_e32 v34, s1, v175
	s_wait_dscnt 0x0
	v_ashrrev_i32_e32 v36, s1, v36
	v_lshlrev_b32_e32 v34, 2, v34
	s_delay_alu instid0(VALU_DEP_2) | instskip(NEXT) | instid1(VALU_DEP_2)
	v_lshlrev_b32_e32 v36, 2, v36
	v_and_b32_e32 v175, 0x4040404, v34
	v_add_nc_u32_e32 v34, 0x2110, v142
	ds_load_2addr_b32 v[177:178], v34 offset1:1
	ds_load_2addr_b32 v[34:35], v35 offset1:1
	;; [unrolled: 1-line block ×3, first 2 shown]
	v_lshrrev_b16 v186, 8, v175
	v_and_b32_e32 v36, 0x4040404, v36
	s_wait_dscnt 0x2
	v_ashrrev_i32_e32 v177, s21, v177
	s_wait_dscnt 0x1
	v_ashrrev_i32_e32 v34, s21, v34
	;; [unrolled: 2-line block ×3, first 2 shown]
	v_ashrrev_i32_e32 v35, s21, v35
	v_and_b32_e32 v215, 0x3030303, v177
	s_delay_alu instid0(VALU_DEP_1) | instskip(SKIP_1) | instid1(VALU_DEP_2)
	v_lshrrev_b16 v185, 8, v215
	v_sub_nc_u16 v216, v215, v175
	v_sub_nc_u16 v185, v185, v186
	v_lshrrev_b16 v186, 8, v195
	s_delay_alu instid0(VALU_DEP_3) | instskip(NEXT) | instid1(VALU_DEP_2)
	v_bfe_i32 v216, v216, 0, 8
	v_sub_nc_u16 v186, v186, v187
	v_sub_nc_u16 v187, v212, v211
	s_delay_alu instid0(VALU_DEP_2) | instskip(NEXT) | instid1(VALU_DEP_2)
	v_bfe_i32 v184, v186, 0, 16
	v_bfe_i32 v187, v187, 0, 8
	s_delay_alu instid0(VALU_DEP_2) | instskip(NEXT) | instid1(VALU_DEP_2)
	v_mul_i32_i24_e32 v128, v184, v128
	v_mul_i32_i24_e32 v187, v162, v187
	;; [unrolled: 1-line block ×3, first 2 shown]
	s_delay_alu instid0(VALU_DEP_2) | instskip(SKIP_1) | instid1(VALU_DEP_1)
	v_mad_i32_i24 v216, v127, v180, v187
	v_lshlrev_b16 v180, 8, v182
	v_bfe_i32 v180, v180, 8, 8
	s_delay_alu instid0(VALU_DEP_1) | instskip(SKIP_1) | instid1(VALU_DEP_1)
	v_mad_i32_i24 v217, v127, v180, v188
	v_lshlrev_b16 v180, 8, v185
	v_bfe_i32 v180, v180, 8, 8
	s_delay_alu instid0(VALU_DEP_1) | instskip(SKIP_2) | instid1(VALU_DEP_2)
	v_mad_i32_i24 v218, v127, v180, v162
	v_bfe_i32 v162, v183, 0, 16
	v_add_nc_u32_e32 v183, 0x1080, v142
	v_mul_i32_i24_e32 v127, v162, v127
	s_delay_alu instid0(VALU_DEP_1)
	v_add3_u32 v219, v127, v161, v128
	ds_load_2addr_b32 v[161:162], v179 offset1:1
	ds_load_2addr_b32 v[179:180], v142 offset1:1
	s_wait_dscnt 0x1
	v_ashrrev_i32_e32 v127, s1, v161
	s_wait_dscnt 0x0
	v_ashrrev_i32_e32 v179, s21, v179
	s_delay_alu instid0(VALU_DEP_2) | instskip(NEXT) | instid1(VALU_DEP_2)
	v_lshlrev_b32_e32 v127, 2, v127
	v_and_b32_e32 v221, 0x3030303, v179
	s_delay_alu instid0(VALU_DEP_2) | instskip(NEXT) | instid1(VALU_DEP_2)
	v_and_b32_e32 v220, 0x4040404, v127
	v_lshrrev_b16 v127, 8, v221
	s_delay_alu instid0(VALU_DEP_2) | instskip(SKIP_1) | instid1(VALU_DEP_2)
	v_lshrrev_b16 v128, 8, v220
	v_sub_nc_u16 v202, v221, v220
	v_sub_nc_u16 v222, v127, v128
	v_lshlrev_b32_e32 v127, 2, v43
	v_lshlrev_b32_e32 v128, 2, v75
	s_delay_alu instid0(VALU_DEP_4) | instskip(NEXT) | instid1(VALU_DEP_4)
	v_bfe_i32 v202, v202, 0, 8
	v_lshlrev_b16 v198, 8, v222
	s_delay_alu instid0(VALU_DEP_3) | instskip(NEXT) | instid1(VALU_DEP_3)
	v_add3_u32 v161, s24, v127, v128
	v_mul_i32_i24_e32 v202, v158, v202
	s_delay_alu instid0(VALU_DEP_3)
	v_bfe_i32 v198, v198, 8, 8
	ds_load_b32 v161, v161
	ds_load_2addr_b32 v[181:182], v181 offset1:1
	ds_load_2addr_b32 v[183:184], v183 offset1:1
	v_mad_i32_i24 v198, v155, v198, v202
	s_wait_dscnt 0x1
	v_ashrrev_i32_e32 v181, s1, v181
	s_wait_dscnt 0x0
	v_ashrrev_i32_e32 v183, s21, v183
	s_delay_alu instid0(VALU_DEP_2) | instskip(NEXT) | instid1(VALU_DEP_2)
	v_lshlrev_b32_e32 v181, 2, v181
	v_and_b32_e32 v223, 0x3030303, v183
	s_delay_alu instid0(VALU_DEP_2) | instskip(NEXT) | instid1(VALU_DEP_2)
	v_and_b32_e32 v181, 0x4040404, v181
	v_lshrrev_b16 v185, 8, v223
	s_delay_alu instid0(VALU_DEP_2) | instskip(NEXT) | instid1(VALU_DEP_1)
	v_lshrrev_b16 v186, 8, v181
	v_sub_nc_u16 v224, v185, v186
	v_add_nc_u32_e32 v185, 0x2100, v142
	ds_load_2addr_b32 v[185:186], v185 offset1:1
	ds_load_2addr_b32 v[187:188], v214 offset1:1
	v_lshlrev_b16 v202, 8, v224
	s_delay_alu instid0(VALU_DEP_1) | instskip(SKIP_4) | instid1(VALU_DEP_2)
	v_bfe_i32 v202, v202, 8, 8
	s_wait_dscnt 0x1
	v_ashrrev_i32_e32 v185, s21, v185
	s_wait_dscnt 0x0
	v_ashrrev_i32_e32 v187, s1, v187
	v_and_b32_e32 v225, 0x3030303, v185
	s_delay_alu instid0(VALU_DEP_2) | instskip(NEXT) | instid1(VALU_DEP_2)
	v_lshlrev_b32_e32 v187, 2, v187
	v_lshrrev_b16 v226, 8, v225
	s_delay_alu instid0(VALU_DEP_2) | instskip(NEXT) | instid1(VALU_DEP_1)
	v_and_b32_e32 v187, 0x4040404, v187
	v_lshrrev_b16 v227, 8, v187
	v_sub_nc_u16 v228, v225, v187
	s_delay_alu instid0(VALU_DEP_2) | instskip(SKIP_1) | instid1(VALU_DEP_3)
	v_sub_nc_u16 v226, v226, v227
	v_sub_nc_u16 v227, v223, v181
	v_bfe_i32 v228, v228, 0, 8
	s_delay_alu instid0(VALU_DEP_3) | instskip(NEXT) | instid1(VALU_DEP_3)
	v_lshlrev_b16 v222, 8, v226
	v_bfe_i32 v227, v227, 0, 8
	s_delay_alu instid0(VALU_DEP_2) | instskip(NEXT) | instid1(VALU_DEP_2)
	v_bfe_i32 v222, v222, 8, 8
	v_mul_i32_i24_e32 v227, v158, v227
	v_mul_i32_i24_e32 v158, v158, v228
	s_delay_alu instid0(VALU_DEP_2) | instskip(NEXT) | instid1(VALU_DEP_2)
	v_mad_i32_i24 v202, v155, v202, v227
	v_mad_i32_i24 v158, v155, v222, v158
	v_mul_i32_i24_e32 v155, v199, v155
	v_bfe_i32 v199, v201, 0, 16
	s_delay_alu instid0(VALU_DEP_1) | instskip(NEXT) | instid1(VALU_DEP_1)
	v_mul_i32_i24_e32 v153, v199, v153
	v_add3_u32 v153, v155, v157, v153
	v_lshrrev_b32_e32 v155, 16, v195
	v_lshrrev_b32_e32 v157, 16, v193
	;; [unrolled: 1-line block ×3, first 2 shown]
	s_delay_alu instid0(VALU_DEP_2) | instskip(SKIP_1) | instid1(VALU_DEP_2)
	v_sub_nc_u16 v155, v155, v157
	v_lshrrev_b32_e32 v157, 16, v196
	v_bfe_i32 v155, v155, 0, 8
	s_delay_alu instid0(VALU_DEP_2) | instskip(NEXT) | instid1(VALU_DEP_2)
	v_sub_nc_u16 v157, v157, v195
	v_mul_i32_i24_e32 v155, v155, v159
	s_delay_alu instid0(VALU_DEP_2) | instskip(SKIP_1) | instid1(VALU_DEP_2)
	v_bfe_i32 v157, v157, 0, 8
	v_lshrrev_b32_e32 v159, 24, v193
	v_mul_i32_i24_e32 v157, v157, v160
	v_lshrrev_b32_e32 v160, 24, v194
	s_delay_alu instid0(VALU_DEP_2) | instskip(SKIP_1) | instid1(VALU_DEP_1)
	v_add3_u32 v155, v190, v155, v157
	v_bfe_u32 v157, v191, 24, 2
	v_sub_nc_u16 v157, v157, v159
	v_bfe_u32 v159, v192, 24, 2
	s_delay_alu instid0(VALU_DEP_2) | instskip(NEXT) | instid1(VALU_DEP_2)
	v_bfe_i32 v157, v157, 0, 16
	v_sub_nc_u16 v159, v159, v160
	v_lshrrev_b32_e32 v160, 24, v181
	s_delay_alu instid0(VALU_DEP_3) | instskip(NEXT) | instid1(VALU_DEP_3)
	v_mul_i32_i24_e32 v154, v157, v154
	v_bfe_i32 v157, v159, 0, 16
	v_lshrrev_b32_e32 v159, 16, v220
	s_delay_alu instid0(VALU_DEP_2) | instskip(SKIP_1) | instid1(VALU_DEP_2)
	v_mul_i32_i24_e32 v156, v157, v156
	v_lshrrev_b32_e32 v157, 24, v220
	v_add3_u32 v154, v189, v154, v156
	v_bfe_u32 v156, v179, 24, 2
	v_lshrrev_b32_e32 v179, 16, v181
	v_lshrrev_b32_e32 v181, 24, v187
	s_delay_alu instid0(VALU_DEP_3) | instskip(SKIP_1) | instid1(VALU_DEP_2)
	v_sub_nc_u16 v156, v156, v157
	v_lshrrev_b32_e32 v157, 16, v221
	v_lshlrev_b16 v156, 8, v156
	s_delay_alu instid0(VALU_DEP_2) | instskip(SKIP_2) | instid1(VALU_DEP_2)
	v_sub_nc_u16 v157, v157, v159
	v_bfe_u32 v159, v183, 24, 2
	v_lshrrev_b32_e32 v183, 16, v187
	v_sub_nc_u16 v159, v159, v160
	v_lshrrev_b32_e32 v160, 16, v223
	s_delay_alu instid0(VALU_DEP_2) | instskip(NEXT) | instid1(VALU_DEP_2)
	v_lshlrev_b16 v159, 8, v159
	v_sub_nc_u16 v160, v160, v179
	v_bfe_u32 v179, v185, 24, 2
	s_delay_alu instid0(VALU_DEP_1) | instskip(SKIP_1) | instid1(VALU_DEP_2)
	v_sub_nc_u16 v179, v179, v181
	v_lshrrev_b32_e32 v181, 16, v225
	v_lshlrev_b16 v179, 8, v179
	s_delay_alu instid0(VALU_DEP_2) | instskip(SKIP_1) | instid1(VALU_DEP_1)
	v_sub_nc_u16 v181, v181, v183
	v_and_b32_e32 v183, 0xff, v157
	v_or_b32_e32 v156, v183, v156
	v_and_b32_e32 v183, 0xff, v160
	s_delay_alu instid0(VALU_DEP_2) | instskip(NEXT) | instid1(VALU_DEP_2)
	v_perm_b32 v156, v156, v157, 0xc0c0500
	v_or_b32_e32 v159, v183, v159
	v_and_b32_e32 v183, 0xff, v181
	s_delay_alu instid0(VALU_DEP_3) | instskip(NEXT) | instid1(VALU_DEP_3)
	v_dot4_i32_iu8 v156, v151, v156, v198 neg_lo:[1,1,0]
	v_perm_b32 v157, v159, v160, 0xc0c0500
	s_delay_alu instid0(VALU_DEP_3) | instskip(SKIP_1) | instid1(VALU_DEP_3)
	v_or_b32_e32 v179, v183, v179
	v_lshrrev_b32_e32 v160, 16, v207
	v_dot4_i32_iu8 v157, v151, v157, v202 neg_lo:[1,1,0]
	s_delay_alu instid0(VALU_DEP_3) | instskip(NEXT) | instid1(VALU_DEP_1)
	v_perm_b32 v159, v179, v181, 0xc0c0500
	v_dot4_i32_iu8 v151, v151, v159, v158 neg_lo:[1,1,0]
	v_lshrrev_b32_e32 v158, 16, v208
	v_lshrrev_b32_e32 v159, 16, v206
	s_delay_alu instid0(VALU_DEP_1) | instskip(SKIP_1) | instid1(VALU_DEP_2)
	v_sub_nc_u16 v158, v158, v159
	v_lshrrev_b32_e32 v159, 16, v209
	v_bfe_i32 v158, v158, 0, 8
	s_delay_alu instid0(VALU_DEP_2) | instskip(SKIP_1) | instid1(VALU_DEP_3)
	v_sub_nc_u16 v159, v159, v160
	v_lshrrev_b32_e32 v160, 16, v171
	v_mul_i32_i24_e32 v150, v158, v150
	s_delay_alu instid0(VALU_DEP_3) | instskip(SKIP_1) | instid1(VALU_DEP_2)
	v_bfe_i32 v158, v159, 0, 8
	v_lshrrev_b32_e32 v159, 24, v207
	v_mul_i32_i24_e32 v152, v158, v152
	v_lshrrev_b32_e32 v158, 24, v206
	s_delay_alu instid0(VALU_DEP_2) | instskip(SKIP_1) | instid1(VALU_DEP_1)
	v_add3_u32 v150, v203, v150, v152
	v_bfe_u32 v152, v204, 24, 2
	v_sub_nc_u16 v152, v152, v158
	v_bfe_u32 v158, v205, 24, 2
	s_delay_alu instid0(VALU_DEP_2) | instskip(NEXT) | instid1(VALU_DEP_2)
	v_bfe_i32 v152, v152, 0, 16
	v_sub_nc_u16 v158, v158, v159
	v_lshrrev_b32_e32 v159, 24, v171
	v_lshrrev_b32_e32 v171, 16, v175
	s_delay_alu instid0(VALU_DEP_4) | instskip(NEXT) | instid1(VALU_DEP_4)
	v_mul_i32_i24_e32 v148, v152, v148
	v_bfe_i32 v152, v158, 0, 16
	v_lshrrev_b32_e32 v158, 16, v211
	s_delay_alu instid0(VALU_DEP_2) | instskip(SKIP_1) | instid1(VALU_DEP_2)
	v_mul_i32_i24_e32 v149, v152, v149
	v_lshrrev_b32_e32 v152, 24, v211
	v_add3_u32 v148, v200, v148, v149
	v_bfe_u32 v149, v169, 24, 2
	v_lshrrev_b32_e32 v169, 24, v175
	s_delay_alu instid0(VALU_DEP_2) | instskip(SKIP_1) | instid1(VALU_DEP_2)
	v_sub_nc_u16 v149, v149, v152
	v_lshrrev_b32_e32 v152, 16, v212
	v_lshlrev_b16 v149, 8, v149
	s_delay_alu instid0(VALU_DEP_2) | instskip(SKIP_1) | instid1(VALU_DEP_1)
	v_sub_nc_u16 v152, v152, v158
	v_bfe_u32 v158, v173, 24, 2
	v_sub_nc_u16 v158, v158, v159
	v_lshrrev_b32_e32 v159, 16, v213
	s_delay_alu instid0(VALU_DEP_2) | instskip(NEXT) | instid1(VALU_DEP_2)
	v_lshlrev_b16 v158, 8, v158
	v_sub_nc_u16 v159, v159, v160
	v_bfe_u32 v160, v177, 24, 2
	s_delay_alu instid0(VALU_DEP_1) | instskip(SKIP_1) | instid1(VALU_DEP_2)
	v_sub_nc_u16 v160, v160, v169
	v_lshrrev_b32_e32 v169, 16, v215
	v_lshlrev_b16 v160, 8, v160
	s_delay_alu instid0(VALU_DEP_2) | instskip(SKIP_1) | instid1(VALU_DEP_1)
	v_sub_nc_u16 v169, v169, v171
	v_and_b32_e32 v171, 0xff, v152
	v_or_b32_e32 v149, v171, v149
	v_and_b32_e32 v171, 0xff, v159
	s_delay_alu instid0(VALU_DEP_2) | instskip(NEXT) | instid1(VALU_DEP_2)
	v_perm_b32 v149, v149, v152, 0xc0c0500
	v_or_b32_e32 v158, v171, v158
	v_and_b32_e32 v171, 0xff, v169
	s_delay_alu instid0(VALU_DEP_3) | instskip(NEXT) | instid1(VALU_DEP_3)
	v_dot4_i32_iu8 v149, v147, v149, v216 neg_lo:[1,1,0]
	v_perm_b32 v152, v158, v159, 0xc0c0500
	s_delay_alu instid0(VALU_DEP_3) | instskip(SKIP_1) | instid1(VALU_DEP_3)
	v_or_b32_e32 v160, v171, v160
	v_lshrrev_b16 v159, 8, v194
	v_dot4_i32_iu8 v152, v147, v152, v217 neg_lo:[1,1,0]
	s_delay_alu instid0(VALU_DEP_3) | instskip(SKIP_2) | instid1(VALU_DEP_3)
	v_perm_b32 v158, v160, v169, 0xc0c0500
	v_ashrrev_i32_e32 v160, s1, v188
	v_ashrrev_i32_e32 v169, s21, v186
	v_dot4_i32_iu8 v147, v147, v158, v218 neg_lo:[1,1,0]
	v_lshrrev_b16 v158, 8, v196
	s_delay_alu instid0(VALU_DEP_4) | instskip(NEXT) | instid1(VALU_DEP_2)
	v_lshlrev_b32_e32 v160, 2, v160
	v_sub_nc_u16 v158, v158, v159
	v_ashrrev_i32_e32 v159, s1, v182
	s_delay_alu instid0(VALU_DEP_3) | instskip(NEXT) | instid1(VALU_DEP_3)
	v_and_b32_e32 v160, 0x4040404, v160
	v_bfe_i32 v158, v158, 0, 16
	s_delay_alu instid0(VALU_DEP_3) | instskip(NEXT) | instid1(VALU_DEP_2)
	v_lshlrev_b32_e32 v159, 2, v159
	v_mul_i32_i24_e32 v146, v158, v146
	v_ashrrev_i32_e32 v158, s1, v162
	v_ashrrev_i32_e32 v162, s21, v184
	s_delay_alu instid0(VALU_DEP_4) | instskip(NEXT) | instid1(VALU_DEP_4)
	v_and_b32_e32 v159, 0x4040404, v159
	v_add3_u32 v146, v219, v146, v154
	v_ashrrev_i32_e32 v154, s21, v180
	v_lshlrev_b32_e32 v158, 2, v158
	s_delay_alu instid0(VALU_DEP_3) | instskip(NEXT) | instid1(VALU_DEP_3)
	v_add3_u32 v146, v197, v155, v146
	v_and_b32_e32 v171, 0x3030303, v154
	s_delay_alu instid0(VALU_DEP_3) | instskip(NEXT) | instid1(VALU_DEP_1)
	v_and_b32_e32 v158, 0x4040404, v158
	v_sub_nc_u16 v173, v171, v158
	v_lshrrev_b32_e32 v155, 16, v158
	s_delay_alu instid0(VALU_DEP_2) | instskip(NEXT) | instid1(VALU_DEP_1)
	v_bfe_i32 v173, v173, 0, 8
	v_mad_i32_i24 v156, v145, v173, v156
	v_and_b32_e32 v173, 0x3030303, v162
	s_delay_alu instid0(VALU_DEP_1) | instskip(NEXT) | instid1(VALU_DEP_1)
	v_sub_nc_u16 v175, v173, v159
	v_bfe_i32 v175, v175, 0, 8
	s_delay_alu instid0(VALU_DEP_1) | instskip(SKIP_2) | instid1(VALU_DEP_2)
	v_mad_i32_i24 v157, v145, v175, v157
	v_and_b32_e32 v175, 0x3030303, v169
	v_bfe_u32 v169, v169, 24, 2
	v_sub_nc_u16 v177, v175, v160
	s_delay_alu instid0(VALU_DEP_1) | instskip(NEXT) | instid1(VALU_DEP_1)
	v_bfe_i32 v177, v177, 0, 8
	v_mad_i32_i24 v145, v145, v177, v151
	v_lshrrev_b16 v151, 8, v209
	v_lshrrev_b16 v177, 8, v207
	s_delay_alu instid0(VALU_DEP_1) | instskip(NEXT) | instid1(VALU_DEP_1)
	v_sub_nc_u16 v151, v151, v177
	v_bfe_i32 v151, v151, 0, 16
	s_delay_alu instid0(VALU_DEP_1) | instskip(SKIP_2) | instid1(VALU_DEP_3)
	v_mul_i32_i24_e32 v143, v151, v143
	v_ashrrev_i32_e32 v151, s1, v168
	v_ashrrev_i32_e32 v168, s1, v176
	v_add3_u32 v143, v153, v143, v148
	v_ashrrev_i32_e32 v148, s21, v170
	s_delay_alu instid0(VALU_DEP_4)
	v_lshlrev_b32_e32 v151, 2, v151
	v_ashrrev_i32_e32 v170, s21, v174
	v_ashrrev_i32_e32 v153, s1, v172
	;; [unrolled: 1-line block ×3, first 2 shown]
	v_and_b32_e32 v174, 0x3030303, v148
	v_and_b32_e32 v151, 0x4040404, v151
	v_lshlrev_b32_e32 v168, 2, v168
	v_lshlrev_b32_e32 v153, 2, v153
	v_add3_u32 v150, v210, v150, v143
	s_delay_alu instid0(VALU_DEP_4) | instskip(NEXT) | instid1(VALU_DEP_4)
	v_sub_nc_u16 v176, v174, v151
	v_and_b32_e32 v168, 0x4040404, v168
	s_delay_alu instid0(VALU_DEP_4) | instskip(SKIP_1) | instid1(VALU_DEP_4)
	v_and_b32_e32 v153, 0x4040404, v153
	v_lshrrev_b32_e32 v143, 24, v151
	v_bfe_i32 v176, v176, 0, 8
	s_delay_alu instid0(VALU_DEP_1) | instskip(SKIP_1) | instid1(VALU_DEP_1)
	v_mad_i32_i24 v149, v144, v176, v149
	v_and_b32_e32 v176, 0x3030303, v170
	v_sub_nc_u16 v177, v176, v153
	s_delay_alu instid0(VALU_DEP_1) | instskip(NEXT) | instid1(VALU_DEP_1)
	v_bfe_i32 v177, v177, 0, 8
	v_mad_i32_i24 v152, v144, v177, v152
	v_and_b32_e32 v177, 0x3030303, v172
	s_delay_alu instid0(VALU_DEP_1) | instskip(NEXT) | instid1(VALU_DEP_1)
	v_sub_nc_u16 v178, v177, v168
	v_bfe_i32 v178, v178, 0, 8
	s_delay_alu instid0(VALU_DEP_1) | instskip(SKIP_3) | instid1(VALU_DEP_2)
	v_mad_i32_i24 v144, v144, v178, v147
	v_bfe_u32 v147, v154, 24, 2
	v_lshrrev_b32_e32 v154, 24, v158
	v_lshrrev_b16 v158, 8, v158
	v_sub_nc_u16 v147, v147, v154
	v_lshrrev_b32_e32 v154, 16, v171
	s_delay_alu instid0(VALU_DEP_2) | instskip(NEXT) | instid1(VALU_DEP_2)
	v_lshlrev_b16 v147, 8, v147
	v_sub_nc_u16 v154, v154, v155
	v_lshrrev_b16 v155, 8, v171
	v_lshrrev_b32_e32 v171, 16, v159
	s_delay_alu instid0(VALU_DEP_2) | instskip(SKIP_3) | instid1(VALU_DEP_4)
	v_sub_nc_u16 v155, v155, v158
	v_bfe_u32 v158, v162, 24, 2
	v_lshrrev_b32_e32 v162, 24, v159
	v_lshrrev_b16 v159, 8, v159
	v_lshlrev_b16 v155, 8, v155
	s_delay_alu instid0(VALU_DEP_3) | instskip(SKIP_1) | instid1(VALU_DEP_3)
	v_sub_nc_u16 v158, v158, v162
	v_lshrrev_b32_e32 v162, 16, v173
	v_perm_b32 v155, v155, v155, 0xc0c0c01
	s_delay_alu instid0(VALU_DEP_3) | instskip(NEXT) | instid1(VALU_DEP_3)
	v_lshlrev_b16 v158, 8, v158
	v_sub_nc_u16 v162, v162, v171
	v_lshrrev_b16 v171, 8, v173
	v_lshrrev_b32_e32 v173, 16, v160
	s_delay_alu instid0(VALU_DEP_2) | instskip(SKIP_2) | instid1(VALU_DEP_2)
	v_sub_nc_u16 v159, v171, v159
	v_lshrrev_b32_e32 v171, 24, v160
	v_lshrrev_b16 v160, 8, v160
	v_sub_nc_u16 v169, v169, v171
	v_lshrrev_b32_e32 v171, 16, v175
	s_delay_alu instid0(VALU_DEP_2) | instskip(NEXT) | instid1(VALU_DEP_2)
	v_lshlrev_b16 v169, 8, v169
	v_sub_nc_u16 v171, v171, v173
	v_lshrrev_b16 v173, 8, v175
	s_delay_alu instid0(VALU_DEP_1) | instskip(SKIP_1) | instid1(VALU_DEP_1)
	v_sub_nc_u16 v160, v173, v160
	v_and_b32_e32 v173, 0xff, v154
	v_or_b32_e32 v147, v173, v147
	v_and_b32_e32 v173, 0xff, v162
	s_delay_alu instid0(VALU_DEP_2) | instskip(NEXT) | instid1(VALU_DEP_2)
	v_perm_b32 v147, v147, v154, 0xc05000c
	v_or_b32_e32 v158, v173, v158
	v_and_b32_e32 v173, 0xff, v171
	s_delay_alu instid0(VALU_DEP_3) | instskip(SKIP_1) | instid1(VALU_DEP_4)
	v_or_b32_e32 v147, v147, v155
	v_lshlrev_b16 v155, 8, v159
	v_perm_b32 v154, v158, v162, 0xc05000c
	s_delay_alu instid0(VALU_DEP_4)
	v_or_b32_e32 v169, v173, v169
	v_lshrrev_b16 v159, 8, v168
	v_dot4_i32_iu8 v147, v141, v147, v156 neg_lo:[1,1,0]
	v_perm_b32 v155, v155, v155, 0xc0c0c01
	v_lshrrev_b32_e32 v156, 16, v153
	v_perm_b32 v158, v169, v171, 0xc05000c
	s_delay_alu instid0(VALU_DEP_3) | instskip(SKIP_1) | instid1(VALU_DEP_2)
	v_or_b32_e32 v154, v154, v155
	v_lshlrev_b16 v155, 8, v160
	v_dot4_i32_iu8 v154, v141, v154, v157 neg_lo:[1,1,0]
	s_delay_alu instid0(VALU_DEP_2) | instskip(SKIP_1) | instid1(VALU_DEP_2)
	v_perm_b32 v155, v155, v155, 0xc0c0c01
	v_lshrrev_b32_e32 v157, 24, v168
	v_or_b32_e32 v155, v158, v155
	v_lshrrev_b32_e32 v158, 16, v168
	s_delay_alu instid0(VALU_DEP_2)
	v_dot4_i32_iu8 v145, v141, v155, v145 neg_lo:[1,1,0]
	v_bfe_u32 v141, v148, 24, 2
	v_lshrrev_b32_e32 v148, 16, v151
	v_lshrrev_b16 v151, 8, v151
	v_lshrrev_b32_e32 v155, 24, v153
	v_lshrrev_b16 v153, 8, v153
	v_sub_nc_u16 v141, v141, v143
	v_lshrrev_b32_e32 v143, 16, v174
	s_delay_alu instid0(VALU_DEP_2) | instskip(NEXT) | instid1(VALU_DEP_2)
	v_lshlrev_b16 v141, 8, v141
	v_sub_nc_u16 v143, v143, v148
	v_lshrrev_b16 v148, 8, v174
	s_delay_alu instid0(VALU_DEP_1) | instskip(SKIP_1) | instid1(VALU_DEP_2)
	v_sub_nc_u16 v148, v148, v151
	v_bfe_u32 v151, v170, 24, 2
	v_lshlrev_b16 v148, 8, v148
	s_delay_alu instid0(VALU_DEP_2) | instskip(SKIP_1) | instid1(VALU_DEP_3)
	v_sub_nc_u16 v151, v151, v155
	v_lshrrev_b32_e32 v155, 16, v176
	v_perm_b32 v148, v148, v148, 0xc0c0c01
	s_delay_alu instid0(VALU_DEP_3) | instskip(NEXT) | instid1(VALU_DEP_3)
	v_lshlrev_b16 v151, 8, v151
	v_sub_nc_u16 v155, v155, v156
	v_lshrrev_b16 v156, 8, v176
	s_delay_alu instid0(VALU_DEP_1) | instskip(SKIP_1) | instid1(VALU_DEP_1)
	v_sub_nc_u16 v153, v156, v153
	v_bfe_u32 v156, v172, 24, 2
	v_sub_nc_u16 v156, v156, v157
	v_lshrrev_b32_e32 v157, 16, v177
	s_delay_alu instid0(VALU_DEP_2) | instskip(NEXT) | instid1(VALU_DEP_2)
	v_lshlrev_b16 v156, 8, v156
	v_sub_nc_u16 v157, v157, v158
	v_lshrrev_b16 v158, 8, v177
	s_delay_alu instid0(VALU_DEP_1) | instskip(SKIP_1) | instid1(VALU_DEP_1)
	v_sub_nc_u16 v158, v158, v159
	v_and_b32_e32 v159, 0xff, v143
	v_or_b32_e32 v141, v159, v141
	v_and_b32_e32 v159, 0xff, v155
	s_delay_alu instid0(VALU_DEP_2) | instskip(NEXT) | instid1(VALU_DEP_2)
	v_perm_b32 v141, v141, v143, 0xc05000c
	v_or_b32_e32 v151, v159, v151
	v_and_b32_e32 v159, 0xff, v157
	s_delay_alu instid0(VALU_DEP_3) | instskip(SKIP_1) | instid1(VALU_DEP_4)
	v_or_b32_e32 v141, v141, v148
	v_lshlrev_b16 v148, 8, v153
	v_perm_b32 v143, v151, v155, 0xc05000c
	s_delay_alu instid0(VALU_DEP_4) | instskip(NEXT) | instid1(VALU_DEP_4)
	v_or_b32_e32 v156, v159, v156
	v_dot4_i32_iu8 v149, v140, v141, v149 neg_lo:[1,1,0]
	s_delay_alu instid0(VALU_DEP_4) | instskip(NEXT) | instid1(VALU_DEP_3)
	v_perm_b32 v148, v148, v148, 0xc0c0c01
	v_perm_b32 v151, v156, v157, 0xc05000c
	s_delay_alu instid0(VALU_DEP_2) | instskip(SKIP_1) | instid1(VALU_DEP_1)
	v_or_b32_e32 v143, v143, v148
	v_lshlrev_b16 v148, 8, v158
	v_perm_b32 v148, v148, v148, 0xc0c0c01
	s_delay_alu instid0(VALU_DEP_1) | instskip(NEXT) | instid1(VALU_DEP_4)
	v_or_b32_e32 v148, v151, v148
	v_dot4_i32_iu8 v151, v140, v143, v152 neg_lo:[1,1,0]
	s_delay_alu instid0(VALU_DEP_2) | instskip(SKIP_2) | instid1(VALU_DEP_2)
	v_dot4_i32_iu8 v144, v140, v148, v144 neg_lo:[1,1,0]
	v_and_b32_e32 v148, 0x3030303, v30
	v_bfe_u32 v30, v30, 24, 2
	v_sub_nc_u16 v140, v148, v28
	s_delay_alu instid0(VALU_DEP_1) | instskip(NEXT) | instid1(VALU_DEP_1)
	v_bfe_i32 v140, v140, 0, 8
	v_mad_i32_i24 v147, v139, v140, v147
	v_add_nc_u32_e32 v140, 0x1088, v142
	ds_load_2addr_b32 v[140:141], v140 offset1:1
	s_wait_dscnt 0x0
	v_ashrrev_i32_e32 v140, s21, v140
	s_delay_alu instid0(VALU_DEP_1) | instskip(SKIP_1) | instid1(VALU_DEP_2)
	v_and_b32_e32 v152, 0x3030303, v140
	v_bfe_u32 v140, v140, 24, 2
	v_sub_nc_u16 v142, v152, v32
	s_delay_alu instid0(VALU_DEP_1) | instskip(NEXT) | instid1(VALU_DEP_1)
	v_bfe_i32 v142, v142, 0, 8
	v_mad_i32_i24 v153, v139, v142, v154
	v_and_b32_e32 v154, 0x3030303, v38
	ds_load_2addr_b32 v[142:143], v214 offset0:6 offset1:7
	v_bfe_u32 v38, v38, 24, 2
	v_sub_nc_u16 v155, v154, v36
	s_delay_alu instid0(VALU_DEP_1) | instskip(NEXT) | instid1(VALU_DEP_1)
	v_bfe_i32 v155, v155, 0, 8
	v_mad_i32_i24 v139, v139, v155, v145
	v_and_b32_e32 v145, 0x3030303, v22
	v_bfe_u32 v22, v22, 24, 2
	s_delay_alu instid0(VALU_DEP_2) | instskip(SKIP_2) | instid1(VALU_DEP_2)
	v_sub_nc_u16 v155, v145, v20
	s_wait_dscnt 0x0
	v_ashrrev_i32_e32 v142, s1, v142
	v_bfe_i32 v155, v155, 0, 8
	s_delay_alu instid0(VALU_DEP_2) | instskip(NEXT) | instid1(VALU_DEP_2)
	v_lshlrev_b32_e32 v142, 2, v142
	v_mad_i32_i24 v149, v138, v155, v149
	v_and_b32_e32 v155, 0x3030303, v26
	s_delay_alu instid0(VALU_DEP_3) | instskip(SKIP_1) | instid1(VALU_DEP_3)
	v_and_b32_e32 v142, 0x4040404, v142
	v_bfe_u32 v26, v26, 24, 2
	v_sub_nc_u16 v156, v155, v24
	s_delay_alu instid0(VALU_DEP_1) | instskip(NEXT) | instid1(VALU_DEP_1)
	v_bfe_i32 v156, v156, 0, 8
	v_mad_i32_i24 v151, v138, v156, v151
	v_and_b32_e32 v156, 0x3030303, v34
	v_bfe_u32 v34, v34, 24, 2
	s_delay_alu instid0(VALU_DEP_2) | instskip(NEXT) | instid1(VALU_DEP_1)
	v_sub_nc_u16 v157, v156, v142
	v_bfe_i32 v157, v157, 0, 8
	s_delay_alu instid0(VALU_DEP_1) | instskip(SKIP_3) | instid1(VALU_DEP_3)
	v_mad_i32_i24 v138, v138, v157, v144
	v_lshrrev_b32_e32 v144, 24, v28
	v_lshrrev_b32_e32 v157, 16, v28
	v_lshrrev_b16 v28, 8, v28
	v_sub_nc_u16 v30, v30, v144
	v_lshrrev_b32_e32 v144, 16, v148
	v_lshrrev_b16 v148, 8, v148
	s_delay_alu instid0(VALU_DEP_3) | instskip(NEXT) | instid1(VALU_DEP_3)
	v_lshlrev_b16 v30, 8, v30
	v_sub_nc_u16 v144, v144, v157
	s_delay_alu instid0(VALU_DEP_3) | instskip(SKIP_3) | instid1(VALU_DEP_4)
	v_sub_nc_u16 v28, v148, v28
	v_lshrrev_b32_e32 v148, 24, v36
	v_lshrrev_b32_e32 v157, 16, v36
	v_lshrrev_b16 v36, 8, v36
	v_lshlrev_b16 v28, 8, v28
	s_delay_alu instid0(VALU_DEP_4) | instskip(SKIP_2) | instid1(VALU_DEP_4)
	v_sub_nc_u16 v38, v38, v148
	v_lshrrev_b32_e32 v148, 16, v154
	v_lshrrev_b16 v154, 8, v154
	v_perm_b32 v28, v28, v28, 0xc0c0c01
	s_delay_alu instid0(VALU_DEP_4) | instskip(NEXT) | instid1(VALU_DEP_4)
	v_lshlrev_b16 v38, 8, v38
	v_sub_nc_u16 v148, v148, v157
	s_delay_alu instid0(VALU_DEP_4) | instskip(SKIP_3) | instid1(VALU_DEP_3)
	v_sub_nc_u16 v36, v154, v36
	v_lshrrev_b32_e32 v154, 24, v32
	v_lshrrev_b32_e32 v157, 16, v32
	v_lshrrev_b16 v32, 8, v32
	v_sub_nc_u16 v140, v140, v154
	v_lshrrev_b32_e32 v154, 16, v152
	v_lshrrev_b16 v152, 8, v152
	s_delay_alu instid0(VALU_DEP_3) | instskip(NEXT) | instid1(VALU_DEP_3)
	v_lshlrev_b16 v140, 8, v140
	v_sub_nc_u16 v154, v154, v157
	s_delay_alu instid0(VALU_DEP_3) | instskip(SKIP_1) | instid1(VALU_DEP_2)
	v_sub_nc_u16 v32, v152, v32
	v_and_b32_e32 v152, 0xff, v144
	v_lshlrev_b16 v32, 8, v32
	s_delay_alu instid0(VALU_DEP_2) | instskip(SKIP_1) | instid1(VALU_DEP_3)
	v_or_b32_e32 v30, v152, v30
	v_and_b32_e32 v152, 0xff, v148
	v_perm_b32 v32, v32, v32, 0xc0c0c01
	s_delay_alu instid0(VALU_DEP_3) | instskip(NEXT) | instid1(VALU_DEP_3)
	v_perm_b32 v30, v30, v144, 0xc05000c
	v_or_b32_e32 v38, v152, v38
	v_and_b32_e32 v152, 0xff, v154
	s_delay_alu instid0(VALU_DEP_3) | instskip(SKIP_1) | instid1(VALU_DEP_4)
	v_or_b32_e32 v28, v30, v28
	v_lshlrev_b16 v30, 8, v36
	v_perm_b32 v38, v38, v148, 0xc05000c
	v_lshrrev_b32_e32 v36, 24, v20
	v_or_b32_e32 v140, v152, v140
	v_dot4_i32_iu8 v28, v137, v28, v147 neg_lo:[1,1,0]
	v_perm_b32 v30, v30, v30, 0xc0c0c01
	s_delay_alu instid0(VALU_DEP_4) | instskip(SKIP_2) | instid1(VALU_DEP_4)
	v_sub_nc_u16 v22, v22, v36
	v_lshrrev_b32_e32 v36, 16, v145
	v_perm_b32 v140, v140, v154, 0xc05000c
	v_or_b32_e32 v30, v38, v30
	v_lshrrev_b32_e32 v38, 16, v20
	v_lshrrev_b16 v20, 8, v20
	v_lshlrev_b16 v22, 8, v22
	v_or_b32_e32 v32, v140, v32
	v_dot4_i32_iu8 v30, v137, v30, v139 neg_lo:[1,1,0]
	v_sub_nc_u16 v36, v36, v38
	v_lshrrev_b16 v38, 8, v145
	v_lshrrev_b32_e32 v139, 16, v142
	v_dot4_i32_iu8 v32, v137, v32, v153 neg_lo:[1,1,0]
	v_lshrrev_b32_e32 v137, 16, v24
	v_lshrrev_b16 v140, 8, v142
	v_sub_nc_u16 v20, v38, v20
	v_lshrrev_b32_e32 v38, 24, v24
	v_lshrrev_b16 v24, 8, v24
	s_delay_alu instid0(VALU_DEP_3) | instskip(NEXT) | instid1(VALU_DEP_3)
	v_lshlrev_b16 v20, 8, v20
	v_sub_nc_u16 v26, v26, v38
	v_lshrrev_b32_e32 v38, 16, v155
	s_delay_alu instid0(VALU_DEP_3) | instskip(NEXT) | instid1(VALU_DEP_3)
	v_perm_b32 v20, v20, v20, 0xc0c0c01
	v_lshlrev_b16 v26, 8, v26
	s_delay_alu instid0(VALU_DEP_3) | instskip(SKIP_1) | instid1(VALU_DEP_1)
	v_sub_nc_u16 v38, v38, v137
	v_lshrrev_b16 v137, 8, v155
	v_sub_nc_u16 v24, v137, v24
	v_lshrrev_b32_e32 v137, 24, v142
	s_delay_alu instid0(VALU_DEP_1) | instskip(SKIP_1) | instid1(VALU_DEP_2)
	v_sub_nc_u16 v34, v34, v137
	v_lshrrev_b32_e32 v137, 16, v156
	v_lshlrev_b16 v34, 8, v34
	s_delay_alu instid0(VALU_DEP_2) | instskip(SKIP_1) | instid1(VALU_DEP_1)
	v_sub_nc_u16 v137, v137, v139
	v_lshrrev_b16 v139, 8, v156
	v_sub_nc_u16 v139, v139, v140
	v_and_b32_e32 v140, 0xff, v36
	s_delay_alu instid0(VALU_DEP_1) | instskip(SKIP_1) | instid1(VALU_DEP_2)
	v_or_b32_e32 v22, v140, v22
	v_and_b32_e32 v140, 0xff, v38
	v_perm_b32 v22, v22, v36, 0xc05000c
	s_delay_alu instid0(VALU_DEP_2) | instskip(SKIP_1) | instid1(VALU_DEP_3)
	v_or_b32_e32 v26, v140, v26
	v_and_b32_e32 v140, 0xff, v137
	v_or_b32_e32 v20, v22, v20
	v_lshlrev_b16 v22, 8, v24
	s_delay_alu instid0(VALU_DEP_3) | instskip(SKIP_2) | instid1(VALU_DEP_4)
	v_or_b32_e32 v34, v140, v34
	v_lshlrev_b16 v24, 8, v139
	v_perm_b32 v26, v26, v38, 0xc05000c
	v_perm_b32 v22, v22, v22, 0xc0c0c01
	s_delay_alu instid0(VALU_DEP_4) | instskip(NEXT) | instid1(VALU_DEP_4)
	v_perm_b32 v34, v34, v137, 0xc05000c
	v_perm_b32 v24, v24, v24, 0xc0c0c01
	s_delay_alu instid0(VALU_DEP_3) | instskip(SKIP_1) | instid1(VALU_DEP_3)
	v_or_b32_e32 v22, v26, v22
	v_dot4_i32_iu8 v26, v136, v20, v149 neg_lo:[1,1,0]
	v_or_b32_e32 v24, v34, v24
	v_lshrrev_b16 v20, 8, v166
	v_bfe_i32 v34, v166, 0, 8
	v_dot4_i32_iu8 v22, v136, v22, v151 neg_lo:[1,1,0]
	s_delay_alu instid0(VALU_DEP_4) | instskip(NEXT) | instid1(VALU_DEP_4)
	v_dot4_i32_iu8 v24, v136, v24, v138 neg_lo:[1,1,0]
	v_bfe_i32 v36, v20, 0, 8
	s_delay_alu instid0(VALU_DEP_4) | instskip(SKIP_1) | instid1(VALU_DEP_2)
	v_mul_lo_u32 v20, v150, v34
	v_ashrrev_i32_e32 v34, s21, v141
	v_mad_co_u64_u32 v[136:137], null, v146, v36, v[20:21]
	v_ashrrev_i32_e32 v20, s21, v31
	v_ashrrev_i32_e32 v31, s1, v37
	;; [unrolled: 1-line block ×4, first 2 shown]
	s_delay_alu instid0(VALU_DEP_4) | instskip(NEXT) | instid1(VALU_DEP_4)
	v_and_b32_e32 v37, 0x3030303, v20
	v_lshlrev_b32_e32 v31, 2, v31
	v_bfe_u32 v20, v20, 24, 2
	s_delay_alu instid0(VALU_DEP_4) | instskip(NEXT) | instid1(VALU_DEP_4)
	v_lshlrev_b32_e32 v21, 2, v21
	v_sub_nc_u16 v38, v37, v29
	s_delay_alu instid0(VALU_DEP_4) | instskip(NEXT) | instid1(VALU_DEP_3)
	v_and_b32_e32 v31, 0x4040404, v31
	v_and_b32_e32 v21, 0x4040404, v21
	s_delay_alu instid0(VALU_DEP_3) | instskip(NEXT) | instid1(VALU_DEP_1)
	v_bfe_i32 v38, v38, 0, 8
	v_mad_i32_i24 v28, v135, v38, v28
	v_and_b32_e32 v38, 0x3030303, v34
	v_bfe_u32 v34, v34, 24, 2
	s_delay_alu instid0(VALU_DEP_2) | instskip(NEXT) | instid1(VALU_DEP_1)
	v_sub_nc_u16 v39, v38, v33
	v_bfe_i32 v39, v39, 0, 8
	s_delay_alu instid0(VALU_DEP_1) | instskip(SKIP_2) | instid1(VALU_DEP_2)
	v_mad_i32_i24 v32, v135, v39, v32
	v_and_b32_e32 v39, 0x3030303, v36
	v_bfe_u32 v36, v36, 24, 2
	v_sub_nc_u16 v137, v39, v31
	s_delay_alu instid0(VALU_DEP_1) | instskip(NEXT) | instid1(VALU_DEP_1)
	v_bfe_i32 v137, v137, 0, 8
	v_mad_i32_i24 v30, v135, v137, v30
	v_and_b32_e32 v137, 0x3030303, v23
	v_ashrrev_i32_e32 v135, s1, v143
	v_bfe_u32 v23, v23, 24, 2
	s_add_co_i32 s1, s1, 1
	s_cmp_lt_u32 s21, 6
	v_sub_nc_u16 v138, v137, v21
	v_lshlrev_b32_e32 v135, 2, v135
	s_delay_alu instid0(VALU_DEP_2) | instskip(NEXT) | instid1(VALU_DEP_2)
	v_bfe_i32 v138, v138, 0, 8
	v_and_b32_e32 v135, 0x4040404, v135
	s_delay_alu instid0(VALU_DEP_2) | instskip(SKIP_2) | instid1(VALU_DEP_2)
	v_mad_i32_i24 v26, v134, v138, v26
	v_and_b32_e32 v138, 0x3030303, v27
	v_bfe_u32 v27, v27, 24, 2
	v_sub_nc_u16 v139, v138, v25
	s_delay_alu instid0(VALU_DEP_1) | instskip(NEXT) | instid1(VALU_DEP_1)
	v_bfe_i32 v139, v139, 0, 8
	v_mad_i32_i24 v22, v134, v139, v22
	v_and_b32_e32 v139, 0x3030303, v35
	s_delay_alu instid0(VALU_DEP_1) | instskip(NEXT) | instid1(VALU_DEP_1)
	v_sub_nc_u16 v140, v139, v135
	v_bfe_i32 v140, v140, 0, 8
	s_delay_alu instid0(VALU_DEP_1) | instskip(SKIP_3) | instid1(VALU_DEP_3)
	v_mad_i32_i24 v24, v134, v140, v24
	v_lshrrev_b32_e32 v134, 24, v29
	v_lshrrev_b32_e32 v140, 16, v29
	v_lshrrev_b16 v29, 8, v29
	v_sub_nc_u16 v20, v20, v134
	v_lshrrev_b32_e32 v134, 16, v37
	v_lshrrev_b16 v37, 8, v37
	s_delay_alu instid0(VALU_DEP_3) | instskip(NEXT) | instid1(VALU_DEP_3)
	v_lshlrev_b16 v20, 8, v20
	v_sub_nc_u16 v134, v134, v140
	s_delay_alu instid0(VALU_DEP_3) | instskip(SKIP_3) | instid1(VALU_DEP_4)
	v_sub_nc_u16 v29, v37, v29
	v_lshrrev_b32_e32 v37, 24, v31
	v_lshrrev_b32_e32 v140, 16, v31
	v_lshrrev_b16 v31, 8, v31
	v_lshlrev_b16 v29, 8, v29
	s_delay_alu instid0(VALU_DEP_4) | instskip(SKIP_2) | instid1(VALU_DEP_4)
	v_sub_nc_u16 v36, v36, v37
	v_lshrrev_b32_e32 v37, 16, v39
	v_lshrrev_b16 v39, 8, v39
	v_perm_b32 v29, v29, v29, 0xc0c0c01
	s_delay_alu instid0(VALU_DEP_4) | instskip(NEXT) | instid1(VALU_DEP_4)
	v_lshlrev_b16 v36, 8, v36
	v_sub_nc_u16 v37, v37, v140
	s_delay_alu instid0(VALU_DEP_4) | instskip(SKIP_3) | instid1(VALU_DEP_3)
	v_sub_nc_u16 v31, v39, v31
	v_lshrrev_b32_e32 v39, 24, v33
	v_lshrrev_b32_e32 v140, 16, v33
	v_lshrrev_b16 v33, 8, v33
	v_sub_nc_u16 v34, v34, v39
	v_lshrrev_b32_e32 v39, 16, v38
	v_lshrrev_b16 v38, 8, v38
	s_delay_alu instid0(VALU_DEP_3) | instskip(NEXT) | instid1(VALU_DEP_3)
	v_lshlrev_b16 v34, 8, v34
	v_sub_nc_u16 v39, v39, v140
	s_delay_alu instid0(VALU_DEP_3) | instskip(SKIP_1) | instid1(VALU_DEP_1)
	v_sub_nc_u16 v33, v38, v33
	v_and_b32_e32 v38, 0xff, v134
	v_or_b32_e32 v20, v38, v20
	v_and_b32_e32 v38, 0xff, v37
	s_delay_alu instid0(VALU_DEP_2) | instskip(NEXT) | instid1(VALU_DEP_2)
	v_perm_b32 v20, v20, v134, 0xc05000c
	v_or_b32_e32 v36, v38, v36
	v_and_b32_e32 v38, 0xff, v39
	s_delay_alu instid0(VALU_DEP_3) | instskip(SKIP_1) | instid1(VALU_DEP_3)
	v_or_b32_e32 v20, v20, v29
	v_lshlrev_b16 v29, 8, v31
	v_or_b32_e32 v34, v38, v34
	v_perm_b32 v36, v36, v37, 0xc05000c
	v_lshlrev_b16 v31, 8, v33
	v_dot4_i32_iu8 v20, v133, v20, v28 neg_lo:[1,1,0]
	v_perm_b32 v29, v29, v29, 0xc0c0c01
	v_perm_b32 v34, v34, v39, 0xc05000c
	v_lshrrev_b32_e32 v33, 24, v135
	v_perm_b32 v31, v31, v31, 0xc0c0c01
	s_delay_alu instid0(VALU_DEP_4) | instskip(NEXT) | instid1(VALU_DEP_2)
	v_or_b32_e32 v29, v36, v29
	v_or_b32_e32 v31, v34, v31
	v_lshrrev_b32_e32 v34, 16, v135
	s_delay_alu instid0(VALU_DEP_3) | instskip(SKIP_1) | instid1(VALU_DEP_4)
	v_dot4_i32_iu8 v29, v133, v29, v30 neg_lo:[1,1,0]
	v_lshrrev_b32_e32 v30, 24, v21
	v_dot4_i32_iu8 v28, v133, v31, v32 neg_lo:[1,1,0]
	v_lshrrev_b32_e32 v31, 16, v21
	v_lshrrev_b16 v21, 8, v21
	s_delay_alu instid0(VALU_DEP_4) | instskip(SKIP_2) | instid1(VALU_DEP_3)
	v_sub_nc_u16 v23, v23, v30
	v_lshrrev_b32_e32 v30, 16, v137
	v_lshrrev_b32_e32 v32, 16, v25
	v_lshlrev_b16 v23, 8, v23
	s_delay_alu instid0(VALU_DEP_3) | instskip(SKIP_1) | instid1(VALU_DEP_1)
	v_sub_nc_u16 v30, v30, v31
	v_lshrrev_b16 v31, 8, v137
	v_sub_nc_u16 v21, v31, v21
	v_lshrrev_b32_e32 v31, 24, v25
	v_lshrrev_b16 v25, 8, v25
	s_delay_alu instid0(VALU_DEP_3) | instskip(NEXT) | instid1(VALU_DEP_3)
	v_lshlrev_b16 v21, 8, v21
	v_sub_nc_u16 v27, v27, v31
	v_lshrrev_b32_e32 v31, 16, v138
	s_delay_alu instid0(VALU_DEP_3) | instskip(NEXT) | instid1(VALU_DEP_3)
	v_perm_b32 v21, v21, v21, 0xc0c0c01
	v_lshlrev_b16 v27, 8, v27
	s_delay_alu instid0(VALU_DEP_3) | instskip(SKIP_1) | instid1(VALU_DEP_1)
	v_sub_nc_u16 v31, v31, v32
	v_lshrrev_b16 v32, 8, v138
	v_sub_nc_u16 v25, v32, v25
	v_bfe_u32 v32, v35, 24, 2
	v_lshrrev_b16 v35, 8, v135
	s_delay_alu instid0(VALU_DEP_2) | instskip(SKIP_1) | instid1(VALU_DEP_2)
	v_sub_nc_u16 v32, v32, v33
	v_lshrrev_b32_e32 v33, 16, v139
	v_lshlrev_b16 v32, 8, v32
	s_delay_alu instid0(VALU_DEP_2) | instskip(SKIP_1) | instid1(VALU_DEP_1)
	v_sub_nc_u16 v33, v33, v34
	v_lshrrev_b16 v34, 8, v139
	v_sub_nc_u16 v34, v34, v35
	v_and_b32_e32 v35, 0xff, v30
	s_delay_alu instid0(VALU_DEP_1) | instskip(SKIP_1) | instid1(VALU_DEP_2)
	v_or_b32_e32 v23, v35, v23
	v_and_b32_e32 v35, 0xff, v31
	v_perm_b32 v23, v23, v30, 0xc05000c
	s_delay_alu instid0(VALU_DEP_2) | instskip(SKIP_1) | instid1(VALU_DEP_3)
	v_or_b32_e32 v27, v35, v27
	v_and_b32_e32 v35, 0xff, v33
	v_or_b32_e32 v21, v23, v21
	v_lshlrev_b16 v23, 8, v25
	s_delay_alu instid0(VALU_DEP_3)
	v_or_b32_e32 v32, v35, v32
	v_lshlrev_b16 v25, 8, v34
	v_perm_b32 v27, v27, v31, 0xc05000c
	v_dot4_i32_iu8 v21, v132, v21, v26 neg_lo:[1,1,0]
	v_perm_b32 v23, v23, v23, 0xc0c0c01
	v_perm_b32 v30, v32, v33, 0xc05000c
	;; [unrolled: 1-line block ×3, first 2 shown]
	s_delay_alu instid0(VALU_DEP_3) | instskip(SKIP_1) | instid1(VALU_DEP_3)
	v_or_b32_e32 v23, v27, v23
	v_cvt_f32_i32_e32 v27, v136
	v_or_b32_e32 v25, v30, v25
	s_delay_alu instid0(VALU_DEP_3) | instskip(NEXT) | instid1(VALU_DEP_2)
	v_dot4_i32_iu8 v22, v132, v23, v22 neg_lo:[1,1,0]
	v_dot4_i32_iu8 v23, v132, v25, v24 neg_lo:[1,1,0]
	v_add_nc_u32_e32 v24, s22, v99
	ds_load_u16 v24, v24 offset:25346
	s_wait_dscnt 0x0
	v_lshrrev_b16 v25, 8, v24
	v_bfe_i32 v24, v24, 0, 8
	s_delay_alu instid0(VALU_DEP_2) | instskip(NEXT) | instid1(VALU_DEP_2)
	v_bfe_i32 v25, v25, 0, 8
	v_mul_lo_u32 v20, v20, v24
	v_bfe_i32 v24, v167, 0, 8
	s_delay_alu instid0(VALU_DEP_2) | instskip(SKIP_1) | instid1(VALU_DEP_1)
	v_mad_co_u64_u32 v[20:21], null, v21, v25, v[20:21]
	v_lshrrev_b16 v21, 8, v167
	v_bfe_i32 v25, v21, 0, 8
	s_delay_alu instid0(VALU_DEP_4) | instskip(NEXT) | instid1(VALU_DEP_4)
	v_mul_lo_u32 v21, v28, v24
	v_cvt_f32_i32_e32 v20, v20
	s_delay_alu instid0(VALU_DEP_2)
	v_mad_co_u64_u32 v[21:22], null, v22, v25, v[21:22]
	v_add_nc_u32_e32 v22, s22, v97
	s_mov_b32 s22, s21
	ds_load_u16 v22, v22 offset:27394
	v_cvt_f32_i32_e32 v21, v21
	s_wait_dscnt 0x0
	v_lshrrev_b16 v24, 8, v22
	v_bfe_i32 v22, v22, 0, 8
	s_delay_alu instid0(VALU_DEP_2) | instskip(NEXT) | instid1(VALU_DEP_2)
	v_bfe_i32 v24, v24, 0, 8
	v_mul_lo_u32 v22, v29, v22
	s_delay_alu instid0(VALU_DEP_1)
	v_mad_co_u64_u32 v[22:23], null, v23, v24, v[22:23]
	ds_load_b32 v23, v130
	v_add_nc_u32_e32 v130, 4, v130
	v_cvt_f32_i32_e32 v22, v22
	s_wait_dscnt 0x0
	v_mul_f32_e32 v24, v23, v163
	v_mul_f32_e32 v25, v23, v161
	;; [unrolled: 1-line block ×4, first 2 shown]
	s_delay_alu instid0(VALU_DEP_3) | instskip(NEXT) | instid1(VALU_DEP_2)
	v_dual_fmac_f32 v17, v24, v27 :: v_dual_fmac_f32 v42, v25, v20
	v_dual_fmac_f32 v89, v26, v21 :: v_dual_fmac_f32 v88, v23, v22
	s_cbranch_scc1 .LBB210_11
; %bb.12:                               ;   in Loop: Header=BB210_5 Depth=1
	s_or_b32 s1, s18, 0x80
	s_wait_loadcnt 0x0
	s_wait_alu 0xfffe
	s_cmp_ge_i32 s1, s5
	s_barrier_signal -1
	s_barrier_wait -1
	global_inv scope:SCOPE_SE
	s_cbranch_scc1 .LBB210_4
; %bb.13:                               ;   in Loop: Header=BB210_5 Depth=1
	v_add_nc_u32_e32 v20, s19, v90
	s_delay_alu instid0(VALU_DEP_1)
	v_cmp_gt_i32_e64 s1, s6, v20
	s_and_b32 s20, s0, s1
	s_wait_alu 0xfffe
	s_and_saveexec_b32 s1, s20
	s_cbranch_execz .LBB210_15
; %bb.14:                               ;   in Loop: Header=BB210_5 Depth=1
	v_add_nc_u32_e32 v20, v93, v20
	s_delay_alu instid0(VALU_DEP_1)
	v_mad_co_i64_i32 v[20:21], null, v20, 36, v[18:19]
	global_load_b32 v20, v[20:21], off offset:4
	s_wait_loadcnt 0x0
	ds_store_b32 v86, v20
.LBB210_15:                             ;   in Loop: Header=BB210_5 Depth=1
	s_wait_alu 0xfffe
	s_or_b32 exec_lo, exec_lo, s1
	s_and_saveexec_b32 s20, vcc_lo
	s_cbranch_execz .LBB210_18
; %bb.16:                               ;   in Loop: Header=BB210_5 Depth=1
	v_or_b32_e32 v20, 4, v129
	s_delay_alu instid0(VALU_DEP_1)
	v_cmp_gt_i32_e64 s1, s6, v20
	s_and_b32 s1, s0, s1
	s_wait_alu 0xfffe
	s_and_b32 exec_lo, exec_lo, s1
	s_cbranch_execz .LBB210_18
; %bb.17:                               ;   in Loop: Header=BB210_5 Depth=1
	v_ashrrev_i32_e32 v20, 31, v129
	v_add_co_u32 v21, s1, v93, v129
	s_wait_alu 0xf1ff
	s_delay_alu instid0(VALU_DEP_2) | instskip(NEXT) | instid1(VALU_DEP_2)
	v_add_co_ci_u32_e64 v22, null, v0, v20, s1
	v_mad_co_u64_u32 v[20:21], null, v21, 36, s[2:3]
	s_delay_alu instid0(VALU_DEP_1)
	v_mad_i32_i24 v21, v22, 36, v21
	global_load_b32 v20, v[20:21], off offset:144
	s_wait_loadcnt 0x0
	v_cvt_f32_f16_e32 v20, v20
	ds_store_b32 v87, v20
.LBB210_18:                             ;   in Loop: Header=BB210_5 Depth=1
	s_wait_alu 0xfffe
	s_or_b32 exec_lo, exec_lo, s20
	v_dual_mov_b32 v130, v84 :: v_dual_mov_b32 v131, v85
	s_mov_b32 s1, 8
	s_mov_b32 s21, 6
	;; [unrolled: 1-line block ×3, first 2 shown]
	s_wait_loadcnt_dscnt 0x0
	s_barrier_signal -1
	s_barrier_wait -1
	global_inv scope:SCOPE_SE
.LBB210_19:                             ;   Parent Loop BB210_5 Depth=1
                                        ; =>  This Inner Loop Header: Depth=2
	ds_load_b128 v[20:23], v130
	ds_load_b128 v[33:36], v130 offset:16
	s_wait_alu 0xfffe
	s_add_co_i32 s22, s21, 2
	s_and_b32 s26, s1, -16
	s_wait_alu 0xfffe
	s_and_b32 s25, s22, 0x3ffffff8
	s_lshr_b32 s24, s22, 4
	s_wait_alu 0xfffe
	v_lshl_add_u32 v142, s25, 2, v94
	s_lshl_b32 s23, s24, 5
	s_add_co_i32 s25, s21, -6
	s_add_co_i32 s21, s21, s26
	s_wait_alu 0xfffe
	s_addk_co_i32 s23, 0x4200
	v_add_nc_u32_e32 v37, s21, v95
	s_lshl_b32 s24, s24, 2
	v_add_nc_u32_e32 v39, 0x3198, v142
	s_wait_alu 0xfffe
	s_addk_co_i32 s24, 0x7380
	v_add3_u32 v182, s23, v126, v113
	v_add3_u32 v184, s23, v114, v115
	;; [unrolled: 1-line block ×3, first 2 shown]
	v_add_nc_u32_e32 v130, 32, v130
	s_add_co_i32 s1, s1, 2
	s_wait_dscnt 0x1
	v_lshrrev_b16 v157, 8, v20
	v_ashrrev_i32_e32 v28, 24, v20
	v_bfe_i32 v26, v20, 16, 8
	v_bfe_i32 v158, v20, 0, 8
	v_perm_b32 v151, v20, v20, 0xc0c0302
	v_add_nc_u32_e32 v20, 0x3188, v142
	s_wait_dscnt 0x0
	v_lshrrev_b16 v163, 8, v33
	v_lshrrev_b16 v162, 8, v34
	v_ashrrev_i32_e32 v32, 24, v33
	v_bfe_i32 v30, v33, 16, 8
	v_bfe_i32 v164, v33, 0, 8
	v_perm_b32 v147, v33, v33, 0xc0c0302
	v_ashrrev_i32_e32 v33, 24, v34
	v_bfe_i32 v31, v34, 16, 8
	v_bfe_i32 v144, v34, 0, 8
	v_perm_b32 v140, v34, v34, 0xc030201
	v_add3_u32 v34, s23, v122, v123
	v_lshrrev_b16 v154, 8, v21
	v_lshrrev_b16 v153, 8, v22
	;; [unrolled: 1-line block ×3, first 2 shown]
	v_ashrrev_i32_e32 v29, 24, v21
	v_bfe_i32 v27, v21, 16, 8
	v_bfe_i32 v145, v21, 0, 8
	v_perm_b32 v141, v21, v21, 0xc030201
	v_ashrrev_i32_e32 v148, 24, v22
	v_bfe_i32 v150, v22, 16, 8
	v_bfe_i32 v139, v22, 0, 8
	v_perm_b32 v137, v22, v22, 0xc030201
	;; [unrolled: 4-line block ×3, first 2 shown]
	v_lshrrev_b16 v161, 8, v35
	v_lshrrev_b16 v146, 8, v36
	v_ashrrev_i32_e32 v155, 24, v35
	v_bfe_i32 v159, v35, 16, 8
	v_bfe_i32 v138, v35, 0, 8
	v_perm_b32 v136, v35, v35, 0xc030201
	v_ashrrev_i32_e32 v156, 24, v36
	v_bfe_i32 v160, v36, 16, 8
	v_bfe_i32 v134, v36, 0, 8
	v_perm_b32 v132, v36, v36, 0xc030201
	ds_load_2addr_b32 v[20:21], v20 offset1:1
	ds_load_2addr_b32 v[35:36], v34 offset0:4 offset1:5
	ds_load_2addr_b32 v[24:25], v34 offset0:6 offset1:7
	;; [unrolled: 1-line block ×3, first 2 shown]
	ds_load_u16 v169, v37 offset:28418
	s_wait_alu 0xfffe
	v_add3_u32 v37, s24, v124, v125
	v_bfe_i32 v163, v163, 0, 8
	v_bfe_i32 v162, v162, 0, 8
	;; [unrolled: 1-line block ×4, first 2 shown]
	ds_load_b32 v165, v37
	v_add_nc_u32_e32 v37, 0x3190, v142
	ds_load_2addr_b32 v[37:38], v37 offset1:1
	ds_load_2addr_b32 v[166:167], v39 offset1:1
	v_bfe_i32 v154, v154, 0, 8
	v_bfe_i32 v153, v153, 0, 8
	;; [unrolled: 1-line block ×3, first 2 shown]
	s_wait_dscnt 0x7
	v_ashrrev_i32_e32 v205, s25, v20
	s_wait_dscnt 0x6
	v_ashrrev_i32_e32 v36, s20, v36
	v_ashrrev_i32_e32 v35, s20, v35
	s_wait_dscnt 0x5
	v_ashrrev_i32_e32 v24, s20, v24
	v_ashrrev_i32_e32 v25, s20, v25
	v_ashrrev_i32_e32 v206, s25, v21
	v_lshlrev_b32_e32 v36, 2, v36
	v_lshlrev_b32_e32 v35, 2, v35
	;; [unrolled: 1-line block ×4, first 2 shown]
	s_wait_dscnt 0x4
	v_ashrrev_i32_e32 v22, s20, v22
	v_and_b32_e32 v36, 0x4040404, v36
	v_and_b32_e32 v35, 0x4040404, v35
	;; [unrolled: 1-line block ×4, first 2 shown]
	s_wait_dscnt 0x1
	v_ashrrev_i32_e32 v38, s25, v38
	v_ashrrev_i32_e32 v37, s25, v37
	v_lshrrev_b32_e32 v168, 24, v36
	v_lshrrev_b32_e32 v170, 24, v35
	s_wait_dscnt 0x0
	v_ashrrev_i32_e32 v192, s25, v166
	v_bfe_u32 v39, v38, 24, 2
	v_and_b32_e32 v38, 0x3030303, v38
	v_ashrrev_i32_e32 v193, s25, v167
	v_ashrrev_i32_e32 v23, s20, v23
	v_and_b32_e32 v196, 0x3030303, v192
	v_sub_nc_u16 v39, v39, v168
	v_bfe_u32 v168, v37, 24, 2
	v_and_b32_e32 v37, 0x3030303, v37
	v_and_b32_e32 v197, 0x3030303, v193
	v_sub_nc_u16 v24, v196, v194
	v_bfe_i32 v39, v39, 0, 16
	v_sub_nc_u16 v168, v168, v170
	v_and_b32_e32 v209, 0x3030303, v205
	v_sub_nc_u16 v25, v197, v195
	v_bfe_i32 v24, v24, 0, 8
	v_mul_i32_i24_e32 v33, v39, v33
	v_bfe_i32 v39, v168, 0, 16
	v_and_b32_e32 v210, 0x3030303, v206
	v_bfe_i32 v25, v25, 0, 8
	v_mul_i32_i24_e32 v24, v24, v138
	v_lshrrev_b16 v216, 8, v194
	v_mad_i32_i24 v190, v39, v32, v33
	v_lshrrev_b32_e32 v32, 16, v38
	v_lshrrev_b32_e32 v33, 16, v36
	;; [unrolled: 1-line block ×3, first 2 shown]
	v_mul_i32_i24_e32 v25, v25, v134
	v_bfe_i32 v143, v143, 0, 8
	s_delay_alu instid0(VALU_DEP_4) | instskip(SKIP_1) | instid1(VALU_DEP_2)
	v_sub_nc_u16 v32, v32, v33
	v_lshrrev_b32_e32 v33, 16, v37
	v_bfe_i32 v32, v32, 0, 8
	s_delay_alu instid0(VALU_DEP_2) | instskip(NEXT) | instid1(VALU_DEP_2)
	v_sub_nc_u16 v33, v33, v39
	v_mul_i32_i24_e32 v31, v32, v31
	s_delay_alu instid0(VALU_DEP_2) | instskip(NEXT) | instid1(VALU_DEP_1)
	v_bfe_i32 v32, v33, 0, 8
	v_mad_i32_i24 v191, v32, v30, v31
	v_sub_nc_u16 v30, v38, v36
	v_sub_nc_u16 v31, v37, v35
	v_add3_u32 v32, s24, v120, v121
	v_lshrrev_b16 v35, 8, v35
	s_delay_alu instid0(VALU_DEP_4) | instskip(NEXT) | instid1(VALU_DEP_4)
	v_bfe_i32 v30, v30, 0, 8
	v_bfe_i32 v31, v31, 0, 8
	s_delay_alu instid0(VALU_DEP_2) | instskip(NEXT) | instid1(VALU_DEP_1)
	v_mul_i32_i24_e32 v30, v30, v144
	v_mad_i32_i24 v30, v31, v164, v30
	s_delay_alu instid0(VALU_DEP_1)
	v_add3_u32 v198, v30, v24, v25
	v_add_nc_u32_e32 v30, 0x3180, v142
	ds_load_2addr_b32 v[24:25], v34 offset1:1
	ds_load_2addr_b32 v[30:31], v30 offset1:1
	ds_load_b32 v166, v32
	s_wait_dscnt 0x2
	v_ashrrev_i32_e32 v25, s20, v25
	v_ashrrev_i32_e32 v24, s20, v24
	s_wait_dscnt 0x1
	v_ashrrev_i32_e32 v31, s25, v31
	v_ashrrev_i32_e32 v30, s25, v30
	v_lshlrev_b32_e32 v25, 2, v25
	v_lshlrev_b32_e32 v24, 2, v24
	s_delay_alu instid0(VALU_DEP_4) | instskip(NEXT) | instid1(VALU_DEP_4)
	v_and_b32_e32 v202, 0x3030303, v31
	v_and_b32_e32 v203, 0x3030303, v30
	s_delay_alu instid0(VALU_DEP_4) | instskip(NEXT) | instid1(VALU_DEP_4)
	v_and_b32_e32 v199, 0x4040404, v25
	v_and_b32_e32 v200, 0x4040404, v24
	v_bfe_u32 v25, v31, 24, 2
	v_bfe_u32 v24, v30, 24, 2
	s_delay_alu instid0(VALU_DEP_4) | instskip(NEXT) | instid1(VALU_DEP_4)
	v_sub_nc_u16 v20, v202, v199
	v_sub_nc_u16 v21, v203, v200
	v_lshrrev_b32_e32 v32, 24, v199
	s_delay_alu instid0(VALU_DEP_3) | instskip(NEXT) | instid1(VALU_DEP_3)
	v_bfe_i32 v20, v20, 0, 8
	v_bfe_i32 v21, v21, 0, 8
	s_delay_alu instid0(VALU_DEP_3) | instskip(SKIP_1) | instid1(VALU_DEP_4)
	v_sub_nc_u16 v25, v25, v32
	v_lshrrev_b32_e32 v32, 24, v200
	v_mul_i32_i24_e32 v20, v20, v145
	s_delay_alu instid0(VALU_DEP_3) | instskip(NEXT) | instid1(VALU_DEP_3)
	v_bfe_i32 v25, v25, 0, 16
	v_sub_nc_u16 v24, v24, v32
	s_delay_alu instid0(VALU_DEP_3) | instskip(SKIP_4) | instid1(VALU_DEP_4)
	v_mad_i32_i24 v20, v21, v158, v20
	v_lshlrev_b32_e32 v21, 2, v22
	v_lshlrev_b32_e32 v22, 2, v23
	v_mul_i32_i24_e32 v25, v25, v29
	v_bfe_i32 v24, v24, 0, 16
	v_and_b32_e32 v207, 0x4040404, v21
	s_delay_alu instid0(VALU_DEP_4) | instskip(NEXT) | instid1(VALU_DEP_3)
	v_and_b32_e32 v208, 0x4040404, v22
	v_mad_i32_i24 v201, v24, v28, v25
	v_lshrrev_b32_e32 v24, 16, v202
	s_delay_alu instid0(VALU_DEP_4) | instskip(NEXT) | instid1(VALU_DEP_4)
	v_sub_nc_u16 v21, v209, v207
	v_sub_nc_u16 v22, v210, v208
	v_lshrrev_b32_e32 v25, 16, v199
	v_lshrrev_b32_e32 v28, 16, v200
	v_lshrrev_b16 v200, 8, v200
	v_bfe_i32 v21, v21, 0, 8
	v_bfe_i32 v22, v22, 0, 8
	v_sub_nc_u16 v24, v24, v25
	v_lshrrev_b32_e32 v25, 16, v203
	v_lshrrev_b16 v203, 8, v203
	v_mul_i32_i24_e32 v21, v21, v139
	v_mul_i32_i24_e32 v22, v22, v135
	v_bfe_i32 v24, v24, 0, 8
	v_sub_nc_u16 v25, v25, v28
	v_lshrrev_b16 v202, 8, v202
	v_lshrrev_b16 v199, 8, v199
	v_add3_u32 v211, v20, v21, v22
	ds_load_2addr_b32 v[170:171], v182 offset0:4 offset1:5
	ds_load_2addr_b32 v[20:21], v182 offset0:6 offset1:7
	;; [unrolled: 1-line block ×3, first 2 shown]
	v_mul_i32_i24_e32 v24, v24, v27
	v_bfe_i32 v25, v25, 0, 8
	v_add_nc_u32_e32 v27, 0x1098, v142
	v_sub_nc_u16 v200, v203, v200
	v_sub_nc_u16 v199, v202, v199
	v_lshrrev_b16 v202, 8, v209
	v_mad_i32_i24 v204, v25, v26, v24
	v_lshrrev_b16 v203, 8, v207
	v_bfe_i32 v200, v200, 0, 16
	v_bfe_i32 v199, v199, 0, 16
	s_delay_alu instid0(VALU_DEP_3) | instskip(NEXT) | instid1(VALU_DEP_2)
	v_sub_nc_u16 v202, v202, v203
	v_mul_i32_i24_e32 v154, v199, v154
	s_wait_dscnt 0x2
	v_ashrrev_i32_e32 v22, s20, v170
	s_delay_alu instid0(VALU_DEP_3)
	v_bfe_i32 v199, v202, 0, 16
	s_wait_dscnt 0x0
	v_ashrrev_i32_e32 v28, s20, v28
	v_ashrrev_i32_e32 v20, s20, v20
	;; [unrolled: 1-line block ×3, first 2 shown]
	v_lshlrev_b32_e32 v22, 2, v22
	v_mul_i32_i24_e32 v153, v199, v153
	v_lshlrev_b32_e32 v28, 2, v28
	v_lshlrev_b32_e32 v20, 2, v20
	;; [unrolled: 1-line block ×3, first 2 shown]
	v_and_b32_e32 v170, 0x4040404, v22
	ds_load_2addr_b32 v[172:173], v142 offset0:4 offset1:5
	ds_load_2addr_b32 v[22:23], v142 offset0:6 offset1:7
	ds_load_2addr_b32 v[30:31], v142 offset0:2 offset1:3
	v_and_b32_e32 v28, 0x4040404, v28
	v_and_b32_e32 v20, 0x4040404, v20
	;; [unrolled: 1-line block ×3, first 2 shown]
	v_lshrrev_b16 v25, 8, v170
	s_wait_dscnt 0x2
	v_ashrrev_i32_e32 v172, s25, v172
	s_wait_dscnt 0x1
	v_ashrrev_i32_e32 v22, s25, v22
	;; [unrolled: 2-line block ×3, first 2 shown]
	v_ashrrev_i32_e32 v23, s25, v23
	v_and_b32_e32 v212, 0x3030303, v172
	s_delay_alu instid0(VALU_DEP_1) | instskip(NEXT) | instid1(VALU_DEP_1)
	v_lshrrev_b16 v24, 8, v212
	v_sub_nc_u16 v183, v24, v25
	v_add_nc_u32_e32 v24, s21, v98
	s_delay_alu instid0(VALU_DEP_2)
	v_lshlrev_b16 v183, 8, v183
	ds_load_u16 v168, v24 offset:26370
	v_add3_u32 v24, s24, v116, v117
	v_bfe_i32 v183, v183, 8, 8
	ds_load_b32 v167, v24
	ds_load_2addr_b32 v[174:175], v184 offset0:4 offset1:5
	ds_load_2addr_b32 v[24:25], v184 offset0:6 offset1:7
	;; [unrolled: 1-line block ×3, first 2 shown]
	s_wait_dscnt 0x2
	v_ashrrev_i32_e32 v26, s20, v174
	s_wait_dscnt 0x1
	v_ashrrev_i32_e32 v24, s20, v24
	s_wait_dscnt 0x0
	v_ashrrev_i32_e32 v32, s20, v32
	v_ashrrev_i32_e32 v33, s20, v33
	v_ashrrev_i32_e32 v25, s20, v25
	v_lshlrev_b32_e32 v26, 2, v26
	v_lshlrev_b32_e32 v24, 2, v24
	;; [unrolled: 1-line block ×5, first 2 shown]
	v_and_b32_e32 v174, 0x4040404, v26
	v_add_nc_u32_e32 v26, 0x1090, v142
	ds_load_2addr_b32 v[176:177], v26 offset1:1
	ds_load_2addr_b32 v[26:27], v27 offset1:1
	v_lshrrev_b16 v39, 8, v174
	v_and_b32_e32 v32, 0x4040404, v32
	v_and_b32_e32 v24, 0x4040404, v24
	;; [unrolled: 1-line block ×4, first 2 shown]
	s_wait_dscnt 0x1
	v_ashrrev_i32_e32 v176, s25, v176
	s_wait_dscnt 0x0
	v_ashrrev_i32_e32 v26, s25, v26
	v_ashrrev_i32_e32 v27, s25, v27
	s_delay_alu instid0(VALU_DEP_3) | instskip(NEXT) | instid1(VALU_DEP_1)
	v_and_b32_e32 v213, 0x3030303, v176
	v_lshrrev_b16 v34, 8, v213
	v_sub_nc_u16 v217, v213, v174
	s_delay_alu instid0(VALU_DEP_2) | instskip(SKIP_1) | instid1(VALU_DEP_3)
	v_sub_nc_u16 v185, v34, v39
	v_lshrrev_b16 v34, 8, v37
	v_bfe_i32 v217, v217, 0, 8
	s_delay_alu instid0(VALU_DEP_2)
	v_sub_nc_u16 v186, v34, v35
	v_lshrrev_b16 v35, 8, v36
	ds_load_2addr_b32 v[178:179], v214 offset0:4 offset1:5
	ds_load_2addr_b32 v[36:37], v214 offset0:2 offset1:3
	v_lshrrev_b16 v34, 8, v38
	v_add_nc_u32_e32 v38, 0x2108, v142
	v_mul_i32_i24_e32 v217, v164, v217
	s_delay_alu instid0(VALU_DEP_3)
	v_sub_nc_u16 v187, v34, v35
	v_add_nc_u32_e32 v35, 0x2118, v142
	s_wait_dscnt 0x1
	v_ashrrev_i32_e32 v34, s20, v178
	s_wait_dscnt 0x0
	v_ashrrev_i32_e32 v36, s20, v36
	s_delay_alu instid0(VALU_DEP_2) | instskip(NEXT) | instid1(VALU_DEP_2)
	v_lshlrev_b32_e32 v34, 2, v34
	v_lshlrev_b32_e32 v36, 2, v36
	s_delay_alu instid0(VALU_DEP_2)
	v_and_b32_e32 v178, 0x4040404, v34
	v_add_nc_u32_e32 v34, 0x2110, v142
	ds_load_2addr_b32 v[180:181], v34 offset1:1
	ds_load_2addr_b32 v[34:35], v35 offset1:1
	;; [unrolled: 1-line block ×3, first 2 shown]
	v_lshrrev_b16 v189, 8, v178
	v_and_b32_e32 v36, 0x4040404, v36
	s_wait_dscnt 0x2
	v_ashrrev_i32_e32 v180, s25, v180
	s_wait_dscnt 0x1
	v_ashrrev_i32_e32 v34, s25, v34
	;; [unrolled: 2-line block ×3, first 2 shown]
	v_ashrrev_i32_e32 v35, s25, v35
	v_and_b32_e32 v215, 0x3030303, v180
	s_delay_alu instid0(VALU_DEP_1) | instskip(SKIP_1) | instid1(VALU_DEP_2)
	v_lshrrev_b16 v188, 8, v215
	v_sub_nc_u16 v218, v215, v178
	v_sub_nc_u16 v188, v188, v189
	v_lshrrev_b16 v189, 8, v196
	s_delay_alu instid0(VALU_DEP_3) | instskip(NEXT) | instid1(VALU_DEP_2)
	v_bfe_i32 v218, v218, 0, 8
	v_sub_nc_u16 v189, v189, v216
	v_sub_nc_u16 v216, v212, v170
	s_delay_alu instid0(VALU_DEP_1) | instskip(NEXT) | instid1(VALU_DEP_1)
	v_bfe_i32 v216, v216, 0, 8
	v_mul_i32_i24_e32 v216, v164, v216
	v_mul_i32_i24_e32 v164, v164, v218
	s_delay_alu instid0(VALU_DEP_2) | instskip(SKIP_2) | instid1(VALU_DEP_2)
	v_mad_i32_i24 v216, v163, v183, v216
	v_lshlrev_b16 v183, 8, v185
	v_add_nc_u32_e32 v185, 0x1080, v142
	v_bfe_i32 v183, v183, 8, 8
	s_delay_alu instid0(VALU_DEP_1) | instskip(SKIP_1) | instid1(VALU_DEP_1)
	v_mad_i32_i24 v217, v163, v183, v217
	v_lshlrev_b16 v183, 8, v188
	v_bfe_i32 v183, v183, 8, 8
	s_delay_alu instid0(VALU_DEP_1) | instskip(SKIP_1) | instid1(VALU_DEP_1)
	v_mad_i32_i24 v218, v163, v183, v164
	v_bfe_i32 v164, v186, 0, 16
	v_mul_i32_i24_e32 v163, v164, v163
	v_bfe_i32 v164, v187, 0, 16
	s_delay_alu instid0(VALU_DEP_1) | instskip(SKIP_1) | instid1(VALU_DEP_1)
	v_mul_i32_i24_e32 v162, v164, v162
	v_bfe_i32 v164, v189, 0, 16
	v_mul_i32_i24_e32 v161, v164, v161
	s_delay_alu instid0(VALU_DEP_1)
	v_add3_u32 v219, v163, v162, v161
	ds_load_2addr_b32 v[161:162], v182 offset1:1
	ds_load_2addr_b32 v[163:164], v142 offset1:1
	s_wait_dscnt 0x1
	v_ashrrev_i32_e32 v161, s20, v161
	s_wait_dscnt 0x0
	v_ashrrev_i32_e32 v163, s25, v163
	s_delay_alu instid0(VALU_DEP_2) | instskip(NEXT) | instid1(VALU_DEP_2)
	v_lshlrev_b32_e32 v161, 2, v161
	v_and_b32_e32 v221, 0x3030303, v163
	s_delay_alu instid0(VALU_DEP_2) | instskip(NEXT) | instid1(VALU_DEP_2)
	v_and_b32_e32 v220, 0x4040404, v161
	v_lshrrev_b16 v161, 8, v221
	s_delay_alu instid0(VALU_DEP_2) | instskip(SKIP_1) | instid1(VALU_DEP_2)
	v_lshrrev_b16 v182, 8, v220
	v_sub_nc_u16 v203, v221, v220
	v_sub_nc_u16 v222, v161, v182
	v_add3_u32 v161, s24, v127, v128
	s_delay_alu instid0(VALU_DEP_3) | instskip(NEXT) | instid1(VALU_DEP_3)
	v_bfe_i32 v203, v203, 0, 8
	v_lshlrev_b16 v222, 8, v222
	ds_load_b32 v161, v161
	ds_load_2addr_b32 v[182:183], v184 offset1:1
	ds_load_2addr_b32 v[184:185], v185 offset1:1
	v_mul_i32_i24_e32 v203, v158, v203
	v_bfe_i32 v222, v222, 8, 8
	s_delay_alu instid0(VALU_DEP_1) | instskip(SKIP_4) | instid1(VALU_DEP_2)
	v_mad_i32_i24 v203, v157, v222, v203
	s_wait_dscnt 0x1
	v_ashrrev_i32_e32 v182, s20, v182
	s_wait_dscnt 0x0
	v_ashrrev_i32_e32 v184, s25, v184
	v_lshlrev_b32_e32 v182, 2, v182
	s_delay_alu instid0(VALU_DEP_2) | instskip(NEXT) | instid1(VALU_DEP_2)
	v_and_b32_e32 v223, 0x3030303, v184
	v_and_b32_e32 v182, 0x4040404, v182
	s_delay_alu instid0(VALU_DEP_2) | instskip(NEXT) | instid1(VALU_DEP_2)
	v_lshrrev_b16 v186, 8, v223
	v_lshrrev_b16 v187, 8, v182
	s_delay_alu instid0(VALU_DEP_1) | instskip(SKIP_4) | instid1(VALU_DEP_1)
	v_sub_nc_u16 v224, v186, v187
	v_add_nc_u32_e32 v186, 0x2100, v142
	ds_load_2addr_b32 v[186:187], v186 offset1:1
	ds_load_2addr_b32 v[188:189], v214 offset1:1
	v_lshlrev_b16 v222, 8, v224
	v_bfe_i32 v222, v222, 8, 8
	s_wait_dscnt 0x1
	v_ashrrev_i32_e32 v186, s25, v186
	s_wait_dscnt 0x0
	v_ashrrev_i32_e32 v188, s20, v188
	s_delay_alu instid0(VALU_DEP_2) | instskip(NEXT) | instid1(VALU_DEP_2)
	v_and_b32_e32 v225, 0x3030303, v186
	v_lshlrev_b32_e32 v188, 2, v188
	s_delay_alu instid0(VALU_DEP_2) | instskip(NEXT) | instid1(VALU_DEP_2)
	v_lshrrev_b16 v226, 8, v225
	v_and_b32_e32 v188, 0x4040404, v188
	s_delay_alu instid0(VALU_DEP_1) | instskip(SKIP_1) | instid1(VALU_DEP_2)
	v_lshrrev_b16 v227, 8, v188
	v_sub_nc_u16 v228, v225, v188
	v_sub_nc_u16 v226, v226, v227
	;; [unrolled: 1-line block ×3, first 2 shown]
	s_delay_alu instid0(VALU_DEP_3) | instskip(NEXT) | instid1(VALU_DEP_3)
	v_bfe_i32 v228, v228, 0, 8
	v_lshlrev_b16 v224, 8, v226
	s_delay_alu instid0(VALU_DEP_3) | instskip(NEXT) | instid1(VALU_DEP_2)
	v_bfe_i32 v227, v227, 0, 8
	v_bfe_i32 v224, v224, 8, 8
	s_delay_alu instid0(VALU_DEP_2) | instskip(SKIP_1) | instid1(VALU_DEP_2)
	v_mul_i32_i24_e32 v227, v158, v227
	v_mul_i32_i24_e32 v158, v158, v228
	v_mad_i32_i24 v222, v157, v222, v227
	s_delay_alu instid0(VALU_DEP_2) | instskip(SKIP_1) | instid1(VALU_DEP_1)
	v_mad_i32_i24 v158, v157, v224, v158
	v_mul_i32_i24_e32 v157, v200, v157
	v_add3_u32 v153, v157, v154, v153
	v_lshrrev_b32_e32 v154, 16, v196
	v_lshrrev_b32_e32 v157, 16, v194
	;; [unrolled: 1-line block ×3, first 2 shown]
	s_delay_alu instid0(VALU_DEP_2) | instskip(SKIP_1) | instid1(VALU_DEP_2)
	v_sub_nc_u16 v154, v154, v157
	v_lshrrev_b32_e32 v157, 16, v197
	v_bfe_i32 v154, v154, 0, 8
	s_delay_alu instid0(VALU_DEP_2) | instskip(NEXT) | instid1(VALU_DEP_2)
	v_sub_nc_u16 v157, v157, v196
	v_mul_i32_i24_e32 v154, v154, v159
	s_delay_alu instid0(VALU_DEP_2) | instskip(SKIP_1) | instid1(VALU_DEP_2)
	v_bfe_i32 v157, v157, 0, 8
	v_lshrrev_b32_e32 v159, 24, v194
	v_mul_i32_i24_e32 v157, v157, v160
	v_lshrrev_b32_e32 v160, 24, v195
	s_delay_alu instid0(VALU_DEP_2) | instskip(SKIP_1) | instid1(VALU_DEP_1)
	v_add3_u32 v154, v191, v154, v157
	v_bfe_u32 v157, v192, 24, 2
	v_sub_nc_u16 v157, v157, v159
	v_bfe_u32 v159, v193, 24, 2
	s_delay_alu instid0(VALU_DEP_2) | instskip(NEXT) | instid1(VALU_DEP_2)
	v_bfe_i32 v157, v157, 0, 16
	v_sub_nc_u16 v159, v159, v160
	v_lshrrev_b32_e32 v160, 24, v182
	s_delay_alu instid0(VALU_DEP_3) | instskip(NEXT) | instid1(VALU_DEP_3)
	v_mul_i32_i24_e32 v155, v157, v155
	v_bfe_i32 v157, v159, 0, 16
	v_lshrrev_b32_e32 v159, 16, v220
	s_delay_alu instid0(VALU_DEP_2) | instskip(SKIP_1) | instid1(VALU_DEP_2)
	v_mul_i32_i24_e32 v156, v157, v156
	v_lshrrev_b32_e32 v157, 24, v220
	v_add3_u32 v155, v190, v155, v156
	v_bfe_u32 v156, v163, 24, 2
	v_lshrrev_b32_e32 v163, 16, v182
	v_lshrrev_b32_e32 v182, 24, v188
	s_delay_alu instid0(VALU_DEP_3) | instskip(SKIP_1) | instid1(VALU_DEP_2)
	v_sub_nc_u16 v156, v156, v157
	v_lshrrev_b32_e32 v157, 16, v221
	v_lshlrev_b16 v156, 8, v156
	s_delay_alu instid0(VALU_DEP_2) | instskip(SKIP_2) | instid1(VALU_DEP_2)
	v_sub_nc_u16 v157, v157, v159
	v_bfe_u32 v159, v184, 24, 2
	v_lshrrev_b32_e32 v184, 16, v188
	v_sub_nc_u16 v159, v159, v160
	v_lshrrev_b32_e32 v160, 16, v223
	s_delay_alu instid0(VALU_DEP_2) | instskip(NEXT) | instid1(VALU_DEP_2)
	v_lshlrev_b16 v159, 8, v159
	v_sub_nc_u16 v160, v160, v163
	v_bfe_u32 v163, v186, 24, 2
	s_delay_alu instid0(VALU_DEP_1) | instskip(SKIP_1) | instid1(VALU_DEP_2)
	v_sub_nc_u16 v163, v163, v182
	v_lshrrev_b32_e32 v182, 16, v225
	v_lshlrev_b16 v163, 8, v163
	s_delay_alu instid0(VALU_DEP_2) | instskip(SKIP_1) | instid1(VALU_DEP_1)
	v_sub_nc_u16 v182, v182, v184
	v_and_b32_e32 v184, 0xff, v157
	v_or_b32_e32 v156, v184, v156
	v_and_b32_e32 v184, 0xff, v160
	s_delay_alu instid0(VALU_DEP_2) | instskip(NEXT) | instid1(VALU_DEP_2)
	v_perm_b32 v156, v156, v157, 0xc0c0500
	v_or_b32_e32 v159, v184, v159
	v_and_b32_e32 v184, 0xff, v182
	s_delay_alu instid0(VALU_DEP_3) | instskip(NEXT) | instid1(VALU_DEP_3)
	v_dot4_i32_iu8 v156, v151, v156, v203 neg_lo:[1,1,0]
	v_perm_b32 v157, v159, v160, 0xc0c0500
	s_delay_alu instid0(VALU_DEP_3) | instskip(SKIP_1) | instid1(VALU_DEP_3)
	v_or_b32_e32 v163, v184, v163
	v_lshrrev_b32_e32 v160, 16, v208
	v_dot4_i32_iu8 v157, v151, v157, v222 neg_lo:[1,1,0]
	s_delay_alu instid0(VALU_DEP_3) | instskip(SKIP_1) | instid1(VALU_DEP_2)
	v_perm_b32 v159, v163, v182, 0xc0c0500
	v_lshrrev_b32_e32 v163, 24, v178
	v_dot4_i32_iu8 v151, v151, v159, v158 neg_lo:[1,1,0]
	v_lshrrev_b32_e32 v158, 16, v209
	v_lshrrev_b32_e32 v159, 16, v207
	s_delay_alu instid0(VALU_DEP_1) | instskip(SKIP_1) | instid1(VALU_DEP_2)
	v_sub_nc_u16 v158, v158, v159
	v_lshrrev_b32_e32 v159, 16, v210
	v_bfe_i32 v158, v158, 0, 8
	s_delay_alu instid0(VALU_DEP_2) | instskip(SKIP_1) | instid1(VALU_DEP_3)
	v_sub_nc_u16 v159, v159, v160
	v_lshrrev_b32_e32 v160, 16, v174
	v_mul_i32_i24_e32 v150, v158, v150
	s_delay_alu instid0(VALU_DEP_3) | instskip(SKIP_1) | instid1(VALU_DEP_2)
	v_bfe_i32 v158, v159, 0, 8
	v_lshrrev_b32_e32 v159, 24, v208
	v_mul_i32_i24_e32 v152, v158, v152
	v_lshrrev_b32_e32 v158, 24, v207
	s_delay_alu instid0(VALU_DEP_2) | instskip(SKIP_1) | instid1(VALU_DEP_1)
	v_add3_u32 v150, v204, v150, v152
	v_bfe_u32 v152, v205, 24, 2
	v_sub_nc_u16 v152, v152, v158
	v_bfe_u32 v158, v206, 24, 2
	s_delay_alu instid0(VALU_DEP_2) | instskip(NEXT) | instid1(VALU_DEP_2)
	v_bfe_i32 v152, v152, 0, 16
	v_sub_nc_u16 v158, v158, v159
	v_lshrrev_b32_e32 v159, 24, v174
	s_delay_alu instid0(VALU_DEP_3) | instskip(NEXT) | instid1(VALU_DEP_3)
	v_mul_i32_i24_e32 v148, v152, v148
	v_bfe_i32 v152, v158, 0, 16
	v_lshrrev_b32_e32 v158, 16, v170
	s_delay_alu instid0(VALU_DEP_2) | instskip(SKIP_2) | instid1(VALU_DEP_3)
	v_mul_i32_i24_e32 v149, v152, v149
	v_lshrrev_b32_e32 v152, 24, v170
	v_lshrrev_b32_e32 v170, 16, v178
	v_add3_u32 v148, v201, v148, v149
	v_bfe_u32 v149, v172, 24, 2
	s_delay_alu instid0(VALU_DEP_1) | instskip(SKIP_1) | instid1(VALU_DEP_2)
	v_sub_nc_u16 v149, v149, v152
	v_lshrrev_b32_e32 v152, 16, v212
	v_lshlrev_b16 v149, 8, v149
	s_delay_alu instid0(VALU_DEP_2) | instskip(SKIP_1) | instid1(VALU_DEP_1)
	v_sub_nc_u16 v152, v152, v158
	v_bfe_u32 v158, v176, 24, 2
	v_sub_nc_u16 v158, v158, v159
	v_lshrrev_b32_e32 v159, 16, v213
	s_delay_alu instid0(VALU_DEP_2) | instskip(NEXT) | instid1(VALU_DEP_2)
	v_lshlrev_b16 v158, 8, v158
	v_sub_nc_u16 v159, v159, v160
	v_bfe_u32 v160, v180, 24, 2
	s_delay_alu instid0(VALU_DEP_1) | instskip(SKIP_1) | instid1(VALU_DEP_2)
	v_sub_nc_u16 v160, v160, v163
	v_lshrrev_b32_e32 v163, 16, v215
	v_lshlrev_b16 v160, 8, v160
	s_delay_alu instid0(VALU_DEP_2) | instskip(SKIP_1) | instid1(VALU_DEP_1)
	v_sub_nc_u16 v163, v163, v170
	v_and_b32_e32 v170, 0xff, v152
	v_or_b32_e32 v149, v170, v149
	v_and_b32_e32 v170, 0xff, v159
	s_delay_alu instid0(VALU_DEP_2) | instskip(NEXT) | instid1(VALU_DEP_2)
	v_perm_b32 v149, v149, v152, 0xc0c0500
	v_or_b32_e32 v158, v170, v158
	v_and_b32_e32 v170, 0xff, v163
	s_delay_alu instid0(VALU_DEP_3) | instskip(NEXT) | instid1(VALU_DEP_3)
	v_dot4_i32_iu8 v149, v147, v149, v216 neg_lo:[1,1,0]
	v_perm_b32 v152, v158, v159, 0xc0c0500
	s_delay_alu instid0(VALU_DEP_3) | instskip(SKIP_1) | instid1(VALU_DEP_3)
	v_or_b32_e32 v160, v170, v160
	v_lshrrev_b16 v159, 8, v195
	v_dot4_i32_iu8 v152, v147, v152, v217 neg_lo:[1,1,0]
	s_delay_alu instid0(VALU_DEP_3) | instskip(SKIP_2) | instid1(VALU_DEP_3)
	v_perm_b32 v158, v160, v163, 0xc0c0500
	v_ashrrev_i32_e32 v160, s20, v189
	v_ashrrev_i32_e32 v163, s25, v187
	v_dot4_i32_iu8 v147, v147, v158, v218 neg_lo:[1,1,0]
	v_lshrrev_b16 v158, 8, v197
	s_delay_alu instid0(VALU_DEP_4) | instskip(NEXT) | instid1(VALU_DEP_2)
	v_lshlrev_b32_e32 v160, 2, v160
	v_sub_nc_u16 v158, v158, v159
	v_ashrrev_i32_e32 v159, s20, v183
	s_delay_alu instid0(VALU_DEP_3) | instskip(NEXT) | instid1(VALU_DEP_3)
	v_and_b32_e32 v160, 0x4040404, v160
	v_bfe_i32 v158, v158, 0, 16
	s_delay_alu instid0(VALU_DEP_3) | instskip(NEXT) | instid1(VALU_DEP_2)
	v_lshlrev_b32_e32 v159, 2, v159
	v_mul_i32_i24_e32 v146, v158, v146
	v_ashrrev_i32_e32 v158, s20, v162
	v_ashrrev_i32_e32 v162, s25, v185
	s_delay_alu instid0(VALU_DEP_4) | instskip(NEXT) | instid1(VALU_DEP_4)
	v_and_b32_e32 v159, 0x4040404, v159
	v_add3_u32 v146, v219, v146, v155
	v_ashrrev_i32_e32 v155, s25, v164
	v_lshlrev_b32_e32 v158, 2, v158
	s_delay_alu instid0(VALU_DEP_3) | instskip(NEXT) | instid1(VALU_DEP_3)
	v_add3_u32 v146, v198, v154, v146
	v_and_b32_e32 v164, 0x3030303, v155
	s_delay_alu instid0(VALU_DEP_3) | instskip(NEXT) | instid1(VALU_DEP_1)
	v_and_b32_e32 v158, 0x4040404, v158
	v_sub_nc_u16 v170, v164, v158
	v_lshrrev_b32_e32 v154, 24, v158
	s_delay_alu instid0(VALU_DEP_2) | instskip(NEXT) | instid1(VALU_DEP_1)
	v_bfe_i32 v170, v170, 0, 8
	v_mad_i32_i24 v156, v145, v170, v156
	v_and_b32_e32 v170, 0x3030303, v162
	s_delay_alu instid0(VALU_DEP_1) | instskip(NEXT) | instid1(VALU_DEP_1)
	v_sub_nc_u16 v172, v170, v159
	v_bfe_i32 v172, v172, 0, 8
	s_delay_alu instid0(VALU_DEP_1) | instskip(SKIP_2) | instid1(VALU_DEP_2)
	v_mad_i32_i24 v157, v145, v172, v157
	v_and_b32_e32 v172, 0x3030303, v163
	v_bfe_u32 v163, v163, 24, 2
	v_sub_nc_u16 v174, v172, v160
	s_delay_alu instid0(VALU_DEP_1) | instskip(NEXT) | instid1(VALU_DEP_1)
	v_bfe_i32 v174, v174, 0, 8
	v_mad_i32_i24 v145, v145, v174, v151
	v_lshrrev_b16 v151, 8, v210
	v_lshrrev_b16 v174, 8, v208
	s_delay_alu instid0(VALU_DEP_1) | instskip(SKIP_1) | instid1(VALU_DEP_2)
	v_sub_nc_u16 v151, v151, v174
	v_ashrrev_i32_e32 v174, s25, v181
	v_bfe_i32 v151, v151, 0, 16
	s_delay_alu instid0(VALU_DEP_1) | instskip(SKIP_2) | instid1(VALU_DEP_3)
	v_mul_i32_i24_e32 v143, v151, v143
	v_ashrrev_i32_e32 v151, s20, v171
	v_ashrrev_i32_e32 v171, s20, v179
	v_add3_u32 v143, v153, v143, v148
	v_ashrrev_i32_e32 v148, s25, v173
	s_delay_alu instid0(VALU_DEP_4)
	v_lshlrev_b32_e32 v151, 2, v151
	v_ashrrev_i32_e32 v153, s20, v175
	v_ashrrev_i32_e32 v173, s25, v177
	v_lshlrev_b32_e32 v171, 2, v171
	v_and_b32_e32 v175, 0x3030303, v148
	v_and_b32_e32 v151, 0x4040404, v151
	v_lshlrev_b32_e32 v153, 2, v153
	v_add3_u32 v150, v211, v150, v143
	v_and_b32_e32 v171, 0x4040404, v171
	s_delay_alu instid0(VALU_DEP_4) | instskip(NEXT) | instid1(VALU_DEP_4)
	v_sub_nc_u16 v176, v175, v151
	v_and_b32_e32 v153, 0x4040404, v153
	v_lshrrev_b32_e32 v143, 24, v151
	s_delay_alu instid0(VALU_DEP_3) | instskip(NEXT) | instid1(VALU_DEP_1)
	v_bfe_i32 v176, v176, 0, 8
	v_mad_i32_i24 v149, v144, v176, v149
	v_and_b32_e32 v176, 0x3030303, v173
	s_delay_alu instid0(VALU_DEP_1) | instskip(NEXT) | instid1(VALU_DEP_1)
	v_sub_nc_u16 v177, v176, v153
	v_bfe_i32 v177, v177, 0, 8
	s_delay_alu instid0(VALU_DEP_1) | instskip(SKIP_1) | instid1(VALU_DEP_1)
	v_mad_i32_i24 v152, v144, v177, v152
	v_and_b32_e32 v177, 0x3030303, v174
	v_sub_nc_u16 v178, v177, v171
	s_delay_alu instid0(VALU_DEP_1) | instskip(NEXT) | instid1(VALU_DEP_1)
	v_bfe_i32 v178, v178, 0, 8
	v_mad_i32_i24 v144, v144, v178, v147
	v_bfe_u32 v147, v155, 24, 2
	v_lshrrev_b32_e32 v155, 16, v158
	v_lshrrev_b16 v158, 8, v158
	s_delay_alu instid0(VALU_DEP_3) | instskip(SKIP_1) | instid1(VALU_DEP_2)
	v_sub_nc_u16 v147, v147, v154
	v_lshrrev_b32_e32 v154, 16, v164
	v_lshlrev_b16 v147, 8, v147
	s_delay_alu instid0(VALU_DEP_2) | instskip(SKIP_2) | instid1(VALU_DEP_2)
	v_sub_nc_u16 v154, v154, v155
	v_lshrrev_b16 v155, 8, v164
	v_lshrrev_b32_e32 v164, 16, v159
	v_sub_nc_u16 v155, v155, v158
	v_bfe_u32 v158, v162, 24, 2
	v_lshrrev_b32_e32 v162, 24, v159
	v_lshrrev_b16 v159, 8, v159
	s_delay_alu instid0(VALU_DEP_4) | instskip(NEXT) | instid1(VALU_DEP_3)
	v_lshlrev_b16 v155, 8, v155
	v_sub_nc_u16 v158, v158, v162
	v_lshrrev_b32_e32 v162, 16, v170
	s_delay_alu instid0(VALU_DEP_3) | instskip(NEXT) | instid1(VALU_DEP_3)
	v_perm_b32 v155, v155, v155, 0xc0c0c01
	v_lshlrev_b16 v158, 8, v158
	s_delay_alu instid0(VALU_DEP_3) | instskip(SKIP_2) | instid1(VALU_DEP_2)
	v_sub_nc_u16 v162, v162, v164
	v_lshrrev_b16 v164, 8, v170
	v_lshrrev_b32_e32 v170, 16, v160
	v_sub_nc_u16 v159, v164, v159
	v_lshrrev_b32_e32 v164, 24, v160
	v_lshrrev_b16 v160, 8, v160
	s_delay_alu instid0(VALU_DEP_2) | instskip(SKIP_1) | instid1(VALU_DEP_2)
	v_sub_nc_u16 v163, v163, v164
	v_lshrrev_b32_e32 v164, 16, v172
	v_lshlrev_b16 v163, 8, v163
	s_delay_alu instid0(VALU_DEP_2) | instskip(SKIP_1) | instid1(VALU_DEP_1)
	v_sub_nc_u16 v164, v164, v170
	v_lshrrev_b16 v170, 8, v172
	v_sub_nc_u16 v160, v170, v160
	v_and_b32_e32 v170, 0xff, v154
	s_delay_alu instid0(VALU_DEP_1) | instskip(SKIP_1) | instid1(VALU_DEP_2)
	v_or_b32_e32 v147, v170, v147
	v_and_b32_e32 v170, 0xff, v162
	v_perm_b32 v147, v147, v154, 0xc05000c
	s_delay_alu instid0(VALU_DEP_2) | instskip(SKIP_1) | instid1(VALU_DEP_3)
	v_or_b32_e32 v158, v170, v158
	v_and_b32_e32 v170, 0xff, v164
	v_or_b32_e32 v147, v147, v155
	v_lshlrev_b16 v155, 8, v159
	s_delay_alu instid0(VALU_DEP_4) | instskip(NEXT) | instid1(VALU_DEP_4)
	v_perm_b32 v154, v158, v162, 0xc05000c
	v_or_b32_e32 v163, v170, v163
	v_lshrrev_b16 v159, 8, v171
	v_dot4_i32_iu8 v147, v141, v147, v156 neg_lo:[1,1,0]
	v_perm_b32 v155, v155, v155, 0xc0c0c01
	v_lshrrev_b32_e32 v156, 16, v153
	v_perm_b32 v158, v163, v164, 0xc05000c
	s_delay_alu instid0(VALU_DEP_3) | instskip(SKIP_1) | instid1(VALU_DEP_2)
	v_or_b32_e32 v154, v154, v155
	v_lshlrev_b16 v155, 8, v160
	v_dot4_i32_iu8 v154, v141, v154, v157 neg_lo:[1,1,0]
	s_delay_alu instid0(VALU_DEP_2) | instskip(SKIP_1) | instid1(VALU_DEP_2)
	v_perm_b32 v155, v155, v155, 0xc0c0c01
	v_lshrrev_b32_e32 v157, 24, v171
	v_or_b32_e32 v155, v158, v155
	v_lshrrev_b32_e32 v158, 16, v171
	s_delay_alu instid0(VALU_DEP_2)
	v_dot4_i32_iu8 v145, v141, v155, v145 neg_lo:[1,1,0]
	v_bfe_u32 v141, v148, 24, 2
	v_lshrrev_b32_e32 v148, 16, v151
	v_lshrrev_b16 v151, 8, v151
	v_lshrrev_b32_e32 v155, 24, v153
	v_lshrrev_b16 v153, 8, v153
	v_sub_nc_u16 v141, v141, v143
	v_lshrrev_b32_e32 v143, 16, v175
	s_delay_alu instid0(VALU_DEP_2) | instskip(NEXT) | instid1(VALU_DEP_2)
	v_lshlrev_b16 v141, 8, v141
	v_sub_nc_u16 v143, v143, v148
	v_lshrrev_b16 v148, 8, v175
	s_delay_alu instid0(VALU_DEP_1) | instskip(SKIP_1) | instid1(VALU_DEP_2)
	v_sub_nc_u16 v148, v148, v151
	v_bfe_u32 v151, v173, 24, 2
	v_lshlrev_b16 v148, 8, v148
	s_delay_alu instid0(VALU_DEP_2) | instskip(SKIP_1) | instid1(VALU_DEP_3)
	v_sub_nc_u16 v151, v151, v155
	v_lshrrev_b32_e32 v155, 16, v176
	v_perm_b32 v148, v148, v148, 0xc0c0c01
	s_delay_alu instid0(VALU_DEP_3) | instskip(NEXT) | instid1(VALU_DEP_3)
	v_lshlrev_b16 v151, 8, v151
	v_sub_nc_u16 v155, v155, v156
	v_lshrrev_b16 v156, 8, v176
	s_delay_alu instid0(VALU_DEP_1) | instskip(SKIP_1) | instid1(VALU_DEP_1)
	v_sub_nc_u16 v153, v156, v153
	v_bfe_u32 v156, v174, 24, 2
	v_sub_nc_u16 v156, v156, v157
	v_lshrrev_b32_e32 v157, 16, v177
	s_delay_alu instid0(VALU_DEP_2) | instskip(NEXT) | instid1(VALU_DEP_2)
	v_lshlrev_b16 v156, 8, v156
	v_sub_nc_u16 v157, v157, v158
	v_lshrrev_b16 v158, 8, v177
	s_delay_alu instid0(VALU_DEP_1) | instskip(SKIP_1) | instid1(VALU_DEP_1)
	v_sub_nc_u16 v158, v158, v159
	v_and_b32_e32 v159, 0xff, v143
	v_or_b32_e32 v141, v159, v141
	v_and_b32_e32 v159, 0xff, v155
	s_delay_alu instid0(VALU_DEP_2) | instskip(NEXT) | instid1(VALU_DEP_2)
	v_perm_b32 v141, v141, v143, 0xc05000c
	v_or_b32_e32 v151, v159, v151
	v_and_b32_e32 v159, 0xff, v157
	s_delay_alu instid0(VALU_DEP_3) | instskip(SKIP_1) | instid1(VALU_DEP_4)
	v_or_b32_e32 v141, v141, v148
	v_lshlrev_b16 v148, 8, v153
	v_perm_b32 v143, v151, v155, 0xc05000c
	s_delay_alu instid0(VALU_DEP_4) | instskip(NEXT) | instid1(VALU_DEP_4)
	v_or_b32_e32 v156, v159, v156
	v_dot4_i32_iu8 v149, v140, v141, v149 neg_lo:[1,1,0]
	s_delay_alu instid0(VALU_DEP_4) | instskip(NEXT) | instid1(VALU_DEP_3)
	v_perm_b32 v148, v148, v148, 0xc0c0c01
	v_perm_b32 v151, v156, v157, 0xc05000c
	s_delay_alu instid0(VALU_DEP_2) | instskip(SKIP_1) | instid1(VALU_DEP_1)
	v_or_b32_e32 v143, v143, v148
	v_lshlrev_b16 v148, 8, v158
	v_perm_b32 v148, v148, v148, 0xc0c0c01
	s_delay_alu instid0(VALU_DEP_1) | instskip(NEXT) | instid1(VALU_DEP_4)
	v_or_b32_e32 v148, v151, v148
	v_dot4_i32_iu8 v151, v140, v143, v152 neg_lo:[1,1,0]
	s_delay_alu instid0(VALU_DEP_2) | instskip(SKIP_2) | instid1(VALU_DEP_2)
	v_dot4_i32_iu8 v144, v140, v148, v144 neg_lo:[1,1,0]
	v_and_b32_e32 v148, 0x3030303, v30
	v_bfe_u32 v30, v30, 24, 2
	v_sub_nc_u16 v140, v148, v28
	s_delay_alu instid0(VALU_DEP_1) | instskip(NEXT) | instid1(VALU_DEP_1)
	v_bfe_i32 v140, v140, 0, 8
	v_mad_i32_i24 v147, v139, v140, v147
	v_add_nc_u32_e32 v140, 0x1088, v142
	ds_load_2addr_b32 v[140:141], v140 offset1:1
	s_wait_dscnt 0x0
	v_ashrrev_i32_e32 v140, s25, v140
	s_delay_alu instid0(VALU_DEP_1) | instskip(SKIP_1) | instid1(VALU_DEP_2)
	v_and_b32_e32 v152, 0x3030303, v140
	v_bfe_u32 v140, v140, 24, 2
	v_sub_nc_u16 v142, v152, v32
	s_delay_alu instid0(VALU_DEP_1) | instskip(NEXT) | instid1(VALU_DEP_1)
	v_bfe_i32 v142, v142, 0, 8
	v_mad_i32_i24 v153, v139, v142, v154
	v_and_b32_e32 v154, 0x3030303, v38
	ds_load_2addr_b32 v[142:143], v214 offset0:6 offset1:7
	v_bfe_u32 v38, v38, 24, 2
	v_sub_nc_u16 v155, v154, v36
	s_delay_alu instid0(VALU_DEP_1) | instskip(NEXT) | instid1(VALU_DEP_1)
	v_bfe_i32 v155, v155, 0, 8
	v_mad_i32_i24 v139, v139, v155, v145
	v_and_b32_e32 v145, 0x3030303, v22
	v_bfe_u32 v22, v22, 24, 2
	s_delay_alu instid0(VALU_DEP_2) | instskip(SKIP_2) | instid1(VALU_DEP_2)
	v_sub_nc_u16 v155, v145, v20
	s_wait_dscnt 0x0
	v_ashrrev_i32_e32 v142, s20, v142
	v_bfe_i32 v155, v155, 0, 8
	s_delay_alu instid0(VALU_DEP_2) | instskip(NEXT) | instid1(VALU_DEP_2)
	v_lshlrev_b32_e32 v142, 2, v142
	v_mad_i32_i24 v149, v138, v155, v149
	v_and_b32_e32 v155, 0x3030303, v26
	s_delay_alu instid0(VALU_DEP_3) | instskip(SKIP_1) | instid1(VALU_DEP_3)
	v_and_b32_e32 v142, 0x4040404, v142
	v_bfe_u32 v26, v26, 24, 2
	v_sub_nc_u16 v156, v155, v24
	s_delay_alu instid0(VALU_DEP_1) | instskip(NEXT) | instid1(VALU_DEP_1)
	v_bfe_i32 v156, v156, 0, 8
	v_mad_i32_i24 v151, v138, v156, v151
	v_and_b32_e32 v156, 0x3030303, v34
	v_bfe_u32 v34, v34, 24, 2
	s_delay_alu instid0(VALU_DEP_2) | instskip(NEXT) | instid1(VALU_DEP_1)
	v_sub_nc_u16 v157, v156, v142
	v_bfe_i32 v157, v157, 0, 8
	s_delay_alu instid0(VALU_DEP_1) | instskip(SKIP_3) | instid1(VALU_DEP_3)
	v_mad_i32_i24 v138, v138, v157, v144
	v_lshrrev_b32_e32 v144, 24, v28
	v_lshrrev_b32_e32 v157, 16, v28
	v_lshrrev_b16 v28, 8, v28
	v_sub_nc_u16 v30, v30, v144
	v_lshrrev_b32_e32 v144, 16, v148
	v_lshrrev_b16 v148, 8, v148
	s_delay_alu instid0(VALU_DEP_3) | instskip(NEXT) | instid1(VALU_DEP_3)
	v_lshlrev_b16 v30, 8, v30
	v_sub_nc_u16 v144, v144, v157
	s_delay_alu instid0(VALU_DEP_3) | instskip(SKIP_3) | instid1(VALU_DEP_4)
	v_sub_nc_u16 v28, v148, v28
	v_lshrrev_b32_e32 v148, 24, v36
	v_lshrrev_b32_e32 v157, 16, v36
	v_lshrrev_b16 v36, 8, v36
	v_lshlrev_b16 v28, 8, v28
	s_delay_alu instid0(VALU_DEP_4) | instskip(SKIP_2) | instid1(VALU_DEP_4)
	v_sub_nc_u16 v38, v38, v148
	v_lshrrev_b32_e32 v148, 16, v154
	v_lshrrev_b16 v154, 8, v154
	v_perm_b32 v28, v28, v28, 0xc0c0c01
	s_delay_alu instid0(VALU_DEP_4) | instskip(NEXT) | instid1(VALU_DEP_4)
	v_lshlrev_b16 v38, 8, v38
	v_sub_nc_u16 v148, v148, v157
	s_delay_alu instid0(VALU_DEP_4) | instskip(SKIP_3) | instid1(VALU_DEP_3)
	v_sub_nc_u16 v36, v154, v36
	v_lshrrev_b32_e32 v154, 24, v32
	v_lshrrev_b32_e32 v157, 16, v32
	v_lshrrev_b16 v32, 8, v32
	v_sub_nc_u16 v140, v140, v154
	v_lshrrev_b32_e32 v154, 16, v152
	v_lshrrev_b16 v152, 8, v152
	s_delay_alu instid0(VALU_DEP_3) | instskip(NEXT) | instid1(VALU_DEP_3)
	v_lshlrev_b16 v140, 8, v140
	v_sub_nc_u16 v154, v154, v157
	s_delay_alu instid0(VALU_DEP_3) | instskip(SKIP_1) | instid1(VALU_DEP_2)
	v_sub_nc_u16 v32, v152, v32
	v_and_b32_e32 v152, 0xff, v144
	v_lshlrev_b16 v32, 8, v32
	s_delay_alu instid0(VALU_DEP_2) | instskip(SKIP_1) | instid1(VALU_DEP_3)
	v_or_b32_e32 v30, v152, v30
	v_and_b32_e32 v152, 0xff, v148
	v_perm_b32 v32, v32, v32, 0xc0c0c01
	s_delay_alu instid0(VALU_DEP_3) | instskip(NEXT) | instid1(VALU_DEP_3)
	v_perm_b32 v30, v30, v144, 0xc05000c
	v_or_b32_e32 v38, v152, v38
	v_and_b32_e32 v152, 0xff, v154
	s_delay_alu instid0(VALU_DEP_3) | instskip(SKIP_1) | instid1(VALU_DEP_4)
	v_or_b32_e32 v28, v30, v28
	v_lshlrev_b16 v30, 8, v36
	v_perm_b32 v38, v38, v148, 0xc05000c
	v_lshrrev_b32_e32 v36, 24, v20
	v_or_b32_e32 v140, v152, v140
	v_dot4_i32_iu8 v28, v137, v28, v147 neg_lo:[1,1,0]
	v_perm_b32 v30, v30, v30, 0xc0c0c01
	s_delay_alu instid0(VALU_DEP_4) | instskip(SKIP_2) | instid1(VALU_DEP_4)
	v_sub_nc_u16 v22, v22, v36
	v_lshrrev_b32_e32 v36, 16, v145
	v_perm_b32 v140, v140, v154, 0xc05000c
	v_or_b32_e32 v30, v38, v30
	v_lshrrev_b32_e32 v38, 16, v20
	v_lshrrev_b16 v20, 8, v20
	v_lshlrev_b16 v22, 8, v22
	v_or_b32_e32 v32, v140, v32
	v_dot4_i32_iu8 v30, v137, v30, v139 neg_lo:[1,1,0]
	v_sub_nc_u16 v36, v36, v38
	v_lshrrev_b16 v38, 8, v145
	v_lshrrev_b32_e32 v139, 16, v142
	v_dot4_i32_iu8 v32, v137, v32, v153 neg_lo:[1,1,0]
	v_lshrrev_b32_e32 v137, 16, v24
	v_lshrrev_b16 v140, 8, v142
	v_sub_nc_u16 v20, v38, v20
	v_lshrrev_b32_e32 v38, 24, v24
	v_lshrrev_b16 v24, 8, v24
	s_delay_alu instid0(VALU_DEP_3) | instskip(NEXT) | instid1(VALU_DEP_3)
	v_lshlrev_b16 v20, 8, v20
	v_sub_nc_u16 v26, v26, v38
	v_lshrrev_b32_e32 v38, 16, v155
	s_delay_alu instid0(VALU_DEP_3) | instskip(NEXT) | instid1(VALU_DEP_3)
	v_perm_b32 v20, v20, v20, 0xc0c0c01
	v_lshlrev_b16 v26, 8, v26
	s_delay_alu instid0(VALU_DEP_3) | instskip(SKIP_1) | instid1(VALU_DEP_1)
	v_sub_nc_u16 v38, v38, v137
	v_lshrrev_b16 v137, 8, v155
	v_sub_nc_u16 v24, v137, v24
	v_lshrrev_b32_e32 v137, 24, v142
	s_delay_alu instid0(VALU_DEP_1) | instskip(SKIP_1) | instid1(VALU_DEP_2)
	v_sub_nc_u16 v34, v34, v137
	v_lshrrev_b32_e32 v137, 16, v156
	v_lshlrev_b16 v34, 8, v34
	s_delay_alu instid0(VALU_DEP_2) | instskip(SKIP_1) | instid1(VALU_DEP_1)
	v_sub_nc_u16 v137, v137, v139
	v_lshrrev_b16 v139, 8, v156
	v_sub_nc_u16 v139, v139, v140
	v_and_b32_e32 v140, 0xff, v36
	s_delay_alu instid0(VALU_DEP_1) | instskip(SKIP_1) | instid1(VALU_DEP_2)
	v_or_b32_e32 v22, v140, v22
	v_and_b32_e32 v140, 0xff, v38
	v_perm_b32 v22, v22, v36, 0xc05000c
	s_delay_alu instid0(VALU_DEP_2) | instskip(SKIP_1) | instid1(VALU_DEP_3)
	v_or_b32_e32 v26, v140, v26
	v_and_b32_e32 v140, 0xff, v137
	v_or_b32_e32 v20, v22, v20
	v_lshlrev_b16 v22, 8, v24
	s_delay_alu instid0(VALU_DEP_3) | instskip(SKIP_2) | instid1(VALU_DEP_4)
	v_or_b32_e32 v34, v140, v34
	v_lshlrev_b16 v24, 8, v139
	v_perm_b32 v26, v26, v38, 0xc05000c
	v_perm_b32 v22, v22, v22, 0xc0c0c01
	s_delay_alu instid0(VALU_DEP_4) | instskip(NEXT) | instid1(VALU_DEP_4)
	v_perm_b32 v34, v34, v137, 0xc05000c
	v_perm_b32 v24, v24, v24, 0xc0c0c01
	s_delay_alu instid0(VALU_DEP_3) | instskip(SKIP_1) | instid1(VALU_DEP_3)
	v_or_b32_e32 v22, v26, v22
	v_dot4_i32_iu8 v26, v136, v20, v149 neg_lo:[1,1,0]
	v_or_b32_e32 v24, v34, v24
	v_lshrrev_b16 v20, 8, v169
	v_bfe_i32 v34, v169, 0, 8
	v_dot4_i32_iu8 v22, v136, v22, v151 neg_lo:[1,1,0]
	s_delay_alu instid0(VALU_DEP_4) | instskip(NEXT) | instid1(VALU_DEP_4)
	v_dot4_i32_iu8 v24, v136, v24, v138 neg_lo:[1,1,0]
	v_bfe_i32 v36, v20, 0, 8
	s_delay_alu instid0(VALU_DEP_4) | instskip(SKIP_1) | instid1(VALU_DEP_2)
	v_mul_lo_u32 v20, v150, v34
	v_ashrrev_i32_e32 v34, s25, v141
	v_mad_co_u64_u32 v[136:137], null, v146, v36, v[20:21]
	v_ashrrev_i32_e32 v20, s25, v31
	v_ashrrev_i32_e32 v31, s20, v37
	v_ashrrev_i32_e32 v36, s25, v39
	v_ashrrev_i32_e32 v21, s20, v21
	s_delay_alu instid0(VALU_DEP_4) | instskip(NEXT) | instid1(VALU_DEP_4)
	v_and_b32_e32 v37, 0x3030303, v20
	v_lshlrev_b32_e32 v31, 2, v31
	v_bfe_u32 v20, v20, 24, 2
	s_delay_alu instid0(VALU_DEP_4) | instskip(NEXT) | instid1(VALU_DEP_4)
	v_lshlrev_b32_e32 v21, 2, v21
	v_sub_nc_u16 v38, v37, v29
	s_delay_alu instid0(VALU_DEP_4) | instskip(NEXT) | instid1(VALU_DEP_3)
	v_and_b32_e32 v31, 0x4040404, v31
	v_and_b32_e32 v21, 0x4040404, v21
	s_delay_alu instid0(VALU_DEP_3) | instskip(NEXT) | instid1(VALU_DEP_1)
	v_bfe_i32 v38, v38, 0, 8
	v_mad_i32_i24 v28, v135, v38, v28
	v_and_b32_e32 v38, 0x3030303, v34
	v_bfe_u32 v34, v34, 24, 2
	s_delay_alu instid0(VALU_DEP_2) | instskip(NEXT) | instid1(VALU_DEP_1)
	v_sub_nc_u16 v39, v38, v33
	v_bfe_i32 v39, v39, 0, 8
	s_delay_alu instid0(VALU_DEP_1) | instskip(SKIP_2) | instid1(VALU_DEP_2)
	v_mad_i32_i24 v32, v135, v39, v32
	v_and_b32_e32 v39, 0x3030303, v36
	v_bfe_u32 v36, v36, 24, 2
	v_sub_nc_u16 v137, v39, v31
	s_delay_alu instid0(VALU_DEP_1) | instskip(NEXT) | instid1(VALU_DEP_1)
	v_bfe_i32 v137, v137, 0, 8
	v_mad_i32_i24 v30, v135, v137, v30
	v_and_b32_e32 v137, 0x3030303, v23
	v_ashrrev_i32_e32 v135, s20, v143
	v_bfe_u32 v23, v23, 24, 2
	s_add_co_i32 s20, s20, 1
	s_cmp_lt_u32 s22, 14
	v_sub_nc_u16 v138, v137, v21
	v_lshlrev_b32_e32 v135, 2, v135
	s_delay_alu instid0(VALU_DEP_2) | instskip(NEXT) | instid1(VALU_DEP_2)
	v_bfe_i32 v138, v138, 0, 8
	v_and_b32_e32 v135, 0x4040404, v135
	s_delay_alu instid0(VALU_DEP_2) | instskip(SKIP_2) | instid1(VALU_DEP_2)
	v_mad_i32_i24 v26, v134, v138, v26
	v_and_b32_e32 v138, 0x3030303, v27
	v_bfe_u32 v27, v27, 24, 2
	v_sub_nc_u16 v139, v138, v25
	s_delay_alu instid0(VALU_DEP_1) | instskip(NEXT) | instid1(VALU_DEP_1)
	v_bfe_i32 v139, v139, 0, 8
	v_mad_i32_i24 v22, v134, v139, v22
	v_and_b32_e32 v139, 0x3030303, v35
	s_delay_alu instid0(VALU_DEP_1) | instskip(NEXT) | instid1(VALU_DEP_1)
	v_sub_nc_u16 v140, v139, v135
	v_bfe_i32 v140, v140, 0, 8
	s_delay_alu instid0(VALU_DEP_1) | instskip(SKIP_3) | instid1(VALU_DEP_3)
	v_mad_i32_i24 v24, v134, v140, v24
	v_lshrrev_b32_e32 v134, 24, v29
	v_lshrrev_b32_e32 v140, 16, v29
	v_lshrrev_b16 v29, 8, v29
	v_sub_nc_u16 v20, v20, v134
	v_lshrrev_b32_e32 v134, 16, v37
	v_lshrrev_b16 v37, 8, v37
	s_delay_alu instid0(VALU_DEP_3) | instskip(NEXT) | instid1(VALU_DEP_3)
	v_lshlrev_b16 v20, 8, v20
	v_sub_nc_u16 v134, v134, v140
	s_delay_alu instid0(VALU_DEP_3) | instskip(SKIP_3) | instid1(VALU_DEP_4)
	v_sub_nc_u16 v29, v37, v29
	v_lshrrev_b32_e32 v37, 24, v31
	v_lshrrev_b32_e32 v140, 16, v31
	v_lshrrev_b16 v31, 8, v31
	v_lshlrev_b16 v29, 8, v29
	s_delay_alu instid0(VALU_DEP_4) | instskip(SKIP_2) | instid1(VALU_DEP_4)
	v_sub_nc_u16 v36, v36, v37
	v_lshrrev_b32_e32 v37, 16, v39
	v_lshrrev_b16 v39, 8, v39
	v_perm_b32 v29, v29, v29, 0xc0c0c01
	s_delay_alu instid0(VALU_DEP_4) | instskip(NEXT) | instid1(VALU_DEP_4)
	v_lshlrev_b16 v36, 8, v36
	v_sub_nc_u16 v37, v37, v140
	s_delay_alu instid0(VALU_DEP_4) | instskip(SKIP_3) | instid1(VALU_DEP_3)
	v_sub_nc_u16 v31, v39, v31
	v_lshrrev_b32_e32 v39, 24, v33
	v_lshrrev_b32_e32 v140, 16, v33
	v_lshrrev_b16 v33, 8, v33
	v_sub_nc_u16 v34, v34, v39
	v_lshrrev_b32_e32 v39, 16, v38
	v_lshrrev_b16 v38, 8, v38
	s_delay_alu instid0(VALU_DEP_3) | instskip(NEXT) | instid1(VALU_DEP_3)
	v_lshlrev_b16 v34, 8, v34
	v_sub_nc_u16 v39, v39, v140
	s_delay_alu instid0(VALU_DEP_3) | instskip(SKIP_1) | instid1(VALU_DEP_1)
	v_sub_nc_u16 v33, v38, v33
	v_and_b32_e32 v38, 0xff, v134
	v_or_b32_e32 v20, v38, v20
	v_and_b32_e32 v38, 0xff, v37
	s_delay_alu instid0(VALU_DEP_2) | instskip(NEXT) | instid1(VALU_DEP_2)
	v_perm_b32 v20, v20, v134, 0xc05000c
	v_or_b32_e32 v36, v38, v36
	v_and_b32_e32 v38, 0xff, v39
	s_delay_alu instid0(VALU_DEP_3) | instskip(SKIP_1) | instid1(VALU_DEP_3)
	v_or_b32_e32 v20, v20, v29
	v_lshlrev_b16 v29, 8, v31
	v_or_b32_e32 v34, v38, v34
	v_perm_b32 v36, v36, v37, 0xc05000c
	v_lshlrev_b16 v31, 8, v33
	v_dot4_i32_iu8 v20, v133, v20, v28 neg_lo:[1,1,0]
	v_perm_b32 v29, v29, v29, 0xc0c0c01
	v_perm_b32 v34, v34, v39, 0xc05000c
	v_lshrrev_b32_e32 v33, 24, v135
	v_perm_b32 v31, v31, v31, 0xc0c0c01
	s_delay_alu instid0(VALU_DEP_4) | instskip(NEXT) | instid1(VALU_DEP_2)
	v_or_b32_e32 v29, v36, v29
	v_or_b32_e32 v31, v34, v31
	v_lshrrev_b32_e32 v34, 16, v135
	s_delay_alu instid0(VALU_DEP_3) | instskip(SKIP_1) | instid1(VALU_DEP_4)
	v_dot4_i32_iu8 v29, v133, v29, v30 neg_lo:[1,1,0]
	v_lshrrev_b32_e32 v30, 24, v21
	v_dot4_i32_iu8 v28, v133, v31, v32 neg_lo:[1,1,0]
	v_lshrrev_b32_e32 v31, 16, v21
	v_lshrrev_b16 v21, 8, v21
	s_delay_alu instid0(VALU_DEP_4) | instskip(SKIP_2) | instid1(VALU_DEP_3)
	v_sub_nc_u16 v23, v23, v30
	v_lshrrev_b32_e32 v30, 16, v137
	v_lshrrev_b32_e32 v32, 16, v25
	v_lshlrev_b16 v23, 8, v23
	s_delay_alu instid0(VALU_DEP_3) | instskip(SKIP_1) | instid1(VALU_DEP_1)
	v_sub_nc_u16 v30, v30, v31
	v_lshrrev_b16 v31, 8, v137
	v_sub_nc_u16 v21, v31, v21
	v_lshrrev_b32_e32 v31, 24, v25
	v_lshrrev_b16 v25, 8, v25
	s_delay_alu instid0(VALU_DEP_3) | instskip(NEXT) | instid1(VALU_DEP_3)
	v_lshlrev_b16 v21, 8, v21
	v_sub_nc_u16 v27, v27, v31
	v_lshrrev_b32_e32 v31, 16, v138
	s_delay_alu instid0(VALU_DEP_3) | instskip(NEXT) | instid1(VALU_DEP_3)
	v_perm_b32 v21, v21, v21, 0xc0c0c01
	v_lshlrev_b16 v27, 8, v27
	s_delay_alu instid0(VALU_DEP_3) | instskip(SKIP_1) | instid1(VALU_DEP_1)
	v_sub_nc_u16 v31, v31, v32
	v_lshrrev_b16 v32, 8, v138
	v_sub_nc_u16 v25, v32, v25
	v_bfe_u32 v32, v35, 24, 2
	v_lshrrev_b16 v35, 8, v135
	s_delay_alu instid0(VALU_DEP_2) | instskip(SKIP_1) | instid1(VALU_DEP_2)
	v_sub_nc_u16 v32, v32, v33
	v_lshrrev_b32_e32 v33, 16, v139
	v_lshlrev_b16 v32, 8, v32
	s_delay_alu instid0(VALU_DEP_2) | instskip(SKIP_1) | instid1(VALU_DEP_1)
	v_sub_nc_u16 v33, v33, v34
	v_lshrrev_b16 v34, 8, v139
	v_sub_nc_u16 v34, v34, v35
	v_and_b32_e32 v35, 0xff, v30
	s_delay_alu instid0(VALU_DEP_1) | instskip(SKIP_1) | instid1(VALU_DEP_2)
	v_or_b32_e32 v23, v35, v23
	v_and_b32_e32 v35, 0xff, v31
	v_perm_b32 v23, v23, v30, 0xc05000c
	s_delay_alu instid0(VALU_DEP_2) | instskip(SKIP_1) | instid1(VALU_DEP_3)
	v_or_b32_e32 v27, v35, v27
	v_and_b32_e32 v35, 0xff, v33
	v_or_b32_e32 v21, v23, v21
	v_lshlrev_b16 v23, 8, v25
	s_delay_alu instid0(VALU_DEP_4) | instskip(NEXT) | instid1(VALU_DEP_4)
	v_perm_b32 v27, v27, v31, 0xc05000c
	v_or_b32_e32 v32, v35, v32
	v_lshlrev_b16 v25, 8, v34
	v_dot4_i32_iu8 v21, v132, v21, v26 neg_lo:[1,1,0]
	v_perm_b32 v23, v23, v23, 0xc0c0c01
	s_delay_alu instid0(VALU_DEP_4) | instskip(NEXT) | instid1(VALU_DEP_4)
	v_perm_b32 v30, v32, v33, 0xc05000c
	v_perm_b32 v25, v25, v25, 0xc0c0c01
	s_delay_alu instid0(VALU_DEP_3) | instskip(NEXT) | instid1(VALU_DEP_2)
	v_or_b32_e32 v23, v27, v23
	v_or_b32_e32 v25, v30, v25
	s_delay_alu instid0(VALU_DEP_2) | instskip(SKIP_1) | instid1(VALU_DEP_3)
	v_dot4_i32_iu8 v22, v132, v23, v22 neg_lo:[1,1,0]
	v_add_nc_u32_e32 v23, s21, v99
	v_dot4_i32_iu8 v24, v132, v25, v24 neg_lo:[1,1,0]
	v_add_nc_u32_e32 v25, s21, v97
	s_mov_b32 s21, s22
	ds_load_u16 v23, v23 offset:25346
	ds_load_u16 v25, v25 offset:27394
	s_wait_dscnt 0x1
	v_lshrrev_b16 v26, 8, v23
	v_bfe_i32 v23, v23, 0, 8
	s_delay_alu instid0(VALU_DEP_2) | instskip(NEXT) | instid1(VALU_DEP_2)
	v_bfe_i32 v26, v26, 0, 8
	v_mul_lo_u32 v20, v20, v23
	s_wait_dscnt 0x0
	v_bfe_i32 v23, v25, 0, 8
	v_lshrrev_b16 v25, 8, v25
	s_delay_alu instid0(VALU_DEP_3) | instskip(SKIP_2) | instid1(VALU_DEP_2)
	v_mad_co_u64_u32 v[20:21], null, v21, v26, v[20:21]
	v_lshrrev_b16 v21, 8, v168
	v_bfe_i32 v26, v168, 0, 8
	v_bfe_i32 v27, v21, 0, 8
	s_delay_alu instid0(VALU_DEP_2)
	v_mul_lo_u32 v21, v28, v26
	ds_load_b32 v26, v131
	v_cvt_f32_i32_e32 v20, v20
	v_add_nc_u32_e32 v131, 4, v131
	v_mad_co_u64_u32 v[21:22], null, v22, v27, v[21:22]
	v_mul_lo_u32 v22, v29, v23
	v_bfe_i32 v23, v25, 0, 8
	v_cvt_f32_i32_e32 v27, v136
	s_delay_alu instid0(VALU_DEP_4) | instskip(NEXT) | instid1(VALU_DEP_3)
	v_cvt_f32_i32_e32 v21, v21
	v_mad_co_u64_u32 v[22:23], null, v24, v23, v[22:23]
	s_wait_dscnt 0x0
	v_mul_f32_e32 v23, v26, v161
	v_mul_f32_e32 v24, v26, v167
	v_mul_f32_e32 v25, v26, v166
	v_mul_f32_e32 v26, v26, v165
	v_cvt_f32_i32_e32 v22, v22
	s_delay_alu instid0(VALU_DEP_4) | instskip(NEXT) | instid1(VALU_DEP_2)
	v_dual_fmac_f32 v42, v23, v20 :: v_dual_fmac_f32 v89, v24, v21
	v_dual_fmac_f32 v17, v26, v27 :: v_dual_fmac_f32 v88, v25, v22
	s_cbranch_scc1 .LBB210_19
; %bb.20:                               ;   in Loop: Header=BB210_5 Depth=1
	s_or_b32 s1, s18, 0x100
	s_wait_loadcnt 0x0
	s_wait_alu 0xfffe
	s_cmp_ge_i32 s1, s5
	s_barrier_signal -1
	s_barrier_wait -1
	global_inv scope:SCOPE_SE
	s_cbranch_scc1 .LBB210_4
; %bb.21:                               ;   in Loop: Header=BB210_5 Depth=1
	v_add_nc_u32_e32 v20, s19, v91
	s_delay_alu instid0(VALU_DEP_1)
	v_cmp_gt_i32_e64 s1, s6, v20
	s_and_b32 s20, s0, s1
	s_wait_alu 0xfffe
	s_and_saveexec_b32 s1, s20
	s_cbranch_execz .LBB210_23
; %bb.22:                               ;   in Loop: Header=BB210_5 Depth=1
	v_add_nc_u32_e32 v20, v93, v20
	s_delay_alu instid0(VALU_DEP_1)
	v_mad_co_i64_i32 v[20:21], null, v20, 36, v[18:19]
	global_load_b32 v20, v[20:21], off offset:4
	s_wait_loadcnt 0x0
	ds_store_b32 v86, v20
.LBB210_23:                             ;   in Loop: Header=BB210_5 Depth=1
	s_wait_alu 0xfffe
	s_or_b32 exec_lo, exec_lo, s1
	s_and_saveexec_b32 s20, vcc_lo
	s_cbranch_execz .LBB210_26
; %bb.24:                               ;   in Loop: Header=BB210_5 Depth=1
	v_or_b32_e32 v20, 8, v129
	s_delay_alu instid0(VALU_DEP_1)
	v_cmp_gt_i32_e64 s1, s6, v20
	s_and_b32 s1, s0, s1
	s_wait_alu 0xfffe
	s_and_b32 exec_lo, exec_lo, s1
	s_cbranch_execz .LBB210_26
; %bb.25:                               ;   in Loop: Header=BB210_5 Depth=1
	v_ashrrev_i32_e32 v20, 31, v129
	v_add_co_u32 v21, s1, v93, v129
	s_wait_alu 0xf1ff
	s_delay_alu instid0(VALU_DEP_2) | instskip(NEXT) | instid1(VALU_DEP_2)
	v_add_co_ci_u32_e64 v22, null, v0, v20, s1
	v_mad_co_u64_u32 v[20:21], null, v21, 36, s[2:3]
	s_delay_alu instid0(VALU_DEP_1)
	v_mad_i32_i24 v21, v22, 36, v21
	global_load_b32 v20, v[20:21], off offset:288
	s_wait_loadcnt 0x0
	v_cvt_f32_f16_e32 v20, v20
	ds_store_b32 v87, v20
.LBB210_26:                             ;   in Loop: Header=BB210_5 Depth=1
	s_wait_alu 0xfffe
	s_or_b32 exec_lo, exec_lo, s20
	v_dual_mov_b32 v130, v84 :: v_dual_mov_b32 v131, v85
	s_mov_b32 s1, 16
	s_mov_b32 s21, 14
	;; [unrolled: 1-line block ×3, first 2 shown]
	s_wait_loadcnt_dscnt 0x0
	s_barrier_signal -1
	s_barrier_wait -1
	global_inv scope:SCOPE_SE
.LBB210_27:                             ;   Parent Loop BB210_5 Depth=1
                                        ; =>  This Inner Loop Header: Depth=2
	ds_load_b128 v[20:23], v130
	ds_load_b128 v[33:36], v130 offset:16
	s_wait_alu 0xfffe
	s_add_co_i32 s22, s21, 2
	s_and_b32 s26, s1, -16
	s_wait_alu 0xfffe
	s_and_b32 s25, s22, 0x3ffffff8
	s_lshr_b32 s24, s22, 4
	s_wait_alu 0xfffe
	v_lshl_add_u32 v142, s25, 2, v94
	s_lshl_b32 s23, s24, 5
	s_add_co_i32 s25, s21, -14
	s_add_co_i32 s21, s21, s26
	s_wait_alu 0xfffe
	s_addk_co_i32 s23, 0x4200
	v_add_nc_u32_e32 v37, s21, v95
	s_lshl_b32 s24, s24, 2
	v_add_nc_u32_e32 v39, 0x3198, v142
	s_wait_alu 0xfffe
	s_addk_co_i32 s24, 0x7380
	v_add3_u32 v182, s23, v126, v113
	v_add3_u32 v184, s23, v114, v115
	;; [unrolled: 1-line block ×3, first 2 shown]
	v_add_nc_u32_e32 v130, 32, v130
	s_add_co_i32 s1, s1, 2
	s_wait_dscnt 0x1
	v_lshrrev_b16 v157, 8, v20
	v_ashrrev_i32_e32 v28, 24, v20
	v_bfe_i32 v26, v20, 16, 8
	v_bfe_i32 v158, v20, 0, 8
	v_perm_b32 v151, v20, v20, 0xc0c0302
	v_add_nc_u32_e32 v20, 0x3188, v142
	s_wait_dscnt 0x0
	v_lshrrev_b16 v163, 8, v33
	v_lshrrev_b16 v162, 8, v34
	v_ashrrev_i32_e32 v32, 24, v33
	v_bfe_i32 v30, v33, 16, 8
	v_bfe_i32 v164, v33, 0, 8
	v_perm_b32 v147, v33, v33, 0xc0c0302
	v_ashrrev_i32_e32 v33, 24, v34
	v_bfe_i32 v31, v34, 16, 8
	v_bfe_i32 v144, v34, 0, 8
	v_perm_b32 v140, v34, v34, 0xc030201
	v_add3_u32 v34, s23, v122, v123
	v_lshrrev_b16 v154, 8, v21
	v_lshrrev_b16 v153, 8, v22
	;; [unrolled: 1-line block ×3, first 2 shown]
	v_ashrrev_i32_e32 v29, 24, v21
	v_bfe_i32 v27, v21, 16, 8
	v_bfe_i32 v145, v21, 0, 8
	v_perm_b32 v141, v21, v21, 0xc030201
	v_ashrrev_i32_e32 v148, 24, v22
	v_bfe_i32 v150, v22, 16, 8
	v_bfe_i32 v139, v22, 0, 8
	v_perm_b32 v137, v22, v22, 0xc030201
	;; [unrolled: 4-line block ×3, first 2 shown]
	v_lshrrev_b16 v161, 8, v35
	v_lshrrev_b16 v146, 8, v36
	v_ashrrev_i32_e32 v155, 24, v35
	v_bfe_i32 v159, v35, 16, 8
	v_bfe_i32 v138, v35, 0, 8
	v_perm_b32 v136, v35, v35, 0xc030201
	v_ashrrev_i32_e32 v156, 24, v36
	v_bfe_i32 v160, v36, 16, 8
	v_bfe_i32 v134, v36, 0, 8
	v_perm_b32 v132, v36, v36, 0xc030201
	ds_load_2addr_b32 v[20:21], v20 offset1:1
	ds_load_2addr_b32 v[35:36], v34 offset0:4 offset1:5
	ds_load_2addr_b32 v[24:25], v34 offset0:6 offset1:7
	;; [unrolled: 1-line block ×3, first 2 shown]
	ds_load_u16 v169, v37 offset:28402
	s_wait_alu 0xfffe
	v_add3_u32 v37, s24, v124, v125
	v_bfe_i32 v163, v163, 0, 8
	v_bfe_i32 v162, v162, 0, 8
	;; [unrolled: 1-line block ×4, first 2 shown]
	ds_load_b32 v165, v37
	v_add_nc_u32_e32 v37, 0x3190, v142
	ds_load_2addr_b32 v[37:38], v37 offset1:1
	ds_load_2addr_b32 v[166:167], v39 offset1:1
	v_bfe_i32 v154, v154, 0, 8
	v_bfe_i32 v153, v153, 0, 8
	;; [unrolled: 1-line block ×3, first 2 shown]
	s_wait_dscnt 0x7
	v_ashrrev_i32_e32 v205, s25, v20
	s_wait_dscnt 0x6
	v_ashrrev_i32_e32 v36, s20, v36
	v_ashrrev_i32_e32 v35, s20, v35
	s_wait_dscnt 0x5
	v_ashrrev_i32_e32 v24, s20, v24
	v_ashrrev_i32_e32 v25, s20, v25
	v_ashrrev_i32_e32 v206, s25, v21
	v_lshlrev_b32_e32 v36, 2, v36
	v_lshlrev_b32_e32 v35, 2, v35
	;; [unrolled: 1-line block ×4, first 2 shown]
	s_wait_dscnt 0x4
	v_ashrrev_i32_e32 v22, s20, v22
	v_and_b32_e32 v36, 0x4040404, v36
	v_and_b32_e32 v35, 0x4040404, v35
	;; [unrolled: 1-line block ×4, first 2 shown]
	s_wait_dscnt 0x1
	v_ashrrev_i32_e32 v38, s25, v38
	v_ashrrev_i32_e32 v37, s25, v37
	v_lshrrev_b32_e32 v168, 24, v36
	v_lshrrev_b32_e32 v170, 24, v35
	s_wait_dscnt 0x0
	v_ashrrev_i32_e32 v192, s25, v166
	v_bfe_u32 v39, v38, 24, 2
	v_and_b32_e32 v38, 0x3030303, v38
	v_ashrrev_i32_e32 v193, s25, v167
	v_ashrrev_i32_e32 v23, s20, v23
	v_and_b32_e32 v196, 0x3030303, v192
	v_sub_nc_u16 v39, v39, v168
	v_bfe_u32 v168, v37, 24, 2
	v_and_b32_e32 v37, 0x3030303, v37
	v_and_b32_e32 v197, 0x3030303, v193
	v_sub_nc_u16 v24, v196, v194
	v_bfe_i32 v39, v39, 0, 16
	v_sub_nc_u16 v168, v168, v170
	v_and_b32_e32 v209, 0x3030303, v205
	v_sub_nc_u16 v25, v197, v195
	v_bfe_i32 v24, v24, 0, 8
	v_mul_i32_i24_e32 v33, v39, v33
	v_bfe_i32 v39, v168, 0, 16
	v_and_b32_e32 v210, 0x3030303, v206
	v_bfe_i32 v25, v25, 0, 8
	v_mul_i32_i24_e32 v24, v24, v138
	v_lshrrev_b16 v216, 8, v194
	v_mad_i32_i24 v190, v39, v32, v33
	v_lshrrev_b32_e32 v32, 16, v38
	v_lshrrev_b32_e32 v33, 16, v36
	;; [unrolled: 1-line block ×3, first 2 shown]
	v_mul_i32_i24_e32 v25, v25, v134
	v_bfe_i32 v143, v143, 0, 8
	s_delay_alu instid0(VALU_DEP_4) | instskip(SKIP_1) | instid1(VALU_DEP_2)
	v_sub_nc_u16 v32, v32, v33
	v_lshrrev_b32_e32 v33, 16, v37
	v_bfe_i32 v32, v32, 0, 8
	s_delay_alu instid0(VALU_DEP_2) | instskip(NEXT) | instid1(VALU_DEP_2)
	v_sub_nc_u16 v33, v33, v39
	v_mul_i32_i24_e32 v31, v32, v31
	s_delay_alu instid0(VALU_DEP_2) | instskip(NEXT) | instid1(VALU_DEP_1)
	v_bfe_i32 v32, v33, 0, 8
	v_mad_i32_i24 v191, v32, v30, v31
	v_sub_nc_u16 v30, v38, v36
	v_sub_nc_u16 v31, v37, v35
	v_add3_u32 v32, s24, v120, v121
	v_lshrrev_b16 v35, 8, v35
	s_delay_alu instid0(VALU_DEP_4) | instskip(NEXT) | instid1(VALU_DEP_4)
	v_bfe_i32 v30, v30, 0, 8
	v_bfe_i32 v31, v31, 0, 8
	s_delay_alu instid0(VALU_DEP_2) | instskip(NEXT) | instid1(VALU_DEP_1)
	v_mul_i32_i24_e32 v30, v30, v144
	v_mad_i32_i24 v30, v31, v164, v30
	s_delay_alu instid0(VALU_DEP_1)
	v_add3_u32 v198, v30, v24, v25
	v_add_nc_u32_e32 v30, 0x3180, v142
	ds_load_2addr_b32 v[24:25], v34 offset1:1
	ds_load_2addr_b32 v[30:31], v30 offset1:1
	ds_load_b32 v166, v32
	s_wait_dscnt 0x2
	v_ashrrev_i32_e32 v25, s20, v25
	v_ashrrev_i32_e32 v24, s20, v24
	s_wait_dscnt 0x1
	v_ashrrev_i32_e32 v31, s25, v31
	v_ashrrev_i32_e32 v30, s25, v30
	v_lshlrev_b32_e32 v25, 2, v25
	v_lshlrev_b32_e32 v24, 2, v24
	s_delay_alu instid0(VALU_DEP_4) | instskip(NEXT) | instid1(VALU_DEP_4)
	v_and_b32_e32 v202, 0x3030303, v31
	v_and_b32_e32 v203, 0x3030303, v30
	s_delay_alu instid0(VALU_DEP_4) | instskip(NEXT) | instid1(VALU_DEP_4)
	v_and_b32_e32 v199, 0x4040404, v25
	v_and_b32_e32 v200, 0x4040404, v24
	v_bfe_u32 v25, v31, 24, 2
	v_bfe_u32 v24, v30, 24, 2
	s_delay_alu instid0(VALU_DEP_4) | instskip(NEXT) | instid1(VALU_DEP_4)
	v_sub_nc_u16 v20, v202, v199
	v_sub_nc_u16 v21, v203, v200
	v_lshrrev_b32_e32 v32, 24, v199
	s_delay_alu instid0(VALU_DEP_3) | instskip(NEXT) | instid1(VALU_DEP_3)
	v_bfe_i32 v20, v20, 0, 8
	v_bfe_i32 v21, v21, 0, 8
	s_delay_alu instid0(VALU_DEP_3) | instskip(SKIP_1) | instid1(VALU_DEP_4)
	v_sub_nc_u16 v25, v25, v32
	v_lshrrev_b32_e32 v32, 24, v200
	v_mul_i32_i24_e32 v20, v20, v145
	s_delay_alu instid0(VALU_DEP_3) | instskip(NEXT) | instid1(VALU_DEP_3)
	v_bfe_i32 v25, v25, 0, 16
	v_sub_nc_u16 v24, v24, v32
	s_delay_alu instid0(VALU_DEP_3) | instskip(SKIP_4) | instid1(VALU_DEP_4)
	v_mad_i32_i24 v20, v21, v158, v20
	v_lshlrev_b32_e32 v21, 2, v22
	v_lshlrev_b32_e32 v22, 2, v23
	v_mul_i32_i24_e32 v25, v25, v29
	v_bfe_i32 v24, v24, 0, 16
	v_and_b32_e32 v207, 0x4040404, v21
	s_delay_alu instid0(VALU_DEP_4) | instskip(NEXT) | instid1(VALU_DEP_3)
	v_and_b32_e32 v208, 0x4040404, v22
	v_mad_i32_i24 v201, v24, v28, v25
	v_lshrrev_b32_e32 v24, 16, v202
	s_delay_alu instid0(VALU_DEP_4) | instskip(NEXT) | instid1(VALU_DEP_4)
	v_sub_nc_u16 v21, v209, v207
	v_sub_nc_u16 v22, v210, v208
	v_lshrrev_b32_e32 v25, 16, v199
	v_lshrrev_b32_e32 v28, 16, v200
	v_lshrrev_b16 v200, 8, v200
	v_bfe_i32 v21, v21, 0, 8
	v_bfe_i32 v22, v22, 0, 8
	v_sub_nc_u16 v24, v24, v25
	v_lshrrev_b32_e32 v25, 16, v203
	v_lshrrev_b16 v203, 8, v203
	v_mul_i32_i24_e32 v21, v21, v139
	v_mul_i32_i24_e32 v22, v22, v135
	v_bfe_i32 v24, v24, 0, 8
	v_sub_nc_u16 v25, v25, v28
	v_lshrrev_b16 v202, 8, v202
	v_lshrrev_b16 v199, 8, v199
	v_add3_u32 v211, v20, v21, v22
	ds_load_2addr_b32 v[170:171], v182 offset0:4 offset1:5
	ds_load_2addr_b32 v[20:21], v182 offset0:6 offset1:7
	ds_load_2addr_b32 v[28:29], v182 offset0:2 offset1:3
	v_mul_i32_i24_e32 v24, v24, v27
	v_bfe_i32 v25, v25, 0, 8
	v_add_nc_u32_e32 v27, 0x1098, v142
	v_sub_nc_u16 v200, v203, v200
	v_sub_nc_u16 v199, v202, v199
	v_lshrrev_b16 v202, 8, v209
	v_mad_i32_i24 v204, v25, v26, v24
	v_lshrrev_b16 v203, 8, v207
	v_bfe_i32 v200, v200, 0, 16
	v_bfe_i32 v199, v199, 0, 16
	s_delay_alu instid0(VALU_DEP_3) | instskip(NEXT) | instid1(VALU_DEP_2)
	v_sub_nc_u16 v202, v202, v203
	v_mul_i32_i24_e32 v154, v199, v154
	s_wait_dscnt 0x2
	v_ashrrev_i32_e32 v22, s20, v170
	s_delay_alu instid0(VALU_DEP_3)
	v_bfe_i32 v199, v202, 0, 16
	s_wait_dscnt 0x0
	v_ashrrev_i32_e32 v28, s20, v28
	v_ashrrev_i32_e32 v20, s20, v20
	;; [unrolled: 1-line block ×3, first 2 shown]
	v_lshlrev_b32_e32 v22, 2, v22
	v_mul_i32_i24_e32 v153, v199, v153
	v_lshlrev_b32_e32 v28, 2, v28
	v_lshlrev_b32_e32 v20, 2, v20
	;; [unrolled: 1-line block ×3, first 2 shown]
	v_and_b32_e32 v170, 0x4040404, v22
	ds_load_2addr_b32 v[172:173], v142 offset0:4 offset1:5
	ds_load_2addr_b32 v[22:23], v142 offset0:6 offset1:7
	;; [unrolled: 1-line block ×3, first 2 shown]
	v_and_b32_e32 v28, 0x4040404, v28
	v_and_b32_e32 v20, 0x4040404, v20
	;; [unrolled: 1-line block ×3, first 2 shown]
	v_lshrrev_b16 v25, 8, v170
	s_wait_dscnt 0x2
	v_ashrrev_i32_e32 v172, s25, v172
	s_wait_dscnt 0x1
	v_ashrrev_i32_e32 v22, s25, v22
	s_wait_dscnt 0x0
	v_ashrrev_i32_e32 v30, s25, v30
	v_ashrrev_i32_e32 v23, s25, v23
	v_and_b32_e32 v212, 0x3030303, v172
	s_delay_alu instid0(VALU_DEP_1) | instskip(NEXT) | instid1(VALU_DEP_1)
	v_lshrrev_b16 v24, 8, v212
	v_sub_nc_u16 v183, v24, v25
	v_add_nc_u32_e32 v24, s21, v98
	s_delay_alu instid0(VALU_DEP_2)
	v_lshlrev_b16 v183, 8, v183
	ds_load_u16 v168, v24 offset:26354
	v_add3_u32 v24, s24, v116, v117
	v_bfe_i32 v183, v183, 8, 8
	ds_load_b32 v167, v24
	ds_load_2addr_b32 v[174:175], v184 offset0:4 offset1:5
	ds_load_2addr_b32 v[24:25], v184 offset0:6 offset1:7
	;; [unrolled: 1-line block ×3, first 2 shown]
	s_wait_dscnt 0x2
	v_ashrrev_i32_e32 v26, s20, v174
	s_wait_dscnt 0x1
	v_ashrrev_i32_e32 v24, s20, v24
	;; [unrolled: 2-line block ×3, first 2 shown]
	v_ashrrev_i32_e32 v33, s20, v33
	v_ashrrev_i32_e32 v25, s20, v25
	v_lshlrev_b32_e32 v26, 2, v26
	v_lshlrev_b32_e32 v24, 2, v24
	;; [unrolled: 1-line block ×5, first 2 shown]
	v_and_b32_e32 v174, 0x4040404, v26
	v_add_nc_u32_e32 v26, 0x1090, v142
	ds_load_2addr_b32 v[176:177], v26 offset1:1
	ds_load_2addr_b32 v[26:27], v27 offset1:1
	v_lshrrev_b16 v39, 8, v174
	v_and_b32_e32 v32, 0x4040404, v32
	v_and_b32_e32 v24, 0x4040404, v24
	;; [unrolled: 1-line block ×4, first 2 shown]
	s_wait_dscnt 0x1
	v_ashrrev_i32_e32 v176, s25, v176
	s_wait_dscnt 0x0
	v_ashrrev_i32_e32 v26, s25, v26
	v_ashrrev_i32_e32 v27, s25, v27
	s_delay_alu instid0(VALU_DEP_3) | instskip(NEXT) | instid1(VALU_DEP_1)
	v_and_b32_e32 v213, 0x3030303, v176
	v_lshrrev_b16 v34, 8, v213
	v_sub_nc_u16 v217, v213, v174
	s_delay_alu instid0(VALU_DEP_2) | instskip(SKIP_1) | instid1(VALU_DEP_3)
	v_sub_nc_u16 v185, v34, v39
	v_lshrrev_b16 v34, 8, v37
	v_bfe_i32 v217, v217, 0, 8
	s_delay_alu instid0(VALU_DEP_2)
	v_sub_nc_u16 v186, v34, v35
	v_lshrrev_b16 v35, 8, v36
	ds_load_2addr_b32 v[178:179], v214 offset0:4 offset1:5
	ds_load_2addr_b32 v[36:37], v214 offset0:2 offset1:3
	v_lshrrev_b16 v34, 8, v38
	v_add_nc_u32_e32 v38, 0x2108, v142
	v_mul_i32_i24_e32 v217, v164, v217
	s_delay_alu instid0(VALU_DEP_3)
	v_sub_nc_u16 v187, v34, v35
	v_add_nc_u32_e32 v35, 0x2118, v142
	s_wait_dscnt 0x1
	v_ashrrev_i32_e32 v34, s20, v178
	s_wait_dscnt 0x0
	v_ashrrev_i32_e32 v36, s20, v36
	s_delay_alu instid0(VALU_DEP_2) | instskip(NEXT) | instid1(VALU_DEP_2)
	v_lshlrev_b32_e32 v34, 2, v34
	v_lshlrev_b32_e32 v36, 2, v36
	s_delay_alu instid0(VALU_DEP_2)
	v_and_b32_e32 v178, 0x4040404, v34
	v_add_nc_u32_e32 v34, 0x2110, v142
	ds_load_2addr_b32 v[180:181], v34 offset1:1
	ds_load_2addr_b32 v[34:35], v35 offset1:1
	;; [unrolled: 1-line block ×3, first 2 shown]
	v_lshrrev_b16 v189, 8, v178
	v_and_b32_e32 v36, 0x4040404, v36
	s_wait_dscnt 0x2
	v_ashrrev_i32_e32 v180, s25, v180
	s_wait_dscnt 0x1
	v_ashrrev_i32_e32 v34, s25, v34
	;; [unrolled: 2-line block ×3, first 2 shown]
	v_ashrrev_i32_e32 v35, s25, v35
	v_and_b32_e32 v215, 0x3030303, v180
	s_delay_alu instid0(VALU_DEP_1) | instskip(SKIP_1) | instid1(VALU_DEP_2)
	v_lshrrev_b16 v188, 8, v215
	v_sub_nc_u16 v218, v215, v178
	v_sub_nc_u16 v188, v188, v189
	v_lshrrev_b16 v189, 8, v196
	s_delay_alu instid0(VALU_DEP_3) | instskip(NEXT) | instid1(VALU_DEP_2)
	v_bfe_i32 v218, v218, 0, 8
	v_sub_nc_u16 v189, v189, v216
	v_sub_nc_u16 v216, v212, v170
	s_delay_alu instid0(VALU_DEP_1) | instskip(NEXT) | instid1(VALU_DEP_1)
	v_bfe_i32 v216, v216, 0, 8
	v_mul_i32_i24_e32 v216, v164, v216
	v_mul_i32_i24_e32 v164, v164, v218
	s_delay_alu instid0(VALU_DEP_2) | instskip(SKIP_2) | instid1(VALU_DEP_2)
	v_mad_i32_i24 v216, v163, v183, v216
	v_lshlrev_b16 v183, 8, v185
	v_add_nc_u32_e32 v185, 0x1080, v142
	v_bfe_i32 v183, v183, 8, 8
	s_delay_alu instid0(VALU_DEP_1) | instskip(SKIP_1) | instid1(VALU_DEP_1)
	v_mad_i32_i24 v217, v163, v183, v217
	v_lshlrev_b16 v183, 8, v188
	v_bfe_i32 v183, v183, 8, 8
	s_delay_alu instid0(VALU_DEP_1) | instskip(SKIP_1) | instid1(VALU_DEP_1)
	v_mad_i32_i24 v218, v163, v183, v164
	v_bfe_i32 v164, v186, 0, 16
	v_mul_i32_i24_e32 v163, v164, v163
	v_bfe_i32 v164, v187, 0, 16
	s_delay_alu instid0(VALU_DEP_1) | instskip(SKIP_1) | instid1(VALU_DEP_1)
	v_mul_i32_i24_e32 v162, v164, v162
	v_bfe_i32 v164, v189, 0, 16
	v_mul_i32_i24_e32 v161, v164, v161
	s_delay_alu instid0(VALU_DEP_1)
	v_add3_u32 v219, v163, v162, v161
	ds_load_2addr_b32 v[161:162], v182 offset1:1
	ds_load_2addr_b32 v[163:164], v142 offset1:1
	s_wait_dscnt 0x1
	v_ashrrev_i32_e32 v161, s20, v161
	s_wait_dscnt 0x0
	v_ashrrev_i32_e32 v163, s25, v163
	s_delay_alu instid0(VALU_DEP_2) | instskip(NEXT) | instid1(VALU_DEP_2)
	v_lshlrev_b32_e32 v161, 2, v161
	v_and_b32_e32 v221, 0x3030303, v163
	s_delay_alu instid0(VALU_DEP_2) | instskip(NEXT) | instid1(VALU_DEP_2)
	v_and_b32_e32 v220, 0x4040404, v161
	v_lshrrev_b16 v161, 8, v221
	s_delay_alu instid0(VALU_DEP_2) | instskip(SKIP_1) | instid1(VALU_DEP_2)
	v_lshrrev_b16 v182, 8, v220
	v_sub_nc_u16 v203, v221, v220
	v_sub_nc_u16 v222, v161, v182
	v_add3_u32 v161, s24, v127, v128
	s_delay_alu instid0(VALU_DEP_3) | instskip(NEXT) | instid1(VALU_DEP_3)
	v_bfe_i32 v203, v203, 0, 8
	v_lshlrev_b16 v222, 8, v222
	ds_load_b32 v161, v161
	ds_load_2addr_b32 v[182:183], v184 offset1:1
	ds_load_2addr_b32 v[184:185], v185 offset1:1
	v_mul_i32_i24_e32 v203, v158, v203
	v_bfe_i32 v222, v222, 8, 8
	s_delay_alu instid0(VALU_DEP_1) | instskip(SKIP_4) | instid1(VALU_DEP_2)
	v_mad_i32_i24 v203, v157, v222, v203
	s_wait_dscnt 0x1
	v_ashrrev_i32_e32 v182, s20, v182
	s_wait_dscnt 0x0
	v_ashrrev_i32_e32 v184, s25, v184
	v_lshlrev_b32_e32 v182, 2, v182
	s_delay_alu instid0(VALU_DEP_2) | instskip(NEXT) | instid1(VALU_DEP_2)
	v_and_b32_e32 v223, 0x3030303, v184
	v_and_b32_e32 v182, 0x4040404, v182
	s_delay_alu instid0(VALU_DEP_2) | instskip(NEXT) | instid1(VALU_DEP_2)
	v_lshrrev_b16 v186, 8, v223
	v_lshrrev_b16 v187, 8, v182
	s_delay_alu instid0(VALU_DEP_1) | instskip(SKIP_4) | instid1(VALU_DEP_1)
	v_sub_nc_u16 v224, v186, v187
	v_add_nc_u32_e32 v186, 0x2100, v142
	ds_load_2addr_b32 v[186:187], v186 offset1:1
	ds_load_2addr_b32 v[188:189], v214 offset1:1
	v_lshlrev_b16 v222, 8, v224
	v_bfe_i32 v222, v222, 8, 8
	s_wait_dscnt 0x1
	v_ashrrev_i32_e32 v186, s25, v186
	s_wait_dscnt 0x0
	v_ashrrev_i32_e32 v188, s20, v188
	s_delay_alu instid0(VALU_DEP_2) | instskip(NEXT) | instid1(VALU_DEP_2)
	v_and_b32_e32 v225, 0x3030303, v186
	v_lshlrev_b32_e32 v188, 2, v188
	s_delay_alu instid0(VALU_DEP_2) | instskip(NEXT) | instid1(VALU_DEP_2)
	v_lshrrev_b16 v226, 8, v225
	v_and_b32_e32 v188, 0x4040404, v188
	s_delay_alu instid0(VALU_DEP_1) | instskip(SKIP_1) | instid1(VALU_DEP_2)
	v_lshrrev_b16 v227, 8, v188
	v_sub_nc_u16 v228, v225, v188
	v_sub_nc_u16 v226, v226, v227
	;; [unrolled: 1-line block ×3, first 2 shown]
	s_delay_alu instid0(VALU_DEP_3) | instskip(NEXT) | instid1(VALU_DEP_3)
	v_bfe_i32 v228, v228, 0, 8
	v_lshlrev_b16 v224, 8, v226
	s_delay_alu instid0(VALU_DEP_3) | instskip(NEXT) | instid1(VALU_DEP_2)
	v_bfe_i32 v227, v227, 0, 8
	v_bfe_i32 v224, v224, 8, 8
	s_delay_alu instid0(VALU_DEP_2) | instskip(SKIP_1) | instid1(VALU_DEP_2)
	v_mul_i32_i24_e32 v227, v158, v227
	v_mul_i32_i24_e32 v158, v158, v228
	v_mad_i32_i24 v222, v157, v222, v227
	s_delay_alu instid0(VALU_DEP_2) | instskip(SKIP_1) | instid1(VALU_DEP_1)
	v_mad_i32_i24 v158, v157, v224, v158
	v_mul_i32_i24_e32 v157, v200, v157
	v_add3_u32 v153, v157, v154, v153
	v_lshrrev_b32_e32 v154, 16, v196
	v_lshrrev_b32_e32 v157, 16, v194
	;; [unrolled: 1-line block ×3, first 2 shown]
	s_delay_alu instid0(VALU_DEP_2) | instskip(SKIP_1) | instid1(VALU_DEP_2)
	v_sub_nc_u16 v154, v154, v157
	v_lshrrev_b32_e32 v157, 16, v197
	v_bfe_i32 v154, v154, 0, 8
	s_delay_alu instid0(VALU_DEP_2) | instskip(NEXT) | instid1(VALU_DEP_2)
	v_sub_nc_u16 v157, v157, v196
	v_mul_i32_i24_e32 v154, v154, v159
	s_delay_alu instid0(VALU_DEP_2) | instskip(SKIP_1) | instid1(VALU_DEP_2)
	v_bfe_i32 v157, v157, 0, 8
	v_lshrrev_b32_e32 v159, 24, v194
	v_mul_i32_i24_e32 v157, v157, v160
	v_lshrrev_b32_e32 v160, 24, v195
	s_delay_alu instid0(VALU_DEP_2) | instskip(SKIP_1) | instid1(VALU_DEP_1)
	v_add3_u32 v154, v191, v154, v157
	v_bfe_u32 v157, v192, 24, 2
	v_sub_nc_u16 v157, v157, v159
	v_bfe_u32 v159, v193, 24, 2
	s_delay_alu instid0(VALU_DEP_2) | instskip(NEXT) | instid1(VALU_DEP_2)
	v_bfe_i32 v157, v157, 0, 16
	v_sub_nc_u16 v159, v159, v160
	v_lshrrev_b32_e32 v160, 24, v182
	s_delay_alu instid0(VALU_DEP_3) | instskip(NEXT) | instid1(VALU_DEP_3)
	v_mul_i32_i24_e32 v155, v157, v155
	v_bfe_i32 v157, v159, 0, 16
	v_lshrrev_b32_e32 v159, 16, v220
	s_delay_alu instid0(VALU_DEP_2) | instskip(SKIP_1) | instid1(VALU_DEP_2)
	v_mul_i32_i24_e32 v156, v157, v156
	v_lshrrev_b32_e32 v157, 24, v220
	v_add3_u32 v155, v190, v155, v156
	v_bfe_u32 v156, v163, 24, 2
	v_lshrrev_b32_e32 v163, 16, v182
	v_lshrrev_b32_e32 v182, 24, v188
	s_delay_alu instid0(VALU_DEP_3) | instskip(SKIP_1) | instid1(VALU_DEP_2)
	v_sub_nc_u16 v156, v156, v157
	v_lshrrev_b32_e32 v157, 16, v221
	v_lshlrev_b16 v156, 8, v156
	s_delay_alu instid0(VALU_DEP_2) | instskip(SKIP_2) | instid1(VALU_DEP_2)
	v_sub_nc_u16 v157, v157, v159
	v_bfe_u32 v159, v184, 24, 2
	v_lshrrev_b32_e32 v184, 16, v188
	v_sub_nc_u16 v159, v159, v160
	v_lshrrev_b32_e32 v160, 16, v223
	s_delay_alu instid0(VALU_DEP_2) | instskip(NEXT) | instid1(VALU_DEP_2)
	v_lshlrev_b16 v159, 8, v159
	v_sub_nc_u16 v160, v160, v163
	v_bfe_u32 v163, v186, 24, 2
	s_delay_alu instid0(VALU_DEP_1) | instskip(SKIP_1) | instid1(VALU_DEP_2)
	v_sub_nc_u16 v163, v163, v182
	v_lshrrev_b32_e32 v182, 16, v225
	v_lshlrev_b16 v163, 8, v163
	s_delay_alu instid0(VALU_DEP_2) | instskip(SKIP_1) | instid1(VALU_DEP_1)
	v_sub_nc_u16 v182, v182, v184
	v_and_b32_e32 v184, 0xff, v157
	v_or_b32_e32 v156, v184, v156
	v_and_b32_e32 v184, 0xff, v160
	s_delay_alu instid0(VALU_DEP_2) | instskip(NEXT) | instid1(VALU_DEP_2)
	v_perm_b32 v156, v156, v157, 0xc0c0500
	v_or_b32_e32 v159, v184, v159
	v_and_b32_e32 v184, 0xff, v182
	s_delay_alu instid0(VALU_DEP_3) | instskip(NEXT) | instid1(VALU_DEP_3)
	v_dot4_i32_iu8 v156, v151, v156, v203 neg_lo:[1,1,0]
	v_perm_b32 v157, v159, v160, 0xc0c0500
	s_delay_alu instid0(VALU_DEP_3) | instskip(SKIP_1) | instid1(VALU_DEP_3)
	v_or_b32_e32 v163, v184, v163
	v_lshrrev_b32_e32 v160, 16, v208
	v_dot4_i32_iu8 v157, v151, v157, v222 neg_lo:[1,1,0]
	s_delay_alu instid0(VALU_DEP_3) | instskip(SKIP_1) | instid1(VALU_DEP_2)
	v_perm_b32 v159, v163, v182, 0xc0c0500
	v_lshrrev_b32_e32 v163, 24, v178
	v_dot4_i32_iu8 v151, v151, v159, v158 neg_lo:[1,1,0]
	v_lshrrev_b32_e32 v158, 16, v209
	v_lshrrev_b32_e32 v159, 16, v207
	s_delay_alu instid0(VALU_DEP_1) | instskip(SKIP_1) | instid1(VALU_DEP_2)
	v_sub_nc_u16 v158, v158, v159
	v_lshrrev_b32_e32 v159, 16, v210
	v_bfe_i32 v158, v158, 0, 8
	s_delay_alu instid0(VALU_DEP_2) | instskip(SKIP_1) | instid1(VALU_DEP_3)
	v_sub_nc_u16 v159, v159, v160
	v_lshrrev_b32_e32 v160, 16, v174
	v_mul_i32_i24_e32 v150, v158, v150
	s_delay_alu instid0(VALU_DEP_3) | instskip(SKIP_1) | instid1(VALU_DEP_2)
	v_bfe_i32 v158, v159, 0, 8
	v_lshrrev_b32_e32 v159, 24, v208
	v_mul_i32_i24_e32 v152, v158, v152
	v_lshrrev_b32_e32 v158, 24, v207
	s_delay_alu instid0(VALU_DEP_2) | instskip(SKIP_1) | instid1(VALU_DEP_1)
	v_add3_u32 v150, v204, v150, v152
	v_bfe_u32 v152, v205, 24, 2
	v_sub_nc_u16 v152, v152, v158
	v_bfe_u32 v158, v206, 24, 2
	s_delay_alu instid0(VALU_DEP_2) | instskip(NEXT) | instid1(VALU_DEP_2)
	v_bfe_i32 v152, v152, 0, 16
	v_sub_nc_u16 v158, v158, v159
	v_lshrrev_b32_e32 v159, 24, v174
	s_delay_alu instid0(VALU_DEP_3) | instskip(NEXT) | instid1(VALU_DEP_3)
	v_mul_i32_i24_e32 v148, v152, v148
	v_bfe_i32 v152, v158, 0, 16
	v_lshrrev_b32_e32 v158, 16, v170
	s_delay_alu instid0(VALU_DEP_2) | instskip(SKIP_2) | instid1(VALU_DEP_3)
	v_mul_i32_i24_e32 v149, v152, v149
	v_lshrrev_b32_e32 v152, 24, v170
	v_lshrrev_b32_e32 v170, 16, v178
	v_add3_u32 v148, v201, v148, v149
	v_bfe_u32 v149, v172, 24, 2
	s_delay_alu instid0(VALU_DEP_1) | instskip(SKIP_1) | instid1(VALU_DEP_2)
	v_sub_nc_u16 v149, v149, v152
	v_lshrrev_b32_e32 v152, 16, v212
	v_lshlrev_b16 v149, 8, v149
	s_delay_alu instid0(VALU_DEP_2) | instskip(SKIP_1) | instid1(VALU_DEP_1)
	v_sub_nc_u16 v152, v152, v158
	v_bfe_u32 v158, v176, 24, 2
	v_sub_nc_u16 v158, v158, v159
	v_lshrrev_b32_e32 v159, 16, v213
	s_delay_alu instid0(VALU_DEP_2) | instskip(NEXT) | instid1(VALU_DEP_2)
	v_lshlrev_b16 v158, 8, v158
	v_sub_nc_u16 v159, v159, v160
	v_bfe_u32 v160, v180, 24, 2
	s_delay_alu instid0(VALU_DEP_1) | instskip(SKIP_1) | instid1(VALU_DEP_2)
	v_sub_nc_u16 v160, v160, v163
	v_lshrrev_b32_e32 v163, 16, v215
	v_lshlrev_b16 v160, 8, v160
	s_delay_alu instid0(VALU_DEP_2) | instskip(SKIP_1) | instid1(VALU_DEP_1)
	v_sub_nc_u16 v163, v163, v170
	v_and_b32_e32 v170, 0xff, v152
	v_or_b32_e32 v149, v170, v149
	v_and_b32_e32 v170, 0xff, v159
	s_delay_alu instid0(VALU_DEP_2) | instskip(NEXT) | instid1(VALU_DEP_2)
	v_perm_b32 v149, v149, v152, 0xc0c0500
	v_or_b32_e32 v158, v170, v158
	v_and_b32_e32 v170, 0xff, v163
	s_delay_alu instid0(VALU_DEP_3) | instskip(NEXT) | instid1(VALU_DEP_3)
	v_dot4_i32_iu8 v149, v147, v149, v216 neg_lo:[1,1,0]
	v_perm_b32 v152, v158, v159, 0xc0c0500
	s_delay_alu instid0(VALU_DEP_3) | instskip(SKIP_1) | instid1(VALU_DEP_3)
	v_or_b32_e32 v160, v170, v160
	v_lshrrev_b16 v159, 8, v195
	v_dot4_i32_iu8 v152, v147, v152, v217 neg_lo:[1,1,0]
	s_delay_alu instid0(VALU_DEP_3) | instskip(SKIP_2) | instid1(VALU_DEP_3)
	v_perm_b32 v158, v160, v163, 0xc0c0500
	v_ashrrev_i32_e32 v160, s20, v189
	v_ashrrev_i32_e32 v163, s25, v187
	v_dot4_i32_iu8 v147, v147, v158, v218 neg_lo:[1,1,0]
	v_lshrrev_b16 v158, 8, v197
	s_delay_alu instid0(VALU_DEP_4) | instskip(NEXT) | instid1(VALU_DEP_2)
	v_lshlrev_b32_e32 v160, 2, v160
	v_sub_nc_u16 v158, v158, v159
	v_ashrrev_i32_e32 v159, s20, v183
	s_delay_alu instid0(VALU_DEP_3) | instskip(NEXT) | instid1(VALU_DEP_3)
	v_and_b32_e32 v160, 0x4040404, v160
	v_bfe_i32 v158, v158, 0, 16
	s_delay_alu instid0(VALU_DEP_3) | instskip(NEXT) | instid1(VALU_DEP_2)
	v_lshlrev_b32_e32 v159, 2, v159
	v_mul_i32_i24_e32 v146, v158, v146
	v_ashrrev_i32_e32 v158, s20, v162
	v_ashrrev_i32_e32 v162, s25, v185
	s_delay_alu instid0(VALU_DEP_4) | instskip(NEXT) | instid1(VALU_DEP_4)
	v_and_b32_e32 v159, 0x4040404, v159
	v_add3_u32 v146, v219, v146, v155
	v_ashrrev_i32_e32 v155, s25, v164
	v_lshlrev_b32_e32 v158, 2, v158
	s_delay_alu instid0(VALU_DEP_3) | instskip(NEXT) | instid1(VALU_DEP_3)
	v_add3_u32 v146, v198, v154, v146
	v_and_b32_e32 v164, 0x3030303, v155
	s_delay_alu instid0(VALU_DEP_3) | instskip(NEXT) | instid1(VALU_DEP_1)
	v_and_b32_e32 v158, 0x4040404, v158
	v_sub_nc_u16 v170, v164, v158
	v_lshrrev_b32_e32 v154, 24, v158
	s_delay_alu instid0(VALU_DEP_2) | instskip(NEXT) | instid1(VALU_DEP_1)
	v_bfe_i32 v170, v170, 0, 8
	v_mad_i32_i24 v156, v145, v170, v156
	v_and_b32_e32 v170, 0x3030303, v162
	s_delay_alu instid0(VALU_DEP_1) | instskip(NEXT) | instid1(VALU_DEP_1)
	v_sub_nc_u16 v172, v170, v159
	v_bfe_i32 v172, v172, 0, 8
	s_delay_alu instid0(VALU_DEP_1) | instskip(SKIP_2) | instid1(VALU_DEP_2)
	v_mad_i32_i24 v157, v145, v172, v157
	v_and_b32_e32 v172, 0x3030303, v163
	v_bfe_u32 v163, v163, 24, 2
	v_sub_nc_u16 v174, v172, v160
	s_delay_alu instid0(VALU_DEP_1) | instskip(NEXT) | instid1(VALU_DEP_1)
	v_bfe_i32 v174, v174, 0, 8
	v_mad_i32_i24 v145, v145, v174, v151
	v_lshrrev_b16 v151, 8, v210
	v_lshrrev_b16 v174, 8, v208
	s_delay_alu instid0(VALU_DEP_1) | instskip(SKIP_1) | instid1(VALU_DEP_2)
	v_sub_nc_u16 v151, v151, v174
	v_ashrrev_i32_e32 v174, s25, v181
	v_bfe_i32 v151, v151, 0, 16
	s_delay_alu instid0(VALU_DEP_1) | instskip(SKIP_2) | instid1(VALU_DEP_3)
	v_mul_i32_i24_e32 v143, v151, v143
	v_ashrrev_i32_e32 v151, s20, v171
	v_ashrrev_i32_e32 v171, s20, v179
	v_add3_u32 v143, v153, v143, v148
	v_ashrrev_i32_e32 v148, s25, v173
	s_delay_alu instid0(VALU_DEP_4)
	v_lshlrev_b32_e32 v151, 2, v151
	v_ashrrev_i32_e32 v153, s20, v175
	v_ashrrev_i32_e32 v173, s25, v177
	v_lshlrev_b32_e32 v171, 2, v171
	v_and_b32_e32 v175, 0x3030303, v148
	v_and_b32_e32 v151, 0x4040404, v151
	v_lshlrev_b32_e32 v153, 2, v153
	v_add3_u32 v150, v211, v150, v143
	v_and_b32_e32 v171, 0x4040404, v171
	s_delay_alu instid0(VALU_DEP_4) | instskip(NEXT) | instid1(VALU_DEP_4)
	v_sub_nc_u16 v176, v175, v151
	v_and_b32_e32 v153, 0x4040404, v153
	v_lshrrev_b32_e32 v143, 24, v151
	s_delay_alu instid0(VALU_DEP_3) | instskip(NEXT) | instid1(VALU_DEP_1)
	v_bfe_i32 v176, v176, 0, 8
	v_mad_i32_i24 v149, v144, v176, v149
	v_and_b32_e32 v176, 0x3030303, v173
	s_delay_alu instid0(VALU_DEP_1) | instskip(NEXT) | instid1(VALU_DEP_1)
	v_sub_nc_u16 v177, v176, v153
	v_bfe_i32 v177, v177, 0, 8
	s_delay_alu instid0(VALU_DEP_1) | instskip(SKIP_1) | instid1(VALU_DEP_1)
	v_mad_i32_i24 v152, v144, v177, v152
	v_and_b32_e32 v177, 0x3030303, v174
	v_sub_nc_u16 v178, v177, v171
	s_delay_alu instid0(VALU_DEP_1) | instskip(NEXT) | instid1(VALU_DEP_1)
	v_bfe_i32 v178, v178, 0, 8
	v_mad_i32_i24 v144, v144, v178, v147
	v_bfe_u32 v147, v155, 24, 2
	v_lshrrev_b32_e32 v155, 16, v158
	v_lshrrev_b16 v158, 8, v158
	s_delay_alu instid0(VALU_DEP_3) | instskip(SKIP_1) | instid1(VALU_DEP_2)
	v_sub_nc_u16 v147, v147, v154
	v_lshrrev_b32_e32 v154, 16, v164
	v_lshlrev_b16 v147, 8, v147
	s_delay_alu instid0(VALU_DEP_2) | instskip(SKIP_2) | instid1(VALU_DEP_2)
	v_sub_nc_u16 v154, v154, v155
	v_lshrrev_b16 v155, 8, v164
	v_lshrrev_b32_e32 v164, 16, v159
	v_sub_nc_u16 v155, v155, v158
	v_bfe_u32 v158, v162, 24, 2
	v_lshrrev_b32_e32 v162, 24, v159
	v_lshrrev_b16 v159, 8, v159
	s_delay_alu instid0(VALU_DEP_4) | instskip(NEXT) | instid1(VALU_DEP_3)
	v_lshlrev_b16 v155, 8, v155
	v_sub_nc_u16 v158, v158, v162
	v_lshrrev_b32_e32 v162, 16, v170
	s_delay_alu instid0(VALU_DEP_3) | instskip(NEXT) | instid1(VALU_DEP_3)
	v_perm_b32 v155, v155, v155, 0xc0c0c01
	v_lshlrev_b16 v158, 8, v158
	s_delay_alu instid0(VALU_DEP_3) | instskip(SKIP_2) | instid1(VALU_DEP_2)
	v_sub_nc_u16 v162, v162, v164
	v_lshrrev_b16 v164, 8, v170
	v_lshrrev_b32_e32 v170, 16, v160
	v_sub_nc_u16 v159, v164, v159
	v_lshrrev_b32_e32 v164, 24, v160
	v_lshrrev_b16 v160, 8, v160
	s_delay_alu instid0(VALU_DEP_2) | instskip(SKIP_1) | instid1(VALU_DEP_2)
	v_sub_nc_u16 v163, v163, v164
	v_lshrrev_b32_e32 v164, 16, v172
	v_lshlrev_b16 v163, 8, v163
	s_delay_alu instid0(VALU_DEP_2) | instskip(SKIP_1) | instid1(VALU_DEP_1)
	v_sub_nc_u16 v164, v164, v170
	v_lshrrev_b16 v170, 8, v172
	v_sub_nc_u16 v160, v170, v160
	v_and_b32_e32 v170, 0xff, v154
	s_delay_alu instid0(VALU_DEP_1) | instskip(SKIP_1) | instid1(VALU_DEP_2)
	v_or_b32_e32 v147, v170, v147
	v_and_b32_e32 v170, 0xff, v162
	v_perm_b32 v147, v147, v154, 0xc05000c
	s_delay_alu instid0(VALU_DEP_2) | instskip(SKIP_1) | instid1(VALU_DEP_3)
	v_or_b32_e32 v158, v170, v158
	v_and_b32_e32 v170, 0xff, v164
	v_or_b32_e32 v147, v147, v155
	v_lshlrev_b16 v155, 8, v159
	s_delay_alu instid0(VALU_DEP_4) | instskip(NEXT) | instid1(VALU_DEP_4)
	v_perm_b32 v154, v158, v162, 0xc05000c
	v_or_b32_e32 v163, v170, v163
	v_lshrrev_b16 v159, 8, v171
	v_dot4_i32_iu8 v147, v141, v147, v156 neg_lo:[1,1,0]
	v_perm_b32 v155, v155, v155, 0xc0c0c01
	v_lshrrev_b32_e32 v156, 16, v153
	v_perm_b32 v158, v163, v164, 0xc05000c
	s_delay_alu instid0(VALU_DEP_3) | instskip(SKIP_1) | instid1(VALU_DEP_2)
	v_or_b32_e32 v154, v154, v155
	v_lshlrev_b16 v155, 8, v160
	v_dot4_i32_iu8 v154, v141, v154, v157 neg_lo:[1,1,0]
	s_delay_alu instid0(VALU_DEP_2) | instskip(SKIP_1) | instid1(VALU_DEP_2)
	v_perm_b32 v155, v155, v155, 0xc0c0c01
	v_lshrrev_b32_e32 v157, 24, v171
	v_or_b32_e32 v155, v158, v155
	v_lshrrev_b32_e32 v158, 16, v171
	s_delay_alu instid0(VALU_DEP_2)
	v_dot4_i32_iu8 v145, v141, v155, v145 neg_lo:[1,1,0]
	v_bfe_u32 v141, v148, 24, 2
	v_lshrrev_b32_e32 v148, 16, v151
	v_lshrrev_b16 v151, 8, v151
	v_lshrrev_b32_e32 v155, 24, v153
	v_lshrrev_b16 v153, 8, v153
	v_sub_nc_u16 v141, v141, v143
	v_lshrrev_b32_e32 v143, 16, v175
	s_delay_alu instid0(VALU_DEP_2) | instskip(NEXT) | instid1(VALU_DEP_2)
	v_lshlrev_b16 v141, 8, v141
	v_sub_nc_u16 v143, v143, v148
	v_lshrrev_b16 v148, 8, v175
	s_delay_alu instid0(VALU_DEP_1) | instskip(SKIP_1) | instid1(VALU_DEP_2)
	v_sub_nc_u16 v148, v148, v151
	v_bfe_u32 v151, v173, 24, 2
	v_lshlrev_b16 v148, 8, v148
	s_delay_alu instid0(VALU_DEP_2) | instskip(SKIP_1) | instid1(VALU_DEP_3)
	v_sub_nc_u16 v151, v151, v155
	v_lshrrev_b32_e32 v155, 16, v176
	v_perm_b32 v148, v148, v148, 0xc0c0c01
	s_delay_alu instid0(VALU_DEP_3) | instskip(NEXT) | instid1(VALU_DEP_3)
	v_lshlrev_b16 v151, 8, v151
	v_sub_nc_u16 v155, v155, v156
	v_lshrrev_b16 v156, 8, v176
	s_delay_alu instid0(VALU_DEP_1) | instskip(SKIP_1) | instid1(VALU_DEP_1)
	v_sub_nc_u16 v153, v156, v153
	v_bfe_u32 v156, v174, 24, 2
	v_sub_nc_u16 v156, v156, v157
	v_lshrrev_b32_e32 v157, 16, v177
	s_delay_alu instid0(VALU_DEP_2) | instskip(NEXT) | instid1(VALU_DEP_2)
	v_lshlrev_b16 v156, 8, v156
	v_sub_nc_u16 v157, v157, v158
	v_lshrrev_b16 v158, 8, v177
	s_delay_alu instid0(VALU_DEP_1) | instskip(SKIP_1) | instid1(VALU_DEP_1)
	v_sub_nc_u16 v158, v158, v159
	v_and_b32_e32 v159, 0xff, v143
	v_or_b32_e32 v141, v159, v141
	v_and_b32_e32 v159, 0xff, v155
	s_delay_alu instid0(VALU_DEP_2) | instskip(NEXT) | instid1(VALU_DEP_2)
	v_perm_b32 v141, v141, v143, 0xc05000c
	v_or_b32_e32 v151, v159, v151
	v_and_b32_e32 v159, 0xff, v157
	s_delay_alu instid0(VALU_DEP_3) | instskip(SKIP_1) | instid1(VALU_DEP_4)
	v_or_b32_e32 v141, v141, v148
	v_lshlrev_b16 v148, 8, v153
	v_perm_b32 v143, v151, v155, 0xc05000c
	s_delay_alu instid0(VALU_DEP_4) | instskip(NEXT) | instid1(VALU_DEP_4)
	v_or_b32_e32 v156, v159, v156
	v_dot4_i32_iu8 v149, v140, v141, v149 neg_lo:[1,1,0]
	s_delay_alu instid0(VALU_DEP_4) | instskip(NEXT) | instid1(VALU_DEP_3)
	v_perm_b32 v148, v148, v148, 0xc0c0c01
	v_perm_b32 v151, v156, v157, 0xc05000c
	s_delay_alu instid0(VALU_DEP_2) | instskip(SKIP_1) | instid1(VALU_DEP_1)
	v_or_b32_e32 v143, v143, v148
	v_lshlrev_b16 v148, 8, v158
	v_perm_b32 v148, v148, v148, 0xc0c0c01
	s_delay_alu instid0(VALU_DEP_1) | instskip(NEXT) | instid1(VALU_DEP_4)
	v_or_b32_e32 v148, v151, v148
	v_dot4_i32_iu8 v151, v140, v143, v152 neg_lo:[1,1,0]
	s_delay_alu instid0(VALU_DEP_2) | instskip(SKIP_2) | instid1(VALU_DEP_2)
	v_dot4_i32_iu8 v144, v140, v148, v144 neg_lo:[1,1,0]
	v_and_b32_e32 v148, 0x3030303, v30
	v_bfe_u32 v30, v30, 24, 2
	v_sub_nc_u16 v140, v148, v28
	s_delay_alu instid0(VALU_DEP_1) | instskip(NEXT) | instid1(VALU_DEP_1)
	v_bfe_i32 v140, v140, 0, 8
	v_mad_i32_i24 v147, v139, v140, v147
	v_add_nc_u32_e32 v140, 0x1088, v142
	ds_load_2addr_b32 v[140:141], v140 offset1:1
	s_wait_dscnt 0x0
	v_ashrrev_i32_e32 v140, s25, v140
	s_delay_alu instid0(VALU_DEP_1) | instskip(SKIP_1) | instid1(VALU_DEP_2)
	v_and_b32_e32 v152, 0x3030303, v140
	v_bfe_u32 v140, v140, 24, 2
	v_sub_nc_u16 v142, v152, v32
	s_delay_alu instid0(VALU_DEP_1) | instskip(NEXT) | instid1(VALU_DEP_1)
	v_bfe_i32 v142, v142, 0, 8
	v_mad_i32_i24 v153, v139, v142, v154
	v_and_b32_e32 v154, 0x3030303, v38
	ds_load_2addr_b32 v[142:143], v214 offset0:6 offset1:7
	v_bfe_u32 v38, v38, 24, 2
	v_sub_nc_u16 v155, v154, v36
	s_delay_alu instid0(VALU_DEP_1) | instskip(NEXT) | instid1(VALU_DEP_1)
	v_bfe_i32 v155, v155, 0, 8
	v_mad_i32_i24 v139, v139, v155, v145
	v_and_b32_e32 v145, 0x3030303, v22
	v_bfe_u32 v22, v22, 24, 2
	s_delay_alu instid0(VALU_DEP_2) | instskip(SKIP_2) | instid1(VALU_DEP_2)
	v_sub_nc_u16 v155, v145, v20
	s_wait_dscnt 0x0
	v_ashrrev_i32_e32 v142, s20, v142
	v_bfe_i32 v155, v155, 0, 8
	s_delay_alu instid0(VALU_DEP_2) | instskip(NEXT) | instid1(VALU_DEP_2)
	v_lshlrev_b32_e32 v142, 2, v142
	v_mad_i32_i24 v149, v138, v155, v149
	v_and_b32_e32 v155, 0x3030303, v26
	s_delay_alu instid0(VALU_DEP_3) | instskip(SKIP_1) | instid1(VALU_DEP_3)
	v_and_b32_e32 v142, 0x4040404, v142
	v_bfe_u32 v26, v26, 24, 2
	v_sub_nc_u16 v156, v155, v24
	s_delay_alu instid0(VALU_DEP_1) | instskip(NEXT) | instid1(VALU_DEP_1)
	v_bfe_i32 v156, v156, 0, 8
	v_mad_i32_i24 v151, v138, v156, v151
	v_and_b32_e32 v156, 0x3030303, v34
	v_bfe_u32 v34, v34, 24, 2
	s_delay_alu instid0(VALU_DEP_2) | instskip(NEXT) | instid1(VALU_DEP_1)
	v_sub_nc_u16 v157, v156, v142
	v_bfe_i32 v157, v157, 0, 8
	s_delay_alu instid0(VALU_DEP_1) | instskip(SKIP_3) | instid1(VALU_DEP_3)
	v_mad_i32_i24 v138, v138, v157, v144
	v_lshrrev_b32_e32 v144, 24, v28
	v_lshrrev_b32_e32 v157, 16, v28
	v_lshrrev_b16 v28, 8, v28
	v_sub_nc_u16 v30, v30, v144
	v_lshrrev_b32_e32 v144, 16, v148
	v_lshrrev_b16 v148, 8, v148
	s_delay_alu instid0(VALU_DEP_3) | instskip(NEXT) | instid1(VALU_DEP_3)
	v_lshlrev_b16 v30, 8, v30
	v_sub_nc_u16 v144, v144, v157
	s_delay_alu instid0(VALU_DEP_3) | instskip(SKIP_3) | instid1(VALU_DEP_4)
	v_sub_nc_u16 v28, v148, v28
	v_lshrrev_b32_e32 v148, 24, v36
	v_lshrrev_b32_e32 v157, 16, v36
	v_lshrrev_b16 v36, 8, v36
	v_lshlrev_b16 v28, 8, v28
	s_delay_alu instid0(VALU_DEP_4) | instskip(SKIP_2) | instid1(VALU_DEP_4)
	v_sub_nc_u16 v38, v38, v148
	v_lshrrev_b32_e32 v148, 16, v154
	v_lshrrev_b16 v154, 8, v154
	v_perm_b32 v28, v28, v28, 0xc0c0c01
	s_delay_alu instid0(VALU_DEP_4) | instskip(NEXT) | instid1(VALU_DEP_4)
	v_lshlrev_b16 v38, 8, v38
	v_sub_nc_u16 v148, v148, v157
	s_delay_alu instid0(VALU_DEP_4) | instskip(SKIP_3) | instid1(VALU_DEP_3)
	v_sub_nc_u16 v36, v154, v36
	v_lshrrev_b32_e32 v154, 24, v32
	v_lshrrev_b32_e32 v157, 16, v32
	v_lshrrev_b16 v32, 8, v32
	v_sub_nc_u16 v140, v140, v154
	v_lshrrev_b32_e32 v154, 16, v152
	v_lshrrev_b16 v152, 8, v152
	s_delay_alu instid0(VALU_DEP_3) | instskip(NEXT) | instid1(VALU_DEP_3)
	v_lshlrev_b16 v140, 8, v140
	v_sub_nc_u16 v154, v154, v157
	s_delay_alu instid0(VALU_DEP_3) | instskip(SKIP_1) | instid1(VALU_DEP_2)
	v_sub_nc_u16 v32, v152, v32
	v_and_b32_e32 v152, 0xff, v144
	v_lshlrev_b16 v32, 8, v32
	s_delay_alu instid0(VALU_DEP_2) | instskip(SKIP_1) | instid1(VALU_DEP_3)
	v_or_b32_e32 v30, v152, v30
	v_and_b32_e32 v152, 0xff, v148
	v_perm_b32 v32, v32, v32, 0xc0c0c01
	s_delay_alu instid0(VALU_DEP_3) | instskip(NEXT) | instid1(VALU_DEP_3)
	v_perm_b32 v30, v30, v144, 0xc05000c
	v_or_b32_e32 v38, v152, v38
	v_and_b32_e32 v152, 0xff, v154
	s_delay_alu instid0(VALU_DEP_3) | instskip(SKIP_1) | instid1(VALU_DEP_4)
	v_or_b32_e32 v28, v30, v28
	v_lshlrev_b16 v30, 8, v36
	v_perm_b32 v38, v38, v148, 0xc05000c
	v_lshrrev_b32_e32 v36, 24, v20
	v_or_b32_e32 v140, v152, v140
	v_dot4_i32_iu8 v28, v137, v28, v147 neg_lo:[1,1,0]
	v_perm_b32 v30, v30, v30, 0xc0c0c01
	s_delay_alu instid0(VALU_DEP_4) | instskip(SKIP_2) | instid1(VALU_DEP_4)
	v_sub_nc_u16 v22, v22, v36
	v_lshrrev_b32_e32 v36, 16, v145
	v_perm_b32 v140, v140, v154, 0xc05000c
	v_or_b32_e32 v30, v38, v30
	v_lshrrev_b32_e32 v38, 16, v20
	v_lshrrev_b16 v20, 8, v20
	v_lshlrev_b16 v22, 8, v22
	v_or_b32_e32 v32, v140, v32
	v_dot4_i32_iu8 v30, v137, v30, v139 neg_lo:[1,1,0]
	v_sub_nc_u16 v36, v36, v38
	v_lshrrev_b16 v38, 8, v145
	v_lshrrev_b32_e32 v139, 16, v142
	v_dot4_i32_iu8 v32, v137, v32, v153 neg_lo:[1,1,0]
	v_lshrrev_b32_e32 v137, 16, v24
	v_lshrrev_b16 v140, 8, v142
	v_sub_nc_u16 v20, v38, v20
	v_lshrrev_b32_e32 v38, 24, v24
	v_lshrrev_b16 v24, 8, v24
	s_delay_alu instid0(VALU_DEP_3) | instskip(NEXT) | instid1(VALU_DEP_3)
	v_lshlrev_b16 v20, 8, v20
	v_sub_nc_u16 v26, v26, v38
	v_lshrrev_b32_e32 v38, 16, v155
	s_delay_alu instid0(VALU_DEP_3) | instskip(NEXT) | instid1(VALU_DEP_3)
	v_perm_b32 v20, v20, v20, 0xc0c0c01
	v_lshlrev_b16 v26, 8, v26
	s_delay_alu instid0(VALU_DEP_3) | instskip(SKIP_1) | instid1(VALU_DEP_1)
	v_sub_nc_u16 v38, v38, v137
	v_lshrrev_b16 v137, 8, v155
	v_sub_nc_u16 v24, v137, v24
	v_lshrrev_b32_e32 v137, 24, v142
	s_delay_alu instid0(VALU_DEP_1) | instskip(SKIP_1) | instid1(VALU_DEP_2)
	v_sub_nc_u16 v34, v34, v137
	v_lshrrev_b32_e32 v137, 16, v156
	v_lshlrev_b16 v34, 8, v34
	s_delay_alu instid0(VALU_DEP_2) | instskip(SKIP_1) | instid1(VALU_DEP_1)
	v_sub_nc_u16 v137, v137, v139
	v_lshrrev_b16 v139, 8, v156
	v_sub_nc_u16 v139, v139, v140
	v_and_b32_e32 v140, 0xff, v36
	s_delay_alu instid0(VALU_DEP_1) | instskip(SKIP_1) | instid1(VALU_DEP_2)
	v_or_b32_e32 v22, v140, v22
	v_and_b32_e32 v140, 0xff, v38
	v_perm_b32 v22, v22, v36, 0xc05000c
	s_delay_alu instid0(VALU_DEP_2) | instskip(SKIP_1) | instid1(VALU_DEP_3)
	v_or_b32_e32 v26, v140, v26
	v_and_b32_e32 v140, 0xff, v137
	v_or_b32_e32 v20, v22, v20
	v_lshlrev_b16 v22, 8, v24
	s_delay_alu instid0(VALU_DEP_3) | instskip(SKIP_2) | instid1(VALU_DEP_4)
	v_or_b32_e32 v34, v140, v34
	v_lshlrev_b16 v24, 8, v139
	v_perm_b32 v26, v26, v38, 0xc05000c
	v_perm_b32 v22, v22, v22, 0xc0c0c01
	s_delay_alu instid0(VALU_DEP_4) | instskip(NEXT) | instid1(VALU_DEP_4)
	v_perm_b32 v34, v34, v137, 0xc05000c
	v_perm_b32 v24, v24, v24, 0xc0c0c01
	s_delay_alu instid0(VALU_DEP_3) | instskip(SKIP_1) | instid1(VALU_DEP_3)
	v_or_b32_e32 v22, v26, v22
	v_dot4_i32_iu8 v26, v136, v20, v149 neg_lo:[1,1,0]
	v_or_b32_e32 v24, v34, v24
	v_lshrrev_b16 v20, 8, v169
	v_bfe_i32 v34, v169, 0, 8
	v_dot4_i32_iu8 v22, v136, v22, v151 neg_lo:[1,1,0]
	s_delay_alu instid0(VALU_DEP_4) | instskip(NEXT) | instid1(VALU_DEP_4)
	v_dot4_i32_iu8 v24, v136, v24, v138 neg_lo:[1,1,0]
	v_bfe_i32 v36, v20, 0, 8
	s_delay_alu instid0(VALU_DEP_4) | instskip(SKIP_1) | instid1(VALU_DEP_2)
	v_mul_lo_u32 v20, v150, v34
	v_ashrrev_i32_e32 v34, s25, v141
	v_mad_co_u64_u32 v[136:137], null, v146, v36, v[20:21]
	v_ashrrev_i32_e32 v20, s25, v31
	v_ashrrev_i32_e32 v31, s20, v37
	;; [unrolled: 1-line block ×4, first 2 shown]
	s_delay_alu instid0(VALU_DEP_4) | instskip(NEXT) | instid1(VALU_DEP_4)
	v_and_b32_e32 v37, 0x3030303, v20
	v_lshlrev_b32_e32 v31, 2, v31
	v_bfe_u32 v20, v20, 24, 2
	s_delay_alu instid0(VALU_DEP_4) | instskip(NEXT) | instid1(VALU_DEP_4)
	v_lshlrev_b32_e32 v21, 2, v21
	v_sub_nc_u16 v38, v37, v29
	s_delay_alu instid0(VALU_DEP_4) | instskip(NEXT) | instid1(VALU_DEP_3)
	v_and_b32_e32 v31, 0x4040404, v31
	v_and_b32_e32 v21, 0x4040404, v21
	s_delay_alu instid0(VALU_DEP_3) | instskip(NEXT) | instid1(VALU_DEP_1)
	v_bfe_i32 v38, v38, 0, 8
	v_mad_i32_i24 v28, v135, v38, v28
	v_and_b32_e32 v38, 0x3030303, v34
	v_bfe_u32 v34, v34, 24, 2
	s_delay_alu instid0(VALU_DEP_2) | instskip(NEXT) | instid1(VALU_DEP_1)
	v_sub_nc_u16 v39, v38, v33
	v_bfe_i32 v39, v39, 0, 8
	s_delay_alu instid0(VALU_DEP_1) | instskip(SKIP_2) | instid1(VALU_DEP_2)
	v_mad_i32_i24 v32, v135, v39, v32
	v_and_b32_e32 v39, 0x3030303, v36
	v_bfe_u32 v36, v36, 24, 2
	v_sub_nc_u16 v137, v39, v31
	s_delay_alu instid0(VALU_DEP_1) | instskip(NEXT) | instid1(VALU_DEP_1)
	v_bfe_i32 v137, v137, 0, 8
	v_mad_i32_i24 v30, v135, v137, v30
	v_and_b32_e32 v137, 0x3030303, v23
	v_ashrrev_i32_e32 v135, s20, v143
	v_bfe_u32 v23, v23, 24, 2
	s_add_co_i32 s20, s20, 1
	s_cmp_lt_u32 s22, 22
	v_sub_nc_u16 v138, v137, v21
	v_lshlrev_b32_e32 v135, 2, v135
	s_delay_alu instid0(VALU_DEP_2) | instskip(NEXT) | instid1(VALU_DEP_2)
	v_bfe_i32 v138, v138, 0, 8
	v_and_b32_e32 v135, 0x4040404, v135
	s_delay_alu instid0(VALU_DEP_2) | instskip(SKIP_2) | instid1(VALU_DEP_2)
	v_mad_i32_i24 v26, v134, v138, v26
	v_and_b32_e32 v138, 0x3030303, v27
	v_bfe_u32 v27, v27, 24, 2
	v_sub_nc_u16 v139, v138, v25
	s_delay_alu instid0(VALU_DEP_1) | instskip(NEXT) | instid1(VALU_DEP_1)
	v_bfe_i32 v139, v139, 0, 8
	v_mad_i32_i24 v22, v134, v139, v22
	v_and_b32_e32 v139, 0x3030303, v35
	s_delay_alu instid0(VALU_DEP_1) | instskip(NEXT) | instid1(VALU_DEP_1)
	v_sub_nc_u16 v140, v139, v135
	v_bfe_i32 v140, v140, 0, 8
	s_delay_alu instid0(VALU_DEP_1) | instskip(SKIP_3) | instid1(VALU_DEP_3)
	v_mad_i32_i24 v24, v134, v140, v24
	v_lshrrev_b32_e32 v134, 24, v29
	v_lshrrev_b32_e32 v140, 16, v29
	v_lshrrev_b16 v29, 8, v29
	v_sub_nc_u16 v20, v20, v134
	v_lshrrev_b32_e32 v134, 16, v37
	v_lshrrev_b16 v37, 8, v37
	s_delay_alu instid0(VALU_DEP_3) | instskip(NEXT) | instid1(VALU_DEP_3)
	v_lshlrev_b16 v20, 8, v20
	v_sub_nc_u16 v134, v134, v140
	s_delay_alu instid0(VALU_DEP_3) | instskip(SKIP_3) | instid1(VALU_DEP_4)
	v_sub_nc_u16 v29, v37, v29
	v_lshrrev_b32_e32 v37, 24, v31
	v_lshrrev_b32_e32 v140, 16, v31
	v_lshrrev_b16 v31, 8, v31
	v_lshlrev_b16 v29, 8, v29
	s_delay_alu instid0(VALU_DEP_4) | instskip(SKIP_2) | instid1(VALU_DEP_4)
	v_sub_nc_u16 v36, v36, v37
	v_lshrrev_b32_e32 v37, 16, v39
	v_lshrrev_b16 v39, 8, v39
	v_perm_b32 v29, v29, v29, 0xc0c0c01
	s_delay_alu instid0(VALU_DEP_4) | instskip(NEXT) | instid1(VALU_DEP_4)
	v_lshlrev_b16 v36, 8, v36
	v_sub_nc_u16 v37, v37, v140
	s_delay_alu instid0(VALU_DEP_4) | instskip(SKIP_3) | instid1(VALU_DEP_3)
	v_sub_nc_u16 v31, v39, v31
	v_lshrrev_b32_e32 v39, 24, v33
	v_lshrrev_b32_e32 v140, 16, v33
	v_lshrrev_b16 v33, 8, v33
	v_sub_nc_u16 v34, v34, v39
	v_lshrrev_b32_e32 v39, 16, v38
	v_lshrrev_b16 v38, 8, v38
	s_delay_alu instid0(VALU_DEP_3) | instskip(NEXT) | instid1(VALU_DEP_3)
	v_lshlrev_b16 v34, 8, v34
	v_sub_nc_u16 v39, v39, v140
	s_delay_alu instid0(VALU_DEP_3) | instskip(SKIP_1) | instid1(VALU_DEP_1)
	v_sub_nc_u16 v33, v38, v33
	v_and_b32_e32 v38, 0xff, v134
	v_or_b32_e32 v20, v38, v20
	v_and_b32_e32 v38, 0xff, v37
	s_delay_alu instid0(VALU_DEP_2) | instskip(NEXT) | instid1(VALU_DEP_2)
	v_perm_b32 v20, v20, v134, 0xc05000c
	v_or_b32_e32 v36, v38, v36
	v_and_b32_e32 v38, 0xff, v39
	s_delay_alu instid0(VALU_DEP_3) | instskip(SKIP_1) | instid1(VALU_DEP_3)
	v_or_b32_e32 v20, v20, v29
	v_lshlrev_b16 v29, 8, v31
	v_or_b32_e32 v34, v38, v34
	v_perm_b32 v36, v36, v37, 0xc05000c
	v_lshlrev_b16 v31, 8, v33
	v_dot4_i32_iu8 v20, v133, v20, v28 neg_lo:[1,1,0]
	v_perm_b32 v29, v29, v29, 0xc0c0c01
	v_perm_b32 v34, v34, v39, 0xc05000c
	v_lshrrev_b32_e32 v33, 24, v135
	v_perm_b32 v31, v31, v31, 0xc0c0c01
	s_delay_alu instid0(VALU_DEP_4) | instskip(NEXT) | instid1(VALU_DEP_2)
	v_or_b32_e32 v29, v36, v29
	v_or_b32_e32 v31, v34, v31
	v_lshrrev_b32_e32 v34, 16, v135
	s_delay_alu instid0(VALU_DEP_3) | instskip(SKIP_1) | instid1(VALU_DEP_4)
	v_dot4_i32_iu8 v29, v133, v29, v30 neg_lo:[1,1,0]
	v_lshrrev_b32_e32 v30, 24, v21
	v_dot4_i32_iu8 v28, v133, v31, v32 neg_lo:[1,1,0]
	v_lshrrev_b32_e32 v31, 16, v21
	v_lshrrev_b16 v21, 8, v21
	s_delay_alu instid0(VALU_DEP_4) | instskip(SKIP_2) | instid1(VALU_DEP_3)
	v_sub_nc_u16 v23, v23, v30
	v_lshrrev_b32_e32 v30, 16, v137
	v_lshrrev_b32_e32 v32, 16, v25
	v_lshlrev_b16 v23, 8, v23
	s_delay_alu instid0(VALU_DEP_3) | instskip(SKIP_1) | instid1(VALU_DEP_1)
	v_sub_nc_u16 v30, v30, v31
	v_lshrrev_b16 v31, 8, v137
	v_sub_nc_u16 v21, v31, v21
	v_lshrrev_b32_e32 v31, 24, v25
	v_lshrrev_b16 v25, 8, v25
	s_delay_alu instid0(VALU_DEP_3) | instskip(NEXT) | instid1(VALU_DEP_3)
	v_lshlrev_b16 v21, 8, v21
	v_sub_nc_u16 v27, v27, v31
	v_lshrrev_b32_e32 v31, 16, v138
	s_delay_alu instid0(VALU_DEP_3) | instskip(NEXT) | instid1(VALU_DEP_3)
	v_perm_b32 v21, v21, v21, 0xc0c0c01
	v_lshlrev_b16 v27, 8, v27
	s_delay_alu instid0(VALU_DEP_3) | instskip(SKIP_1) | instid1(VALU_DEP_1)
	v_sub_nc_u16 v31, v31, v32
	v_lshrrev_b16 v32, 8, v138
	v_sub_nc_u16 v25, v32, v25
	v_bfe_u32 v32, v35, 24, 2
	v_lshrrev_b16 v35, 8, v135
	s_delay_alu instid0(VALU_DEP_2) | instskip(SKIP_1) | instid1(VALU_DEP_2)
	v_sub_nc_u16 v32, v32, v33
	v_lshrrev_b32_e32 v33, 16, v139
	v_lshlrev_b16 v32, 8, v32
	s_delay_alu instid0(VALU_DEP_2) | instskip(SKIP_1) | instid1(VALU_DEP_1)
	v_sub_nc_u16 v33, v33, v34
	v_lshrrev_b16 v34, 8, v139
	v_sub_nc_u16 v34, v34, v35
	v_and_b32_e32 v35, 0xff, v30
	s_delay_alu instid0(VALU_DEP_1) | instskip(SKIP_1) | instid1(VALU_DEP_2)
	v_or_b32_e32 v23, v35, v23
	v_and_b32_e32 v35, 0xff, v31
	v_perm_b32 v23, v23, v30, 0xc05000c
	s_delay_alu instid0(VALU_DEP_2) | instskip(SKIP_1) | instid1(VALU_DEP_3)
	v_or_b32_e32 v27, v35, v27
	v_and_b32_e32 v35, 0xff, v33
	v_or_b32_e32 v21, v23, v21
	v_lshlrev_b16 v23, 8, v25
	s_delay_alu instid0(VALU_DEP_4) | instskip(NEXT) | instid1(VALU_DEP_4)
	v_perm_b32 v27, v27, v31, 0xc05000c
	v_or_b32_e32 v32, v35, v32
	v_lshlrev_b16 v25, 8, v34
	v_dot4_i32_iu8 v21, v132, v21, v26 neg_lo:[1,1,0]
	v_perm_b32 v23, v23, v23, 0xc0c0c01
	s_delay_alu instid0(VALU_DEP_4) | instskip(NEXT) | instid1(VALU_DEP_4)
	v_perm_b32 v30, v32, v33, 0xc05000c
	v_perm_b32 v25, v25, v25, 0xc0c0c01
	s_delay_alu instid0(VALU_DEP_3) | instskip(NEXT) | instid1(VALU_DEP_2)
	v_or_b32_e32 v23, v27, v23
	v_or_b32_e32 v25, v30, v25
	s_delay_alu instid0(VALU_DEP_2) | instskip(SKIP_1) | instid1(VALU_DEP_3)
	v_dot4_i32_iu8 v22, v132, v23, v22 neg_lo:[1,1,0]
	v_add_nc_u32_e32 v23, s21, v99
	v_dot4_i32_iu8 v24, v132, v25, v24 neg_lo:[1,1,0]
	v_add_nc_u32_e32 v25, s21, v97
	s_mov_b32 s21, s22
	ds_load_u16 v23, v23 offset:25330
	ds_load_u16 v25, v25 offset:27378
	s_wait_dscnt 0x1
	v_lshrrev_b16 v26, 8, v23
	v_bfe_i32 v23, v23, 0, 8
	s_delay_alu instid0(VALU_DEP_2) | instskip(NEXT) | instid1(VALU_DEP_2)
	v_bfe_i32 v26, v26, 0, 8
	v_mul_lo_u32 v20, v20, v23
	s_wait_dscnt 0x0
	v_bfe_i32 v23, v25, 0, 8
	v_lshrrev_b16 v25, 8, v25
	s_delay_alu instid0(VALU_DEP_3) | instskip(SKIP_2) | instid1(VALU_DEP_2)
	v_mad_co_u64_u32 v[20:21], null, v21, v26, v[20:21]
	v_lshrrev_b16 v21, 8, v168
	v_bfe_i32 v26, v168, 0, 8
	v_bfe_i32 v27, v21, 0, 8
	s_delay_alu instid0(VALU_DEP_2)
	v_mul_lo_u32 v21, v28, v26
	ds_load_b32 v26, v131
	v_cvt_f32_i32_e32 v20, v20
	v_add_nc_u32_e32 v131, 4, v131
	v_mad_co_u64_u32 v[21:22], null, v22, v27, v[21:22]
	v_mul_lo_u32 v22, v29, v23
	v_bfe_i32 v23, v25, 0, 8
	v_cvt_f32_i32_e32 v27, v136
	s_delay_alu instid0(VALU_DEP_4) | instskip(NEXT) | instid1(VALU_DEP_3)
	v_cvt_f32_i32_e32 v21, v21
	v_mad_co_u64_u32 v[22:23], null, v24, v23, v[22:23]
	s_wait_dscnt 0x0
	v_mul_f32_e32 v23, v26, v161
	v_mul_f32_e32 v24, v26, v167
	;; [unrolled: 1-line block ×4, first 2 shown]
	v_cvt_f32_i32_e32 v22, v22
	s_delay_alu instid0(VALU_DEP_4) | instskip(NEXT) | instid1(VALU_DEP_2)
	v_dual_fmac_f32 v42, v23, v20 :: v_dual_fmac_f32 v89, v24, v21
	v_dual_fmac_f32 v17, v26, v27 :: v_dual_fmac_f32 v88, v25, v22
	s_cbranch_scc1 .LBB210_27
; %bb.28:                               ;   in Loop: Header=BB210_5 Depth=1
	s_or_b32 s1, s18, 0x180
	s_wait_loadcnt 0x0
	s_wait_alu 0xfffe
	s_cmp_ge_i32 s1, s5
	s_barrier_signal -1
	s_barrier_wait -1
	global_inv scope:SCOPE_SE
	s_cbranch_scc1 .LBB210_4
; %bb.29:                               ;   in Loop: Header=BB210_5 Depth=1
	v_add_nc_u32_e32 v20, s19, v92
	s_delay_alu instid0(VALU_DEP_1)
	v_cmp_gt_i32_e64 s1, s6, v20
	s_and_b32 s18, s0, s1
	s_wait_alu 0xfffe
	s_and_saveexec_b32 s1, s18
	s_cbranch_execz .LBB210_31
; %bb.30:                               ;   in Loop: Header=BB210_5 Depth=1
	v_add_nc_u32_e32 v20, v93, v20
	s_delay_alu instid0(VALU_DEP_1)
	v_mad_co_i64_i32 v[20:21], null, v20, 36, v[18:19]
	global_load_b32 v20, v[20:21], off offset:4
	s_wait_loadcnt 0x0
	ds_store_b32 v86, v20
.LBB210_31:                             ;   in Loop: Header=BB210_5 Depth=1
	s_wait_alu 0xfffe
	s_or_b32 exec_lo, exec_lo, s1
	s_and_saveexec_b32 s18, vcc_lo
	s_cbranch_execz .LBB210_34
; %bb.32:                               ;   in Loop: Header=BB210_5 Depth=1
	v_or_b32_e32 v20, 12, v129
	s_delay_alu instid0(VALU_DEP_1)
	v_cmp_gt_i32_e64 s1, s6, v20
	s_and_b32 s1, s0, s1
	s_wait_alu 0xfffe
	s_and_b32 exec_lo, exec_lo, s1
	s_cbranch_execz .LBB210_34
; %bb.33:                               ;   in Loop: Header=BB210_5 Depth=1
	v_ashrrev_i32_e32 v20, 31, v129
	v_add_co_u32 v21, s1, v93, v129
	s_wait_alu 0xf1ff
	s_delay_alu instid0(VALU_DEP_2) | instskip(NEXT) | instid1(VALU_DEP_2)
	v_add_co_ci_u32_e64 v22, null, v0, v20, s1
	v_mad_co_u64_u32 v[20:21], null, v21, 36, s[2:3]
	s_delay_alu instid0(VALU_DEP_1)
	v_mad_i32_i24 v21, v22, 36, v21
	global_load_b32 v20, v[20:21], off offset:432
	s_wait_loadcnt 0x0
	v_cvt_f32_f16_e32 v20, v20
	ds_store_b32 v87, v20
.LBB210_34:                             ;   in Loop: Header=BB210_5 Depth=1
	s_wait_alu 0xfffe
	s_or_b32 exec_lo, exec_lo, s18
	v_dual_mov_b32 v129, v84 :: v_dual_mov_b32 v130, v85
	s_mov_b32 s1, 24
	s_mov_b32 s19, 22
	;; [unrolled: 1-line block ×3, first 2 shown]
	s_wait_loadcnt_dscnt 0x0
	s_barrier_signal -1
	s_barrier_wait -1
	global_inv scope:SCOPE_SE
.LBB210_35:                             ;   Parent Loop BB210_5 Depth=1
                                        ; =>  This Inner Loop Header: Depth=2
	ds_load_b128 v[20:23], v129
	ds_load_b128 v[33:36], v129 offset:16
	s_wait_alu 0xfffe
	s_add_co_i32 s20, s19, 2
	s_and_b32 s24, s1, -16
	s_wait_alu 0xfffe
	s_and_b32 s23, s20, 0x3ffffff8
	s_lshr_b32 s22, s20, 4
	s_wait_alu 0xfffe
	v_lshl_add_u32 v141, s23, 2, v94
	s_lshl_b32 s21, s22, 5
	s_sub_co_i32 s23, s19, 22
	s_add_co_i32 s19, s19, s24
	s_wait_alu 0xfffe
	s_addk_co_i32 s21, 0x4200
	v_add_nc_u32_e32 v37, s19, v95
	s_lshl_b32 s22, s22, 2
	v_add_nc_u32_e32 v39, 0x3198, v141
	s_wait_alu 0xfffe
	s_addk_co_i32 s22, 0x7380
	v_add3_u32 v181, s21, v126, v113
	v_add3_u32 v183, s21, v114, v115
	;; [unrolled: 1-line block ×3, first 2 shown]
	v_add_nc_u32_e32 v129, 32, v129
	s_add_co_i32 s1, s1, 2
	s_wait_dscnt 0x1
	v_lshrrev_b16 v156, 8, v20
	v_ashrrev_i32_e32 v28, 24, v20
	v_bfe_i32 v26, v20, 16, 8
	v_bfe_i32 v157, v20, 0, 8
	v_perm_b32 v150, v20, v20, 0xc0c0302
	v_add_nc_u32_e32 v20, 0x3188, v141
	s_wait_dscnt 0x0
	v_lshrrev_b16 v162, 8, v33
	v_lshrrev_b16 v161, 8, v34
	v_ashrrev_i32_e32 v32, 24, v33
	v_bfe_i32 v30, v33, 16, 8
	v_bfe_i32 v163, v33, 0, 8
	v_perm_b32 v146, v33, v33, 0xc0c0302
	v_ashrrev_i32_e32 v33, 24, v34
	v_bfe_i32 v31, v34, 16, 8
	v_bfe_i32 v143, v34, 0, 8
	v_perm_b32 v139, v34, v34, 0xc030201
	v_add3_u32 v34, s21, v122, v123
	v_lshrrev_b16 v153, 8, v21
	v_lshrrev_b16 v152, 8, v22
	;; [unrolled: 1-line block ×3, first 2 shown]
	v_ashrrev_i32_e32 v29, 24, v21
	v_bfe_i32 v27, v21, 16, 8
	v_bfe_i32 v144, v21, 0, 8
	v_perm_b32 v140, v21, v21, 0xc030201
	v_ashrrev_i32_e32 v147, 24, v22
	v_bfe_i32 v149, v22, 16, 8
	v_bfe_i32 v138, v22, 0, 8
	v_perm_b32 v136, v22, v22, 0xc030201
	;; [unrolled: 4-line block ×3, first 2 shown]
	v_lshrrev_b16 v160, 8, v35
	v_lshrrev_b16 v145, 8, v36
	v_ashrrev_i32_e32 v154, 24, v35
	v_bfe_i32 v158, v35, 16, 8
	v_bfe_i32 v137, v35, 0, 8
	v_perm_b32 v135, v35, v35, 0xc030201
	v_ashrrev_i32_e32 v155, 24, v36
	v_bfe_i32 v159, v36, 16, 8
	v_bfe_i32 v133, v36, 0, 8
	v_perm_b32 v131, v36, v36, 0xc030201
	ds_load_2addr_b32 v[20:21], v20 offset1:1
	ds_load_2addr_b32 v[35:36], v34 offset0:4 offset1:5
	ds_load_2addr_b32 v[24:25], v34 offset0:6 offset1:7
	;; [unrolled: 1-line block ×3, first 2 shown]
	ds_load_u16 v168, v37 offset:28402
	s_wait_alu 0xfffe
	v_add3_u32 v37, s22, v124, v125
	v_bfe_i32 v162, v162, 0, 8
	v_bfe_i32 v161, v161, 0, 8
	;; [unrolled: 1-line block ×4, first 2 shown]
	ds_load_b32 v164, v37
	v_add_nc_u32_e32 v37, 0x3190, v141
	ds_load_2addr_b32 v[37:38], v37 offset1:1
	ds_load_2addr_b32 v[165:166], v39 offset1:1
	v_bfe_i32 v153, v153, 0, 8
	v_bfe_i32 v152, v152, 0, 8
	;; [unrolled: 1-line block ×3, first 2 shown]
	s_wait_dscnt 0x7
	v_ashrrev_i32_e32 v204, s23, v20
	s_wait_dscnt 0x6
	v_ashrrev_i32_e32 v36, s18, v36
	v_ashrrev_i32_e32 v35, s18, v35
	s_wait_dscnt 0x5
	v_ashrrev_i32_e32 v24, s18, v24
	v_ashrrev_i32_e32 v25, s18, v25
	;; [unrolled: 1-line block ×3, first 2 shown]
	v_lshlrev_b32_e32 v36, 2, v36
	v_lshlrev_b32_e32 v35, 2, v35
	v_lshlrev_b32_e32 v24, 2, v24
	v_lshlrev_b32_e32 v25, 2, v25
	s_wait_dscnt 0x4
	v_ashrrev_i32_e32 v22, s18, v22
	v_and_b32_e32 v36, 0x4040404, v36
	v_and_b32_e32 v35, 0x4040404, v35
	;; [unrolled: 1-line block ×4, first 2 shown]
	s_wait_dscnt 0x1
	v_ashrrev_i32_e32 v38, s23, v38
	v_ashrrev_i32_e32 v37, s23, v37
	v_lshrrev_b32_e32 v167, 24, v36
	v_lshrrev_b32_e32 v169, 24, v35
	s_wait_dscnt 0x0
	v_ashrrev_i32_e32 v191, s23, v165
	v_bfe_u32 v39, v38, 24, 2
	v_and_b32_e32 v38, 0x3030303, v38
	v_ashrrev_i32_e32 v192, s23, v166
	v_ashrrev_i32_e32 v23, s18, v23
	v_and_b32_e32 v195, 0x3030303, v191
	v_sub_nc_u16 v39, v39, v167
	v_bfe_u32 v167, v37, 24, 2
	v_and_b32_e32 v37, 0x3030303, v37
	v_and_b32_e32 v196, 0x3030303, v192
	v_sub_nc_u16 v24, v195, v193
	v_bfe_i32 v39, v39, 0, 16
	v_sub_nc_u16 v167, v167, v169
	v_and_b32_e32 v208, 0x3030303, v204
	v_sub_nc_u16 v25, v196, v194
	v_bfe_i32 v24, v24, 0, 8
	v_mul_i32_i24_e32 v33, v39, v33
	v_bfe_i32 v39, v167, 0, 16
	v_and_b32_e32 v209, 0x3030303, v205
	v_bfe_i32 v25, v25, 0, 8
	v_mul_i32_i24_e32 v24, v24, v137
	v_lshrrev_b16 v215, 8, v193
	v_mad_i32_i24 v189, v39, v32, v33
	v_lshrrev_b32_e32 v32, 16, v38
	v_lshrrev_b32_e32 v33, 16, v36
	;; [unrolled: 1-line block ×3, first 2 shown]
	v_mul_i32_i24_e32 v25, v25, v133
	v_bfe_i32 v142, v142, 0, 8
	s_delay_alu instid0(VALU_DEP_4) | instskip(SKIP_1) | instid1(VALU_DEP_2)
	v_sub_nc_u16 v32, v32, v33
	v_lshrrev_b32_e32 v33, 16, v37
	v_bfe_i32 v32, v32, 0, 8
	s_delay_alu instid0(VALU_DEP_2) | instskip(NEXT) | instid1(VALU_DEP_2)
	v_sub_nc_u16 v33, v33, v39
	v_mul_i32_i24_e32 v31, v32, v31
	s_delay_alu instid0(VALU_DEP_2) | instskip(NEXT) | instid1(VALU_DEP_1)
	v_bfe_i32 v32, v33, 0, 8
	v_mad_i32_i24 v190, v32, v30, v31
	v_sub_nc_u16 v30, v38, v36
	v_sub_nc_u16 v31, v37, v35
	v_add3_u32 v32, s22, v120, v121
	v_lshrrev_b16 v35, 8, v35
	s_delay_alu instid0(VALU_DEP_4) | instskip(NEXT) | instid1(VALU_DEP_4)
	v_bfe_i32 v30, v30, 0, 8
	v_bfe_i32 v31, v31, 0, 8
	s_delay_alu instid0(VALU_DEP_2) | instskip(NEXT) | instid1(VALU_DEP_1)
	v_mul_i32_i24_e32 v30, v30, v143
	v_mad_i32_i24 v30, v31, v163, v30
	s_delay_alu instid0(VALU_DEP_1)
	v_add3_u32 v197, v30, v24, v25
	v_add_nc_u32_e32 v30, 0x3180, v141
	ds_load_2addr_b32 v[24:25], v34 offset1:1
	ds_load_2addr_b32 v[30:31], v30 offset1:1
	ds_load_b32 v165, v32
	s_wait_dscnt 0x2
	v_ashrrev_i32_e32 v25, s18, v25
	v_ashrrev_i32_e32 v24, s18, v24
	s_wait_dscnt 0x1
	v_ashrrev_i32_e32 v31, s23, v31
	v_ashrrev_i32_e32 v30, s23, v30
	v_lshlrev_b32_e32 v25, 2, v25
	v_lshlrev_b32_e32 v24, 2, v24
	s_delay_alu instid0(VALU_DEP_4) | instskip(NEXT) | instid1(VALU_DEP_4)
	v_and_b32_e32 v201, 0x3030303, v31
	v_and_b32_e32 v202, 0x3030303, v30
	s_delay_alu instid0(VALU_DEP_4) | instskip(NEXT) | instid1(VALU_DEP_4)
	v_and_b32_e32 v198, 0x4040404, v25
	v_and_b32_e32 v199, 0x4040404, v24
	v_bfe_u32 v25, v31, 24, 2
	v_bfe_u32 v24, v30, 24, 2
	s_delay_alu instid0(VALU_DEP_4) | instskip(NEXT) | instid1(VALU_DEP_4)
	v_sub_nc_u16 v20, v201, v198
	v_sub_nc_u16 v21, v202, v199
	v_lshrrev_b32_e32 v32, 24, v198
	s_delay_alu instid0(VALU_DEP_3) | instskip(NEXT) | instid1(VALU_DEP_3)
	v_bfe_i32 v20, v20, 0, 8
	v_bfe_i32 v21, v21, 0, 8
	s_delay_alu instid0(VALU_DEP_3) | instskip(SKIP_1) | instid1(VALU_DEP_4)
	v_sub_nc_u16 v25, v25, v32
	v_lshrrev_b32_e32 v32, 24, v199
	v_mul_i32_i24_e32 v20, v20, v144
	s_delay_alu instid0(VALU_DEP_3) | instskip(NEXT) | instid1(VALU_DEP_3)
	v_bfe_i32 v25, v25, 0, 16
	v_sub_nc_u16 v24, v24, v32
	s_delay_alu instid0(VALU_DEP_3) | instskip(SKIP_4) | instid1(VALU_DEP_4)
	v_mad_i32_i24 v20, v21, v157, v20
	v_lshlrev_b32_e32 v21, 2, v22
	v_lshlrev_b32_e32 v22, 2, v23
	v_mul_i32_i24_e32 v25, v25, v29
	v_bfe_i32 v24, v24, 0, 16
	v_and_b32_e32 v206, 0x4040404, v21
	s_delay_alu instid0(VALU_DEP_4) | instskip(NEXT) | instid1(VALU_DEP_3)
	v_and_b32_e32 v207, 0x4040404, v22
	v_mad_i32_i24 v200, v24, v28, v25
	v_lshrrev_b32_e32 v24, 16, v201
	s_delay_alu instid0(VALU_DEP_4) | instskip(NEXT) | instid1(VALU_DEP_4)
	v_sub_nc_u16 v21, v208, v206
	v_sub_nc_u16 v22, v209, v207
	v_lshrrev_b32_e32 v25, 16, v198
	v_lshrrev_b32_e32 v28, 16, v199
	v_lshrrev_b16 v199, 8, v199
	v_bfe_i32 v21, v21, 0, 8
	v_bfe_i32 v22, v22, 0, 8
	v_sub_nc_u16 v24, v24, v25
	v_lshrrev_b32_e32 v25, 16, v202
	v_lshrrev_b16 v202, 8, v202
	v_mul_i32_i24_e32 v21, v21, v138
	v_mul_i32_i24_e32 v22, v22, v134
	v_bfe_i32 v24, v24, 0, 8
	v_sub_nc_u16 v25, v25, v28
	v_lshrrev_b16 v201, 8, v201
	v_lshrrev_b16 v198, 8, v198
	v_add3_u32 v210, v20, v21, v22
	ds_load_2addr_b32 v[169:170], v181 offset0:4 offset1:5
	ds_load_2addr_b32 v[20:21], v181 offset0:6 offset1:7
	;; [unrolled: 1-line block ×3, first 2 shown]
	v_mul_i32_i24_e32 v24, v24, v27
	v_bfe_i32 v25, v25, 0, 8
	v_add_nc_u32_e32 v27, 0x1098, v141
	v_sub_nc_u16 v199, v202, v199
	v_sub_nc_u16 v198, v201, v198
	v_lshrrev_b16 v201, 8, v208
	v_mad_i32_i24 v203, v25, v26, v24
	v_lshrrev_b16 v202, 8, v206
	v_bfe_i32 v199, v199, 0, 16
	v_bfe_i32 v198, v198, 0, 16
	s_delay_alu instid0(VALU_DEP_3) | instskip(NEXT) | instid1(VALU_DEP_2)
	v_sub_nc_u16 v201, v201, v202
	v_mul_i32_i24_e32 v153, v198, v153
	s_wait_dscnt 0x2
	v_ashrrev_i32_e32 v22, s18, v169
	s_delay_alu instid0(VALU_DEP_3)
	v_bfe_i32 v198, v201, 0, 16
	s_wait_dscnt 0x0
	v_ashrrev_i32_e32 v28, s18, v28
	v_ashrrev_i32_e32 v20, s18, v20
	;; [unrolled: 1-line block ×3, first 2 shown]
	v_lshlrev_b32_e32 v22, 2, v22
	v_mul_i32_i24_e32 v152, v198, v152
	v_lshlrev_b32_e32 v28, 2, v28
	v_lshlrev_b32_e32 v20, 2, v20
	;; [unrolled: 1-line block ×3, first 2 shown]
	v_and_b32_e32 v169, 0x4040404, v22
	ds_load_2addr_b32 v[171:172], v141 offset0:4 offset1:5
	ds_load_2addr_b32 v[22:23], v141 offset0:6 offset1:7
	;; [unrolled: 1-line block ×3, first 2 shown]
	v_and_b32_e32 v28, 0x4040404, v28
	v_and_b32_e32 v20, 0x4040404, v20
	;; [unrolled: 1-line block ×3, first 2 shown]
	v_lshrrev_b16 v25, 8, v169
	s_wait_dscnt 0x2
	v_ashrrev_i32_e32 v171, s23, v171
	s_wait_dscnt 0x1
	v_ashrrev_i32_e32 v22, s23, v22
	;; [unrolled: 2-line block ×3, first 2 shown]
	v_ashrrev_i32_e32 v23, s23, v23
	v_and_b32_e32 v211, 0x3030303, v171
	s_delay_alu instid0(VALU_DEP_1) | instskip(NEXT) | instid1(VALU_DEP_1)
	v_lshrrev_b16 v24, 8, v211
	v_sub_nc_u16 v182, v24, v25
	v_add_nc_u32_e32 v24, s19, v98
	s_delay_alu instid0(VALU_DEP_2)
	v_lshlrev_b16 v182, 8, v182
	ds_load_u16 v167, v24 offset:26354
	v_add3_u32 v24, s22, v116, v117
	v_bfe_i32 v182, v182, 8, 8
	ds_load_b32 v166, v24
	ds_load_2addr_b32 v[173:174], v183 offset0:4 offset1:5
	ds_load_2addr_b32 v[24:25], v183 offset0:6 offset1:7
	;; [unrolled: 1-line block ×3, first 2 shown]
	s_wait_dscnt 0x2
	v_ashrrev_i32_e32 v26, s18, v173
	s_wait_dscnt 0x1
	v_ashrrev_i32_e32 v24, s18, v24
	;; [unrolled: 2-line block ×3, first 2 shown]
	v_ashrrev_i32_e32 v33, s18, v33
	v_ashrrev_i32_e32 v25, s18, v25
	v_lshlrev_b32_e32 v26, 2, v26
	v_lshlrev_b32_e32 v24, 2, v24
	;; [unrolled: 1-line block ×5, first 2 shown]
	v_and_b32_e32 v173, 0x4040404, v26
	v_add_nc_u32_e32 v26, 0x1090, v141
	ds_load_2addr_b32 v[175:176], v26 offset1:1
	ds_load_2addr_b32 v[26:27], v27 offset1:1
	v_lshrrev_b16 v39, 8, v173
	v_and_b32_e32 v32, 0x4040404, v32
	v_and_b32_e32 v24, 0x4040404, v24
	;; [unrolled: 1-line block ×4, first 2 shown]
	s_wait_dscnt 0x1
	v_ashrrev_i32_e32 v175, s23, v175
	s_wait_dscnt 0x0
	v_ashrrev_i32_e32 v26, s23, v26
	v_ashrrev_i32_e32 v27, s23, v27
	s_delay_alu instid0(VALU_DEP_3) | instskip(NEXT) | instid1(VALU_DEP_1)
	v_and_b32_e32 v212, 0x3030303, v175
	v_lshrrev_b16 v34, 8, v212
	v_sub_nc_u16 v216, v212, v173
	s_delay_alu instid0(VALU_DEP_2) | instskip(SKIP_1) | instid1(VALU_DEP_3)
	v_sub_nc_u16 v184, v34, v39
	v_lshrrev_b16 v34, 8, v37
	v_bfe_i32 v216, v216, 0, 8
	s_delay_alu instid0(VALU_DEP_2)
	v_sub_nc_u16 v185, v34, v35
	v_lshrrev_b16 v35, 8, v36
	ds_load_2addr_b32 v[177:178], v213 offset0:4 offset1:5
	ds_load_2addr_b32 v[36:37], v213 offset0:2 offset1:3
	v_lshrrev_b16 v34, 8, v38
	v_add_nc_u32_e32 v38, 0x2108, v141
	v_mul_i32_i24_e32 v216, v163, v216
	s_delay_alu instid0(VALU_DEP_3)
	v_sub_nc_u16 v186, v34, v35
	v_add_nc_u32_e32 v35, 0x2118, v141
	s_wait_dscnt 0x1
	v_ashrrev_i32_e32 v34, s18, v177
	s_wait_dscnt 0x0
	v_ashrrev_i32_e32 v36, s18, v36
	s_delay_alu instid0(VALU_DEP_2) | instskip(NEXT) | instid1(VALU_DEP_2)
	v_lshlrev_b32_e32 v34, 2, v34
	v_lshlrev_b32_e32 v36, 2, v36
	s_delay_alu instid0(VALU_DEP_2)
	v_and_b32_e32 v177, 0x4040404, v34
	v_add_nc_u32_e32 v34, 0x2110, v141
	ds_load_2addr_b32 v[179:180], v34 offset1:1
	ds_load_2addr_b32 v[34:35], v35 offset1:1
	;; [unrolled: 1-line block ×3, first 2 shown]
	v_lshrrev_b16 v188, 8, v177
	v_and_b32_e32 v36, 0x4040404, v36
	s_wait_dscnt 0x2
	v_ashrrev_i32_e32 v179, s23, v179
	s_wait_dscnt 0x1
	v_ashrrev_i32_e32 v34, s23, v34
	;; [unrolled: 2-line block ×3, first 2 shown]
	v_ashrrev_i32_e32 v35, s23, v35
	v_and_b32_e32 v214, 0x3030303, v179
	s_delay_alu instid0(VALU_DEP_1) | instskip(SKIP_1) | instid1(VALU_DEP_2)
	v_lshrrev_b16 v187, 8, v214
	v_sub_nc_u16 v217, v214, v177
	v_sub_nc_u16 v187, v187, v188
	v_lshrrev_b16 v188, 8, v195
	s_delay_alu instid0(VALU_DEP_3) | instskip(NEXT) | instid1(VALU_DEP_2)
	v_bfe_i32 v217, v217, 0, 8
	v_sub_nc_u16 v188, v188, v215
	v_sub_nc_u16 v215, v211, v169
	s_delay_alu instid0(VALU_DEP_1) | instskip(NEXT) | instid1(VALU_DEP_1)
	v_bfe_i32 v215, v215, 0, 8
	v_mul_i32_i24_e32 v215, v163, v215
	v_mul_i32_i24_e32 v163, v163, v217
	s_delay_alu instid0(VALU_DEP_2) | instskip(SKIP_2) | instid1(VALU_DEP_2)
	v_mad_i32_i24 v215, v162, v182, v215
	v_lshlrev_b16 v182, 8, v184
	v_add_nc_u32_e32 v184, 0x1080, v141
	v_bfe_i32 v182, v182, 8, 8
	s_delay_alu instid0(VALU_DEP_1) | instskip(SKIP_1) | instid1(VALU_DEP_1)
	v_mad_i32_i24 v216, v162, v182, v216
	v_lshlrev_b16 v182, 8, v187
	v_bfe_i32 v182, v182, 8, 8
	s_delay_alu instid0(VALU_DEP_1) | instskip(SKIP_1) | instid1(VALU_DEP_1)
	v_mad_i32_i24 v217, v162, v182, v163
	v_bfe_i32 v163, v185, 0, 16
	v_mul_i32_i24_e32 v162, v163, v162
	v_bfe_i32 v163, v186, 0, 16
	s_delay_alu instid0(VALU_DEP_1) | instskip(SKIP_1) | instid1(VALU_DEP_1)
	v_mul_i32_i24_e32 v161, v163, v161
	v_bfe_i32 v163, v188, 0, 16
	v_mul_i32_i24_e32 v160, v163, v160
	s_delay_alu instid0(VALU_DEP_1)
	v_add3_u32 v218, v162, v161, v160
	ds_load_2addr_b32 v[160:161], v181 offset1:1
	ds_load_2addr_b32 v[162:163], v141 offset1:1
	s_wait_dscnt 0x1
	v_ashrrev_i32_e32 v160, s18, v160
	s_wait_dscnt 0x0
	v_ashrrev_i32_e32 v162, s23, v162
	s_delay_alu instid0(VALU_DEP_2) | instskip(NEXT) | instid1(VALU_DEP_2)
	v_lshlrev_b32_e32 v160, 2, v160
	v_and_b32_e32 v220, 0x3030303, v162
	s_delay_alu instid0(VALU_DEP_2) | instskip(NEXT) | instid1(VALU_DEP_2)
	v_and_b32_e32 v219, 0x4040404, v160
	v_lshrrev_b16 v160, 8, v220
	s_delay_alu instid0(VALU_DEP_2) | instskip(SKIP_1) | instid1(VALU_DEP_2)
	v_lshrrev_b16 v181, 8, v219
	v_sub_nc_u16 v202, v220, v219
	v_sub_nc_u16 v221, v160, v181
	v_add3_u32 v160, s22, v127, v128
	s_delay_alu instid0(VALU_DEP_3) | instskip(NEXT) | instid1(VALU_DEP_3)
	v_bfe_i32 v202, v202, 0, 8
	v_lshlrev_b16 v221, 8, v221
	ds_load_b32 v160, v160
	ds_load_2addr_b32 v[181:182], v183 offset1:1
	ds_load_2addr_b32 v[183:184], v184 offset1:1
	v_mul_i32_i24_e32 v202, v157, v202
	v_bfe_i32 v221, v221, 8, 8
	s_delay_alu instid0(VALU_DEP_1) | instskip(SKIP_4) | instid1(VALU_DEP_2)
	v_mad_i32_i24 v202, v156, v221, v202
	s_wait_dscnt 0x1
	v_ashrrev_i32_e32 v181, s18, v181
	s_wait_dscnt 0x0
	v_ashrrev_i32_e32 v183, s23, v183
	v_lshlrev_b32_e32 v181, 2, v181
	s_delay_alu instid0(VALU_DEP_2) | instskip(NEXT) | instid1(VALU_DEP_2)
	v_and_b32_e32 v222, 0x3030303, v183
	v_and_b32_e32 v181, 0x4040404, v181
	s_delay_alu instid0(VALU_DEP_2) | instskip(NEXT) | instid1(VALU_DEP_2)
	v_lshrrev_b16 v185, 8, v222
	v_lshrrev_b16 v186, 8, v181
	s_delay_alu instid0(VALU_DEP_1) | instskip(SKIP_4) | instid1(VALU_DEP_1)
	v_sub_nc_u16 v223, v185, v186
	v_add_nc_u32_e32 v185, 0x2100, v141
	ds_load_2addr_b32 v[185:186], v185 offset1:1
	ds_load_2addr_b32 v[187:188], v213 offset1:1
	v_lshlrev_b16 v221, 8, v223
	v_bfe_i32 v221, v221, 8, 8
	s_wait_dscnt 0x1
	v_ashrrev_i32_e32 v185, s23, v185
	s_wait_dscnt 0x0
	v_ashrrev_i32_e32 v187, s18, v187
	s_delay_alu instid0(VALU_DEP_2) | instskip(NEXT) | instid1(VALU_DEP_2)
	v_and_b32_e32 v224, 0x3030303, v185
	v_lshlrev_b32_e32 v187, 2, v187
	s_delay_alu instid0(VALU_DEP_2) | instskip(NEXT) | instid1(VALU_DEP_2)
	v_lshrrev_b16 v225, 8, v224
	v_and_b32_e32 v187, 0x4040404, v187
	s_delay_alu instid0(VALU_DEP_1) | instskip(SKIP_1) | instid1(VALU_DEP_2)
	v_lshrrev_b16 v226, 8, v187
	v_sub_nc_u16 v227, v224, v187
	v_sub_nc_u16 v225, v225, v226
	;; [unrolled: 1-line block ×3, first 2 shown]
	s_delay_alu instid0(VALU_DEP_3) | instskip(NEXT) | instid1(VALU_DEP_3)
	v_bfe_i32 v227, v227, 0, 8
	v_lshlrev_b16 v223, 8, v225
	s_delay_alu instid0(VALU_DEP_3) | instskip(NEXT) | instid1(VALU_DEP_2)
	v_bfe_i32 v226, v226, 0, 8
	v_bfe_i32 v223, v223, 8, 8
	s_delay_alu instid0(VALU_DEP_2) | instskip(SKIP_1) | instid1(VALU_DEP_2)
	v_mul_i32_i24_e32 v226, v157, v226
	v_mul_i32_i24_e32 v157, v157, v227
	v_mad_i32_i24 v221, v156, v221, v226
	s_delay_alu instid0(VALU_DEP_2) | instskip(SKIP_1) | instid1(VALU_DEP_1)
	v_mad_i32_i24 v157, v156, v223, v157
	v_mul_i32_i24_e32 v156, v199, v156
	v_add3_u32 v152, v156, v153, v152
	v_lshrrev_b32_e32 v153, 16, v195
	v_lshrrev_b32_e32 v156, 16, v193
	;; [unrolled: 1-line block ×3, first 2 shown]
	s_delay_alu instid0(VALU_DEP_2) | instskip(SKIP_1) | instid1(VALU_DEP_2)
	v_sub_nc_u16 v153, v153, v156
	v_lshrrev_b32_e32 v156, 16, v196
	v_bfe_i32 v153, v153, 0, 8
	s_delay_alu instid0(VALU_DEP_2) | instskip(NEXT) | instid1(VALU_DEP_2)
	v_sub_nc_u16 v156, v156, v195
	v_mul_i32_i24_e32 v153, v153, v158
	s_delay_alu instid0(VALU_DEP_2) | instskip(SKIP_1) | instid1(VALU_DEP_2)
	v_bfe_i32 v156, v156, 0, 8
	v_lshrrev_b32_e32 v158, 24, v193
	v_mul_i32_i24_e32 v156, v156, v159
	v_lshrrev_b32_e32 v159, 24, v194
	s_delay_alu instid0(VALU_DEP_2) | instskip(SKIP_1) | instid1(VALU_DEP_1)
	v_add3_u32 v153, v190, v153, v156
	v_bfe_u32 v156, v191, 24, 2
	v_sub_nc_u16 v156, v156, v158
	v_bfe_u32 v158, v192, 24, 2
	s_delay_alu instid0(VALU_DEP_2) | instskip(NEXT) | instid1(VALU_DEP_2)
	v_bfe_i32 v156, v156, 0, 16
	v_sub_nc_u16 v158, v158, v159
	v_lshrrev_b32_e32 v159, 24, v181
	s_delay_alu instid0(VALU_DEP_3) | instskip(NEXT) | instid1(VALU_DEP_3)
	v_mul_i32_i24_e32 v154, v156, v154
	v_bfe_i32 v156, v158, 0, 16
	v_lshrrev_b32_e32 v158, 16, v219
	s_delay_alu instid0(VALU_DEP_2) | instskip(SKIP_1) | instid1(VALU_DEP_2)
	v_mul_i32_i24_e32 v155, v156, v155
	v_lshrrev_b32_e32 v156, 24, v219
	v_add3_u32 v154, v189, v154, v155
	v_bfe_u32 v155, v162, 24, 2
	v_lshrrev_b32_e32 v162, 16, v181
	v_lshrrev_b32_e32 v181, 24, v187
	s_delay_alu instid0(VALU_DEP_3) | instskip(SKIP_1) | instid1(VALU_DEP_2)
	v_sub_nc_u16 v155, v155, v156
	v_lshrrev_b32_e32 v156, 16, v220
	v_lshlrev_b16 v155, 8, v155
	s_delay_alu instid0(VALU_DEP_2) | instskip(SKIP_2) | instid1(VALU_DEP_2)
	v_sub_nc_u16 v156, v156, v158
	v_bfe_u32 v158, v183, 24, 2
	v_lshrrev_b32_e32 v183, 16, v187
	v_sub_nc_u16 v158, v158, v159
	v_lshrrev_b32_e32 v159, 16, v222
	s_delay_alu instid0(VALU_DEP_2) | instskip(NEXT) | instid1(VALU_DEP_2)
	v_lshlrev_b16 v158, 8, v158
	v_sub_nc_u16 v159, v159, v162
	v_bfe_u32 v162, v185, 24, 2
	s_delay_alu instid0(VALU_DEP_1) | instskip(SKIP_1) | instid1(VALU_DEP_2)
	v_sub_nc_u16 v162, v162, v181
	v_lshrrev_b32_e32 v181, 16, v224
	v_lshlrev_b16 v162, 8, v162
	s_delay_alu instid0(VALU_DEP_2) | instskip(SKIP_1) | instid1(VALU_DEP_1)
	v_sub_nc_u16 v181, v181, v183
	v_and_b32_e32 v183, 0xff, v156
	v_or_b32_e32 v155, v183, v155
	v_and_b32_e32 v183, 0xff, v159
	s_delay_alu instid0(VALU_DEP_2) | instskip(NEXT) | instid1(VALU_DEP_2)
	v_perm_b32 v155, v155, v156, 0xc0c0500
	v_or_b32_e32 v158, v183, v158
	v_and_b32_e32 v183, 0xff, v181
	s_delay_alu instid0(VALU_DEP_3) | instskip(NEXT) | instid1(VALU_DEP_3)
	v_dot4_i32_iu8 v155, v150, v155, v202 neg_lo:[1,1,0]
	v_perm_b32 v156, v158, v159, 0xc0c0500
	s_delay_alu instid0(VALU_DEP_3) | instskip(SKIP_1) | instid1(VALU_DEP_3)
	v_or_b32_e32 v162, v183, v162
	v_lshrrev_b32_e32 v159, 16, v207
	v_dot4_i32_iu8 v156, v150, v156, v221 neg_lo:[1,1,0]
	s_delay_alu instid0(VALU_DEP_3) | instskip(SKIP_1) | instid1(VALU_DEP_2)
	v_perm_b32 v158, v162, v181, 0xc0c0500
	v_lshrrev_b32_e32 v162, 24, v177
	v_dot4_i32_iu8 v150, v150, v158, v157 neg_lo:[1,1,0]
	v_lshrrev_b32_e32 v157, 16, v208
	v_lshrrev_b32_e32 v158, 16, v206
	s_delay_alu instid0(VALU_DEP_1) | instskip(SKIP_1) | instid1(VALU_DEP_2)
	v_sub_nc_u16 v157, v157, v158
	v_lshrrev_b32_e32 v158, 16, v209
	v_bfe_i32 v157, v157, 0, 8
	s_delay_alu instid0(VALU_DEP_2) | instskip(SKIP_1) | instid1(VALU_DEP_3)
	v_sub_nc_u16 v158, v158, v159
	v_lshrrev_b32_e32 v159, 16, v173
	v_mul_i32_i24_e32 v149, v157, v149
	s_delay_alu instid0(VALU_DEP_3) | instskip(SKIP_1) | instid1(VALU_DEP_2)
	v_bfe_i32 v157, v158, 0, 8
	v_lshrrev_b32_e32 v158, 24, v207
	v_mul_i32_i24_e32 v151, v157, v151
	v_lshrrev_b32_e32 v157, 24, v206
	s_delay_alu instid0(VALU_DEP_2) | instskip(SKIP_1) | instid1(VALU_DEP_1)
	v_add3_u32 v149, v203, v149, v151
	v_bfe_u32 v151, v204, 24, 2
	v_sub_nc_u16 v151, v151, v157
	v_bfe_u32 v157, v205, 24, 2
	s_delay_alu instid0(VALU_DEP_2) | instskip(NEXT) | instid1(VALU_DEP_2)
	v_bfe_i32 v151, v151, 0, 16
	v_sub_nc_u16 v157, v157, v158
	v_lshrrev_b32_e32 v158, 24, v173
	s_delay_alu instid0(VALU_DEP_3) | instskip(NEXT) | instid1(VALU_DEP_3)
	v_mul_i32_i24_e32 v147, v151, v147
	v_bfe_i32 v151, v157, 0, 16
	v_lshrrev_b32_e32 v157, 16, v169
	s_delay_alu instid0(VALU_DEP_2) | instskip(SKIP_2) | instid1(VALU_DEP_3)
	v_mul_i32_i24_e32 v148, v151, v148
	v_lshrrev_b32_e32 v151, 24, v169
	v_lshrrev_b32_e32 v169, 16, v177
	v_add3_u32 v147, v200, v147, v148
	v_bfe_u32 v148, v171, 24, 2
	s_delay_alu instid0(VALU_DEP_1) | instskip(SKIP_1) | instid1(VALU_DEP_2)
	v_sub_nc_u16 v148, v148, v151
	v_lshrrev_b32_e32 v151, 16, v211
	v_lshlrev_b16 v148, 8, v148
	s_delay_alu instid0(VALU_DEP_2) | instskip(SKIP_1) | instid1(VALU_DEP_1)
	v_sub_nc_u16 v151, v151, v157
	v_bfe_u32 v157, v175, 24, 2
	v_sub_nc_u16 v157, v157, v158
	v_lshrrev_b32_e32 v158, 16, v212
	s_delay_alu instid0(VALU_DEP_2) | instskip(NEXT) | instid1(VALU_DEP_2)
	v_lshlrev_b16 v157, 8, v157
	v_sub_nc_u16 v158, v158, v159
	v_bfe_u32 v159, v179, 24, 2
	s_delay_alu instid0(VALU_DEP_1) | instskip(SKIP_1) | instid1(VALU_DEP_2)
	v_sub_nc_u16 v159, v159, v162
	v_lshrrev_b32_e32 v162, 16, v214
	v_lshlrev_b16 v159, 8, v159
	s_delay_alu instid0(VALU_DEP_2) | instskip(SKIP_1) | instid1(VALU_DEP_1)
	v_sub_nc_u16 v162, v162, v169
	v_and_b32_e32 v169, 0xff, v151
	v_or_b32_e32 v148, v169, v148
	v_and_b32_e32 v169, 0xff, v158
	s_delay_alu instid0(VALU_DEP_2) | instskip(NEXT) | instid1(VALU_DEP_2)
	v_perm_b32 v148, v148, v151, 0xc0c0500
	v_or_b32_e32 v157, v169, v157
	v_and_b32_e32 v169, 0xff, v162
	s_delay_alu instid0(VALU_DEP_3) | instskip(NEXT) | instid1(VALU_DEP_3)
	v_dot4_i32_iu8 v148, v146, v148, v215 neg_lo:[1,1,0]
	v_perm_b32 v151, v157, v158, 0xc0c0500
	s_delay_alu instid0(VALU_DEP_3) | instskip(SKIP_1) | instid1(VALU_DEP_3)
	v_or_b32_e32 v159, v169, v159
	v_lshrrev_b16 v158, 8, v194
	v_dot4_i32_iu8 v151, v146, v151, v216 neg_lo:[1,1,0]
	s_delay_alu instid0(VALU_DEP_3) | instskip(SKIP_2) | instid1(VALU_DEP_3)
	v_perm_b32 v157, v159, v162, 0xc0c0500
	v_ashrrev_i32_e32 v159, s18, v188
	v_ashrrev_i32_e32 v162, s23, v186
	v_dot4_i32_iu8 v146, v146, v157, v217 neg_lo:[1,1,0]
	v_lshrrev_b16 v157, 8, v196
	s_delay_alu instid0(VALU_DEP_4) | instskip(NEXT) | instid1(VALU_DEP_2)
	v_lshlrev_b32_e32 v159, 2, v159
	v_sub_nc_u16 v157, v157, v158
	v_ashrrev_i32_e32 v158, s18, v182
	s_delay_alu instid0(VALU_DEP_3) | instskip(NEXT) | instid1(VALU_DEP_3)
	v_and_b32_e32 v159, 0x4040404, v159
	v_bfe_i32 v157, v157, 0, 16
	s_delay_alu instid0(VALU_DEP_3) | instskip(NEXT) | instid1(VALU_DEP_2)
	v_lshlrev_b32_e32 v158, 2, v158
	v_mul_i32_i24_e32 v145, v157, v145
	v_ashrrev_i32_e32 v157, s18, v161
	v_ashrrev_i32_e32 v161, s23, v184
	s_delay_alu instid0(VALU_DEP_4) | instskip(NEXT) | instid1(VALU_DEP_4)
	v_and_b32_e32 v158, 0x4040404, v158
	v_add3_u32 v145, v218, v145, v154
	v_ashrrev_i32_e32 v154, s23, v163
	v_lshlrev_b32_e32 v157, 2, v157
	s_delay_alu instid0(VALU_DEP_3) | instskip(NEXT) | instid1(VALU_DEP_3)
	v_add3_u32 v145, v197, v153, v145
	v_and_b32_e32 v163, 0x3030303, v154
	s_delay_alu instid0(VALU_DEP_3) | instskip(NEXT) | instid1(VALU_DEP_1)
	v_and_b32_e32 v157, 0x4040404, v157
	v_sub_nc_u16 v169, v163, v157
	v_lshrrev_b32_e32 v153, 24, v157
	s_delay_alu instid0(VALU_DEP_2) | instskip(NEXT) | instid1(VALU_DEP_1)
	v_bfe_i32 v169, v169, 0, 8
	v_mad_i32_i24 v155, v144, v169, v155
	v_and_b32_e32 v169, 0x3030303, v161
	s_delay_alu instid0(VALU_DEP_1) | instskip(NEXT) | instid1(VALU_DEP_1)
	v_sub_nc_u16 v171, v169, v158
	v_bfe_i32 v171, v171, 0, 8
	s_delay_alu instid0(VALU_DEP_1) | instskip(SKIP_2) | instid1(VALU_DEP_2)
	v_mad_i32_i24 v156, v144, v171, v156
	v_and_b32_e32 v171, 0x3030303, v162
	v_bfe_u32 v162, v162, 24, 2
	v_sub_nc_u16 v173, v171, v159
	s_delay_alu instid0(VALU_DEP_1) | instskip(NEXT) | instid1(VALU_DEP_1)
	v_bfe_i32 v173, v173, 0, 8
	v_mad_i32_i24 v144, v144, v173, v150
	v_lshrrev_b16 v150, 8, v209
	v_lshrrev_b16 v173, 8, v207
	s_delay_alu instid0(VALU_DEP_1) | instskip(SKIP_1) | instid1(VALU_DEP_2)
	v_sub_nc_u16 v150, v150, v173
	v_ashrrev_i32_e32 v173, s23, v180
	v_bfe_i32 v150, v150, 0, 16
	s_delay_alu instid0(VALU_DEP_1) | instskip(SKIP_2) | instid1(VALU_DEP_3)
	v_mul_i32_i24_e32 v142, v150, v142
	v_ashrrev_i32_e32 v150, s18, v170
	v_ashrrev_i32_e32 v170, s18, v178
	v_add3_u32 v142, v152, v142, v147
	v_ashrrev_i32_e32 v147, s23, v172
	s_delay_alu instid0(VALU_DEP_4)
	v_lshlrev_b32_e32 v150, 2, v150
	v_ashrrev_i32_e32 v152, s18, v174
	v_ashrrev_i32_e32 v172, s23, v176
	v_lshlrev_b32_e32 v170, 2, v170
	v_and_b32_e32 v174, 0x3030303, v147
	v_and_b32_e32 v150, 0x4040404, v150
	v_lshlrev_b32_e32 v152, 2, v152
	v_add3_u32 v149, v210, v149, v142
	v_and_b32_e32 v170, 0x4040404, v170
	s_delay_alu instid0(VALU_DEP_4) | instskip(NEXT) | instid1(VALU_DEP_4)
	v_sub_nc_u16 v175, v174, v150
	v_and_b32_e32 v152, 0x4040404, v152
	v_lshrrev_b32_e32 v142, 24, v150
	s_delay_alu instid0(VALU_DEP_3) | instskip(NEXT) | instid1(VALU_DEP_1)
	v_bfe_i32 v175, v175, 0, 8
	v_mad_i32_i24 v148, v143, v175, v148
	v_and_b32_e32 v175, 0x3030303, v172
	s_delay_alu instid0(VALU_DEP_1) | instskip(NEXT) | instid1(VALU_DEP_1)
	v_sub_nc_u16 v176, v175, v152
	v_bfe_i32 v176, v176, 0, 8
	s_delay_alu instid0(VALU_DEP_1) | instskip(SKIP_1) | instid1(VALU_DEP_1)
	v_mad_i32_i24 v151, v143, v176, v151
	v_and_b32_e32 v176, 0x3030303, v173
	v_sub_nc_u16 v177, v176, v170
	s_delay_alu instid0(VALU_DEP_1) | instskip(NEXT) | instid1(VALU_DEP_1)
	v_bfe_i32 v177, v177, 0, 8
	v_mad_i32_i24 v143, v143, v177, v146
	v_bfe_u32 v146, v154, 24, 2
	v_lshrrev_b32_e32 v154, 16, v157
	v_lshrrev_b16 v157, 8, v157
	s_delay_alu instid0(VALU_DEP_3) | instskip(SKIP_1) | instid1(VALU_DEP_2)
	v_sub_nc_u16 v146, v146, v153
	v_lshrrev_b32_e32 v153, 16, v163
	v_lshlrev_b16 v146, 8, v146
	s_delay_alu instid0(VALU_DEP_2) | instskip(SKIP_2) | instid1(VALU_DEP_2)
	v_sub_nc_u16 v153, v153, v154
	v_lshrrev_b16 v154, 8, v163
	v_lshrrev_b32_e32 v163, 16, v158
	v_sub_nc_u16 v154, v154, v157
	v_bfe_u32 v157, v161, 24, 2
	v_lshrrev_b32_e32 v161, 24, v158
	v_lshrrev_b16 v158, 8, v158
	s_delay_alu instid0(VALU_DEP_4) | instskip(NEXT) | instid1(VALU_DEP_3)
	v_lshlrev_b16 v154, 8, v154
	v_sub_nc_u16 v157, v157, v161
	v_lshrrev_b32_e32 v161, 16, v169
	s_delay_alu instid0(VALU_DEP_3) | instskip(NEXT) | instid1(VALU_DEP_3)
	v_perm_b32 v154, v154, v154, 0xc0c0c01
	v_lshlrev_b16 v157, 8, v157
	s_delay_alu instid0(VALU_DEP_3) | instskip(SKIP_2) | instid1(VALU_DEP_2)
	v_sub_nc_u16 v161, v161, v163
	v_lshrrev_b16 v163, 8, v169
	v_lshrrev_b32_e32 v169, 16, v159
	v_sub_nc_u16 v158, v163, v158
	v_lshrrev_b32_e32 v163, 24, v159
	v_lshrrev_b16 v159, 8, v159
	s_delay_alu instid0(VALU_DEP_2) | instskip(SKIP_1) | instid1(VALU_DEP_2)
	v_sub_nc_u16 v162, v162, v163
	v_lshrrev_b32_e32 v163, 16, v171
	v_lshlrev_b16 v162, 8, v162
	s_delay_alu instid0(VALU_DEP_2) | instskip(SKIP_1) | instid1(VALU_DEP_1)
	v_sub_nc_u16 v163, v163, v169
	v_lshrrev_b16 v169, 8, v171
	v_sub_nc_u16 v159, v169, v159
	v_and_b32_e32 v169, 0xff, v153
	s_delay_alu instid0(VALU_DEP_1) | instskip(SKIP_1) | instid1(VALU_DEP_2)
	v_or_b32_e32 v146, v169, v146
	v_and_b32_e32 v169, 0xff, v161
	v_perm_b32 v146, v146, v153, 0xc05000c
	s_delay_alu instid0(VALU_DEP_2) | instskip(SKIP_1) | instid1(VALU_DEP_3)
	v_or_b32_e32 v157, v169, v157
	v_and_b32_e32 v169, 0xff, v163
	v_or_b32_e32 v146, v146, v154
	v_lshlrev_b16 v154, 8, v158
	s_delay_alu instid0(VALU_DEP_4) | instskip(NEXT) | instid1(VALU_DEP_4)
	v_perm_b32 v153, v157, v161, 0xc05000c
	v_or_b32_e32 v162, v169, v162
	v_lshrrev_b16 v158, 8, v170
	v_dot4_i32_iu8 v146, v140, v146, v155 neg_lo:[1,1,0]
	v_perm_b32 v154, v154, v154, 0xc0c0c01
	v_lshrrev_b32_e32 v155, 16, v152
	v_perm_b32 v157, v162, v163, 0xc05000c
	s_delay_alu instid0(VALU_DEP_3) | instskip(SKIP_1) | instid1(VALU_DEP_2)
	v_or_b32_e32 v153, v153, v154
	v_lshlrev_b16 v154, 8, v159
	v_dot4_i32_iu8 v153, v140, v153, v156 neg_lo:[1,1,0]
	s_delay_alu instid0(VALU_DEP_2) | instskip(SKIP_1) | instid1(VALU_DEP_2)
	v_perm_b32 v154, v154, v154, 0xc0c0c01
	v_lshrrev_b32_e32 v156, 24, v170
	v_or_b32_e32 v154, v157, v154
	v_lshrrev_b32_e32 v157, 16, v170
	s_delay_alu instid0(VALU_DEP_2)
	v_dot4_i32_iu8 v144, v140, v154, v144 neg_lo:[1,1,0]
	v_bfe_u32 v140, v147, 24, 2
	v_lshrrev_b32_e32 v147, 16, v150
	v_lshrrev_b16 v150, 8, v150
	v_lshrrev_b32_e32 v154, 24, v152
	v_lshrrev_b16 v152, 8, v152
	v_sub_nc_u16 v140, v140, v142
	v_lshrrev_b32_e32 v142, 16, v174
	s_delay_alu instid0(VALU_DEP_2) | instskip(NEXT) | instid1(VALU_DEP_2)
	v_lshlrev_b16 v140, 8, v140
	v_sub_nc_u16 v142, v142, v147
	v_lshrrev_b16 v147, 8, v174
	s_delay_alu instid0(VALU_DEP_1) | instskip(SKIP_1) | instid1(VALU_DEP_2)
	v_sub_nc_u16 v147, v147, v150
	v_bfe_u32 v150, v172, 24, 2
	v_lshlrev_b16 v147, 8, v147
	s_delay_alu instid0(VALU_DEP_2) | instskip(SKIP_1) | instid1(VALU_DEP_3)
	v_sub_nc_u16 v150, v150, v154
	v_lshrrev_b32_e32 v154, 16, v175
	v_perm_b32 v147, v147, v147, 0xc0c0c01
	s_delay_alu instid0(VALU_DEP_3) | instskip(NEXT) | instid1(VALU_DEP_3)
	v_lshlrev_b16 v150, 8, v150
	v_sub_nc_u16 v154, v154, v155
	v_lshrrev_b16 v155, 8, v175
	s_delay_alu instid0(VALU_DEP_1) | instskip(SKIP_1) | instid1(VALU_DEP_1)
	v_sub_nc_u16 v152, v155, v152
	v_bfe_u32 v155, v173, 24, 2
	v_sub_nc_u16 v155, v155, v156
	v_lshrrev_b32_e32 v156, 16, v176
	s_delay_alu instid0(VALU_DEP_2) | instskip(NEXT) | instid1(VALU_DEP_2)
	v_lshlrev_b16 v155, 8, v155
	v_sub_nc_u16 v156, v156, v157
	v_lshrrev_b16 v157, 8, v176
	s_delay_alu instid0(VALU_DEP_1) | instskip(SKIP_1) | instid1(VALU_DEP_1)
	v_sub_nc_u16 v157, v157, v158
	v_and_b32_e32 v158, 0xff, v142
	v_or_b32_e32 v140, v158, v140
	v_and_b32_e32 v158, 0xff, v154
	s_delay_alu instid0(VALU_DEP_2) | instskip(NEXT) | instid1(VALU_DEP_2)
	v_perm_b32 v140, v140, v142, 0xc05000c
	v_or_b32_e32 v150, v158, v150
	v_and_b32_e32 v158, 0xff, v156
	s_delay_alu instid0(VALU_DEP_3) | instskip(SKIP_1) | instid1(VALU_DEP_4)
	v_or_b32_e32 v140, v140, v147
	v_lshlrev_b16 v147, 8, v152
	v_perm_b32 v142, v150, v154, 0xc05000c
	s_delay_alu instid0(VALU_DEP_4) | instskip(NEXT) | instid1(VALU_DEP_4)
	v_or_b32_e32 v155, v158, v155
	v_dot4_i32_iu8 v148, v139, v140, v148 neg_lo:[1,1,0]
	s_delay_alu instid0(VALU_DEP_4) | instskip(NEXT) | instid1(VALU_DEP_3)
	v_perm_b32 v147, v147, v147, 0xc0c0c01
	v_perm_b32 v150, v155, v156, 0xc05000c
	s_delay_alu instid0(VALU_DEP_2) | instskip(SKIP_1) | instid1(VALU_DEP_1)
	v_or_b32_e32 v142, v142, v147
	v_lshlrev_b16 v147, 8, v157
	v_perm_b32 v147, v147, v147, 0xc0c0c01
	s_delay_alu instid0(VALU_DEP_1) | instskip(NEXT) | instid1(VALU_DEP_4)
	v_or_b32_e32 v147, v150, v147
	v_dot4_i32_iu8 v150, v139, v142, v151 neg_lo:[1,1,0]
	s_delay_alu instid0(VALU_DEP_2) | instskip(SKIP_2) | instid1(VALU_DEP_2)
	v_dot4_i32_iu8 v143, v139, v147, v143 neg_lo:[1,1,0]
	v_and_b32_e32 v147, 0x3030303, v30
	v_bfe_u32 v30, v30, 24, 2
	v_sub_nc_u16 v139, v147, v28
	s_delay_alu instid0(VALU_DEP_1) | instskip(NEXT) | instid1(VALU_DEP_1)
	v_bfe_i32 v139, v139, 0, 8
	v_mad_i32_i24 v146, v138, v139, v146
	v_add_nc_u32_e32 v139, 0x1088, v141
	ds_load_2addr_b32 v[139:140], v139 offset1:1
	s_wait_dscnt 0x0
	v_ashrrev_i32_e32 v139, s23, v139
	s_delay_alu instid0(VALU_DEP_1) | instskip(SKIP_1) | instid1(VALU_DEP_2)
	v_and_b32_e32 v151, 0x3030303, v139
	v_bfe_u32 v139, v139, 24, 2
	v_sub_nc_u16 v141, v151, v32
	s_delay_alu instid0(VALU_DEP_1) | instskip(NEXT) | instid1(VALU_DEP_1)
	v_bfe_i32 v141, v141, 0, 8
	v_mad_i32_i24 v152, v138, v141, v153
	v_and_b32_e32 v153, 0x3030303, v38
	ds_load_2addr_b32 v[141:142], v213 offset0:6 offset1:7
	v_bfe_u32 v38, v38, 24, 2
	v_sub_nc_u16 v154, v153, v36
	s_delay_alu instid0(VALU_DEP_1) | instskip(NEXT) | instid1(VALU_DEP_1)
	v_bfe_i32 v154, v154, 0, 8
	v_mad_i32_i24 v138, v138, v154, v144
	v_and_b32_e32 v144, 0x3030303, v22
	v_bfe_u32 v22, v22, 24, 2
	s_delay_alu instid0(VALU_DEP_2) | instskip(SKIP_2) | instid1(VALU_DEP_2)
	v_sub_nc_u16 v154, v144, v20
	s_wait_dscnt 0x0
	v_ashrrev_i32_e32 v141, s18, v141
	v_bfe_i32 v154, v154, 0, 8
	s_delay_alu instid0(VALU_DEP_2) | instskip(NEXT) | instid1(VALU_DEP_2)
	v_lshlrev_b32_e32 v141, 2, v141
	v_mad_i32_i24 v148, v137, v154, v148
	v_and_b32_e32 v154, 0x3030303, v26
	s_delay_alu instid0(VALU_DEP_3) | instskip(SKIP_1) | instid1(VALU_DEP_3)
	v_and_b32_e32 v141, 0x4040404, v141
	v_bfe_u32 v26, v26, 24, 2
	v_sub_nc_u16 v155, v154, v24
	s_delay_alu instid0(VALU_DEP_1) | instskip(NEXT) | instid1(VALU_DEP_1)
	v_bfe_i32 v155, v155, 0, 8
	v_mad_i32_i24 v150, v137, v155, v150
	v_and_b32_e32 v155, 0x3030303, v34
	v_bfe_u32 v34, v34, 24, 2
	s_delay_alu instid0(VALU_DEP_2) | instskip(NEXT) | instid1(VALU_DEP_1)
	v_sub_nc_u16 v156, v155, v141
	v_bfe_i32 v156, v156, 0, 8
	s_delay_alu instid0(VALU_DEP_1) | instskip(SKIP_3) | instid1(VALU_DEP_3)
	v_mad_i32_i24 v137, v137, v156, v143
	v_lshrrev_b32_e32 v143, 24, v28
	v_lshrrev_b32_e32 v156, 16, v28
	v_lshrrev_b16 v28, 8, v28
	v_sub_nc_u16 v30, v30, v143
	v_lshrrev_b32_e32 v143, 16, v147
	v_lshrrev_b16 v147, 8, v147
	s_delay_alu instid0(VALU_DEP_3) | instskip(NEXT) | instid1(VALU_DEP_3)
	v_lshlrev_b16 v30, 8, v30
	v_sub_nc_u16 v143, v143, v156
	s_delay_alu instid0(VALU_DEP_3) | instskip(SKIP_3) | instid1(VALU_DEP_4)
	v_sub_nc_u16 v28, v147, v28
	v_lshrrev_b32_e32 v147, 24, v36
	v_lshrrev_b32_e32 v156, 16, v36
	v_lshrrev_b16 v36, 8, v36
	v_lshlrev_b16 v28, 8, v28
	s_delay_alu instid0(VALU_DEP_4) | instskip(SKIP_2) | instid1(VALU_DEP_4)
	v_sub_nc_u16 v38, v38, v147
	v_lshrrev_b32_e32 v147, 16, v153
	v_lshrrev_b16 v153, 8, v153
	v_perm_b32 v28, v28, v28, 0xc0c0c01
	s_delay_alu instid0(VALU_DEP_4) | instskip(NEXT) | instid1(VALU_DEP_4)
	v_lshlrev_b16 v38, 8, v38
	v_sub_nc_u16 v147, v147, v156
	s_delay_alu instid0(VALU_DEP_4) | instskip(SKIP_3) | instid1(VALU_DEP_3)
	v_sub_nc_u16 v36, v153, v36
	v_lshrrev_b32_e32 v153, 24, v32
	v_lshrrev_b32_e32 v156, 16, v32
	v_lshrrev_b16 v32, 8, v32
	v_sub_nc_u16 v139, v139, v153
	v_lshrrev_b32_e32 v153, 16, v151
	v_lshrrev_b16 v151, 8, v151
	s_delay_alu instid0(VALU_DEP_3) | instskip(NEXT) | instid1(VALU_DEP_3)
	v_lshlrev_b16 v139, 8, v139
	v_sub_nc_u16 v153, v153, v156
	s_delay_alu instid0(VALU_DEP_3) | instskip(SKIP_1) | instid1(VALU_DEP_2)
	v_sub_nc_u16 v32, v151, v32
	v_and_b32_e32 v151, 0xff, v143
	v_lshlrev_b16 v32, 8, v32
	s_delay_alu instid0(VALU_DEP_2) | instskip(SKIP_1) | instid1(VALU_DEP_3)
	v_or_b32_e32 v30, v151, v30
	v_and_b32_e32 v151, 0xff, v147
	v_perm_b32 v32, v32, v32, 0xc0c0c01
	s_delay_alu instid0(VALU_DEP_3) | instskip(NEXT) | instid1(VALU_DEP_3)
	v_perm_b32 v30, v30, v143, 0xc05000c
	v_or_b32_e32 v38, v151, v38
	v_and_b32_e32 v151, 0xff, v153
	s_delay_alu instid0(VALU_DEP_3) | instskip(SKIP_1) | instid1(VALU_DEP_4)
	v_or_b32_e32 v28, v30, v28
	v_lshlrev_b16 v30, 8, v36
	v_perm_b32 v38, v38, v147, 0xc05000c
	v_lshrrev_b32_e32 v36, 24, v20
	v_or_b32_e32 v139, v151, v139
	v_dot4_i32_iu8 v28, v136, v28, v146 neg_lo:[1,1,0]
	v_perm_b32 v30, v30, v30, 0xc0c0c01
	s_delay_alu instid0(VALU_DEP_4) | instskip(SKIP_2) | instid1(VALU_DEP_4)
	v_sub_nc_u16 v22, v22, v36
	v_lshrrev_b32_e32 v36, 16, v144
	v_perm_b32 v139, v139, v153, 0xc05000c
	v_or_b32_e32 v30, v38, v30
	v_lshrrev_b32_e32 v38, 16, v20
	v_lshrrev_b16 v20, 8, v20
	v_lshlrev_b16 v22, 8, v22
	v_or_b32_e32 v32, v139, v32
	v_dot4_i32_iu8 v30, v136, v30, v138 neg_lo:[1,1,0]
	v_sub_nc_u16 v36, v36, v38
	v_lshrrev_b16 v38, 8, v144
	v_lshrrev_b32_e32 v138, 16, v141
	v_dot4_i32_iu8 v32, v136, v32, v152 neg_lo:[1,1,0]
	v_lshrrev_b32_e32 v136, 16, v24
	v_lshrrev_b16 v139, 8, v141
	v_sub_nc_u16 v20, v38, v20
	v_lshrrev_b32_e32 v38, 24, v24
	v_lshrrev_b16 v24, 8, v24
	s_delay_alu instid0(VALU_DEP_3) | instskip(NEXT) | instid1(VALU_DEP_3)
	v_lshlrev_b16 v20, 8, v20
	v_sub_nc_u16 v26, v26, v38
	v_lshrrev_b32_e32 v38, 16, v154
	s_delay_alu instid0(VALU_DEP_3) | instskip(NEXT) | instid1(VALU_DEP_3)
	v_perm_b32 v20, v20, v20, 0xc0c0c01
	v_lshlrev_b16 v26, 8, v26
	s_delay_alu instid0(VALU_DEP_3) | instskip(SKIP_1) | instid1(VALU_DEP_1)
	v_sub_nc_u16 v38, v38, v136
	v_lshrrev_b16 v136, 8, v154
	v_sub_nc_u16 v24, v136, v24
	v_lshrrev_b32_e32 v136, 24, v141
	s_delay_alu instid0(VALU_DEP_1) | instskip(SKIP_1) | instid1(VALU_DEP_2)
	v_sub_nc_u16 v34, v34, v136
	v_lshrrev_b32_e32 v136, 16, v155
	v_lshlrev_b16 v34, 8, v34
	s_delay_alu instid0(VALU_DEP_2) | instskip(SKIP_1) | instid1(VALU_DEP_1)
	v_sub_nc_u16 v136, v136, v138
	v_lshrrev_b16 v138, 8, v155
	v_sub_nc_u16 v138, v138, v139
	v_and_b32_e32 v139, 0xff, v36
	s_delay_alu instid0(VALU_DEP_1) | instskip(SKIP_1) | instid1(VALU_DEP_2)
	v_or_b32_e32 v22, v139, v22
	v_and_b32_e32 v139, 0xff, v38
	v_perm_b32 v22, v22, v36, 0xc05000c
	s_delay_alu instid0(VALU_DEP_2) | instskip(SKIP_1) | instid1(VALU_DEP_3)
	v_or_b32_e32 v26, v139, v26
	v_and_b32_e32 v139, 0xff, v136
	v_or_b32_e32 v20, v22, v20
	v_lshlrev_b16 v22, 8, v24
	s_delay_alu instid0(VALU_DEP_3) | instskip(SKIP_2) | instid1(VALU_DEP_4)
	v_or_b32_e32 v34, v139, v34
	v_lshlrev_b16 v24, 8, v138
	v_perm_b32 v26, v26, v38, 0xc05000c
	v_perm_b32 v22, v22, v22, 0xc0c0c01
	s_delay_alu instid0(VALU_DEP_4) | instskip(NEXT) | instid1(VALU_DEP_4)
	v_perm_b32 v34, v34, v136, 0xc05000c
	v_perm_b32 v24, v24, v24, 0xc0c0c01
	s_delay_alu instid0(VALU_DEP_3) | instskip(SKIP_1) | instid1(VALU_DEP_3)
	v_or_b32_e32 v22, v26, v22
	v_dot4_i32_iu8 v26, v135, v20, v148 neg_lo:[1,1,0]
	v_or_b32_e32 v24, v34, v24
	v_lshrrev_b16 v20, 8, v168
	v_bfe_i32 v34, v168, 0, 8
	v_dot4_i32_iu8 v22, v135, v22, v150 neg_lo:[1,1,0]
	s_delay_alu instid0(VALU_DEP_4) | instskip(NEXT) | instid1(VALU_DEP_4)
	v_dot4_i32_iu8 v24, v135, v24, v137 neg_lo:[1,1,0]
	v_bfe_i32 v36, v20, 0, 8
	s_delay_alu instid0(VALU_DEP_4) | instskip(SKIP_1) | instid1(VALU_DEP_2)
	v_mul_lo_u32 v20, v149, v34
	v_ashrrev_i32_e32 v34, s23, v140
	v_mad_co_u64_u32 v[135:136], null, v145, v36, v[20:21]
	v_ashrrev_i32_e32 v20, s23, v31
	v_ashrrev_i32_e32 v31, s18, v37
	v_ashrrev_i32_e32 v36, s23, v39
	v_ashrrev_i32_e32 v21, s18, v21
	s_delay_alu instid0(VALU_DEP_4) | instskip(NEXT) | instid1(VALU_DEP_4)
	v_and_b32_e32 v37, 0x3030303, v20
	v_lshlrev_b32_e32 v31, 2, v31
	v_bfe_u32 v20, v20, 24, 2
	s_delay_alu instid0(VALU_DEP_4) | instskip(NEXT) | instid1(VALU_DEP_4)
	v_lshlrev_b32_e32 v21, 2, v21
	v_sub_nc_u16 v38, v37, v29
	s_delay_alu instid0(VALU_DEP_4) | instskip(NEXT) | instid1(VALU_DEP_3)
	v_and_b32_e32 v31, 0x4040404, v31
	v_and_b32_e32 v21, 0x4040404, v21
	s_delay_alu instid0(VALU_DEP_3) | instskip(NEXT) | instid1(VALU_DEP_1)
	v_bfe_i32 v38, v38, 0, 8
	v_mad_i32_i24 v28, v134, v38, v28
	v_and_b32_e32 v38, 0x3030303, v34
	v_bfe_u32 v34, v34, 24, 2
	s_delay_alu instid0(VALU_DEP_2) | instskip(NEXT) | instid1(VALU_DEP_1)
	v_sub_nc_u16 v39, v38, v33
	v_bfe_i32 v39, v39, 0, 8
	s_delay_alu instid0(VALU_DEP_1) | instskip(SKIP_2) | instid1(VALU_DEP_2)
	v_mad_i32_i24 v32, v134, v39, v32
	v_and_b32_e32 v39, 0x3030303, v36
	v_bfe_u32 v36, v36, 24, 2
	v_sub_nc_u16 v136, v39, v31
	s_delay_alu instid0(VALU_DEP_1) | instskip(NEXT) | instid1(VALU_DEP_1)
	v_bfe_i32 v136, v136, 0, 8
	v_mad_i32_i24 v30, v134, v136, v30
	v_and_b32_e32 v136, 0x3030303, v23
	v_ashrrev_i32_e32 v134, s18, v142
	v_bfe_u32 v23, v23, 24, 2
	s_add_co_i32 s18, s18, 1
	s_cmp_lt_u32 s20, 30
	v_sub_nc_u16 v137, v136, v21
	v_lshlrev_b32_e32 v134, 2, v134
	s_delay_alu instid0(VALU_DEP_2) | instskip(NEXT) | instid1(VALU_DEP_2)
	v_bfe_i32 v137, v137, 0, 8
	v_and_b32_e32 v134, 0x4040404, v134
	s_delay_alu instid0(VALU_DEP_2) | instskip(SKIP_2) | instid1(VALU_DEP_2)
	v_mad_i32_i24 v26, v133, v137, v26
	v_and_b32_e32 v137, 0x3030303, v27
	v_bfe_u32 v27, v27, 24, 2
	v_sub_nc_u16 v138, v137, v25
	s_delay_alu instid0(VALU_DEP_1) | instskip(NEXT) | instid1(VALU_DEP_1)
	v_bfe_i32 v138, v138, 0, 8
	v_mad_i32_i24 v22, v133, v138, v22
	v_and_b32_e32 v138, 0x3030303, v35
	s_delay_alu instid0(VALU_DEP_1) | instskip(NEXT) | instid1(VALU_DEP_1)
	v_sub_nc_u16 v139, v138, v134
	v_bfe_i32 v139, v139, 0, 8
	s_delay_alu instid0(VALU_DEP_1) | instskip(SKIP_3) | instid1(VALU_DEP_3)
	v_mad_i32_i24 v24, v133, v139, v24
	v_lshrrev_b32_e32 v133, 24, v29
	v_lshrrev_b32_e32 v139, 16, v29
	v_lshrrev_b16 v29, 8, v29
	v_sub_nc_u16 v20, v20, v133
	v_lshrrev_b32_e32 v133, 16, v37
	v_lshrrev_b16 v37, 8, v37
	s_delay_alu instid0(VALU_DEP_3) | instskip(NEXT) | instid1(VALU_DEP_3)
	v_lshlrev_b16 v20, 8, v20
	v_sub_nc_u16 v133, v133, v139
	s_delay_alu instid0(VALU_DEP_3) | instskip(SKIP_3) | instid1(VALU_DEP_4)
	v_sub_nc_u16 v29, v37, v29
	v_lshrrev_b32_e32 v37, 24, v31
	v_lshrrev_b32_e32 v139, 16, v31
	v_lshrrev_b16 v31, 8, v31
	v_lshlrev_b16 v29, 8, v29
	s_delay_alu instid0(VALU_DEP_4) | instskip(SKIP_2) | instid1(VALU_DEP_4)
	v_sub_nc_u16 v36, v36, v37
	v_lshrrev_b32_e32 v37, 16, v39
	v_lshrrev_b16 v39, 8, v39
	v_perm_b32 v29, v29, v29, 0xc0c0c01
	s_delay_alu instid0(VALU_DEP_4) | instskip(NEXT) | instid1(VALU_DEP_4)
	v_lshlrev_b16 v36, 8, v36
	v_sub_nc_u16 v37, v37, v139
	s_delay_alu instid0(VALU_DEP_4) | instskip(SKIP_3) | instid1(VALU_DEP_3)
	v_sub_nc_u16 v31, v39, v31
	v_lshrrev_b32_e32 v39, 24, v33
	v_lshrrev_b32_e32 v139, 16, v33
	v_lshrrev_b16 v33, 8, v33
	v_sub_nc_u16 v34, v34, v39
	v_lshrrev_b32_e32 v39, 16, v38
	v_lshrrev_b16 v38, 8, v38
	s_delay_alu instid0(VALU_DEP_3) | instskip(NEXT) | instid1(VALU_DEP_3)
	v_lshlrev_b16 v34, 8, v34
	v_sub_nc_u16 v39, v39, v139
	s_delay_alu instid0(VALU_DEP_3) | instskip(SKIP_1) | instid1(VALU_DEP_1)
	v_sub_nc_u16 v33, v38, v33
	v_and_b32_e32 v38, 0xff, v133
	v_or_b32_e32 v20, v38, v20
	v_and_b32_e32 v38, 0xff, v37
	s_delay_alu instid0(VALU_DEP_2) | instskip(NEXT) | instid1(VALU_DEP_2)
	v_perm_b32 v20, v20, v133, 0xc05000c
	v_or_b32_e32 v36, v38, v36
	v_and_b32_e32 v38, 0xff, v39
	s_delay_alu instid0(VALU_DEP_3) | instskip(SKIP_1) | instid1(VALU_DEP_3)
	v_or_b32_e32 v20, v20, v29
	v_lshlrev_b16 v29, 8, v31
	v_or_b32_e32 v34, v38, v34
	v_perm_b32 v36, v36, v37, 0xc05000c
	v_lshlrev_b16 v31, 8, v33
	v_dot4_i32_iu8 v20, v132, v20, v28 neg_lo:[1,1,0]
	v_perm_b32 v29, v29, v29, 0xc0c0c01
	v_perm_b32 v34, v34, v39, 0xc05000c
	v_lshrrev_b32_e32 v33, 24, v134
	v_perm_b32 v31, v31, v31, 0xc0c0c01
	s_delay_alu instid0(VALU_DEP_4) | instskip(NEXT) | instid1(VALU_DEP_2)
	v_or_b32_e32 v29, v36, v29
	v_or_b32_e32 v31, v34, v31
	v_lshrrev_b32_e32 v34, 16, v134
	s_delay_alu instid0(VALU_DEP_3) | instskip(SKIP_1) | instid1(VALU_DEP_4)
	v_dot4_i32_iu8 v29, v132, v29, v30 neg_lo:[1,1,0]
	v_lshrrev_b32_e32 v30, 24, v21
	v_dot4_i32_iu8 v28, v132, v31, v32 neg_lo:[1,1,0]
	v_lshrrev_b32_e32 v31, 16, v21
	v_lshrrev_b16 v21, 8, v21
	s_delay_alu instid0(VALU_DEP_4) | instskip(SKIP_2) | instid1(VALU_DEP_3)
	v_sub_nc_u16 v23, v23, v30
	v_lshrrev_b32_e32 v30, 16, v136
	v_lshrrev_b32_e32 v32, 16, v25
	v_lshlrev_b16 v23, 8, v23
	s_delay_alu instid0(VALU_DEP_3) | instskip(SKIP_1) | instid1(VALU_DEP_1)
	v_sub_nc_u16 v30, v30, v31
	v_lshrrev_b16 v31, 8, v136
	v_sub_nc_u16 v21, v31, v21
	v_lshrrev_b32_e32 v31, 24, v25
	v_lshrrev_b16 v25, 8, v25
	s_delay_alu instid0(VALU_DEP_3) | instskip(NEXT) | instid1(VALU_DEP_3)
	v_lshlrev_b16 v21, 8, v21
	v_sub_nc_u16 v27, v27, v31
	v_lshrrev_b32_e32 v31, 16, v137
	s_delay_alu instid0(VALU_DEP_3) | instskip(NEXT) | instid1(VALU_DEP_3)
	v_perm_b32 v21, v21, v21, 0xc0c0c01
	v_lshlrev_b16 v27, 8, v27
	s_delay_alu instid0(VALU_DEP_3) | instskip(SKIP_1) | instid1(VALU_DEP_1)
	v_sub_nc_u16 v31, v31, v32
	v_lshrrev_b16 v32, 8, v137
	v_sub_nc_u16 v25, v32, v25
	v_bfe_u32 v32, v35, 24, 2
	v_lshrrev_b16 v35, 8, v134
	s_delay_alu instid0(VALU_DEP_2) | instskip(SKIP_1) | instid1(VALU_DEP_2)
	v_sub_nc_u16 v32, v32, v33
	v_lshrrev_b32_e32 v33, 16, v138
	v_lshlrev_b16 v32, 8, v32
	s_delay_alu instid0(VALU_DEP_2) | instskip(SKIP_1) | instid1(VALU_DEP_1)
	v_sub_nc_u16 v33, v33, v34
	v_lshrrev_b16 v34, 8, v138
	v_sub_nc_u16 v34, v34, v35
	v_and_b32_e32 v35, 0xff, v30
	s_delay_alu instid0(VALU_DEP_1) | instskip(SKIP_1) | instid1(VALU_DEP_2)
	v_or_b32_e32 v23, v35, v23
	v_and_b32_e32 v35, 0xff, v31
	v_perm_b32 v23, v23, v30, 0xc05000c
	s_delay_alu instid0(VALU_DEP_2) | instskip(SKIP_1) | instid1(VALU_DEP_3)
	v_or_b32_e32 v27, v35, v27
	v_and_b32_e32 v35, 0xff, v33
	v_or_b32_e32 v21, v23, v21
	v_lshlrev_b16 v23, 8, v25
	s_delay_alu instid0(VALU_DEP_4) | instskip(NEXT) | instid1(VALU_DEP_4)
	v_perm_b32 v27, v27, v31, 0xc05000c
	v_or_b32_e32 v32, v35, v32
	v_lshlrev_b16 v25, 8, v34
	v_dot4_i32_iu8 v21, v131, v21, v26 neg_lo:[1,1,0]
	v_perm_b32 v23, v23, v23, 0xc0c0c01
	s_delay_alu instid0(VALU_DEP_4) | instskip(NEXT) | instid1(VALU_DEP_4)
	v_perm_b32 v30, v32, v33, 0xc05000c
	v_perm_b32 v25, v25, v25, 0xc0c0c01
	s_delay_alu instid0(VALU_DEP_3) | instskip(NEXT) | instid1(VALU_DEP_2)
	v_or_b32_e32 v23, v27, v23
	v_or_b32_e32 v25, v30, v25
	s_delay_alu instid0(VALU_DEP_2) | instskip(SKIP_1) | instid1(VALU_DEP_3)
	v_dot4_i32_iu8 v22, v131, v23, v22 neg_lo:[1,1,0]
	v_add_nc_u32_e32 v23, s19, v99
	v_dot4_i32_iu8 v24, v131, v25, v24 neg_lo:[1,1,0]
	v_add_nc_u32_e32 v25, s19, v97
	s_mov_b32 s19, s20
	ds_load_u16 v23, v23 offset:25330
	ds_load_u16 v25, v25 offset:27378
	s_wait_dscnt 0x1
	v_lshrrev_b16 v26, 8, v23
	v_bfe_i32 v23, v23, 0, 8
	s_delay_alu instid0(VALU_DEP_2) | instskip(NEXT) | instid1(VALU_DEP_2)
	v_bfe_i32 v26, v26, 0, 8
	v_mul_lo_u32 v20, v20, v23
	s_wait_dscnt 0x0
	v_bfe_i32 v23, v25, 0, 8
	v_lshrrev_b16 v25, 8, v25
	s_delay_alu instid0(VALU_DEP_3) | instskip(SKIP_2) | instid1(VALU_DEP_2)
	v_mad_co_u64_u32 v[20:21], null, v21, v26, v[20:21]
	v_lshrrev_b16 v21, 8, v167
	v_bfe_i32 v26, v167, 0, 8
	v_bfe_i32 v27, v21, 0, 8
	s_delay_alu instid0(VALU_DEP_2)
	v_mul_lo_u32 v21, v28, v26
	ds_load_b32 v26, v130
	v_cvt_f32_i32_e32 v20, v20
	v_add_nc_u32_e32 v130, 4, v130
	v_mad_co_u64_u32 v[21:22], null, v22, v27, v[21:22]
	v_mul_lo_u32 v22, v29, v23
	v_bfe_i32 v23, v25, 0, 8
	v_cvt_f32_i32_e32 v27, v135
	s_delay_alu instid0(VALU_DEP_4) | instskip(NEXT) | instid1(VALU_DEP_3)
	v_cvt_f32_i32_e32 v21, v21
	v_mad_co_u64_u32 v[22:23], null, v24, v23, v[22:23]
	s_wait_dscnt 0x0
	v_mul_f32_e32 v23, v26, v160
	v_mul_f32_e32 v24, v26, v166
	v_mul_f32_e32 v25, v26, v165
	v_mul_f32_e32 v26, v26, v164
	v_cvt_f32_i32_e32 v22, v22
	s_delay_alu instid0(VALU_DEP_4) | instskip(NEXT) | instid1(VALU_DEP_2)
	v_dual_fmac_f32 v42, v23, v20 :: v_dual_fmac_f32 v89, v24, v21
	v_dual_fmac_f32 v17, v26, v27 :: v_dual_fmac_f32 v88, v25, v22
	s_cbranch_scc1 .LBB210_35
; %bb.36:                               ;   in Loop: Header=BB210_5 Depth=1
	s_wait_loadcnt 0x0
	s_barrier_signal -1
	s_barrier_wait -1
	global_inv scope:SCOPE_SE
	s_branch .LBB210_4
.LBB210_37:
	s_mul_i32 s0, s10, s7
	s_wait_loadcnt 0x0
	s_wait_alu 0xfffe
	v_cmp_gt_i32_e32 vcc_lo, s0, v40
	s_and_saveexec_b32 s0, vcc_lo
	s_cbranch_execz .LBB210_46
; %bb.38:
	v_mul_lo_u32 v0, v40, s9
	v_add_nc_u32_e32 v1, s11, v41
	s_mov_b32 s0, exec_lo
	s_delay_alu instid0(VALU_DEP_1)
	v_cmpx_gt_u32_e64 s9, v1
	s_cbranch_execz .LBB210_40
; %bb.39:
	s_delay_alu instid0(VALU_DEP_3) | instskip(SKIP_1) | instid1(VALU_DEP_2)
	v_dual_mov_b32 v3, 0 :: v_dual_add_nc_u32 v2, v0, v1
	v_cvt_f16_f32_e32 v4, v42
	v_lshlrev_b64_e32 v[2:3], 1, v[2:3]
	s_delay_alu instid0(VALU_DEP_1) | instskip(SKIP_1) | instid1(VALU_DEP_2)
	v_add_co_u32 v2, vcc_lo, s12, v2
	s_wait_alu 0xfffd
	v_add_co_ci_u32_e64 v3, null, s13, v3, vcc_lo
	global_store_b16 v[2:3], v4, off
.LBB210_40:
	s_wait_alu 0xfffe
	s_or_b32 exec_lo, exec_lo, s0
	v_add_nc_u32_e32 v2, 32, v1
	s_mov_b32 s0, exec_lo
	s_delay_alu instid0(VALU_DEP_1)
	v_cmpx_gt_u32_e64 s9, v2
	s_cbranch_execz .LBB210_42
; %bb.41:
	v_dual_mov_b32 v3, 0 :: v_dual_add_nc_u32 v2, v0, v2
	v_cvt_f16_f32_e32 v4, v89
	s_delay_alu instid0(VALU_DEP_2) | instskip(NEXT) | instid1(VALU_DEP_1)
	v_lshlrev_b64_e32 v[2:3], 1, v[2:3]
	v_add_co_u32 v2, vcc_lo, s12, v2
	s_wait_alu 0xfffd
	s_delay_alu instid0(VALU_DEP_2)
	v_add_co_ci_u32_e64 v3, null, s13, v3, vcc_lo
	global_store_b16 v[2:3], v4, off
.LBB210_42:
	s_wait_alu 0xfffe
	s_or_b32 exec_lo, exec_lo, s0
	v_add_nc_u32_e32 v2, 64, v1
	s_mov_b32 s0, exec_lo
	s_delay_alu instid0(VALU_DEP_1)
	v_cmpx_gt_u32_e64 s9, v2
	s_cbranch_execz .LBB210_44
; %bb.43:
	v_dual_mov_b32 v3, 0 :: v_dual_add_nc_u32 v2, v0, v2
	v_cvt_f16_f32_e32 v4, v88
	s_delay_alu instid0(VALU_DEP_2) | instskip(NEXT) | instid1(VALU_DEP_1)
	v_lshlrev_b64_e32 v[2:3], 1, v[2:3]
	v_add_co_u32 v2, vcc_lo, s12, v2
	s_wait_alu 0xfffd
	s_delay_alu instid0(VALU_DEP_2)
	v_add_co_ci_u32_e64 v3, null, s13, v3, vcc_lo
	global_store_b16 v[2:3], v4, off
.LBB210_44:
	s_wait_alu 0xfffe
	s_or_b32 exec_lo, exec_lo, s0
	v_add_nc_u32_e32 v1, 0x60, v1
	s_delay_alu instid0(VALU_DEP_1)
	v_cmp_gt_u32_e32 vcc_lo, s9, v1
	s_and_b32 exec_lo, exec_lo, vcc_lo
	s_cbranch_execz .LBB210_46
; %bb.45:
	v_dual_mov_b32 v1, 0 :: v_dual_add_nc_u32 v0, v0, v1
	v_cvt_f16_f32_e32 v2, v17
	s_delay_alu instid0(VALU_DEP_2) | instskip(NEXT) | instid1(VALU_DEP_1)
	v_lshlrev_b64_e32 v[0:1], 1, v[0:1]
	v_add_co_u32 v0, vcc_lo, s12, v0
	s_wait_alu 0xfffd
	s_delay_alu instid0(VALU_DEP_2)
	v_add_co_ci_u32_e64 v1, null, s13, v1, vcc_lo
	global_store_b16 v[0:1], v2, off
.LBB210_46:
	s_nop 0
	s_sendmsg sendmsg(MSG_DEALLOC_VGPRS)
	s_endpgm
	.section	.rodata,"a",@progbits
	.p2align	6, 0x0
	.amdhsa_kernel _ZL8moe_q3_KIN3c104HalfELb1EEvPKvS3_PT_PKiS7_S7_iiiiiii
		.amdhsa_group_segment_fixed_size 31776
		.amdhsa_private_segment_fixed_size 0
		.amdhsa_kernarg_size 76
		.amdhsa_user_sgpr_count 2
		.amdhsa_user_sgpr_dispatch_ptr 0
		.amdhsa_user_sgpr_queue_ptr 0
		.amdhsa_user_sgpr_kernarg_segment_ptr 1
		.amdhsa_user_sgpr_dispatch_id 0
		.amdhsa_user_sgpr_private_segment_size 0
		.amdhsa_wavefront_size32 1
		.amdhsa_uses_dynamic_stack 0
		.amdhsa_enable_private_segment 0
		.amdhsa_system_sgpr_workgroup_id_x 1
		.amdhsa_system_sgpr_workgroup_id_y 1
		.amdhsa_system_sgpr_workgroup_id_z 0
		.amdhsa_system_sgpr_workgroup_info 0
		.amdhsa_system_vgpr_workitem_id 1
		.amdhsa_next_free_vgpr 229
		.amdhsa_next_free_sgpr 27
		.amdhsa_reserve_vcc 1
		.amdhsa_float_round_mode_32 0
		.amdhsa_float_round_mode_16_64 0
		.amdhsa_float_denorm_mode_32 3
		.amdhsa_float_denorm_mode_16_64 3
		.amdhsa_fp16_overflow 0
		.amdhsa_workgroup_processor_mode 1
		.amdhsa_memory_ordered 1
		.amdhsa_forward_progress 1
		.amdhsa_inst_pref_size 255
		.amdhsa_round_robin_scheduling 0
		.amdhsa_exception_fp_ieee_invalid_op 0
		.amdhsa_exception_fp_denorm_src 0
		.amdhsa_exception_fp_ieee_div_zero 0
		.amdhsa_exception_fp_ieee_overflow 0
		.amdhsa_exception_fp_ieee_underflow 0
		.amdhsa_exception_fp_ieee_inexact 0
		.amdhsa_exception_int_div_zero 0
	.end_amdhsa_kernel
	.section	.text._ZL8moe_q3_KIN3c104HalfELb1EEvPKvS3_PT_PKiS7_S7_iiiiiii,"axG",@progbits,_ZL8moe_q3_KIN3c104HalfELb1EEvPKvS3_PT_PKiS7_S7_iiiiiii,comdat
.Lfunc_end210:
	.size	_ZL8moe_q3_KIN3c104HalfELb1EEvPKvS3_PT_PKiS7_S7_iiiiiii, .Lfunc_end210-_ZL8moe_q3_KIN3c104HalfELb1EEvPKvS3_PT_PKiS7_S7_iiiiiii
                                        ; -- End function
	.set _ZL8moe_q3_KIN3c104HalfELb1EEvPKvS3_PT_PKiS7_S7_iiiiiii.num_vgpr, 229
	.set _ZL8moe_q3_KIN3c104HalfELb1EEvPKvS3_PT_PKiS7_S7_iiiiiii.num_agpr, 0
	.set _ZL8moe_q3_KIN3c104HalfELb1EEvPKvS3_PT_PKiS7_S7_iiiiiii.numbered_sgpr, 27
	.set _ZL8moe_q3_KIN3c104HalfELb1EEvPKvS3_PT_PKiS7_S7_iiiiiii.num_named_barrier, 0
	.set _ZL8moe_q3_KIN3c104HalfELb1EEvPKvS3_PT_PKiS7_S7_iiiiiii.private_seg_size, 0
	.set _ZL8moe_q3_KIN3c104HalfELb1EEvPKvS3_PT_PKiS7_S7_iiiiiii.uses_vcc, 1
	.set _ZL8moe_q3_KIN3c104HalfELb1EEvPKvS3_PT_PKiS7_S7_iiiiiii.uses_flat_scratch, 0
	.set _ZL8moe_q3_KIN3c104HalfELb1EEvPKvS3_PT_PKiS7_S7_iiiiiii.has_dyn_sized_stack, 0
	.set _ZL8moe_q3_KIN3c104HalfELb1EEvPKvS3_PT_PKiS7_S7_iiiiiii.has_recursion, 0
	.set _ZL8moe_q3_KIN3c104HalfELb1EEvPKvS3_PT_PKiS7_S7_iiiiiii.has_indirect_call, 0
	.section	.AMDGPU.csdata,"",@progbits
; Kernel info:
; codeLenInByte = 36500
; TotalNumSgprs: 29
; NumVgprs: 229
; ScratchSize: 0
; MemoryBound: 0
; FloatMode: 240
; IeeeMode: 1
; LDSByteSize: 31776 bytes/workgroup (compile time only)
; SGPRBlocks: 0
; VGPRBlocks: 28
; NumSGPRsForWavesPerEU: 29
; NumVGPRsForWavesPerEU: 229
; Occupancy: 6
; WaveLimiterHint : 1
; COMPUTE_PGM_RSRC2:SCRATCH_EN: 0
; COMPUTE_PGM_RSRC2:USER_SGPR: 2
; COMPUTE_PGM_RSRC2:TRAP_HANDLER: 0
; COMPUTE_PGM_RSRC2:TGID_X_EN: 1
; COMPUTE_PGM_RSRC2:TGID_Y_EN: 1
; COMPUTE_PGM_RSRC2:TGID_Z_EN: 0
; COMPUTE_PGM_RSRC2:TIDIG_COMP_CNT: 1
	.section	.text._ZL8moe_q4_KIN3c104HalfELb0EEvPKvS3_PT_PKiS7_S7_iiiiiii,"axG",@progbits,_ZL8moe_q4_KIN3c104HalfELb0EEvPKvS3_PT_PKiS7_S7_iiiiiii,comdat
	.globl	_ZL8moe_q4_KIN3c104HalfELb0EEvPKvS3_PT_PKiS7_S7_iiiiiii ; -- Begin function _ZL8moe_q4_KIN3c104HalfELb0EEvPKvS3_PT_PKiS7_S7_iiiiiii
	.p2align	8
	.type	_ZL8moe_q4_KIN3c104HalfELb0EEvPKvS3_PT_PKiS7_S7_iiiiiii,@function
_ZL8moe_q4_KIN3c104HalfELb0EEvPKvS3_PT_PKiS7_S7_iiiiiii: ; @_ZL8moe_q4_KIN3c104HalfELb0EEvPKvS3_PT_PKiS7_S7_iiiiiii
; %bb.0:
	s_load_b128 s[4:7], s[0:1], 0x18
	s_mov_b32 s2, ttmp7
	s_mov_b32 s3, 0
	s_delay_alu instid0(SALU_CYCLE_1)
	s_lshl_b64 s[2:3], s[2:3], 2
	s_wait_kmcnt 0x0
	s_add_nc_u64 s[2:3], s[6:7], s[2:3]
	s_load_b32 s12, s[2:3], 0x0
	s_wait_kmcnt 0x0
	s_cmp_gt_u32 s12, 0xff
	s_cbranch_scc1 .LBB211_30
; %bb.1:
	s_load_b64 s[2:3], s[0:1], 0x28
	s_wait_kmcnt 0x0
	s_load_b32 s3, s[2:3], 0x0
	s_lshl_b32 s2, ttmp7, 3
	s_wait_kmcnt 0x0
	s_cmp_gt_u32 s2, s3
	s_cbranch_scc1 .LBB211_30
; %bb.2:
	v_bfe_u32 v1, v0, 10, 10
	v_mov_b32_e32 v4, 0
	s_lshl_b32 s18, ttmp9, 7
	s_delay_alu instid0(VALU_DEP_2) | instskip(NEXT) | instid1(VALU_DEP_2)
	v_add_nc_u32_e32 v3, s2, v1
	v_dual_mov_b32 v19, v4 :: v_dual_and_b32 v18, 0x3ff, v0
	v_mov_b32_e32 v44, v4
	v_mov_b32_e32 v52, v4
	s_delay_alu instid0(VALU_DEP_4) | instskip(NEXT) | instid1(VALU_DEP_1)
	v_lshlrev_b64_e32 v[2:3], 2, v[3:4]
	v_add_co_u32 v2, vcc_lo, s4, v2
	s_delay_alu instid0(VALU_DEP_1)
	v_add_co_ci_u32_e64 v3, null, s5, v3, vcc_lo
	global_load_b32 v17, v[2:3], off
	s_clause 0x2
	s_load_b64 s[10:11], s[0:1], 0x30
	s_load_b64 s[8:9], s[0:1], 0x10
	s_load_b128 s[4:7], s[0:1], 0x3c
	s_wait_kmcnt 0x0
	s_cmp_lt_i32 s11, 0x100
	s_cbranch_scc1 .LBB211_21
; %bb.3:
	s_abs_i32 s17, s7
	v_lshlrev_b32_e32 v3, 3, v1
	v_bfe_u32 v4, v0, 2, 8
	s_wait_loadcnt 0x0
	v_sub_nc_u32_e32 v6, 0, v17
	s_cvt_f32_u32 s21, s17
	s_ashr_i32 s2, s11, 31
	v_dual_mov_b32 v19, 0 :: v_dual_lshlrev_b32 v2, 2, v18
	v_add_nc_u32_e32 v8, v4, v3
	v_add_nc_u16 v3, v4, v3
	v_max_i32_e32 v4, v17, v6
	v_rcp_iflag_f32_e32 v6, s21
	s_wait_alu 0xfffe
	s_lshr_b32 s2, s2, 24
	v_dual_mov_b32 v52, 0 :: v_dual_and_b32 v5, 3, v0
	s_wait_alu 0xfffe
	s_add_co_i32 s13, s11, s2
	s_load_b128 s[0:3], s[0:1], 0x0
	s_ashr_i32 s19, s13, 8
	v_and_b32_e32 v10, 4, v2
	v_cmp_lt_u32_e32 vcc_lo, 1, v5
	v_lshlrev_b32_e32 v23, 5, v1
	v_readfirstlane_b32 s23, v6
	s_lshl_b32 s16, s19, 3
	s_ashr_i32 s13, s5, 31
	v_mad_i32_i24 v20, s19, v1, s16
	s_wait_alu 0xfffd
	v_cndmask_b32_e32 v34, 0, v10, vcc_lo
	v_add_nc_u32_e32 v7, v23, v18
	s_mul_f32 s23, s23, 0x4f7ffffe
	s_lshr_b32 s20, s13, 27
	v_add_nc_u32_e32 v22, s16, v20
	s_mul_i32 s12, s12, s10
	s_wait_alu 0xfffe
	s_add_co_i32 s5, s5, s20
	s_mul_i32 s20, s19, s18
	v_and_b32_e32 v12, 0x7f, v7
	v_lshrrev_b32_e32 v7, 3, v7
	s_cvt_u32_f32 s23, s23
	s_ashr_i32 s13, s12, 31
	s_sub_co_i32 s22, 0, s17
	s_wait_alu 0xfffe
	s_ashr_i32 s21, s20, 31
	v_add_nc_u32_e32 v24, s16, v22
	v_add_nc_u32_e32 v9, 0xfe, v5
	s_wait_alu 0xfffe
	s_mul_u64 s[20:21], s[20:21], 0x90
	s_wait_kmcnt 0x0
	s_add_nc_u64 s[0:1], s[0:1], s[12:13]
	s_mul_i32 s22, s22, s23
	v_mul_i32_i24_e32 v37, s19, v12
	v_and_b32_e32 v7, 12, v7
	v_lshlrev_b32_e32 v12, 2, v12
	s_wait_alu 0xfffe
	s_add_nc_u64 s[12:13], s[0:1], s[20:21]
	s_mul_hi_u32 s0, s23, s22
	v_and_b32_e32 v9, 0xff, v9
	s_add_co_i32 s23, s23, s0
	v_cndmask_b32_e64 v10, 0, 1, vcc_lo
	v_cmp_gt_u32_e32 vcc_lo, 2, v5
	v_add_nc_u32_e32 v25, s16, v24
	v_add3_u32 v40, v12, v7, 0x4e40
	v_mul_hi_u32 v12, v4, s23
	v_lshlrev_b32_e32 v11, 2, v5
	v_and_b32_e32 v8, 0x7f, v8
	s_wait_alu 0xfffd
	v_cndmask_b32_e32 v6, v9, v5, vcc_lo
	v_add_nc_u32_e32 v26, s16, v25
	v_cmp_ne_u32_e32 vcc_lo, 0, v5
	v_mov_b32_e32 v44, 0
	v_lshl_or_b32 v9, v8, 4, v11
	v_xor_b32_e32 v13, 64, v8
	v_mul_i32_i24_e32 v45, s19, v8
	v_mul_lo_u32 v8, v12, s17
	v_add_nc_u32_e32 v29, s16, v26
	v_bfe_u32 v21, v0, 5, 5
	s_wait_alu 0xfffd
	v_add_co_ci_u32_e64 v7, null, 0, v6, vcc_lo
	v_lshlrev_b32_e32 v43, 1, v6
	v_add_nc_u32_e32 v30, s16, v29
	v_and_b32_e32 v6, 31, v0
	v_lshl_add_u32 v47, v1, 7, 0x4a40
	v_sub_nc_u32_e32 v4, v4, v8
	v_lshrrev_b16 v3, 1, v3
	v_add_nc_u32_e32 v31, s16, v30
	v_add_nc_u32_e32 v8, 1, v12
	v_lshl_add_u32 v50, v6, 2, v47
	v_lshlrev_b32_e32 v6, 2, v21
	v_bfe_u32 v51, v0, 3, 7
	v_subrev_nc_u32_e32 v0, s17, v4
	v_cmp_le_u32_e32 vcc_lo, s17, v4
	v_add_nc_u32_e32 v33, s16, v31
	v_and_b32_e32 v27, 0x7c, v2
	v_and_b32_e32 v3, 60, v3
	v_add3_u32 v53, v6, v2, 0x4e40
	s_wait_alu 0xfffd
	v_cndmask_b32_e32 v6, v12, v8, vcc_lo
	v_dual_cndmask_b32 v0, v4, v0 :: v_dual_add_nc_u32 v35, s16, v33
	v_add3_u32 v46, v9, v3, 0x4200
	v_lshl_or_b32 v3, v13, 4, v11
	v_xor_b32_e32 v11, s7, v17
	v_add_nc_u32_e32 v4, 1, v6
	v_cmp_le_u32_e32 vcc_lo, s17, v0
	v_add_nc_u32_e32 v36, s16, v35
	v_add_nc_u32_e32 v8, 32, v18
	v_ashrrev_i32_e32 v11, 31, v11
	v_lshrrev_b32_e32 v5, 1, v13
	s_wait_alu 0xfffd
	v_cndmask_b32_e32 v0, v6, v4, vcc_lo
	v_add_nc_u32_e32 v38, s16, v36
	v_add_nc_u32_e32 v9, 64, v18
	v_lshrrev_b32_e32 v54, 3, v8
	v_add_nc_u32_e32 v12, 0x60, v18
	v_xor_b32_e32 v0, v0, v11
	v_and_b32_e32 v5, 60, v5
	v_add_nc_u32_e32 v39, s16, v38
	v_mul_i32_i24_e32 v48, s19, v13
	v_lshrrev_b32_e32 v4, 3, v9
	v_and_b32_e32 v6, 60, v54
	v_lshrrev_b32_e32 v13, 3, v12
	v_sub_nc_u32_e32 v0, v0, v11
	v_add3_u32 v49, v3, v5, 0x4200
	v_and_b32_e32 v5, 28, v2
	v_mad_u32_u24 v28, 0x84, v1, v2
	s_ashr_i32 s5, s5, 5
	v_mul_i32_i24_e32 v32, s19, v1
	v_add_nc_u32_e32 v41, s16, v39
	v_add_nc_u32_e32 v3, 0x5050, v2
	v_lshlrev_b32_e32 v1, 4, v1
	v_lshlrev_b32_e32 v8, 2, v8
	v_and_b32_e32 v14, 60, v4
	v_add3_u32 v55, v2, v6, 0x4e40
	v_and_b32_e32 v6, 60, v13
	v_lshlrev_b32_e32 v9, 2, v9
	v_lshlrev_b32_e32 v11, 2, v12
	s_movk_i32 s10, 0x1080
	s_wait_alu 0xfffe
	v_mul_lo_u32 v59, v0, s5
	s_movk_i32 s14, 0x2100
	s_movk_i32 s15, 0x3180
	v_cmp_gt_u32_e64 s0, 4, v18
	v_mad_u32_u24 v58, 0x84, v18, s10
	v_cmp_gt_i32_e64 s1, s4, v0
	v_add_co_u32 v5, s10, s2, v5
	v_add_nc_u32_e32 v42, s16, v41
	v_add3_u32 v56, v2, v14, 0x4e40
	v_add3_u32 v57, v2, v6, 0x4e40
	v_mad_u32_u24 v60, 0x84, v18, s14
	v_mad_u32_u24 v61, 0x84, v18, s15
	s_wait_alu 0xf1ff
	v_add_co_ci_u32_e64 v6, null, s3, 0, s10
	v_add_nc_u32_e32 v62, 0x5050, v1
	v_lshlrev_b32_e32 v63, 2, v13
	v_lshlrev_b32_e32 v64, 2, v4
	;; [unrolled: 1-line block ×5, first 2 shown]
	v_add_nc_u32_e32 v68, v3, v1
	v_lshlrev_b32_e32 v69, 2, v2
	v_lshlrev_b32_e32 v70, 2, v8
	;; [unrolled: 1-line block ×4, first 2 shown]
	v_mov_b32_e32 v4, 0
	s_mov_b32 s15, 0
	s_and_b32 s10, s0, s1
	s_wait_alu 0xfffe
	s_mov_b32 s14, s15
	s_branch .LBB211_5
.LBB211_4:                              ;   in Loop: Header=BB211_5 Depth=1
	s_add_co_i32 s14, s14, 1
	s_wait_alu 0xfffe
	s_cmp_eq_u32 s14, s19
	s_cbranch_scc1 .LBB211_21
.LBB211_5:                              ; =>This Loop Header: Depth=1
                                        ;     Child Loop BB211_11 Depth 2
                                        ;     Child Loop BB211_19 Depth 2
	s_wait_alu 0xfffe
	s_mul_u64 s[16:17], s[14:15], 0x90
	v_add_nc_u32_e32 v93, 0x39c0, v28
	s_wait_alu 0xfffe
	s_add_nc_u64 s[16:17], s[12:13], s[16:17]
	v_add_nc_u32_e32 v94, 0x3de0, v28
	s_wait_alu 0xfffe
	v_mad_co_u64_u32 v[0:1], null, 0x90, v21, s[16:17]
	v_add_nc_u32_e32 v91, 0x3180, v28
	v_add_nc_u32_e32 v92, 0x35a0, v28
	s_delay_alu instid0(VALU_DEP_3) | instskip(SKIP_3) | instid1(VALU_DEP_4)
	v_mad_co_u64_u32 v[2:3], null, 0x90, v32, v[0:1]
	v_mad_co_u64_u32 v[7:8], null, 0x90, v20, v[0:1]
	;; [unrolled: 1-line block ×4, first 2 shown]
	v_add_co_u32 v2, vcc_lo, v2, v27
	v_mad_co_u64_u32 v[13:14], null, 0x90, v25, v[0:1]
	s_wait_alu 0xfffd
	v_add_co_ci_u32_e64 v3, null, 0, v3, vcc_lo
	v_add_co_u32 v7, vcc_lo, v7, v27
	v_mad_co_u64_u32 v[15:16], null, 0x90, v26, v[0:1]
	s_wait_alu 0xfffd
	v_add_co_ci_u32_e64 v8, null, 0, v8, vcc_lo
	v_add_co_u32 v9, vcc_lo, v9, v27
	v_mad_co_u64_u32 v[73:74], null, 0x90, v29, v[0:1]
	s_wait_alu 0xfffd
	v_add_co_ci_u32_e64 v10, null, 0, v10, vcc_lo
	v_add_co_u32 v11, vcc_lo, v11, v27
	v_mad_co_u64_u32 v[75:76], null, 0x90, v30, v[0:1]
	s_wait_alu 0xfffd
	v_add_co_ci_u32_e64 v12, null, 0, v12, vcc_lo
	v_add_co_u32 v13, vcc_lo, v13, v27
	s_wait_alu 0xfffd
	v_add_co_ci_u32_e64 v14, null, 0, v14, vcc_lo
	v_add_co_u32 v15, vcc_lo, v15, v27
	s_wait_alu 0xfffd
	v_add_co_ci_u32_e64 v16, null, 0, v16, vcc_lo
	;; [unrolled: 3-line block ×3, first 2 shown]
	v_add_co_u32 v75, vcc_lo, v75, v27
	v_mad_co_u64_u32 v[77:78], null, 0x90, v31, v[0:1]
	s_wait_alu 0xfffd
	v_add_co_ci_u32_e64 v76, null, 0, v76, vcc_lo
	s_clause 0x7
	global_load_b32 v83, v[2:3], off offset:16
	global_load_b32 v84, v[7:8], off offset:16
	;; [unrolled: 1-line block ×8, first 2 shown]
	v_mad_co_u64_u32 v[2:3], null, 0x90, v33, v[0:1]
	v_mad_co_u64_u32 v[9:10], null, 0x90, v35, v[0:1]
	;; [unrolled: 1-line block ×3, first 2 shown]
	v_add_co_u32 v7, vcc_lo, v77, v27
	v_mad_co_u64_u32 v[13:14], null, 0x90, v38, v[0:1]
	s_wait_alu 0xfffd
	v_add_co_ci_u32_e64 v8, null, 0, v78, vcc_lo
	v_add_co_u32 v2, vcc_lo, v2, v27
	v_mad_co_u64_u32 v[73:74], null, 0x90, v45, s[16:17]
	s_wait_alu 0xfffd
	v_add_co_ci_u32_e64 v3, null, 0, v3, vcc_lo
	v_add_co_u32 v9, vcc_lo, v9, v27
	s_wait_alu 0xfffd
	v_add_co_ci_u32_e64 v10, null, 0, v10, vcc_lo
	v_add_co_u32 v11, vcc_lo, v11, v27
	v_mad_co_u64_u32 v[77:78], null, 0x90, v48, s[16:17]
	s_wait_alu 0xfffd
	v_add_co_ci_u32_e64 v12, null, 0, v12, vcc_lo
	v_add_co_u32 v13, vcc_lo, v13, v27
	s_wait_alu 0xfffd
	v_add_co_ci_u32_e64 v14, null, 0, v14, vcc_lo
	v_add_co_u32 v79, vcc_lo, v73, v66
	;; [unrolled: 3-line block ×4, first 2 shown]
	v_mad_co_u64_u32 v[15:16], null, 0x90, v39, v[0:1]
	s_wait_alu 0xfffd
	v_add_co_ci_u32_e64 v82, null, 0, v78, vcc_lo
	v_add_co_u32 v77, vcc_lo, v77, v67
	v_mad_co_u64_u32 v[75:76], null, 0x90, v41, v[0:1]
	s_wait_alu 0xfffd
	v_add_co_ci_u32_e64 v78, null, 0, v78, vcc_lo
	v_mad_co_u64_u32 v[0:1], null, 0x90, v42, v[0:1]
	s_clause 0x3
	global_load_b32 v79, v[79:80], off offset:4
	global_load_b32 v80, v[81:82], off offset:4
	;; [unrolled: 1-line block ×4, first 2 shown]
	v_add_co_u32 v15, vcc_lo, v15, v27
	s_wait_alu 0xfffd
	v_add_co_ci_u32_e64 v16, null, 0, v16, vcc_lo
	v_add_co_u32 v73, vcc_lo, v75, v27
	s_wait_alu 0xfffd
	v_add_co_ci_u32_e64 v74, null, 0, v76, vcc_lo
	v_add_co_u32 v0, vcc_lo, v0, v27
	s_wait_alu 0xfffd
	v_add_co_ci_u32_e64 v1, null, 0, v1, vcc_lo
	v_mad_co_u64_u32 v[75:76], null, 0x90, v37, s[16:17]
	s_clause 0x8
	global_load_b32 v7, v[7:8], off offset:16
	global_load_b32 v2, v[2:3], off offset:16
	global_load_b32 v3, v[9:10], off offset:16
	global_load_b32 v8, v[11:12], off offset:16
	global_load_b32 v9, v[13:14], off offset:16
	global_load_b32 v10, v[15:16], off offset:16
	global_load_b32 v11, v[73:74], off offset:16
	global_load_b32 v0, v[0:1], off offset:16
	global_load_b32 v1, v[75:76], off
	v_add_nc_u32_e32 v12, 0x420, v28
	v_add_nc_u32_e32 v13, 0x840, v28
	s_lshl_b32 s16, s14, 8
	v_add_nc_u32_e32 v14, 0xc60, v28
	v_add_nc_u32_e32 v15, 0x1080, v28
	;; [unrolled: 1-line block ×9, first 2 shown]
	s_wait_alu 0xfffe
	s_cmp_lt_i32 s16, s11
	s_wait_loadcnt 0x14
	ds_store_b32 v28, v83
	s_wait_loadcnt 0x13
	ds_store_b32 v12, v84
	;; [unrolled: 2-line block ×14, first 2 shown]
	v_ashrrev_i32_e32 v79, v34, v79
	v_ashrrev_i32_e32 v80, v34, v80
	;; [unrolled: 1-line block ×4, first 2 shown]
	s_delay_alu instid0(VALU_DEP_4) | instskip(NEXT) | instid1(VALU_DEP_4)
	v_and_b32_e32 v79, 0xf0f0f0f, v79
	v_and_b32_e32 v80, 0xf0f0f0f, v80
	s_delay_alu instid0(VALU_DEP_2) | instskip(NEXT) | instid1(VALU_DEP_2)
	v_and_or_b32 v2, 0x30303030, v78, v79
	v_and_or_b32 v3, 0x30303030, v77, v80
	s_wait_loadcnt 0x2
	ds_store_b32 v93, v11
	s_wait_loadcnt 0x1
	ds_store_b32 v94, v0
	;; [unrolled: 2-line block ×3, first 2 shown]
	ds_store_b32 v46, v2
	ds_store_b32 v49, v3
	s_cbranch_scc0 .LBB211_4
; %bb.6:                                ;   in Loop: Header=BB211_5 Depth=1
	s_lshl_b32 s17, s14, 3
	s_wait_alu 0xfffe
	v_add_nc_u32_e32 v0, s17, v51
	s_delay_alu instid0(VALU_DEP_1)
	v_cmp_gt_i32_e32 vcc_lo, s5, v0
	s_and_b32 s21, s1, vcc_lo
	s_wait_alu 0xfffe
	s_and_saveexec_b32 s20, s21
	s_cbranch_execz .LBB211_8
; %bb.7:                                ;   in Loop: Header=BB211_5 Depth=1
	v_add_nc_u32_e32 v0, v59, v0
	s_delay_alu instid0(VALU_DEP_1)
	v_mad_co_i64_i32 v[0:1], null, v0, 36, v[5:6]
	global_load_b32 v0, v[0:1], off offset:4
	s_wait_loadcnt 0x0
	ds_store_b32 v50, v0
.LBB211_8:                              ;   in Loop: Header=BB211_5 Depth=1
	s_wait_alu 0xfffe
	s_or_b32 exec_lo, exec_lo, s20
	v_add_nc_u32_e32 v73, s17, v18
	s_delay_alu instid0(VALU_DEP_1)
	v_cmp_gt_i32_e32 vcc_lo, s5, v73
	s_and_b32 s21, s10, vcc_lo
	s_wait_alu 0xfffe
	s_and_saveexec_b32 s20, s21
	s_cbranch_execz .LBB211_10
; %bb.9:                                ;   in Loop: Header=BB211_5 Depth=1
	v_add_nc_u32_e32 v0, v59, v73
	s_delay_alu instid0(VALU_DEP_1)
	v_mad_co_i64_i32 v[0:1], null, v0, 36, s[2:3]
	global_load_b32 v0, v[0:1], off
	s_wait_loadcnt 0x0
	ds_store_b32 v68, v0
.LBB211_10:                             ;   in Loop: Header=BB211_5 Depth=1
	s_wait_alu 0xfffe
	s_or_b32 exec_lo, exec_lo, s20
	s_wait_dscnt 0x0
	s_barrier_signal -1
	s_barrier_wait -1
	global_inv scope:SCOPE_SE
	ds_load_b32 v0, v53
	ds_load_b32 v1, v55 offset:128
	ds_load_b32 v2, v56 offset:256
	ds_load_b32 v3, v57 offset:384
	s_mov_b32 s21, 0
	s_mov_b32 s20, -1
	s_wait_dscnt 0x3
	v_cvt_f32_f16_e32 v74, v0
	v_lshrrev_b32_e32 v0, 16, v0
	s_wait_dscnt 0x2
	v_cvt_f32_f16_e32 v75, v1
	v_lshrrev_b32_e32 v1, 16, v1
	s_wait_dscnt 0x1
	v_lshrrev_b32_e32 v7, 16, v2
	s_wait_dscnt 0x0
	v_lshrrev_b32_e32 v8, 16, v3
	v_cvt_f32_f16_e32 v76, v2
	v_cvt_f32_f16_e32 v77, v0
	;; [unrolled: 1-line block ×6, first 2 shown]
.LBB211_11:                             ;   Parent Loop BB211_5 Depth=1
                                        ; =>  This Inner Loop Header: Depth=2
	s_wait_alu 0xfffe
	v_lshl_or_b32 v82, s21, 1, v23
	s_lshr_b32 s22, s21, 2
	s_lshl_b32 s23, s21, 2
	s_wait_alu 0xfffe
	s_add_co_i32 s21, s22, 0x4200
	v_add_nc_u32_e32 v104, s23, v58
	v_lshlrev_b32_e32 v0, 2, v82
	s_wait_alu 0xfffe
	v_add3_u32 v138, s21, v65, v70
	v_add_nc_u32_e32 v146, s23, v61
	v_add3_u32 v139, s21, v63, v72
	s_and_b32 vcc_lo, exec_lo, s20
	ds_load_b128 v[7:10], v0 offset:19008
	ds_load_b128 v[11:14], v0 offset:19024
	s_mov_b32 s20, 0
	s_wait_dscnt 0x1
	v_lshrrev_b16 v15, 8, v7
	v_lshrrev_b16 v149, 8, v8
	v_lshrrev_b16 v150, 8, v9
	v_lshrrev_b16 v140, 8, v10
	v_ashrrev_i32_e32 v155, 24, v7
	v_bfe_i32 v157, v7, 16, 8
	v_bfe_i32 v160, v7, 0, 8
	v_ashrrev_i32_e32 v134, 24, v8
	v_bfe_i32 v135, v8, 16, 8
	v_bfe_i32 v148, v8, 0, 8
	;; [unrolled: 3-line block ×4, first 2 shown]
	ds_load_b128 v[7:10], v0 offset:19040
	ds_load_b128 v[0:3], v0 offset:19056
	s_wait_dscnt 0x2
	v_lshrrev_b16 v142, 8, v11
	v_lshrrev_b16 v128, 8, v12
	v_ashrrev_i32_e32 v106, 24, v11
	v_bfe_i32 v107, v11, 16, 8
	v_bfe_i32 v110, v11, 0, 8
	v_ashrrev_i32_e32 v99, 24, v12
	v_bfe_i32 v100, v12, 16, 8
	v_bfe_i32 v103, v12, 0, 8
	;; [unrolled: 1-line block ×3, first 2 shown]
	v_lshrrev_b16 v129, 8, v13
	v_lshrrev_b16 v123, 8, v14
	v_ashrrev_i32_e32 v92, 24, v13
	v_bfe_i32 v93, v13, 16, 8
	v_bfe_i32 v97, v13, 0, 8
	v_ashrrev_i32_e32 v83, 24, v14
	v_bfe_i32 v84, v14, 16, 8
	v_bfe_i32 v89, v14, 0, 8
	;; [unrolled: 1-line block ×3, first 2 shown]
	s_wait_dscnt 0x1
	v_lshrrev_b16 v158, 8, v7
	s_wait_dscnt 0x0
	v_lshrrev_b16 v132, 8, v0
	v_ashrrev_i32_e32 v108, 24, v0
	v_bfe_i32 v109, v0, 16, 8
	v_bfe_i32 v111, v0, 0, 8
	v_lshlrev_b32_e32 v0, 2, v51
	v_lshrrev_b16 v125, 8, v1
	v_ashrrev_i32_e32 v101, 24, v1
	v_bfe_i32 v102, v1, 16, 8
	v_bfe_i32 v105, v1, 0, 8
	v_add3_u32 v85, s21, v0, v69
	v_mul_u32_u24_e32 v0, 0x84, v18
	v_lshrrev_b16 v126, 8, v2
	v_ashrrev_i32_e32 v95, 24, v2
	v_bfe_i32 v96, v2, 16, 8
	v_bfe_i32 v98, v2, 0, 8
	v_add_nc_u32_e32 v133, s23, v0
	ds_load_u16 v87, v85 offset:8
	ds_load_2addr_b32 v[11:12], v133 offset1:1
	v_lshrrev_b16 v122, 8, v3
	v_ashrrev_i32_e32 v86, 24, v3
	v_bfe_i32 v88, v3, 16, 8
	v_bfe_i32 v91, v3, 0, 8
	v_ashrrev_i32_e32 v151, 24, v7
	v_bfe_i32 v152, v7, 16, 8
	v_bfe_i32 v153, v7, 0, 8
	v_lshrrev_b16 v145, 8, v8
	v_ashrrev_i32_e32 v136, 24, v8
	v_bfe_i32 v137, v8, 16, 8
	v_bfe_i32 v144, v8, 0, 8
	v_lshrrev_b16 v143, 8, v9
	;; [unrolled: 4-line block ×3, first 2 shown]
	v_ashrrev_i32_e32 v114, 24, v10
	v_bfe_i32 v115, v10, 16, 8
	v_bfe_i32 v117, v10, 0, 8
	s_wait_dscnt 0x0
	v_and_b32_e32 v0, 15, v11
	v_bfe_u32 v1, v11, 8, 4
	v_bfe_u32 v2, v11, 24, 4
	v_bfe_i32 v158, v158, 0, 8
	v_bfe_i32 v150, v150, 0, 8
	v_mul_i32_i24_e32 v0, v160, v0
	v_bfe_i32 v145, v145, 0, 8
	v_mul_i32_i24_e32 v2, v155, v2
	v_bfe_i32 v143, v143, 0, 8
	v_bfe_i32 v140, v140, 0, 8
	v_mad_i32_i24 v0, v156, v1, v0
	v_bfe_u32 v1, v11, 16, 4
	v_bfe_i32 v142, v142, 0, 8
	v_bfe_i32 v130, v130, 0, 8
	;; [unrolled: 1-line block ×4, first 2 shown]
	v_mul_i32_i24_e32 v1, v157, v1
	v_bfe_i32 v123, v123, 0, 8
	s_delay_alu instid0(VALU_DEP_2)
	v_add3_u32 v154, v0, v1, v2
	ds_load_2addr_b32 v[2:3], v104 offset0:2 offset1:3
	ds_load_2addr_b32 v[0:1], v104 offset0:4 offset1:5
	ds_load_u16 v90, v138 offset:8
	ds_load_2addr_b32 v[13:14], v104 offset1:1
	s_wait_dscnt 0x0
	v_and_b32_e32 v7, 15, v13
	v_bfe_u32 v8, v13, 8, 4
	v_bfe_u32 v9, v13, 24, 4
	s_delay_alu instid0(VALU_DEP_3) | instskip(NEXT) | instid1(VALU_DEP_2)
	v_mul_i32_i24_e32 v7, v160, v7
	v_mul_i32_i24_e32 v9, v155, v9
	s_delay_alu instid0(VALU_DEP_2) | instskip(SKIP_1) | instid1(VALU_DEP_1)
	v_mad_i32_i24 v7, v156, v8, v7
	v_bfe_u32 v8, v13, 16, 4
	v_mul_i32_i24_e32 v8, v157, v8
	s_delay_alu instid0(VALU_DEP_1)
	v_add3_u32 v159, v7, v8, v9
	ds_load_2addr_b32 v[9:10], v146 offset0:2 offset1:3
	ds_load_2addr_b32 v[7:8], v146 offset0:4 offset1:5
	ds_load_u16 v94, v139 offset:8
	ds_load_2addr_b32 v[15:16], v146 offset1:1
	s_wait_dscnt 0x0
	v_and_b32_e32 v131, 15, v16
	v_and_b32_e32 v141, 15, v15
	v_bfe_u32 v165, v15, 16, 4
	v_bfe_u32 v166, v15, 24, 4
	v_lshrrev_b32_e32 v167, 28, v15
	v_mul_i32_i24_e32 v131, v131, v148
	s_delay_alu instid0(VALU_DEP_1)
	v_mad_i32_i24 v163, v141, v160, v131
	v_add3_u32 v131, s21, v64, v71
	v_add_nc_u32_e32 v141, s23, v60
	ds_load_u16 v147, v131 offset:8
	ds_load_2addr_b32 v[161:162], v141 offset1:1
	s_mov_b32 s21, 8
	s_wait_dscnt 0x0
	v_and_b32_e32 v164, 15, v161
	s_delay_alu instid0(VALU_DEP_1) | instskip(SKIP_1) | instid1(VALU_DEP_1)
	v_mul_i32_i24_e32 v160, v160, v164
	v_bfe_u32 v164, v16, 16, 4
	v_mul_i32_i24_e32 v164, v164, v135
	s_delay_alu instid0(VALU_DEP_1) | instskip(SKIP_1) | instid1(VALU_DEP_1)
	v_mad_i32_i24 v164, v165, v157, v164
	v_bfe_u32 v165, v161, 16, 4
	v_mul_i32_i24_e32 v157, v157, v165
	v_bfe_u32 v165, v16, 24, 4
	s_delay_alu instid0(VALU_DEP_1) | instskip(NEXT) | instid1(VALU_DEP_1)
	v_mul_i32_i24_e32 v165, v165, v134
	v_mad_i32_i24 v165, v166, v155, v165
	v_bfe_u32 v166, v161, 24, 4
	s_delay_alu instid0(VALU_DEP_1) | instskip(SKIP_1) | instid1(VALU_DEP_1)
	v_mul_i32_i24_e32 v155, v155, v166
	v_bfe_u32 v166, v161, 8, 4
	v_mad_i32_i24 v160, v156, v166, v160
	v_bfe_u32 v166, v15, 20, 4
	s_delay_alu instid0(VALU_DEP_2) | instskip(SKIP_2) | instid1(VALU_DEP_2)
	v_add3_u32 v155, v160, v157, v155
	v_bfe_u32 v157, v9, 16, 4
	v_bfe_u32 v160, v10, 16, 4
	v_mul_i32_i24_e32 v157, v157, v119
	s_delay_alu instid0(VALU_DEP_2) | instskip(NEXT) | instid1(VALU_DEP_1)
	v_mul_i32_i24_e32 v160, v160, v113
	v_add3_u32 v157, v164, v157, v160
	v_and_b32_e32 v160, 15, v9
	v_and_b32_e32 v164, 15, v10
	s_delay_alu instid0(VALU_DEP_2) | instskip(NEXT) | instid1(VALU_DEP_2)
	v_mul_i32_i24_e32 v160, v160, v124
	v_mul_i32_i24_e32 v164, v164, v116
	s_delay_alu instid0(VALU_DEP_1) | instskip(SKIP_2) | instid1(VALU_DEP_2)
	v_add3_u32 v160, v163, v160, v164
	v_bfe_u32 v163, v9, 24, 4
	v_bfe_u32 v164, v10, 24, 4
	v_mul_i32_i24_e32 v163, v163, v118
	s_delay_alu instid0(VALU_DEP_2) | instskip(NEXT) | instid1(VALU_DEP_1)
	v_mul_i32_i24_e32 v164, v164, v112
	v_add3_u32 v163, v165, v163, v164
	v_bfe_u32 v164, v11, 4, 4
	v_bfe_u32 v165, v11, 12, 4
	s_delay_alu instid0(VALU_DEP_2) | instskip(NEXT) | instid1(VALU_DEP_1)
	v_mul_i32_i24_e32 v164, v153, v164
	v_mad_i32_i24 v164, v158, v165, v164
	v_bfe_u32 v165, v11, 20, 4
	v_lshrrev_b32_e32 v11, 28, v11
	s_delay_alu instid0(VALU_DEP_2) | instskip(NEXT) | instid1(VALU_DEP_2)
	v_mul_i32_i24_e32 v165, v152, v165
	v_mul_i32_i24_e32 v11, v151, v11
	s_delay_alu instid0(VALU_DEP_1) | instskip(SKIP_2) | instid1(VALU_DEP_2)
	v_add3_u32 v11, v164, v165, v11
	v_bfe_u32 v164, v13, 4, 4
	v_bfe_u32 v165, v13, 12, 4
	v_mul_i32_i24_e32 v164, v153, v164
	s_delay_alu instid0(VALU_DEP_1) | instskip(SKIP_2) | instid1(VALU_DEP_2)
	v_mad_i32_i24 v164, v158, v165, v164
	v_bfe_u32 v165, v13, 20, 4
	v_lshrrev_b32_e32 v13, 28, v13
	v_mul_i32_i24_e32 v165, v152, v165
	s_delay_alu instid0(VALU_DEP_2) | instskip(NEXT) | instid1(VALU_DEP_1)
	v_mul_i32_i24_e32 v13, v151, v13
	v_add3_u32 v13, v164, v165, v13
	v_bfe_u32 v164, v16, 4, 4
	v_bfe_u32 v165, v15, 4, 4
	s_delay_alu instid0(VALU_DEP_2) | instskip(NEXT) | instid1(VALU_DEP_1)
	v_mul_i32_i24_e32 v164, v164, v144
	v_mad_i32_i24 v164, v165, v153, v164
	v_bfe_u32 v165, v161, 4, 4
	s_delay_alu instid0(VALU_DEP_1) | instskip(SKIP_1) | instid1(VALU_DEP_1)
	v_mul_i32_i24_e32 v153, v153, v165
	v_bfe_u32 v165, v16, 20, 4
	v_mul_i32_i24_e32 v165, v165, v137
	s_delay_alu instid0(VALU_DEP_1) | instskip(SKIP_1) | instid1(VALU_DEP_1)
	v_mad_i32_i24 v165, v166, v152, v165
	v_bfe_u32 v166, v161, 20, 4
	v_mul_i32_i24_e32 v152, v152, v166
	v_lshrrev_b32_e32 v166, 28, v16
	s_delay_alu instid0(VALU_DEP_1) | instskip(NEXT) | instid1(VALU_DEP_1)
	v_mul_i32_i24_e32 v166, v166, v136
	v_mad_i32_i24 v166, v167, v151, v166
	v_lshrrev_b32_e32 v167, 28, v161
	v_bfe_u32 v161, v161, 12, 4
	s_delay_alu instid0(VALU_DEP_2) | instskip(NEXT) | instid1(VALU_DEP_2)
	v_mul_i32_i24_e32 v151, v151, v167
	v_mad_i32_i24 v153, v158, v161, v153
	v_bfe_u32 v161, v10, 4, 4
	s_delay_alu instid0(VALU_DEP_2) | instskip(SKIP_2) | instid1(VALU_DEP_4)
	v_add3_u32 v151, v153, v152, v151
	v_bfe_u32 v152, v9, 20, 4
	v_bfe_u32 v153, v10, 20, 4
	v_mul_i32_i24_e32 v161, v161, v117
	s_delay_alu instid0(VALU_DEP_3) | instskip(NEXT) | instid1(VALU_DEP_3)
	v_mul_i32_i24_e32 v152, v152, v121
	v_mul_i32_i24_e32 v153, v153, v115
	s_delay_alu instid0(VALU_DEP_1) | instskip(SKIP_2) | instid1(VALU_DEP_2)
	v_add3_u32 v152, v165, v152, v153
	v_bfe_u32 v153, v9, 4, 4
	v_and_b32_e32 v165, 0xf0f0f0f, v9
	v_mul_i32_i24_e32 v153, v153, v127
	s_delay_alu instid0(VALU_DEP_2) | instskip(NEXT) | instid1(VALU_DEP_2)
	v_lshrrev_b16 v165, 8, v165
	v_add3_u32 v153, v164, v153, v161
	v_lshrrev_b32_e32 v161, 28, v9
	v_lshrrev_b32_e32 v164, 28, v10
	s_delay_alu instid0(VALU_DEP_4) | instskip(SKIP_1) | instid1(VALU_DEP_4)
	v_and_b32_e32 v165, 0xffff, v165
	v_lshrrev_b32_e32 v9, 4, v9
	v_mul_i32_i24_e32 v161, v161, v120
	s_delay_alu instid0(VALU_DEP_4) | instskip(NEXT) | instid1(VALU_DEP_4)
	v_mul_i32_i24_e32 v164, v164, v114
	v_mul_i32_i24_e32 v165, v165, v150
	s_delay_alu instid0(VALU_DEP_4) | instskip(NEXT) | instid1(VALU_DEP_3)
	v_lshrrev_b16 v9, 8, v9
	v_add3_u32 v161, v166, v161, v164
	v_and_b32_e32 v164, 0xf0f0f0f, v15
	v_lshrrev_b32_e32 v15, 4, v15
	s_delay_alu instid0(VALU_DEP_4) | instskip(NEXT) | instid1(VALU_DEP_3)
	v_and_b32_e32 v9, 15, v9
	v_lshrrev_b16 v164, 8, v164
	s_delay_alu instid0(VALU_DEP_3) | instskip(NEXT) | instid1(VALU_DEP_3)
	v_lshrrev_b16 v15, 8, v15
	v_and_b32_e32 v9, 0xffff, v9
	s_delay_alu instid0(VALU_DEP_3) | instskip(NEXT) | instid1(VALU_DEP_3)
	v_and_b32_e32 v164, 0xffff, v164
	v_and_b32_e32 v15, 15, v15
	s_delay_alu instid0(VALU_DEP_3) | instskip(NEXT) | instid1(VALU_DEP_3)
	v_mul_i32_i24_e32 v9, v9, v143
	v_mul_i32_i24_e32 v156, v164, v156
	v_and_b32_e32 v164, 0xf0f0f0f, v16
	v_lshrrev_b32_e32 v16, 4, v16
	v_and_b32_e32 v15, 0xffff, v15
	s_delay_alu instid0(VALU_DEP_3) | instskip(NEXT) | instid1(VALU_DEP_3)
	v_lshrrev_b16 v164, 8, v164
	v_lshrrev_b16 v16, 8, v16
	s_delay_alu instid0(VALU_DEP_3) | instskip(NEXT) | instid1(VALU_DEP_3)
	v_mul_i32_i24_e32 v15, v15, v158
	v_and_b32_e32 v164, 0xffff, v164
	s_delay_alu instid0(VALU_DEP_3) | instskip(NEXT) | instid1(VALU_DEP_2)
	v_and_b32_e32 v16, 15, v16
	v_mul_i32_i24_e32 v164, v164, v149
	s_delay_alu instid0(VALU_DEP_2) | instskip(NEXT) | instid1(VALU_DEP_2)
	v_and_b32_e32 v16, 0xffff, v16
	v_add3_u32 v156, v156, v164, v165
	v_and_b32_e32 v164, 15, v12
	v_bfe_u32 v165, v12, 8, 4
	s_delay_alu instid0(VALU_DEP_4) | instskip(NEXT) | instid1(VALU_DEP_3)
	v_mul_i32_i24_e32 v16, v16, v145
	v_mul_i32_i24_e32 v164, v148, v164
	s_delay_alu instid0(VALU_DEP_3) | instskip(NEXT) | instid1(VALU_DEP_3)
	v_mul_i32_i24_e32 v165, v149, v165
	v_add3_u32 v9, v15, v16, v9
	v_bfe_u32 v15, v12, 16, 4
	v_bfe_u32 v16, v12, 24, 4
	s_delay_alu instid0(VALU_DEP_4) | instskip(SKIP_4) | instid1(VALU_DEP_4)
	v_add3_u32 v154, v154, v165, v164
	v_and_b32_e32 v164, 15, v14
	v_bfe_u32 v165, v14, 8, 4
	v_mul_i32_i24_e32 v15, v135, v15
	v_mul_i32_i24_e32 v16, v134, v16
	;; [unrolled: 1-line block ×3, first 2 shown]
	s_delay_alu instid0(VALU_DEP_4) | instskip(NEXT) | instid1(VALU_DEP_1)
	v_mul_i32_i24_e32 v165, v149, v165
	v_add3_u32 v159, v159, v165, v164
	v_and_b32_e32 v164, 15, v162
	s_delay_alu instid0(VALU_DEP_1) | instskip(SKIP_1) | instid1(VALU_DEP_1)
	v_mul_i32_i24_e32 v148, v148, v164
	v_bfe_u32 v164, v162, 8, 4
	v_mul_i32_i24_e32 v149, v149, v164
	s_delay_alu instid0(VALU_DEP_1) | instskip(SKIP_2) | instid1(VALU_DEP_2)
	v_add3_u32 v148, v155, v149, v148
	v_bfe_u32 v149, v7, 24, 4
	v_bfe_u32 v155, v8, 24, 4
	v_mul_i32_i24_e32 v149, v149, v106
	s_delay_alu instid0(VALU_DEP_2) | instskip(NEXT) | instid1(VALU_DEP_1)
	v_mul_i32_i24_e32 v155, v155, v99
	v_add3_u32 v149, v163, v149, v155
	v_and_b32_e32 v155, 15, v7
	v_and_b32_e32 v163, 15, v8
	s_delay_alu instid0(VALU_DEP_2) | instskip(NEXT) | instid1(VALU_DEP_2)
	v_mul_i32_i24_e32 v155, v155, v110
	v_mul_i32_i24_e32 v163, v163, v103
	s_delay_alu instid0(VALU_DEP_1) | instskip(SKIP_2) | instid1(VALU_DEP_2)
	v_add3_u32 v155, v160, v155, v163
	v_bfe_u32 v160, v7, 16, 4
	v_bfe_u32 v163, v8, 16, 4
	v_mul_i32_i24_e32 v160, v160, v107
	s_delay_alu instid0(VALU_DEP_2) | instskip(NEXT) | instid1(VALU_DEP_1)
	v_mul_i32_i24_e32 v163, v163, v100
	v_add3_u32 v157, v157, v160, v163
	v_bfe_u32 v160, v12, 4, 4
	v_bfe_u32 v163, v12, 12, 4
	s_delay_alu instid0(VALU_DEP_2) | instskip(NEXT) | instid1(VALU_DEP_2)
	v_mul_i32_i24_e32 v160, v144, v160
	v_mul_i32_i24_e32 v163, v145, v163
	s_delay_alu instid0(VALU_DEP_1) | instskip(SKIP_2) | instid1(VALU_DEP_2)
	v_add3_u32 v11, v11, v160, v163
	v_bfe_u32 v160, v14, 4, 4
	v_bfe_u32 v163, v14, 12, 4
	v_mul_i32_i24_e32 v160, v144, v160
	s_delay_alu instid0(VALU_DEP_2) | instskip(NEXT) | instid1(VALU_DEP_1)
	v_mul_i32_i24_e32 v163, v145, v163
	v_add3_u32 v13, v13, v160, v163
	v_bfe_u32 v160, v162, 4, 4
	s_delay_alu instid0(VALU_DEP_1) | instskip(SKIP_1) | instid1(VALU_DEP_1)
	v_mul_i32_i24_e32 v144, v144, v160
	v_bfe_u32 v160, v162, 12, 4
	v_mul_i32_i24_e32 v160, v145, v160
	v_add3_u32 v145, v154, v15, v16
	v_bfe_u32 v15, v14, 16, 4
	v_bfe_u32 v16, v14, 24, 4
	s_delay_alu instid0(VALU_DEP_4) | instskip(SKIP_1) | instid1(VALU_DEP_4)
	v_add3_u32 v144, v151, v144, v160
	v_lshrrev_b32_e32 v151, 28, v7
	v_mul_i32_i24_e32 v15, v135, v15
	s_delay_alu instid0(VALU_DEP_4) | instskip(SKIP_1) | instid1(VALU_DEP_4)
	v_mul_i32_i24_e32 v16, v134, v16
	v_lshrrev_b32_e32 v160, 28, v8
	v_mul_i32_i24_e32 v151, v151, v108
	s_delay_alu instid0(VALU_DEP_3) | instskip(SKIP_4) | instid1(VALU_DEP_4)
	v_add3_u32 v154, v159, v15, v16
	v_bfe_u32 v15, v162, 16, 4
	v_bfe_u32 v16, v162, 24, 4
	v_mul_i32_i24_e32 v160, v160, v101
	v_bfe_i32 v159, v132, 0, 8
	v_mul_i32_i24_e32 v15, v135, v15
	s_delay_alu instid0(VALU_DEP_4) | instskip(NEXT) | instid1(VALU_DEP_4)
	v_mul_i32_i24_e32 v16, v134, v16
	v_add3_u32 v151, v161, v151, v160
	v_bfe_u32 v160, v7, 4, 4
	v_bfe_u32 v161, v8, 4, 4
	s_delay_alu instid0(VALU_DEP_4) | instskip(SKIP_3) | instid1(VALU_DEP_1)
	v_add3_u32 v148, v148, v15, v16
	ds_load_2addr_b32 v[15:16], v146 offset0:6 offset1:7
	v_mul_i32_i24_e32 v160, v160, v111
	v_mul_i32_i24_e32 v161, v161, v105
	v_add3_u32 v153, v153, v160, v161
	v_bfe_u32 v160, v7, 20, 4
	v_bfe_u32 v161, v8, 20, 4
	s_delay_alu instid0(VALU_DEP_2) | instskip(NEXT) | instid1(VALU_DEP_2)
	v_mul_i32_i24_e32 v160, v160, v109
	v_mul_i32_i24_e32 v161, v161, v102
	s_delay_alu instid0(VALU_DEP_1)
	v_add3_u32 v152, v152, v160, v161
	s_wait_dscnt 0x0
	v_bfe_u32 v134, v15, 16, 4
	v_bfe_u32 v135, v16, 16, 4
	v_and_b32_e32 v160, 0xf0f0f0f, v10
	v_and_b32_e32 v161, 0xf0f0f0f, v7
	v_lshrrev_b32_e32 v10, 4, v10
	v_mul_i32_i24_e32 v134, v134, v93
	v_mul_i32_i24_e32 v135, v135, v84
	v_lshrrev_b32_e32 v7, 4, v7
	v_lshrrev_b16 v160, 8, v160
	v_lshrrev_b16 v161, 8, v161
	;; [unrolled: 1-line block ×3, first 2 shown]
	v_add3_u32 v146, v157, v134, v135
	v_and_b32_e32 v134, 15, v15
	v_and_b32_e32 v135, 15, v16
	v_lshrrev_b16 v7, 8, v7
	v_and_b32_e32 v160, 0xffff, v160
	v_and_b32_e32 v161, 0xffff, v161
	v_mul_i32_i24_e32 v134, v134, v97
	v_mul_i32_i24_e32 v135, v135, v89
	v_and_b32_e32 v10, 15, v10
	v_and_b32_e32 v7, 15, v7
	v_mul_i32_i24_e32 v160, v160, v140
	v_mul_i32_i24_e32 v161, v161, v142
	v_add3_u32 v155, v155, v134, v135
	v_bfe_u32 v134, v15, 24, 4
	v_bfe_u32 v135, v16, 24, 4
	v_and_b32_e32 v10, 0xffff, v10
	v_and_b32_e32 v7, 0xffff, v7
	v_add3_u32 v156, v156, v160, v161
	v_mul_i32_i24_e32 v134, v134, v92
	v_mul_i32_i24_e32 v135, v135, v83
	;; [unrolled: 1-line block ×4, first 2 shown]
	s_delay_alu instid0(VALU_DEP_3) | instskip(SKIP_2) | instid1(VALU_DEP_4)
	v_add3_u32 v149, v149, v134, v135
	v_bfe_u32 v134, v12, 20, 4
	v_lshrrev_b32_e32 v12, 28, v12
	v_add3_u32 v7, v9, v10, v7
	s_delay_alu instid0(VALU_DEP_3) | instskip(NEXT) | instid1(VALU_DEP_3)
	v_mul_i32_i24_e32 v134, v137, v134
	v_mul_i32_i24_e32 v12, v136, v12
	s_delay_alu instid0(VALU_DEP_1) | instskip(SKIP_2) | instid1(VALU_DEP_2)
	v_add3_u32 v157, v11, v134, v12
	v_bfe_u32 v11, v14, 20, 4
	v_lshrrev_b32_e32 v12, 28, v14
	v_mul_i32_i24_e32 v11, v137, v11
	s_delay_alu instid0(VALU_DEP_2) | instskip(NEXT) | instid1(VALU_DEP_1)
	v_mul_i32_i24_e32 v12, v136, v12
	v_add3_u32 v158, v13, v11, v12
	v_bfe_u32 v11, v162, 20, 4
	v_lshrrev_b32_e32 v12, 28, v162
	s_delay_alu instid0(VALU_DEP_2) | instskip(NEXT) | instid1(VALU_DEP_2)
	v_mul_i32_i24_e32 v11, v137, v11
	v_mul_i32_i24_e32 v12, v136, v12
	s_delay_alu instid0(VALU_DEP_1) | instskip(SKIP_2) | instid1(VALU_DEP_2)
	v_add3_u32 v136, v144, v11, v12
	v_bfe_u32 v11, v15, 20, 4
	v_bfe_u32 v12, v16, 20, 4
	v_mul_i32_i24_e32 v11, v11, v96
	s_delay_alu instid0(VALU_DEP_2) | instskip(NEXT) | instid1(VALU_DEP_1)
	v_mul_i32_i24_e32 v12, v12, v88
	v_add3_u32 v137, v152, v11, v12
	v_bfe_u32 v11, v15, 4, 4
	v_bfe_u32 v12, v16, 4, 4
	v_bfe_i32 v152, v128, 0, 8
	s_delay_alu instid0(VALU_DEP_3) | instskip(NEXT) | instid1(VALU_DEP_3)
	v_mul_i32_i24_e32 v11, v11, v98
	v_mul_i32_i24_e32 v12, v12, v91
	s_delay_alu instid0(VALU_DEP_1) | instskip(SKIP_3) | instid1(VALU_DEP_3)
	v_add3_u32 v144, v153, v11, v12
	v_lshrrev_b32_e32 v11, 28, v15
	v_lshrrev_b32_e32 v12, 28, v16
	v_bfe_i32 v153, v129, 0, 8
	v_mul_i32_i24_e32 v11, v11, v95
	s_delay_alu instid0(VALU_DEP_3) | instskip(NEXT) | instid1(VALU_DEP_1)
	v_mul_i32_i24_e32 v12, v12, v86
	v_add3_u32 v151, v151, v11, v12
	v_and_b32_e32 v11, 0xf0f0f0f, v8
	v_and_b32_e32 v12, 0xf0f0f0f, v15
	v_lshrrev_b32_e32 v8, 4, v8
	v_lshrrev_b32_e32 v15, 4, v15
	s_delay_alu instid0(VALU_DEP_4) | instskip(NEXT) | instid1(VALU_DEP_4)
	v_lshrrev_b16 v11, 8, v11
	v_lshrrev_b16 v12, 8, v12
	s_delay_alu instid0(VALU_DEP_4) | instskip(NEXT) | instid1(VALU_DEP_4)
	v_lshrrev_b16 v8, 8, v8
	v_lshrrev_b16 v15, 8, v15
	s_delay_alu instid0(VALU_DEP_4) | instskip(NEXT) | instid1(VALU_DEP_4)
	v_and_b32_e32 v11, 0xffff, v11
	v_and_b32_e32 v12, 0xffff, v12
	s_delay_alu instid0(VALU_DEP_4) | instskip(NEXT) | instid1(VALU_DEP_4)
	v_and_b32_e32 v8, 15, v8
	v_and_b32_e32 v15, 15, v15
	s_delay_alu instid0(VALU_DEP_4) | instskip(NEXT) | instid1(VALU_DEP_4)
	v_mul_i32_i24_e32 v11, v11, v152
	v_mul_i32_i24_e32 v12, v12, v153
	s_delay_alu instid0(VALU_DEP_4) | instskip(NEXT) | instid1(VALU_DEP_4)
	v_and_b32_e32 v8, 0xffff, v8
	v_and_b32_e32 v15, 0xffff, v15
	s_delay_alu instid0(VALU_DEP_3)
	v_add3_u32 v156, v156, v11, v12
	ds_load_u16 v138, v138
	ds_load_2addr_b32 v[9:10], v133 offset0:2 offset1:3
	ds_load_2addr_b32 v[11:12], v133 offset0:4 offset1:5
	;; [unrolled: 1-line block ×3, first 2 shown]
	v_mul_i32_i24_e32 v8, v8, v125
	v_mul_i32_i24_e32 v15, v15, v126
	s_delay_alu instid0(VALU_DEP_1)
	v_add3_u32 v7, v7, v8, v15
	s_wait_dscnt 0x2
	v_and_b32_e32 v128, 15, v9
	v_bfe_u32 v129, v9, 8, 4
	v_bfe_u32 v8, v9, 16, 4
	;; [unrolled: 1-line block ×3, first 2 shown]
	s_delay_alu instid0(VALU_DEP_4) | instskip(NEXT) | instid1(VALU_DEP_4)
	v_mul_i32_i24_e32 v128, v124, v128
	v_mul_i32_i24_e32 v129, v150, v129
	s_delay_alu instid0(VALU_DEP_4) | instskip(NEXT) | instid1(VALU_DEP_4)
	v_mul_i32_i24_e32 v8, v119, v8
	v_mul_i32_i24_e32 v15, v118, v15
	s_delay_alu instid0(VALU_DEP_3) | instskip(SKIP_2) | instid1(VALU_DEP_3)
	v_add3_u32 v145, v145, v129, v128
	v_and_b32_e32 v128, 15, v2
	v_bfe_u32 v129, v2, 8, 4
	v_add3_u32 v8, v145, v8, v15
	s_delay_alu instid0(VALU_DEP_3) | instskip(NEXT) | instid1(VALU_DEP_3)
	v_mul_i32_i24_e32 v128, v124, v128
	v_mul_i32_i24_e32 v129, v150, v129
	v_bfe_u32 v15, v2, 16, 4
	s_delay_alu instid0(VALU_DEP_2)
	v_add3_u32 v154, v154, v129, v128
	ds_load_u16 v139, v139
	ds_load_2addr_b32 v[128:129], v141 offset0:2 offset1:3
	ds_load_2addr_b32 v[132:133], v141 offset0:4 offset1:5
	;; [unrolled: 1-line block ×3, first 2 shown]
	v_mul_i32_i24_e32 v15, v119, v15
	s_wait_dscnt 0x2
	v_and_b32_e32 v141, 15, v128
	s_delay_alu instid0(VALU_DEP_1) | instskip(SKIP_1) | instid1(VALU_DEP_1)
	v_mul_i32_i24_e32 v124, v124, v141
	v_bfe_u32 v141, v128, 8, 4
	v_mul_i32_i24_e32 v141, v150, v141
	v_bfe_u32 v150, v2, 12, 4
	s_delay_alu instid0(VALU_DEP_2) | instskip(SKIP_2) | instid1(VALU_DEP_4)
	v_add3_u32 v124, v148, v141, v124
	v_bfe_u32 v141, v9, 4, 4
	v_bfe_u32 v148, v9, 12, 4
	v_mul_i32_i24_e32 v150, v143, v150
	s_delay_alu instid0(VALU_DEP_3) | instskip(NEXT) | instid1(VALU_DEP_3)
	v_mul_i32_i24_e32 v141, v127, v141
	v_mul_i32_i24_e32 v148, v143, v148
	s_delay_alu instid0(VALU_DEP_1) | instskip(SKIP_1) | instid1(VALU_DEP_1)
	v_add3_u32 v141, v157, v141, v148
	v_bfe_u32 v148, v2, 4, 4
	v_mul_i32_i24_e32 v148, v127, v148
	s_delay_alu instid0(VALU_DEP_1) | instskip(SKIP_1) | instid1(VALU_DEP_1)
	v_add3_u32 v148, v158, v148, v150
	v_bfe_u32 v150, v128, 4, 4
	v_mul_i32_i24_e32 v127, v127, v150
	v_bfe_u32 v150, v128, 12, 4
	s_delay_alu instid0(VALU_DEP_1) | instskip(NEXT) | instid1(VALU_DEP_1)
	v_mul_i32_i24_e32 v143, v143, v150
	v_add3_u32 v127, v136, v127, v143
	v_bfe_u32 v143, v2, 24, 4
	v_and_b32_e32 v136, 0xf0f0f0f, v16
	v_lshrrev_b32_e32 v16, 4, v16
	s_delay_alu instid0(VALU_DEP_3) | instskip(NEXT) | instid1(VALU_DEP_3)
	v_mul_i32_i24_e32 v143, v118, v143
	v_lshrrev_b16 v136, 8, v136
	s_delay_alu instid0(VALU_DEP_3) | instskip(NEXT) | instid1(VALU_DEP_3)
	v_lshrrev_b16 v16, 8, v16
	v_add3_u32 v15, v154, v15, v143
	v_bfe_u32 v143, v128, 16, 4
	s_delay_alu instid0(VALU_DEP_3) | instskip(SKIP_1) | instid1(VALU_DEP_3)
	v_and_b32_e32 v16, 15, v16
	v_and_b32_e32 v136, 0xffff, v136
	v_mul_i32_i24_e32 v119, v119, v143
	v_bfe_u32 v143, v128, 24, 4
	s_delay_alu instid0(VALU_DEP_4) | instskip(NEXT) | instid1(VALU_DEP_4)
	v_and_b32_e32 v16, 0xffff, v16
	v_mul_i32_i24_e32 v136, v136, v123
	s_delay_alu instid0(VALU_DEP_3) | instskip(NEXT) | instid1(VALU_DEP_2)
	v_mul_i32_i24_e32 v118, v118, v143
	v_add3_u32 v136, v156, v136, v149
	s_delay_alu instid0(VALU_DEP_2) | instskip(SKIP_2) | instid1(VALU_DEP_2)
	v_add3_u32 v118, v124, v119, v118
	v_bfe_u32 v119, v9, 20, 4
	v_lshrrev_b32_e32 v9, 28, v9
	v_mul_i32_i24_e32 v119, v121, v119
	s_delay_alu instid0(VALU_DEP_2) | instskip(NEXT) | instid1(VALU_DEP_1)
	v_mul_i32_i24_e32 v9, v120, v9
	v_add3_u32 v9, v141, v119, v9
	v_bfe_u32 v119, v2, 20, 4
	v_lshrrev_b32_e32 v2, 28, v2
	s_delay_alu instid0(VALU_DEP_2) | instskip(NEXT) | instid1(VALU_DEP_2)
	v_mul_i32_i24_e32 v119, v121, v119
	v_mul_i32_i24_e32 v2, v120, v2
	s_delay_alu instid0(VALU_DEP_1) | instskip(SKIP_1) | instid1(VALU_DEP_1)
	v_add3_u32 v2, v148, v119, v2
	v_bfe_u32 v119, v128, 20, 4
	v_mul_i32_i24_e32 v119, v121, v119
	v_lshrrev_b32_e32 v121, 28, v128
	s_delay_alu instid0(VALU_DEP_1) | instskip(SKIP_2) | instid1(VALU_DEP_3)
	v_mul_i32_i24_e32 v120, v120, v121
	v_bfe_i32 v121, v122, 0, 8
	v_bfe_u32 v122, v10, 8, 4
	v_add3_u32 v119, v127, v119, v120
	s_delay_alu instid0(VALU_DEP_3) | instskip(NEXT) | instid1(VALU_DEP_3)
	v_mul_i32_i24_e32 v16, v16, v121
	v_mul_i32_i24_e32 v122, v140, v122
	v_add3_u32 v120, v155, v146, v136
	s_delay_alu instid0(VALU_DEP_3) | instskip(SKIP_1) | instid1(VALU_DEP_2)
	v_add3_u32 v7, v7, v16, v151
	v_and_b32_e32 v16, 15, v10
	v_add3_u32 v7, v144, v137, v7
	s_delay_alu instid0(VALU_DEP_2) | instskip(NEXT) | instid1(VALU_DEP_1)
	v_mul_i32_i24_e32 v16, v116, v16
	v_add3_u32 v8, v8, v122, v16
	v_and_b32_e32 v16, 15, v3
	v_bfe_u32 v122, v3, 8, 4
	s_delay_alu instid0(VALU_DEP_2) | instskip(NEXT) | instid1(VALU_DEP_2)
	v_mul_i32_i24_e32 v16, v116, v16
	v_mul_i32_i24_e32 v122, v140, v122
	s_delay_alu instid0(VALU_DEP_1) | instskip(SKIP_1) | instid1(VALU_DEP_1)
	v_add3_u32 v15, v15, v122, v16
	v_and_b32_e32 v16, 15, v129
	v_mul_i32_i24_e32 v16, v116, v16
	v_bfe_u32 v116, v129, 8, 4
	s_delay_alu instid0(VALU_DEP_1) | instskip(NEXT) | instid1(VALU_DEP_1)
	v_mul_i32_i24_e32 v116, v140, v116
	v_add3_u32 v16, v118, v116, v16
	v_bfe_u32 v116, v10, 4, 4
	v_bfe_u32 v118, v10, 12, 4
	s_delay_alu instid0(VALU_DEP_2) | instskip(NEXT) | instid1(VALU_DEP_2)
	v_mul_i32_i24_e32 v116, v117, v116
	v_mul_i32_i24_e32 v118, v130, v118
	s_delay_alu instid0(VALU_DEP_1) | instskip(SKIP_2) | instid1(VALU_DEP_2)
	v_add3_u32 v9, v9, v116, v118
	v_bfe_u32 v116, v3, 4, 4
	v_bfe_u32 v118, v3, 12, 4
	v_mul_i32_i24_e32 v116, v117, v116
	s_delay_alu instid0(VALU_DEP_2) | instskip(NEXT) | instid1(VALU_DEP_1)
	v_mul_i32_i24_e32 v118, v130, v118
	v_add3_u32 v2, v2, v116, v118
	v_bfe_u32 v116, v129, 4, 4
	v_bfe_u32 v118, v10, 24, 4
	s_delay_alu instid0(VALU_DEP_2) | instskip(SKIP_1) | instid1(VALU_DEP_3)
	v_mul_i32_i24_e32 v116, v117, v116
	v_bfe_u32 v117, v129, 12, 4
	v_mul_i32_i24_e32 v118, v112, v118
	s_delay_alu instid0(VALU_DEP_2) | instskip(NEXT) | instid1(VALU_DEP_1)
	v_mul_i32_i24_e32 v117, v130, v117
	v_add3_u32 v116, v119, v116, v117
	v_bfe_u32 v117, v10, 16, 4
	s_delay_alu instid0(VALU_DEP_1) | instskip(NEXT) | instid1(VALU_DEP_1)
	v_mul_i32_i24_e32 v117, v113, v117
	v_add3_u32 v8, v8, v117, v118
	v_bfe_u32 v117, v3, 16, 4
	v_bfe_u32 v118, v3, 24, 4
	s_delay_alu instid0(VALU_DEP_2) | instskip(NEXT) | instid1(VALU_DEP_2)
	v_mul_i32_i24_e32 v117, v113, v117
	v_mul_i32_i24_e32 v118, v112, v118
	s_delay_alu instid0(VALU_DEP_1) | instskip(SKIP_1) | instid1(VALU_DEP_1)
	v_add3_u32 v15, v15, v117, v118
	v_bfe_u32 v117, v129, 16, 4
	v_mul_i32_i24_e32 v113, v113, v117
	v_bfe_u32 v117, v129, 24, 4
	s_delay_alu instid0(VALU_DEP_1) | instskip(NEXT) | instid1(VALU_DEP_1)
	v_mul_i32_i24_e32 v112, v112, v117
	v_add3_u32 v16, v16, v113, v112
	v_bfe_u32 v112, v10, 20, 4
	v_lshrrev_b32_e32 v10, 28, v10
	s_delay_alu instid0(VALU_DEP_2) | instskip(NEXT) | instid1(VALU_DEP_2)
	v_mul_i32_i24_e32 v112, v115, v112
	v_mul_i32_i24_e32 v10, v114, v10
	s_delay_alu instid0(VALU_DEP_1) | instskip(SKIP_3) | instid1(VALU_DEP_3)
	v_add3_u32 v9, v9, v112, v10
	v_bfe_u32 v10, v3, 20, 4
	v_lshrrev_b32_e32 v3, 28, v3
	v_bfe_u32 v112, v11, 8, 4
	v_mul_i32_i24_e32 v10, v115, v10
	s_delay_alu instid0(VALU_DEP_3) | instskip(NEXT) | instid1(VALU_DEP_3)
	v_mul_i32_i24_e32 v3, v114, v3
	v_mul_i32_i24_e32 v112, v142, v112
	s_delay_alu instid0(VALU_DEP_2) | instskip(SKIP_2) | instid1(VALU_DEP_2)
	v_add3_u32 v2, v2, v10, v3
	v_bfe_u32 v3, v129, 20, 4
	v_lshrrev_b32_e32 v10, 28, v129
	v_mul_i32_i24_e32 v3, v115, v3
	s_delay_alu instid0(VALU_DEP_2) | instskip(NEXT) | instid1(VALU_DEP_1)
	v_mul_i32_i24_e32 v10, v114, v10
	v_add3_u32 v3, v116, v3, v10
	v_and_b32_e32 v10, 15, v11
	s_delay_alu instid0(VALU_DEP_1) | instskip(NEXT) | instid1(VALU_DEP_1)
	v_mul_i32_i24_e32 v10, v110, v10
	v_add3_u32 v8, v8, v112, v10
	v_and_b32_e32 v10, 15, v0
	v_bfe_u32 v112, v0, 8, 4
	s_delay_alu instid0(VALU_DEP_2) | instskip(NEXT) | instid1(VALU_DEP_2)
	v_mul_i32_i24_e32 v10, v110, v10
	v_mul_i32_i24_e32 v112, v142, v112
	s_delay_alu instid0(VALU_DEP_1) | instskip(SKIP_2) | instid1(VALU_DEP_1)
	v_add3_u32 v10, v15, v112, v10
	s_wait_dscnt 0x1
	v_and_b32_e32 v15, 15, v132
	v_mul_i32_i24_e32 v15, v110, v15
	v_bfe_u32 v110, v132, 8, 4
	s_delay_alu instid0(VALU_DEP_1) | instskip(NEXT) | instid1(VALU_DEP_1)
	v_mul_i32_i24_e32 v110, v142, v110
	v_add3_u32 v15, v16, v110, v15
	v_bfe_u32 v16, v11, 4, 4
	v_bfe_u32 v110, v11, 12, 4
	s_delay_alu instid0(VALU_DEP_2) | instskip(NEXT) | instid1(VALU_DEP_2)
	v_mul_i32_i24_e32 v16, v111, v16
	v_mul_i32_i24_e32 v110, v159, v110
	s_delay_alu instid0(VALU_DEP_1) | instskip(SKIP_2) | instid1(VALU_DEP_2)
	v_add3_u32 v9, v9, v16, v110
	v_bfe_u32 v16, v0, 4, 4
	v_bfe_u32 v110, v0, 12, 4
	v_mul_i32_i24_e32 v16, v111, v16
	s_delay_alu instid0(VALU_DEP_2) | instskip(NEXT) | instid1(VALU_DEP_1)
	v_mul_i32_i24_e32 v110, v159, v110
	v_add3_u32 v2, v2, v16, v110
	v_bfe_u32 v16, v132, 4, 4
	v_bfe_u32 v110, v132, 12, 4
	s_delay_alu instid0(VALU_DEP_2) | instskip(NEXT) | instid1(VALU_DEP_2)
	v_mul_i32_i24_e32 v16, v111, v16
	v_mul_i32_i24_e32 v110, v159, v110
	s_delay_alu instid0(VALU_DEP_1) | instskip(SKIP_2) | instid1(VALU_DEP_2)
	v_add3_u32 v3, v3, v16, v110
	v_bfe_u32 v16, v11, 16, 4
	v_bfe_u32 v110, v11, 24, 4
	v_mul_i32_i24_e32 v16, v107, v16
	s_delay_alu instid0(VALU_DEP_2) | instskip(NEXT) | instid1(VALU_DEP_1)
	v_mul_i32_i24_e32 v110, v106, v110
	v_add3_u32 v8, v8, v16, v110
	v_bfe_u32 v16, v0, 16, 4
	v_bfe_u32 v110, v0, 24, 4
	s_delay_alu instid0(VALU_DEP_2) | instskip(NEXT) | instid1(VALU_DEP_2)
	v_mul_i32_i24_e32 v16, v107, v16
	v_mul_i32_i24_e32 v110, v106, v110
	s_delay_alu instid0(VALU_DEP_1) | instskip(SKIP_1) | instid1(VALU_DEP_1)
	v_add3_u32 v10, v10, v16, v110
	v_bfe_u32 v16, v132, 16, 4
	v_mul_i32_i24_e32 v16, v107, v16
	v_bfe_u32 v107, v132, 24, 4
	s_delay_alu instid0(VALU_DEP_1) | instskip(NEXT) | instid1(VALU_DEP_1)
	v_mul_i32_i24_e32 v106, v106, v107
	v_add3_u32 v15, v15, v16, v106
	v_bfe_u32 v16, v11, 20, 4
	v_lshrrev_b32_e32 v11, 28, v11
	s_delay_alu instid0(VALU_DEP_2) | instskip(NEXT) | instid1(VALU_DEP_2)
	v_mul_i32_i24_e32 v16, v109, v16
	v_mul_i32_i24_e32 v11, v108, v11
	s_delay_alu instid0(VALU_DEP_1) | instskip(SKIP_2) | instid1(VALU_DEP_2)
	v_add3_u32 v9, v9, v16, v11
	v_bfe_u32 v11, v0, 20, 4
	v_lshrrev_b32_e32 v0, 28, v0
	v_mul_i32_i24_e32 v11, v109, v11
	s_delay_alu instid0(VALU_DEP_2) | instskip(NEXT) | instid1(VALU_DEP_1)
	v_mul_i32_i24_e32 v0, v108, v0
	v_add3_u32 v0, v2, v11, v0
	v_bfe_u32 v2, v132, 20, 4
	v_lshrrev_b32_e32 v11, 28, v132
	s_delay_alu instid0(VALU_DEP_2) | instskip(NEXT) | instid1(VALU_DEP_2)
	v_mul_i32_i24_e32 v2, v109, v2
	v_mul_i32_i24_e32 v11, v108, v11
	s_delay_alu instid0(VALU_DEP_1) | instskip(SKIP_2) | instid1(VALU_DEP_2)
	v_add3_u32 v2, v3, v2, v11
	v_and_b32_e32 v3, 15, v12
	v_bfe_u32 v11, v12, 8, 4
	v_mul_i32_i24_e32 v3, v103, v3
	s_delay_alu instid0(VALU_DEP_2) | instskip(NEXT) | instid1(VALU_DEP_1)
	v_mul_i32_i24_e32 v11, v152, v11
	v_add3_u32 v3, v8, v11, v3
	v_and_b32_e32 v8, 15, v1
	v_bfe_u32 v11, v1, 8, 4
	s_delay_alu instid0(VALU_DEP_2) | instskip(NEXT) | instid1(VALU_DEP_2)
	v_mul_i32_i24_e32 v8, v103, v8
	v_mul_i32_i24_e32 v11, v152, v11
	s_delay_alu instid0(VALU_DEP_1) | instskip(SKIP_2) | instid1(VALU_DEP_2)
	v_add3_u32 v8, v10, v11, v8
	v_and_b32_e32 v10, 15, v133
	v_bfe_u32 v11, v133, 8, 4
	v_mul_i32_i24_e32 v10, v103, v10
	s_delay_alu instid0(VALU_DEP_2) | instskip(NEXT) | instid1(VALU_DEP_1)
	v_mul_i32_i24_e32 v11, v152, v11
	v_add3_u32 v10, v15, v11, v10
	v_bfe_u32 v11, v12, 4, 4
	v_bfe_u32 v15, v12, 12, 4
	s_delay_alu instid0(VALU_DEP_2) | instskip(NEXT) | instid1(VALU_DEP_2)
	v_mul_i32_i24_e32 v11, v105, v11
	v_mul_i32_i24_e32 v15, v125, v15
	s_delay_alu instid0(VALU_DEP_1) | instskip(SKIP_2) | instid1(VALU_DEP_2)
	v_add3_u32 v9, v9, v11, v15
	v_bfe_u32 v11, v1, 4, 4
	v_bfe_u32 v15, v1, 12, 4
	v_mul_i32_i24_e32 v11, v105, v11
	s_delay_alu instid0(VALU_DEP_2) | instskip(NEXT) | instid1(VALU_DEP_1)
	v_mul_i32_i24_e32 v15, v125, v15
	v_add3_u32 v0, v0, v11, v15
	v_bfe_u32 v11, v133, 4, 4
	v_bfe_u32 v15, v133, 12, 4
	s_delay_alu instid0(VALU_DEP_2) | instskip(NEXT) | instid1(VALU_DEP_2)
	v_mul_i32_i24_e32 v11, v105, v11
	v_mul_i32_i24_e32 v15, v125, v15
	s_delay_alu instid0(VALU_DEP_1) | instskip(SKIP_2) | instid1(VALU_DEP_2)
	v_add3_u32 v2, v2, v11, v15
	v_bfe_u32 v11, v12, 16, 4
	;; [unrolled: 13-line block ×3, first 2 shown]
	v_bfe_u32 v15, v133, 24, 4
	v_mul_i32_i24_e32 v11, v100, v11
	s_delay_alu instid0(VALU_DEP_2) | instskip(NEXT) | instid1(VALU_DEP_1)
	v_mul_i32_i24_e32 v15, v99, v15
	v_add3_u32 v10, v10, v11, v15
	v_bfe_u32 v11, v12, 20, 4
	v_lshrrev_b32_e32 v12, 28, v12
	s_delay_alu instid0(VALU_DEP_2) | instskip(NEXT) | instid1(VALU_DEP_2)
	v_mul_i32_i24_e32 v11, v102, v11
	v_mul_i32_i24_e32 v12, v101, v12
	s_delay_alu instid0(VALU_DEP_1) | instskip(SKIP_2) | instid1(VALU_DEP_2)
	v_add3_u32 v9, v9, v11, v12
	v_bfe_u32 v11, v1, 20, 4
	v_lshrrev_b32_e32 v1, 28, v1
	v_mul_i32_i24_e32 v11, v102, v11
	s_delay_alu instid0(VALU_DEP_2) | instskip(NEXT) | instid1(VALU_DEP_1)
	v_mul_i32_i24_e32 v1, v101, v1
	v_add3_u32 v11, v0, v11, v1
	v_bfe_u32 v0, v133, 20, 4
	v_lshrrev_b32_e32 v1, 28, v133
	s_delay_alu instid0(VALU_DEP_2) | instskip(NEXT) | instid1(VALU_DEP_2)
	v_mul_i32_i24_e32 v0, v102, v0
	v_mul_i32_i24_e32 v1, v101, v1
	s_delay_alu instid0(VALU_DEP_1) | instskip(SKIP_2) | instid1(VALU_DEP_2)
	v_add3_u32 v2, v2, v0, v1
	v_and_b32_e32 v0, 15, v13
	v_bfe_u32 v1, v13, 8, 4
	v_mul_i32_i24_e32 v0, v97, v0
	s_delay_alu instid0(VALU_DEP_2) | instskip(NEXT) | instid1(VALU_DEP_1)
	v_mul_i32_i24_e32 v1, v153, v1
	v_add3_u32 v3, v3, v1, v0
	ds_load_u16 v12, v131
	ds_load_2addr_b32 v[0:1], v104 offset0:6 offset1:7
	s_wait_dscnt 0x0
	v_and_b32_e32 v15, 15, v0
	v_bfe_u32 v16, v0, 8, 4
	s_delay_alu instid0(VALU_DEP_2) | instskip(NEXT) | instid1(VALU_DEP_2)
	v_mul_i32_i24_e32 v15, v97, v15
	v_mul_i32_i24_e32 v16, v153, v16
	s_delay_alu instid0(VALU_DEP_1) | instskip(SKIP_2) | instid1(VALU_DEP_2)
	v_add3_u32 v8, v8, v16, v15
	v_and_b32_e32 v15, 15, v134
	v_bfe_u32 v16, v134, 8, 4
	v_mul_i32_i24_e32 v15, v97, v15
	s_delay_alu instid0(VALU_DEP_2) | instskip(NEXT) | instid1(VALU_DEP_1)
	v_mul_i32_i24_e32 v16, v153, v16
	v_add3_u32 v10, v10, v16, v15
	v_bfe_u32 v15, v13, 4, 4
	v_bfe_u32 v16, v13, 12, 4
	s_delay_alu instid0(VALU_DEP_2) | instskip(NEXT) | instid1(VALU_DEP_2)
	v_mul_i32_i24_e32 v15, v98, v15
	v_mul_i32_i24_e32 v16, v126, v16
	s_delay_alu instid0(VALU_DEP_1) | instskip(SKIP_2) | instid1(VALU_DEP_2)
	v_add3_u32 v9, v9, v15, v16
	v_bfe_u32 v15, v0, 4, 4
	v_bfe_u32 v16, v0, 12, 4
	v_mul_i32_i24_e32 v15, v98, v15
	s_delay_alu instid0(VALU_DEP_2) | instskip(NEXT) | instid1(VALU_DEP_1)
	v_mul_i32_i24_e32 v16, v126, v16
	v_add3_u32 v11, v11, v15, v16
	v_bfe_u32 v15, v134, 4, 4
	v_bfe_u32 v16, v134, 12, 4
	s_delay_alu instid0(VALU_DEP_2) | instskip(NEXT) | instid1(VALU_DEP_2)
	v_mul_i32_i24_e32 v15, v98, v15
	v_mul_i32_i24_e32 v16, v126, v16
	s_delay_alu instid0(VALU_DEP_1) | instskip(SKIP_2) | instid1(VALU_DEP_2)
	v_add3_u32 v2, v2, v15, v16
	v_bfe_u32 v15, v13, 16, 4
	;; [unrolled: 13-line block ×3, first 2 shown]
	v_bfe_u32 v16, v134, 24, 4
	v_mul_i32_i24_e32 v15, v93, v15
	s_delay_alu instid0(VALU_DEP_2) | instskip(NEXT) | instid1(VALU_DEP_1)
	v_mul_i32_i24_e32 v16, v92, v16
	v_add3_u32 v10, v10, v15, v16
	v_bfe_u32 v15, v13, 20, 4
	v_lshrrev_b32_e32 v13, 28, v13
	v_cvt_f32_ubyte1_e32 v16, v94
	s_delay_alu instid0(VALU_DEP_3) | instskip(NEXT) | instid1(VALU_DEP_3)
	v_mul_i32_i24_e32 v15, v96, v15
	v_mul_i32_i24_e32 v13, v95, v13
	s_delay_alu instid0(VALU_DEP_1) | instskip(SKIP_3) | instid1(VALU_DEP_3)
	v_add3_u32 v9, v9, v15, v13
	v_bfe_u32 v13, v0, 20, 4
	v_lshrrev_b32_e32 v0, 28, v0
	v_cvt_f32_ubyte1_e32 v15, v147
	v_mul_i32_i24_e32 v13, v96, v13
	s_delay_alu instid0(VALU_DEP_3) | instskip(NEXT) | instid1(VALU_DEP_1)
	v_mul_i32_i24_e32 v0, v95, v0
	v_add3_u32 v0, v11, v13, v0
	v_bfe_u32 v11, v134, 20, 4
	v_lshrrev_b32_e32 v13, 28, v134
	s_delay_alu instid0(VALU_DEP_2) | instskip(NEXT) | instid1(VALU_DEP_2)
	v_mul_i32_i24_e32 v11, v96, v11
	v_mul_i32_i24_e32 v13, v95, v13
	s_delay_alu instid0(VALU_DEP_1) | instskip(SKIP_2) | instid1(VALU_DEP_2)
	v_add3_u32 v2, v2, v11, v13
	v_and_b32_e32 v11, 15, v14
	v_bfe_u32 v13, v14, 8, 4
	v_mul_i32_i24_e32 v11, v89, v11
	s_delay_alu instid0(VALU_DEP_2) | instskip(NEXT) | instid1(VALU_DEP_1)
	v_mul_i32_i24_e32 v13, v123, v13
	v_add3_u32 v3, v3, v13, v11
	v_and_b32_e32 v11, 15, v1
	v_bfe_u32 v13, v1, 8, 4
	s_delay_alu instid0(VALU_DEP_2) | instskip(NEXT) | instid1(VALU_DEP_2)
	v_mul_i32_i24_e32 v11, v89, v11
	v_mul_i32_i24_e32 v13, v123, v13
	s_delay_alu instid0(VALU_DEP_1) | instskip(SKIP_2) | instid1(VALU_DEP_2)
	v_add3_u32 v8, v8, v13, v11
	v_and_b32_e32 v11, 15, v135
	v_bfe_u32 v13, v135, 8, 4
	v_mul_i32_i24_e32 v11, v89, v11
	s_delay_alu instid0(VALU_DEP_2) | instskip(NEXT) | instid1(VALU_DEP_1)
	v_mul_i32_i24_e32 v13, v123, v13
	v_add3_u32 v10, v10, v13, v11
	v_bfe_u32 v11, v14, 4, 4
	v_bfe_u32 v13, v14, 12, 4
	s_delay_alu instid0(VALU_DEP_2) | instskip(NEXT) | instid1(VALU_DEP_2)
	v_mul_i32_i24_e32 v11, v91, v11
	v_mul_i32_i24_e32 v13, v121, v13
	s_delay_alu instid0(VALU_DEP_1) | instskip(SKIP_2) | instid1(VALU_DEP_2)
	v_add3_u32 v9, v9, v11, v13
	v_bfe_u32 v11, v1, 4, 4
	v_bfe_u32 v13, v1, 12, 4
	v_mul_i32_i24_e32 v11, v91, v11
	s_delay_alu instid0(VALU_DEP_2) | instskip(NEXT) | instid1(VALU_DEP_1)
	v_mul_i32_i24_e32 v13, v121, v13
	v_add3_u32 v0, v0, v11, v13
	v_bfe_u32 v11, v135, 4, 4
	v_bfe_u32 v13, v135, 12, 4
	s_delay_alu instid0(VALU_DEP_2) | instskip(NEXT) | instid1(VALU_DEP_2)
	v_mul_i32_i24_e32 v11, v91, v11
	v_mul_i32_i24_e32 v13, v121, v13
	s_delay_alu instid0(VALU_DEP_1) | instskip(SKIP_2) | instid1(VALU_DEP_2)
	v_add3_u32 v2, v2, v11, v13
	v_bfe_u32 v11, v14, 16, 4
	;; [unrolled: 13-line block ×3, first 2 shown]
	v_bfe_u32 v13, v135, 24, 4
	v_mul_i32_i24_e32 v11, v84, v11
	s_delay_alu instid0(VALU_DEP_2) | instskip(SKIP_2) | instid1(VALU_DEP_3)
	v_mul_i32_i24_e32 v13, v83, v13
	v_lshrrev_b16 v84, 8, v139
	v_cvt_f32_ubyte1_e32 v83, v87
	v_add3_u32 v10, v10, v11, v13
	v_bfe_u32 v11, v14, 20, 4
	v_lshrrev_b32_e32 v13, 28, v14
	v_cvt_f32_ubyte1_e32 v14, v90
	v_and_b32_e32 v84, 0xffff, v84
	s_delay_alu instid0(VALU_DEP_4) | instskip(NEXT) | instid1(VALU_DEP_4)
	v_mul_i32_i24_e32 v11, v88, v11
	v_mul_i32_i24_e32 v13, v86, v13
	s_delay_alu instid0(VALU_DEP_3) | instskip(NEXT) | instid1(VALU_DEP_2)
	v_mul_lo_u32 v7, v7, v84
	v_add3_u32 v9, v9, v11, v13
	v_bfe_u32 v11, v1, 20, 4
	v_lshrrev_b32_e32 v1, 28, v1
	v_cvt_f32_ubyte0_e32 v13, v90
	v_cvt_f32_i32_e32 v7, v7
	s_delay_alu instid0(VALU_DEP_4) | instskip(NEXT) | instid1(VALU_DEP_4)
	v_mul_i32_i24_e32 v11, v88, v11
	v_mul_i32_i24_e32 v1, v86, v1
	s_delay_alu instid0(VALU_DEP_1) | instskip(SKIP_2) | instid1(VALU_DEP_2)
	v_add3_u32 v11, v0, v11, v1
	v_bfe_u32 v0, v135, 20, 4
	v_lshrrev_b32_e32 v1, 28, v135
	v_mul_i32_i24_e32 v0, v88, v0
	s_delay_alu instid0(VALU_DEP_2) | instskip(NEXT) | instid1(VALU_DEP_1)
	v_mul_i32_i24_e32 v1, v86, v1
	v_add3_u32 v2, v2, v0, v1
	v_lshrrev_b32_e32 v0, 1, v82
	v_cvt_f32_ubyte0_e32 v82, v87
	ds_load_b64 v[0:1], v0 offset:20560
	s_wait_dscnt 0x0
	v_fma_mix_f32 v13, v0, v13, 0 op_sel:[1,0,0] op_sel_hi:[1,0,0]
	v_fma_mix_f32 v82, v0, v82, 0 op_sel:[1,0,0] op_sel_hi:[1,0,0]
	s_delay_alu instid0(VALU_DEP_2) | instskip(SKIP_1) | instid1(VALU_DEP_3)
	v_fma_mix_f32 v13, v1, v14, v13 op_sel:[1,0,0] op_sel_hi:[1,0,0]
	v_cvt_f32_ubyte0_e32 v14, v147
	v_fma_mix_f32 v82, v1, v83, v82 op_sel:[1,0,0] op_sel_hi:[1,0,0]
	v_and_b32_e32 v83, 0xff, v139
	s_delay_alu instid0(VALU_DEP_4) | instskip(NEXT) | instid1(VALU_DEP_4)
	v_mul_f32_e32 v13, v13, v78
	v_fma_mix_f32 v14, v0, v14, 0 op_sel:[1,0,0] op_sel_hi:[1,0,0]
	s_delay_alu instid0(VALU_DEP_3) | instskip(NEXT) | instid1(VALU_DEP_2)
	v_mul_lo_u32 v83, v120, v83
	v_fma_mix_f32 v14, v1, v15, v14 op_sel:[1,0,0] op_sel_hi:[1,0,0]
	v_cvt_f32_ubyte0_e32 v15, v94
	s_delay_alu instid0(VALU_DEP_3) | instskip(NEXT) | instid1(VALU_DEP_2)
	v_cvt_f32_i32_e32 v83, v83
	v_fma_mix_f32 v15, v15, v0, 0 op_sel:[0,1,0] op_sel_hi:[0,1,0]
	s_delay_alu instid0(VALU_DEP_4) | instskip(NEXT) | instid1(VALU_DEP_3)
	v_mul_f32_e32 v14, v14, v79
	v_fma_mix_f32 v83, v83, v0, 0 op_sel_hi:[0,1,0]
	s_delay_alu instid0(VALU_DEP_3) | instskip(SKIP_4) | instid1(VALU_DEP_3)
	v_fma_mix_f32 v15, v16, v1, v15 op_sel:[0,1,0] op_sel_hi:[0,1,0]
	ds_load_u16 v16, v85
	v_lshrrev_b16 v85, 8, v138
	v_fma_mix_f32 v7, v7, v1, v83 op_sel_hi:[0,1,0]
	v_mul_f32_e32 v15, v15, v80
	v_and_b32_e32 v85, 0xffff, v85
	s_delay_alu instid0(VALU_DEP_1) | instskip(NEXT) | instid1(VALU_DEP_1)
	v_mul_lo_u32 v11, v11, v85
	v_cvt_f32_i32_e32 v11, v11
	s_wait_dscnt 0x0
	v_and_b32_e32 v84, 0xff, v16
	v_lshrrev_b16 v16, 8, v16
	s_delay_alu instid0(VALU_DEP_2) | instskip(SKIP_1) | instid1(VALU_DEP_3)
	v_mul_lo_u32 v3, v3, v84
	v_and_b32_e32 v84, 0xff, v138
	v_and_b32_e32 v16, 0xffff, v16
	s_delay_alu instid0(VALU_DEP_2) | instskip(SKIP_2) | instid1(VALU_DEP_4)
	v_mul_lo_u32 v8, v8, v84
	v_lshrrev_b16 v84, 8, v12
	v_and_b32_e32 v12, 0xff, v12
	v_mul_lo_u32 v9, v9, v16
	v_cvt_f32_i32_e32 v3, v3
	s_delay_alu instid0(VALU_DEP_4) | instskip(NEXT) | instid1(VALU_DEP_4)
	v_and_b32_e32 v84, 0xffff, v84
	v_mul_lo_u32 v10, v10, v12
	v_cvt_f32_i32_e32 v8, v8
	s_delay_alu instid0(VALU_DEP_4) | instskip(NEXT) | instid1(VALU_DEP_4)
	v_fma_mix_f32 v3, v0, v3, 0 op_sel_hi:[1,0,0]
	v_mul_lo_u32 v2, v2, v84
	v_cvt_f32_i32_e32 v9, v9
	s_delay_alu instid0(VALU_DEP_4) | instskip(SKIP_1) | instid1(VALU_DEP_3)
	v_fma_mix_f32 v8, v0, v8, 0 op_sel_hi:[1,0,0]
	v_cvt_f32_i32_e32 v10, v10
	v_fma_mix_f32 v3, v1, v9, v3 op_sel_hi:[1,0,0]
	s_delay_alu instid0(VALU_DEP_3) | instskip(SKIP_1) | instid1(VALU_DEP_4)
	v_fma_mix_f32 v8, v1, v11, v8 op_sel_hi:[1,0,0]
	v_cvt_f32_i32_e32 v2, v2
	v_fma_mix_f32 v0, v0, v10, 0 op_sel_hi:[1,0,0]
	v_mul_f32_e32 v10, v82, v77
	s_delay_alu instid0(VALU_DEP_2) | instskip(SKIP_1) | instid1(VALU_DEP_3)
	v_fma_mix_f32 v0, v1, v2, v0 op_sel_hi:[1,0,0]
	v_fma_f32 v1, v7, v81, -v15
	v_fma_f32 v2, v3, v74, -v10
	;; [unrolled: 1-line block ×3, first 2 shown]
	s_delay_alu instid0(VALU_DEP_4) | instskip(NEXT) | instid1(VALU_DEP_3)
	v_fma_f32 v0, v0, v76, -v14
	v_dual_add_f32 v4, v4, v1 :: v_dual_add_f32 v19, v19, v2
	s_delay_alu instid0(VALU_DEP_3) | instskip(NEXT) | instid1(VALU_DEP_3)
	v_add_f32_e32 v52, v52, v3
	v_add_f32_e32 v44, v44, v0
	s_wait_alu 0xfffe
	s_cbranch_vccnz .LBB211_11
; %bb.12:                               ;   in Loop: Header=BB211_5 Depth=1
	s_bitset1_b32 s16, 7
	s_wait_loadcnt 0x0
	s_wait_alu 0xfffe
	s_cmp_ge_i32 s16, s11
	s_barrier_signal -1
	s_barrier_wait -1
	global_inv scope:SCOPE_SE
	s_cbranch_scc1 .LBB211_4
; %bb.13:                               ;   in Loop: Header=BB211_5 Depth=1
	v_add_nc_u32_e32 v0, s17, v54
	s_delay_alu instid0(VALU_DEP_1)
	v_cmp_gt_i32_e32 vcc_lo, s5, v0
	s_and_b32 s17, s1, vcc_lo
	s_wait_alu 0xfffe
	s_and_saveexec_b32 s16, s17
	s_cbranch_execz .LBB211_15
; %bb.14:                               ;   in Loop: Header=BB211_5 Depth=1
	v_add_nc_u32_e32 v0, v59, v0
	s_delay_alu instid0(VALU_DEP_1)
	v_mad_co_i64_i32 v[0:1], null, v0, 36, v[5:6]
	global_load_b32 v0, v[0:1], off offset:4
	s_wait_loadcnt 0x0
	ds_store_b32 v50, v0
.LBB211_15:                             ;   in Loop: Header=BB211_5 Depth=1
	s_wait_alu 0xfffe
	s_or_b32 exec_lo, exec_lo, s16
	s_and_saveexec_b32 s16, s0
	s_cbranch_execz .LBB211_18
; %bb.16:                               ;   in Loop: Header=BB211_5 Depth=1
	v_or_b32_e32 v0, 4, v73
	s_delay_alu instid0(VALU_DEP_1)
	v_cmp_gt_i32_e32 vcc_lo, s5, v0
	s_and_b32 s17, s1, vcc_lo
	s_wait_alu 0xfffe
	s_and_b32 exec_lo, exec_lo, s17
	s_cbranch_execz .LBB211_18
; %bb.17:                               ;   in Loop: Header=BB211_5 Depth=1
	v_ashrrev_i32_e32 v0, 31, v73
	v_ashrrev_i32_e32 v1, 31, v59
	v_add_co_u32 v2, vcc_lo, v59, v73
	s_wait_alu 0xfffd
	s_delay_alu instid0(VALU_DEP_2) | instskip(NEXT) | instid1(VALU_DEP_2)
	v_add_co_ci_u32_e64 v3, null, v1, v0, vcc_lo
	v_mad_co_u64_u32 v[0:1], null, v2, 36, s[2:3]
	s_delay_alu instid0(VALU_DEP_1)
	v_mad_i32_i24 v1, v3, 36, v1
	global_load_b32 v0, v[0:1], off offset:144
	s_wait_loadcnt 0x0
	ds_store_b32 v68, v0
.LBB211_18:                             ;   in Loop: Header=BB211_5 Depth=1
	s_wait_alu 0xfffe
	s_or_b32 exec_lo, exec_lo, s16
	s_wait_loadcnt_dscnt 0x0
	s_barrier_signal -1
	s_barrier_wait -1
	global_inv scope:SCOPE_SE
	ds_load_b32 v0, v53
	ds_load_b32 v1, v55 offset:128
	ds_load_b32 v2, v56 offset:256
	;; [unrolled: 1-line block ×3, first 2 shown]
	v_dual_mov_b32 v13, v47 :: v_dual_mov_b32 v14, v62
	v_mad_u32_u24 v79, 0x84, v18, 64
	s_mov_b32 s16, 16
	s_mov_b32 s17, 0
	s_wait_dscnt 0x3
	v_cvt_f32_f16_e32 v15, v0
	v_lshrrev_b32_e32 v0, 16, v0
	s_wait_dscnt 0x2
	v_cvt_f32_f16_e32 v16, v1
	v_lshrrev_b32_e32 v1, 16, v1
	;; [unrolled: 3-line block ×3, first 2 shown]
	s_wait_dscnt 0x0
	v_lshrrev_b32_e32 v7, 16, v3
	v_cvt_f32_f16_e32 v74, v3
	v_cvt_f32_f16_e32 v75, v0
	;; [unrolled: 1-line block ×5, first 2 shown]
.LBB211_19:                             ;   Parent Loop BB211_5 Depth=1
                                        ; =>  This Inner Loop Header: Depth=2
	ds_load_b128 v[0:3], v13
	ds_load_b128 v[7:10], v13 offset:16
	s_wait_alu 0xfffe
	s_lshr_b32 s21, s16, 2
	v_add_nc_u32_e32 v147, 0x2110, v79
	s_wait_alu 0xfffe
	s_and_b32 s21, s21, 0x3ffffffc
	v_add_nc_u32_e32 v161, 0x3198, v79
	s_add_co_i32 s16, s16, 8
	s_wait_dscnt 0x1
	v_lshrrev_b16 v12, 8, v0
	v_lshrrev_b16 v135, 8, v1
	;; [unrolled: 1-line block ×4, first 2 shown]
	v_ashrrev_i32_e32 v137, 24, v0
	v_bfe_i32 v139, v0, 16, 8
	v_bfe_i32 v142, v0, 0, 8
	v_ashrrev_i32_e32 v125, 24, v1
	v_bfe_i32 v128, v1, 16, 8
	v_bfe_i32 v132, v1, 0, 8
	;; [unrolled: 3-line block ×4, first 2 shown]
	s_wait_dscnt 0x0
	v_lshrrev_b16 v127, 8, v7
	v_lshrrev_b16 v119, 8, v8
	;; [unrolled: 1-line block ×4, first 2 shown]
	v_ashrrev_i32_e32 v97, 24, v7
	v_bfe_i32 v98, v7, 16, 8
	v_bfe_i32 v100, v7, 0, 8
	v_ashrrev_i32_e32 v91, 24, v8
	v_bfe_i32 v92, v8, 16, 8
	v_bfe_i32 v94, v8, 0, 8
	;; [unrolled: 3-line block ×4, first 2 shown]
	ds_load_b128 v[0:3], v13 offset:32
	ds_load_b128 v[7:10], v13 offset:48
	v_bfe_i32 v141, v12, 0, 8
	v_bfe_i32 v135, v135, 0, 8
	;; [unrolled: 1-line block ×6, first 2 shown]
	v_add_nc_u32_e32 v13, 64, v13
	s_wait_dscnt 0x1
	v_lshrrev_b16 v11, 8, v0
	v_lshrrev_b16 v134, 8, v1
	;; [unrolled: 1-line block ×4, first 2 shown]
	v_ashrrev_i32_e32 v136, 24, v0
	v_bfe_i32 v138, v0, 16, 8
	v_bfe_i32 v140, v0, 0, 8
	v_ashrrev_i32_e32 v129, 24, v1
	v_bfe_i32 v130, v1, 16, 8
	v_bfe_i32 v133, v1, 0, 8
	;; [unrolled: 3-line block ×4, first 2 shown]
	s_wait_dscnt 0x0
	v_lshrrev_b16 v122, 8, v7
	v_lshrrev_b16 v114, 8, v8
	;; [unrolled: 1-line block ×4, first 2 shown]
	v_ashrrev_i32_e32 v101, 24, v7
	v_bfe_i32 v102, v7, 16, 8
	v_bfe_i32 v105, v7, 0, 8
	v_ashrrev_i32_e32 v95, 24, v8
	v_bfe_i32 v96, v8, 16, 8
	v_bfe_i32 v99, v8, 0, 8
	;; [unrolled: 3-line block ×4, first 2 shown]
	ds_load_2addr_b32 v[0:1], v79 offset1:1
	ds_load_2addr_b32 v[2:3], v79 offset0:2 offset1:3
	ds_load_2addr_b32 v[7:8], v79 offset0:4 offset1:5
	ds_load_b64 v[9:10], v14
	v_bfe_i32 v163, v11, 0, 8
	v_bfe_i32 v134, v134, 0, 8
	;; [unrolled: 1-line block ×7, first 2 shown]
	v_add_nc_u32_e32 v14, 8, v14
	s_wait_dscnt 0x3
	v_and_b32_e32 v12, 15, v0
	v_bfe_u32 v143, v0, 8, 4
	v_bfe_u32 v144, v0, 24, 4
	;; [unrolled: 1-line block ×3, first 2 shown]
	s_delay_alu instid0(VALU_DEP_4) | instskip(NEXT) | instid1(VALU_DEP_3)
	v_mul_i32_i24_e32 v12, v142, v12
	v_mul_i32_i24_e32 v144, v137, v144
	s_delay_alu instid0(VALU_DEP_3) | instskip(NEXT) | instid1(VALU_DEP_3)
	v_mul_i32_i24_e32 v11, v140, v11
	v_mad_i32_i24 v12, v141, v143, v12
	v_bfe_u32 v143, v0, 16, 4
	s_delay_alu instid0(VALU_DEP_1) | instskip(NEXT) | instid1(VALU_DEP_1)
	v_mul_i32_i24_e32 v143, v139, v143
	v_add3_u32 v157, v12, v143, v144
	v_bfe_u32 v12, v0, 12, 4
	s_delay_alu instid0(VALU_DEP_1) | instskip(SKIP_2) | instid1(VALU_DEP_2)
	v_mad_i32_i24 v11, v163, v12, v11
	v_bfe_u32 v12, v0, 20, 4
	v_lshrrev_b32_e32 v0, 28, v0
	v_mul_i32_i24_e32 v12, v138, v12
	s_delay_alu instid0(VALU_DEP_2) | instskip(NEXT) | instid1(VALU_DEP_1)
	v_mul_i32_i24_e32 v0, v136, v0
	v_add3_u32 v164, v11, v12, v0
	v_lshlrev_b32_e32 v0, 4, v18
	s_delay_alu instid0(VALU_DEP_1) | instskip(SKIP_3) | instid1(VALU_DEP_2)
	v_add_nc_u32_e32 v144, s17, v0
	v_add_nc_u32_e32 v0, 0x1080, v79
	s_add_co_i32 s17, s17, 2
	s_wait_alu 0xfffe
	v_add3_u32 v143, v65, s21, v144
	ds_load_2addr_b32 v[149:150], v0 offset1:1
	v_add3_u32 v146, v63, s21, v144
	v_add3_u32 v148, v64, s21, v144
	ds_load_u16 v0, v143 offset:17416
	s_wait_dscnt 0x1
	v_and_b32_e32 v11, 15, v149
	v_bfe_u32 v12, v149, 8, 4
	v_bfe_u32 v145, v149, 24, 4
	s_delay_alu instid0(VALU_DEP_3) | instskip(NEXT) | instid1(VALU_DEP_2)
	v_mul_i32_i24_e32 v11, v142, v11
	v_mul_i32_i24_e32 v145, v137, v145
	s_delay_alu instid0(VALU_DEP_2) | instskip(SKIP_1) | instid1(VALU_DEP_1)
	v_mad_i32_i24 v11, v141, v12, v11
	v_bfe_u32 v12, v149, 16, 4
	v_mul_i32_i24_e32 v12, v139, v12
	s_delay_alu instid0(VALU_DEP_1)
	v_add3_u32 v165, v11, v12, v145
	v_add_nc_u32_e32 v11, 0x3180, v79
	ds_load_u16 v145, v146 offset:18440
	ds_load_2addr_b32 v[151:152], v11 offset1:1
	s_wait_dscnt 0x0
	v_and_b32_e32 v11, 15, v152
	v_and_b32_e32 v12, 15, v151
	v_bfe_u32 v159, v151, 16, 4
	v_bfe_u32 v170, v151, 20, 4
	v_lshrrev_b32_e32 v171, 28, v151
	v_mul_i32_i24_e32 v11, v11, v132
	s_delay_alu instid0(VALU_DEP_1)
	v_mad_i32_i24 v166, v12, v142, v11
	v_add_nc_u32_e32 v11, 0x2100, v79
	v_add_nc_u32_e32 v12, 0x2108, v79
	ds_load_2addr_b32 v[153:154], v11 offset1:1
	ds_load_2addr_b32 v[155:156], v12 offset1:1
	;; [unrolled: 1-line block ×3, first 2 shown]
	ds_load_u16 v147, v148 offset:17928
	s_wait_dscnt 0x3
	v_and_b32_e32 v158, 15, v153
	s_delay_alu instid0(VALU_DEP_1) | instskip(SKIP_1) | instid1(VALU_DEP_1)
	v_mul_i32_i24_e32 v142, v142, v158
	v_bfe_u32 v158, v152, 16, 4
	v_mul_i32_i24_e32 v158, v158, v128
	s_delay_alu instid0(VALU_DEP_1) | instskip(SKIP_2) | instid1(VALU_DEP_2)
	v_mad_i32_i24 v167, v159, v139, v158
	v_bfe_u32 v158, v153, 16, 4
	v_bfe_u32 v159, v151, 24, 4
	v_mul_i32_i24_e32 v139, v139, v158
	v_bfe_u32 v158, v152, 24, 4
	s_delay_alu instid0(VALU_DEP_1) | instskip(NEXT) | instid1(VALU_DEP_1)
	v_mul_i32_i24_e32 v158, v158, v125
	v_mad_i32_i24 v168, v159, v137, v158
	v_bfe_u32 v158, v153, 24, 4
	v_add_nc_u32_e32 v159, 0x3190, v79
	s_delay_alu instid0(VALU_DEP_2) | instskip(SKIP_1) | instid1(VALU_DEP_1)
	v_mul_i32_i24_e32 v137, v137, v158
	v_bfe_u32 v158, v153, 8, 4
	v_mad_i32_i24 v142, v141, v158, v142
	s_delay_alu instid0(VALU_DEP_1) | instskip(SKIP_2) | instid1(VALU_DEP_2)
	v_add3_u32 v137, v142, v139, v137
	v_and_b32_e32 v139, 15, v1
	v_bfe_u32 v142, v1, 8, 4
	v_mul_i32_i24_e32 v139, v132, v139
	s_delay_alu instid0(VALU_DEP_2) | instskip(NEXT) | instid1(VALU_DEP_1)
	v_mul_i32_i24_e32 v142, v135, v142
	v_add3_u32 v139, v157, v142, v139
	v_add_nc_u32_e32 v142, 0x3188, v79
	ds_load_2addr_b32 v[157:158], v142 offset1:1
	ds_load_2addr_b32 v[159:160], v159 offset1:1
	;; [unrolled: 1-line block ×3, first 2 shown]
	s_wait_dscnt 0x2
	v_bfe_u32 v142, v157, 24, 4
	v_bfe_u32 v169, v158, 24, 4
	s_delay_alu instid0(VALU_DEP_2) | instskip(NEXT) | instid1(VALU_DEP_2)
	v_mul_i32_i24_e32 v142, v142, v111
	v_mul_i32_i24_e32 v169, v169, v103
	s_delay_alu instid0(VALU_DEP_1) | instskip(SKIP_2) | instid1(VALU_DEP_2)
	v_add3_u32 v142, v168, v142, v169
	v_bfe_u32 v168, v157, 16, 4
	v_bfe_u32 v169, v158, 16, 4
	v_mul_i32_i24_e32 v168, v168, v113
	s_delay_alu instid0(VALU_DEP_2) | instskip(NEXT) | instid1(VALU_DEP_1)
	v_mul_i32_i24_e32 v169, v169, v104
	v_add3_u32 v167, v167, v168, v169
	v_and_b32_e32 v168, 15, v157
	v_and_b32_e32 v169, 15, v158
	s_delay_alu instid0(VALU_DEP_2) | instskip(NEXT) | instid1(VALU_DEP_2)
	v_mul_i32_i24_e32 v168, v168, v118
	v_mul_i32_i24_e32 v169, v169, v107
	s_delay_alu instid0(VALU_DEP_1) | instskip(SKIP_2) | instid1(VALU_DEP_2)
	v_add3_u32 v166, v166, v168, v169
	v_bfe_u32 v168, v149, 4, 4
	v_bfe_u32 v169, v149, 12, 4
	v_mul_i32_i24_e32 v168, v140, v168
	s_delay_alu instid0(VALU_DEP_1) | instskip(SKIP_2) | instid1(VALU_DEP_2)
	v_mad_i32_i24 v168, v163, v169, v168
	v_bfe_u32 v169, v149, 20, 4
	v_lshrrev_b32_e32 v149, 28, v149
	v_mul_i32_i24_e32 v169, v138, v169
	s_delay_alu instid0(VALU_DEP_2) | instskip(NEXT) | instid1(VALU_DEP_1)
	v_mul_i32_i24_e32 v149, v136, v149
	v_add3_u32 v149, v168, v169, v149
	v_bfe_u32 v168, v152, 4, 4
	v_bfe_u32 v169, v151, 4, 4
	s_delay_alu instid0(VALU_DEP_2) | instskip(NEXT) | instid1(VALU_DEP_1)
	v_mul_i32_i24_e32 v168, v168, v133
	v_mad_i32_i24 v168, v169, v140, v168
	v_bfe_u32 v169, v153, 4, 4
	s_delay_alu instid0(VALU_DEP_1) | instskip(SKIP_1) | instid1(VALU_DEP_1)
	v_mul_i32_i24_e32 v140, v140, v169
	v_bfe_u32 v169, v152, 20, 4
	v_mul_i32_i24_e32 v169, v169, v130
	s_delay_alu instid0(VALU_DEP_1) | instskip(SKIP_1) | instid1(VALU_DEP_1)
	v_mad_i32_i24 v169, v170, v138, v169
	v_bfe_u32 v170, v153, 20, 4
	v_mul_i32_i24_e32 v138, v138, v170
	v_lshrrev_b32_e32 v170, 28, v152
	s_delay_alu instid0(VALU_DEP_1) | instskip(NEXT) | instid1(VALU_DEP_1)
	v_mul_i32_i24_e32 v170, v170, v129
	v_mad_i32_i24 v170, v171, v136, v170
	v_lshrrev_b32_e32 v171, 28, v153
	v_bfe_u32 v153, v153, 12, 4
	s_delay_alu instid0(VALU_DEP_2) | instskip(NEXT) | instid1(VALU_DEP_2)
	v_mul_i32_i24_e32 v136, v136, v171
	v_mad_i32_i24 v140, v163, v153, v140
	v_lshrrev_b32_e32 v153, 28, v158
	s_delay_alu instid0(VALU_DEP_2) | instskip(SKIP_2) | instid1(VALU_DEP_4)
	v_add3_u32 v136, v140, v138, v136
	v_bfe_u32 v138, v1, 4, 4
	v_bfe_u32 v140, v1, 12, 4
	v_mul_i32_i24_e32 v153, v153, v106
	s_delay_alu instid0(VALU_DEP_3) | instskip(NEXT) | instid1(VALU_DEP_3)
	v_mul_i32_i24_e32 v138, v133, v138
	v_mul_i32_i24_e32 v140, v134, v140
	s_delay_alu instid0(VALU_DEP_1) | instskip(SKIP_2) | instid1(VALU_DEP_2)
	v_add3_u32 v138, v164, v138, v140
	v_lshrrev_b32_e32 v140, 28, v157
	v_bfe_u32 v164, v158, 20, 4
	v_mul_i32_i24_e32 v140, v140, v116
	s_delay_alu instid0(VALU_DEP_2) | instskip(NEXT) | instid1(VALU_DEP_2)
	v_mul_i32_i24_e32 v164, v164, v108
	v_add3_u32 v140, v170, v140, v153
	v_bfe_u32 v153, v157, 20, 4
	s_delay_alu instid0(VALU_DEP_1) | instskip(NEXT) | instid1(VALU_DEP_1)
	v_mul_i32_i24_e32 v153, v153, v117
	v_add3_u32 v153, v169, v153, v164
	v_bfe_u32 v164, v157, 4, 4
	v_bfe_u32 v169, v158, 4, 4
	s_delay_alu instid0(VALU_DEP_2) | instskip(NEXT) | instid1(VALU_DEP_2)
	v_mul_i32_i24_e32 v164, v164, v123
	v_mul_i32_i24_e32 v169, v169, v110
	s_delay_alu instid0(VALU_DEP_1) | instskip(SKIP_2) | instid1(VALU_DEP_2)
	v_add3_u32 v164, v168, v164, v169
	v_bfe_u32 v168, v1, 16, 4
	v_bfe_u32 v169, v1, 24, 4
	v_mul_i32_i24_e32 v168, v128, v168
	s_delay_alu instid0(VALU_DEP_2) | instskip(NEXT) | instid1(VALU_DEP_1)
	v_mul_i32_i24_e32 v169, v125, v169
	v_add3_u32 v139, v139, v168, v169
	v_and_b32_e32 v168, 15, v150
	v_bfe_u32 v169, v150, 8, 4
	s_delay_alu instid0(VALU_DEP_2) | instskip(NEXT) | instid1(VALU_DEP_2)
	v_mul_i32_i24_e32 v168, v132, v168
	v_mul_i32_i24_e32 v169, v135, v169
	s_delay_alu instid0(VALU_DEP_1) | instskip(SKIP_1) | instid1(VALU_DEP_1)
	v_add3_u32 v165, v165, v169, v168
	v_and_b32_e32 v168, 15, v154
	v_mul_i32_i24_e32 v132, v132, v168
	v_bfe_u32 v168, v154, 8, 4
	s_delay_alu instid0(VALU_DEP_1) | instskip(NEXT) | instid1(VALU_DEP_1)
	v_mul_i32_i24_e32 v168, v135, v168
	v_add3_u32 v132, v137, v168, v132
	v_and_b32_e32 v137, 0xf0f0f0f, v151
	s_delay_alu instid0(VALU_DEP_1) | instskip(NEXT) | instid1(VALU_DEP_1)
	v_lshrrev_b16 v137, 8, v137
	v_and_b32_e32 v137, 0xffff, v137
	s_delay_alu instid0(VALU_DEP_1) | instskip(SKIP_1) | instid1(VALU_DEP_1)
	v_mul_i32_i24_e32 v137, v137, v141
	v_and_b32_e32 v141, 0xf0f0f0f, v152
	v_lshrrev_b16 v141, 8, v141
	s_delay_alu instid0(VALU_DEP_1) | instskip(NEXT) | instid1(VALU_DEP_1)
	v_and_b32_e32 v141, 0xffff, v141
	v_mul_i32_i24_e32 v135, v141, v135
	v_and_b32_e32 v141, 0xf0f0f0f, v157
	s_delay_alu instid0(VALU_DEP_1) | instskip(NEXT) | instid1(VALU_DEP_1)
	v_lshrrev_b16 v141, 8, v141
	v_and_b32_e32 v141, 0xffff, v141
	s_delay_alu instid0(VALU_DEP_1) | instskip(NEXT) | instid1(VALU_DEP_1)
	v_mul_i32_i24_e32 v141, v141, v131
	v_add3_u32 v135, v137, v135, v141
	s_wait_dscnt 0x1
	v_bfe_u32 v137, v159, 24, 4
	v_bfe_u32 v141, v160, 24, 4
	s_delay_alu instid0(VALU_DEP_2) | instskip(NEXT) | instid1(VALU_DEP_2)
	v_mul_i32_i24_e32 v137, v137, v97
	v_mul_i32_i24_e32 v141, v141, v91
	s_delay_alu instid0(VALU_DEP_1) | instskip(SKIP_2) | instid1(VALU_DEP_2)
	v_add3_u32 v137, v142, v137, v141
	v_and_b32_e32 v141, 15, v159
	v_and_b32_e32 v142, 15, v160
	v_mul_i32_i24_e32 v141, v141, v100
	s_delay_alu instid0(VALU_DEP_2) | instskip(NEXT) | instid1(VALU_DEP_1)
	v_mul_i32_i24_e32 v142, v142, v94
	v_add3_u32 v141, v166, v141, v142
	v_bfe_u32 v142, v159, 16, 4
	v_bfe_u32 v166, v160, 16, 4
	s_delay_alu instid0(VALU_DEP_2) | instskip(NEXT) | instid1(VALU_DEP_2)
	v_mul_i32_i24_e32 v142, v142, v98
	v_mul_i32_i24_e32 v166, v166, v92
	s_delay_alu instid0(VALU_DEP_1) | instskip(SKIP_2) | instid1(VALU_DEP_2)
	v_add3_u32 v142, v167, v142, v166
	v_bfe_u32 v166, v1, 20, 4
	v_lshrrev_b32_e32 v1, 28, v1
	v_mul_i32_i24_e32 v166, v130, v166
	s_delay_alu instid0(VALU_DEP_2) | instskip(NEXT) | instid1(VALU_DEP_1)
	v_mul_i32_i24_e32 v1, v129, v1
	v_add3_u32 v1, v138, v166, v1
	v_bfe_u32 v138, v150, 4, 4
	v_bfe_u32 v166, v150, 12, 4
	s_delay_alu instid0(VALU_DEP_2) | instskip(NEXT) | instid1(VALU_DEP_2)
	v_mul_i32_i24_e32 v138, v133, v138
	v_mul_i32_i24_e32 v166, v134, v166
	s_delay_alu instid0(VALU_DEP_1) | instskip(SKIP_1) | instid1(VALU_DEP_1)
	v_add3_u32 v138, v149, v138, v166
	v_bfe_u32 v149, v154, 4, 4
	v_mul_i32_i24_e32 v133, v133, v149
	v_bfe_u32 v149, v154, 12, 4
	s_delay_alu instid0(VALU_DEP_1) | instskip(NEXT) | instid1(VALU_DEP_1)
	v_mul_i32_i24_e32 v149, v134, v149
	v_add3_u32 v133, v136, v133, v149
	v_lshrrev_b32_e32 v136, 28, v159
	v_lshrrev_b32_e32 v149, 28, v160
	s_delay_alu instid0(VALU_DEP_2) | instskip(NEXT) | instid1(VALU_DEP_2)
	v_mul_i32_i24_e32 v136, v136, v101
	v_mul_i32_i24_e32 v149, v149, v95
	s_delay_alu instid0(VALU_DEP_1) | instskip(SKIP_2) | instid1(VALU_DEP_2)
	v_add3_u32 v136, v140, v136, v149
	v_bfe_u32 v140, v159, 4, 4
	v_bfe_u32 v149, v160, 4, 4
	v_mul_i32_i24_e32 v140, v140, v105
	s_delay_alu instid0(VALU_DEP_2) | instskip(NEXT) | instid1(VALU_DEP_1)
	v_mul_i32_i24_e32 v149, v149, v99
	v_add3_u32 v140, v164, v140, v149
	v_bfe_u32 v149, v159, 20, 4
	v_bfe_u32 v164, v160, 20, 4
	s_delay_alu instid0(VALU_DEP_2) | instskip(NEXT) | instid1(VALU_DEP_2)
	v_mul_i32_i24_e32 v149, v149, v102
	v_mul_i32_i24_e32 v164, v164, v96
	s_delay_alu instid0(VALU_DEP_1) | instskip(SKIP_2) | instid1(VALU_DEP_2)
	v_add3_u32 v149, v153, v149, v164
	v_bfe_u32 v153, v150, 16, 4
	v_bfe_u32 v164, v150, 24, 4
	v_mul_i32_i24_e32 v153, v128, v153
	s_delay_alu instid0(VALU_DEP_2) | instskip(NEXT) | instid1(VALU_DEP_1)
	v_mul_i32_i24_e32 v164, v125, v164
	v_add3_u32 v153, v165, v153, v164
	v_bfe_u32 v164, v154, 16, 4
	s_delay_alu instid0(VALU_DEP_1) | instskip(SKIP_1) | instid1(VALU_DEP_1)
	v_mul_i32_i24_e32 v128, v128, v164
	v_bfe_u32 v164, v154, 24, 4
	v_mul_i32_i24_e32 v125, v125, v164
	v_bfe_i32 v164, v127, 0, 8
	v_and_b32_e32 v127, 0xf0f0f0f, v159
	s_delay_alu instid0(VALU_DEP_3) | instskip(SKIP_2) | instid1(VALU_DEP_4)
	v_add3_u32 v132, v132, v128, v125
	v_and_b32_e32 v125, 15, v2
	v_bfe_u32 v128, v2, 8, 4
	v_lshrrev_b16 v127, 8, v127
	s_delay_alu instid0(VALU_DEP_3) | instskip(NEXT) | instid1(VALU_DEP_3)
	v_mul_i32_i24_e32 v125, v118, v125
	v_mul_i32_i24_e32 v128, v131, v128
	s_delay_alu instid0(VALU_DEP_3) | instskip(NEXT) | instid1(VALU_DEP_2)
	v_and_b32_e32 v127, 0xffff, v127
	v_add3_u32 v125, v139, v128, v125
	v_bfe_i32 v139, v124, 0, 8
	v_and_b32_e32 v124, 0xf0f0f0f, v158
	s_delay_alu instid0(VALU_DEP_4) | instskip(SKIP_1) | instid1(VALU_DEP_3)
	v_mul_i32_i24_e32 v127, v127, v164
	v_add_nc_u32_e32 v128, 0x1098, v79
	v_lshrrev_b16 v124, 8, v124
	s_delay_alu instid0(VALU_DEP_1) | instskip(NEXT) | instid1(VALU_DEP_1)
	v_and_b32_e32 v124, 0xffff, v124
	v_mul_i32_i24_e32 v124, v124, v139
	s_delay_alu instid0(VALU_DEP_1) | instskip(SKIP_3) | instid1(VALU_DEP_2)
	v_add3_u32 v135, v135, v124, v127
	s_wait_dscnt 0x0
	v_bfe_u32 v124, v161, 24, 4
	v_bfe_u32 v127, v162, 24, 4
	v_mul_i32_i24_e32 v124, v124, v85
	s_delay_alu instid0(VALU_DEP_2) | instskip(NEXT) | instid1(VALU_DEP_1)
	v_mul_i32_i24_e32 v127, v127, v80
	v_add3_u32 v137, v137, v124, v127
	v_bfe_u32 v124, v161, 16, 4
	v_bfe_u32 v127, v162, 16, 4
	s_delay_alu instid0(VALU_DEP_2) | instskip(NEXT) | instid1(VALU_DEP_2)
	v_mul_i32_i24_e32 v124, v124, v86
	v_mul_i32_i24_e32 v127, v127, v81
	s_delay_alu instid0(VALU_DEP_1) | instskip(SKIP_2) | instid1(VALU_DEP_2)
	v_add3_u32 v142, v142, v124, v127
	v_and_b32_e32 v124, 15, v161
	v_and_b32_e32 v127, 15, v162
	v_mul_i32_i24_e32 v124, v124, v88
	s_delay_alu instid0(VALU_DEP_2) | instskip(NEXT) | instid1(VALU_DEP_1)
	v_mul_i32_i24_e32 v127, v127, v84
	v_add3_u32 v141, v141, v124, v127
	v_bfe_u32 v124, v150, 20, 4
	v_lshrrev_b32_e32 v127, 28, v150
	s_delay_alu instid0(VALU_DEP_2) | instskip(NEXT) | instid1(VALU_DEP_2)
	v_mul_i32_i24_e32 v124, v130, v124
	v_mul_i32_i24_e32 v127, v129, v127
	s_delay_alu instid0(VALU_DEP_1) | instskip(SKIP_2) | instid1(VALU_DEP_2)
	v_add3_u32 v138, v138, v124, v127
	v_bfe_u32 v124, v154, 20, 4
	v_lshrrev_b32_e32 v127, 28, v154
	v_mul_i32_i24_e32 v124, v130, v124
	s_delay_alu instid0(VALU_DEP_2) | instskip(NEXT) | instid1(VALU_DEP_1)
	v_mul_i32_i24_e32 v127, v129, v127
	v_add3_u32 v130, v133, v124, v127
	v_bfe_u32 v124, v2, 4, 4
	v_bfe_i32 v133, v126, 0, 8
	v_bfe_u32 v126, v2, 12, 4
	v_lshrrev_b32_e32 v127, 4, v157
	s_delay_alu instid0(VALU_DEP_4) | instskip(NEXT) | instid1(VALU_DEP_3)
	v_mul_i32_i24_e32 v124, v123, v124
	v_mul_i32_i24_e32 v126, v133, v126
	s_delay_alu instid0(VALU_DEP_3) | instskip(NEXT) | instid1(VALU_DEP_2)
	v_lshrrev_b16 v127, 8, v127
	v_add3_u32 v1, v1, v124, v126
	v_lshrrev_b32_e32 v124, 4, v151
	v_lshrrev_b32_e32 v126, 4, v152
	s_delay_alu instid0(VALU_DEP_4) | instskip(NEXT) | instid1(VALU_DEP_3)
	v_and_b32_e32 v127, 15, v127
	v_lshrrev_b16 v124, 8, v124
	s_delay_alu instid0(VALU_DEP_3) | instskip(NEXT) | instid1(VALU_DEP_3)
	v_lshrrev_b16 v126, 8, v126
	v_and_b32_e32 v127, 0xffff, v127
	s_delay_alu instid0(VALU_DEP_3) | instskip(NEXT) | instid1(VALU_DEP_3)
	v_and_b32_e32 v124, 15, v124
	v_and_b32_e32 v126, 15, v126
	s_delay_alu instid0(VALU_DEP_3) | instskip(NEXT) | instid1(VALU_DEP_3)
	v_mul_i32_i24_e32 v127, v127, v133
	v_and_b32_e32 v124, 0xffff, v124
	s_delay_alu instid0(VALU_DEP_3) | instskip(NEXT) | instid1(VALU_DEP_2)
	v_and_b32_e32 v126, 0xffff, v126
	v_mul_i32_i24_e32 v124, v124, v163
	s_delay_alu instid0(VALU_DEP_2) | instskip(NEXT) | instid1(VALU_DEP_1)
	v_mul_i32_i24_e32 v126, v126, v134
	v_add3_u32 v134, v124, v126, v127
	v_lshrrev_b32_e32 v124, 28, v161
	v_lshrrev_b32_e32 v126, 28, v162
	s_delay_alu instid0(VALU_DEP_2) | instskip(NEXT) | instid1(VALU_DEP_2)
	v_mul_i32_i24_e32 v124, v124, v89
	v_mul_i32_i24_e32 v126, v126, v82
	s_delay_alu instid0(VALU_DEP_1) | instskip(SKIP_2) | instid1(VALU_DEP_2)
	v_add3_u32 v136, v136, v124, v126
	v_bfe_u32 v124, v161, 20, 4
	v_bfe_u32 v126, v162, 20, 4
	v_mul_i32_i24_e32 v124, v124, v90
	s_delay_alu instid0(VALU_DEP_2) | instskip(NEXT) | instid1(VALU_DEP_1)
	v_mul_i32_i24_e32 v126, v126, v83
	v_add3_u32 v149, v149, v124, v126
	v_bfe_u32 v124, v161, 4, 4
	v_bfe_u32 v126, v162, 4, 4
	s_delay_alu instid0(VALU_DEP_2) | instskip(NEXT) | instid1(VALU_DEP_2)
	v_mul_i32_i24_e32 v124, v124, v93
	v_mul_i32_i24_e32 v126, v126, v87
	s_delay_alu instid0(VALU_DEP_1) | instskip(SKIP_2) | instid1(VALU_DEP_2)
	v_add3_u32 v140, v140, v124, v126
	v_bfe_u32 v124, v2, 16, 4
	v_bfe_u32 v126, v2, 24, 4
	v_mul_i32_i24_e32 v124, v113, v124
	s_delay_alu instid0(VALU_DEP_2) | instskip(NEXT) | instid1(VALU_DEP_1)
	v_mul_i32_i24_e32 v126, v111, v126
	v_add3_u32 v150, v125, v124, v126
	v_add_nc_u32_e32 v124, 0x1088, v79
	v_add_nc_u32_e32 v126, 0x1090, v79
	ds_load_2addr_b32 v[124:125], v124 offset1:1
	ds_load_2addr_b32 v[126:127], v126 offset1:1
	;; [unrolled: 1-line block ×3, first 2 shown]
	s_wait_dscnt 0x2
	v_and_b32_e32 v151, 15, v124
	v_bfe_u32 v152, v124, 8, 4
	s_delay_alu instid0(VALU_DEP_2) | instskip(NEXT) | instid1(VALU_DEP_2)
	v_mul_i32_i24_e32 v151, v118, v151
	v_mul_i32_i24_e32 v152, v131, v152
	s_delay_alu instid0(VALU_DEP_1) | instskip(SKIP_1) | instid1(VALU_DEP_1)
	v_add3_u32 v151, v153, v152, v151
	v_and_b32_e32 v152, 15, v155
	v_mul_i32_i24_e32 v118, v118, v152
	v_bfe_u32 v152, v155, 8, 4
	s_delay_alu instid0(VALU_DEP_1) | instskip(NEXT) | instid1(VALU_DEP_1)
	v_mul_i32_i24_e32 v131, v131, v152
	v_add3_u32 v118, v132, v131, v118
	v_and_b32_e32 v131, 0xf0f0f0f, v160
	v_and_b32_e32 v132, 0xf0f0f0f, v161
	s_delay_alu instid0(VALU_DEP_2) | instskip(NEXT) | instid1(VALU_DEP_2)
	v_lshrrev_b16 v131, 8, v131
	v_lshrrev_b16 v132, 8, v132
	s_delay_alu instid0(VALU_DEP_2) | instskip(NEXT) | instid1(VALU_DEP_2)
	v_and_b32_e32 v131, 0xffff, v131
	v_and_b32_e32 v132, 0xffff, v132
	s_delay_alu instid0(VALU_DEP_2) | instskip(NEXT) | instid1(VALU_DEP_2)
	v_mul_i32_i24_e32 v131, v131, v119
	v_mul_i32_i24_e32 v132, v132, v120
	s_delay_alu instid0(VALU_DEP_1) | instskip(SKIP_2) | instid1(VALU_DEP_2)
	v_add3_u32 v131, v135, v131, v132
	v_bfe_u32 v132, v2, 20, 4
	v_lshrrev_b32_e32 v2, 28, v2
	v_mul_i32_i24_e32 v132, v117, v132
	s_delay_alu instid0(VALU_DEP_2) | instskip(NEXT) | instid1(VALU_DEP_1)
	v_mul_i32_i24_e32 v2, v116, v2
	v_add3_u32 v1, v1, v132, v2
	v_bfe_u32 v2, v124, 4, 4
	v_bfe_u32 v132, v124, 12, 4
	s_delay_alu instid0(VALU_DEP_2) | instskip(NEXT) | instid1(VALU_DEP_2)
	v_mul_i32_i24_e32 v2, v123, v2
	v_mul_i32_i24_e32 v132, v133, v132
	s_delay_alu instid0(VALU_DEP_1) | instskip(SKIP_1) | instid1(VALU_DEP_1)
	v_add3_u32 v2, v138, v2, v132
	v_bfe_u32 v132, v155, 4, 4
	v_mul_i32_i24_e32 v123, v123, v132
	v_bfe_u32 v132, v155, 12, 4
	s_delay_alu instid0(VALU_DEP_1) | instskip(SKIP_1) | instid1(VALU_DEP_2)
	v_mul_i32_i24_e32 v132, v133, v132
	v_bfe_u32 v133, v124, 24, 4
	v_add3_u32 v123, v130, v123, v132
	v_lshrrev_b32_e32 v130, 4, v158
	v_lshrrev_b32_e32 v132, 4, v159
	s_delay_alu instid0(VALU_DEP_4) | instskip(NEXT) | instid1(VALU_DEP_3)
	v_mul_i32_i24_e32 v133, v111, v133
	v_lshrrev_b16 v130, 8, v130
	s_delay_alu instid0(VALU_DEP_3) | instskip(NEXT) | instid1(VALU_DEP_2)
	v_lshrrev_b16 v132, 8, v132
	v_and_b32_e32 v130, 15, v130
	s_delay_alu instid0(VALU_DEP_2) | instskip(NEXT) | instid1(VALU_DEP_2)
	v_and_b32_e32 v132, 15, v132
	v_and_b32_e32 v130, 0xffff, v130
	s_delay_alu instid0(VALU_DEP_2) | instskip(NEXT) | instid1(VALU_DEP_2)
	v_and_b32_e32 v132, 0xffff, v132
	v_mul_i32_i24_e32 v130, v130, v121
	s_delay_alu instid0(VALU_DEP_2) | instskip(NEXT) | instid1(VALU_DEP_1)
	v_mul_i32_i24_e32 v132, v132, v122
	v_add3_u32 v130, v134, v130, v132
	v_bfe_u32 v132, v124, 16, 4
	s_delay_alu instid0(VALU_DEP_1) | instskip(NEXT) | instid1(VALU_DEP_1)
	v_mul_i32_i24_e32 v132, v113, v132
	v_add3_u32 v132, v151, v132, v133
	v_bfe_u32 v133, v155, 16, 4
	s_delay_alu instid0(VALU_DEP_1) | instskip(SKIP_1) | instid1(VALU_DEP_1)
	v_mul_i32_i24_e32 v113, v113, v133
	v_bfe_u32 v133, v155, 24, 4
	v_mul_i32_i24_e32 v111, v111, v133
	s_delay_alu instid0(VALU_DEP_1) | instskip(SKIP_2) | instid1(VALU_DEP_2)
	v_add3_u32 v111, v118, v113, v111
	v_and_b32_e32 v113, 15, v3
	v_bfe_u32 v118, v3, 8, 4
	v_mul_i32_i24_e32 v113, v107, v113
	s_delay_alu instid0(VALU_DEP_2) | instskip(NEXT) | instid1(VALU_DEP_1)
	v_mul_i32_i24_e32 v118, v139, v118
	v_add3_u32 v113, v150, v118, v113
	v_and_b32_e32 v118, 0xf0f0f0f, v162
	s_delay_alu instid0(VALU_DEP_1) | instskip(NEXT) | instid1(VALU_DEP_1)
	v_lshrrev_b16 v118, 8, v118
	v_and_b32_e32 v118, 0xffff, v118
	s_delay_alu instid0(VALU_DEP_1) | instskip(NEXT) | instid1(VALU_DEP_1)
	v_mul_i32_i24_e32 v118, v118, v112
	v_add3_u32 v118, v131, v118, v137
	v_bfe_u32 v131, v124, 20, 4
	v_lshrrev_b32_e32 v124, 28, v124
	s_delay_alu instid0(VALU_DEP_2) | instskip(NEXT) | instid1(VALU_DEP_2)
	v_mul_i32_i24_e32 v131, v117, v131
	v_mul_i32_i24_e32 v124, v116, v124
	s_delay_alu instid0(VALU_DEP_1) | instskip(SKIP_1) | instid1(VALU_DEP_1)
	v_add3_u32 v2, v2, v131, v124
	v_bfe_u32 v124, v155, 20, 4
	v_mul_i32_i24_e32 v117, v117, v124
	v_lshrrev_b32_e32 v124, 28, v155
	s_delay_alu instid0(VALU_DEP_1) | instskip(SKIP_1) | instid1(VALU_DEP_2)
	v_mul_i32_i24_e32 v116, v116, v124
	v_bfe_u32 v124, v3, 24, 4
	v_add3_u32 v116, v123, v117, v116
	v_bfe_u32 v117, v3, 4, 4
	v_bfe_u32 v123, v3, 12, 4
	s_delay_alu instid0(VALU_DEP_4) | instskip(NEXT) | instid1(VALU_DEP_3)
	v_mul_i32_i24_e32 v124, v103, v124
	v_mul_i32_i24_e32 v117, v110, v117
	s_delay_alu instid0(VALU_DEP_3) | instskip(NEXT) | instid1(VALU_DEP_1)
	v_mul_i32_i24_e32 v123, v121, v123
	v_add3_u32 v1, v1, v117, v123
	v_lshrrev_b32_e32 v117, 4, v160
	v_lshrrev_b32_e32 v123, 4, v161
	s_delay_alu instid0(VALU_DEP_2) | instskip(NEXT) | instid1(VALU_DEP_2)
	v_lshrrev_b16 v117, 8, v117
	v_lshrrev_b16 v123, 8, v123
	s_delay_alu instid0(VALU_DEP_2) | instskip(NEXT) | instid1(VALU_DEP_2)
	v_and_b32_e32 v117, 15, v117
	v_and_b32_e32 v123, 15, v123
	s_delay_alu instid0(VALU_DEP_2) | instskip(NEXT) | instid1(VALU_DEP_2)
	v_and_b32_e32 v117, 0xffff, v117
	v_and_b32_e32 v123, 0xffff, v123
	s_delay_alu instid0(VALU_DEP_2) | instskip(NEXT) | instid1(VALU_DEP_2)
	v_mul_i32_i24_e32 v117, v117, v114
	v_mul_i32_i24_e32 v123, v123, v115
	s_delay_alu instid0(VALU_DEP_1) | instskip(SKIP_1) | instid1(VALU_DEP_1)
	v_add3_u32 v117, v130, v117, v123
	v_bfe_u32 v123, v3, 16, 4
	v_mul_i32_i24_e32 v123, v104, v123
	s_delay_alu instid0(VALU_DEP_1) | instskip(SKIP_2) | instid1(VALU_DEP_2)
	v_add3_u32 v113, v113, v123, v124
	v_and_b32_e32 v123, 15, v125
	v_bfe_u32 v124, v125, 8, 4
	v_mul_i32_i24_e32 v123, v107, v123
	s_delay_alu instid0(VALU_DEP_2) | instskip(NEXT) | instid1(VALU_DEP_1)
	v_mul_i32_i24_e32 v124, v139, v124
	v_add3_u32 v123, v132, v124, v123
	v_and_b32_e32 v124, 15, v156
	s_delay_alu instid0(VALU_DEP_1) | instskip(SKIP_1) | instid1(VALU_DEP_1)
	v_mul_i32_i24_e32 v107, v107, v124
	v_bfe_u32 v124, v156, 8, 4
	v_mul_i32_i24_e32 v124, v139, v124
	s_delay_alu instid0(VALU_DEP_1) | instskip(SKIP_3) | instid1(VALU_DEP_2)
	v_add3_u32 v107, v111, v124, v107
	v_add3_u32 v111, v141, v142, v118
	v_bfe_u32 v118, v3, 20, 4
	v_lshrrev_b32_e32 v3, 28, v3
	v_mul_i32_i24_e32 v118, v108, v118
	s_delay_alu instid0(VALU_DEP_2) | instskip(NEXT) | instid1(VALU_DEP_1)
	v_mul_i32_i24_e32 v3, v106, v3
	v_add3_u32 v1, v1, v118, v3
	v_bfe_u32 v3, v125, 4, 4
	v_bfe_u32 v118, v125, 12, 4
	s_delay_alu instid0(VALU_DEP_2) | instskip(NEXT) | instid1(VALU_DEP_2)
	v_mul_i32_i24_e32 v3, v110, v3
	v_mul_i32_i24_e32 v118, v121, v118
	s_delay_alu instid0(VALU_DEP_1) | instskip(SKIP_1) | instid1(VALU_DEP_1)
	v_add3_u32 v2, v2, v3, v118
	v_bfe_u32 v3, v156, 4, 4
	v_mul_i32_i24_e32 v3, v110, v3
	v_bfe_u32 v110, v156, 12, 4
	s_delay_alu instid0(VALU_DEP_1) | instskip(NEXT) | instid1(VALU_DEP_1)
	v_mul_i32_i24_e32 v110, v121, v110
	v_add3_u32 v3, v116, v3, v110
	v_lshrrev_b32_e32 v110, 4, v162
	v_bfe_u32 v116, v125, 16, 4
	s_delay_alu instid0(VALU_DEP_2) | instskip(NEXT) | instid1(VALU_DEP_2)
	v_lshrrev_b16 v110, 8, v110
	v_mul_i32_i24_e32 v116, v104, v116
	s_delay_alu instid0(VALU_DEP_2) | instskip(NEXT) | instid1(VALU_DEP_1)
	v_and_b32_e32 v110, 15, v110
	v_and_b32_e32 v110, 0xffff, v110
	s_delay_alu instid0(VALU_DEP_1) | instskip(NEXT) | instid1(VALU_DEP_1)
	v_mul_i32_i24_e32 v110, v110, v109
	v_add3_u32 v110, v117, v110, v136
	v_bfe_u32 v117, v125, 24, 4
	s_delay_alu instid0(VALU_DEP_1) | instskip(NEXT) | instid1(VALU_DEP_1)
	v_mul_i32_i24_e32 v117, v103, v117
	v_add3_u32 v116, v123, v116, v117
	v_bfe_u32 v117, v156, 16, 4
	s_delay_alu instid0(VALU_DEP_1) | instskip(SKIP_1) | instid1(VALU_DEP_1)
	v_mul_i32_i24_e32 v104, v104, v117
	v_bfe_u32 v117, v156, 24, 4
	v_mul_i32_i24_e32 v103, v103, v117
	s_delay_alu instid0(VALU_DEP_1) | instskip(SKIP_2) | instid1(VALU_DEP_2)
	v_add3_u32 v103, v107, v104, v103
	v_and_b32_e32 v104, 15, v7
	v_bfe_u32 v107, v7, 8, 4
	v_mul_i32_i24_e32 v104, v100, v104
	s_delay_alu instid0(VALU_DEP_2) | instskip(NEXT) | instid1(VALU_DEP_1)
	v_mul_i32_i24_e32 v107, v164, v107
	v_add3_u32 v104, v113, v107, v104
	v_bfe_u32 v107, v125, 20, 4
	v_lshrrev_b32_e32 v113, 28, v125
	s_delay_alu instid0(VALU_DEP_2) | instskip(NEXT) | instid1(VALU_DEP_2)
	v_mul_i32_i24_e32 v107, v108, v107
	v_mul_i32_i24_e32 v113, v106, v113
	s_delay_alu instid0(VALU_DEP_1) | instskip(SKIP_2) | instid1(VALU_DEP_2)
	v_add3_u32 v2, v2, v107, v113
	v_bfe_u32 v107, v156, 20, 4
	v_lshrrev_b32_e32 v113, 28, v156
	v_mul_i32_i24_e32 v107, v108, v107
	s_delay_alu instid0(VALU_DEP_2) | instskip(SKIP_1) | instid1(VALU_DEP_2)
	v_mul_i32_i24_e32 v106, v106, v113
	v_bfe_u32 v108, v7, 24, 4
	v_add3_u32 v3, v3, v107, v106
	v_bfe_u32 v106, v7, 4, 4
	v_bfe_u32 v107, v7, 12, 4
	s_delay_alu instid0(VALU_DEP_4) | instskip(NEXT) | instid1(VALU_DEP_3)
	v_mul_i32_i24_e32 v108, v97, v108
	v_mul_i32_i24_e32 v106, v105, v106
	s_delay_alu instid0(VALU_DEP_3) | instskip(NEXT) | instid1(VALU_DEP_1)
	v_mul_i32_i24_e32 v107, v122, v107
	v_add3_u32 v1, v1, v106, v107
	v_bfe_u32 v107, v7, 16, 4
	v_add3_u32 v106, v140, v149, v110
	s_delay_alu instid0(VALU_DEP_2) | instskip(NEXT) | instid1(VALU_DEP_1)
	v_mul_i32_i24_e32 v107, v98, v107
	v_add3_u32 v104, v104, v107, v108
	s_wait_dscnt 0x1
	v_and_b32_e32 v107, 15, v126
	v_bfe_u32 v108, v126, 8, 4
	s_delay_alu instid0(VALU_DEP_2) | instskip(NEXT) | instid1(VALU_DEP_2)
	v_mul_i32_i24_e32 v107, v100, v107
	v_mul_i32_i24_e32 v108, v164, v108
	s_delay_alu instid0(VALU_DEP_1) | instskip(SKIP_1) | instid1(VALU_DEP_1)
	v_add3_u32 v107, v116, v108, v107
	v_and_b32_e32 v108, 15, v11
	v_mul_i32_i24_e32 v100, v100, v108
	v_bfe_u32 v108, v11, 8, 4
	s_delay_alu instid0(VALU_DEP_1) | instskip(NEXT) | instid1(VALU_DEP_1)
	v_mul_i32_i24_e32 v108, v164, v108
	v_add3_u32 v100, v103, v108, v100
	v_bfe_u32 v103, v7, 20, 4
	v_lshrrev_b32_e32 v7, 28, v7
	s_delay_alu instid0(VALU_DEP_2) | instskip(NEXT) | instid1(VALU_DEP_2)
	v_mul_i32_i24_e32 v103, v102, v103
	v_mul_i32_i24_e32 v7, v101, v7
	s_delay_alu instid0(VALU_DEP_1) | instskip(SKIP_2) | instid1(VALU_DEP_2)
	v_add3_u32 v1, v1, v103, v7
	v_bfe_u32 v7, v126, 4, 4
	v_bfe_u32 v103, v126, 12, 4
	v_mul_i32_i24_e32 v7, v105, v7
	s_delay_alu instid0(VALU_DEP_2) | instskip(NEXT) | instid1(VALU_DEP_1)
	v_mul_i32_i24_e32 v103, v122, v103
	v_add3_u32 v2, v2, v7, v103
	v_bfe_u32 v7, v11, 4, 4
	v_bfe_u32 v103, v11, 12, 4
	s_delay_alu instid0(VALU_DEP_2) | instskip(NEXT) | instid1(VALU_DEP_2)
	v_mul_i32_i24_e32 v7, v105, v7
	v_mul_i32_i24_e32 v103, v122, v103
	s_delay_alu instid0(VALU_DEP_1) | instskip(SKIP_2) | instid1(VALU_DEP_2)
	v_add3_u32 v3, v3, v7, v103
	v_bfe_u32 v7, v126, 16, 4
	v_bfe_u32 v103, v126, 24, 4
	v_mul_i32_i24_e32 v7, v98, v7
	s_delay_alu instid0(VALU_DEP_2) | instskip(NEXT) | instid1(VALU_DEP_1)
	v_mul_i32_i24_e32 v103, v97, v103
	v_add3_u32 v7, v107, v7, v103
	v_bfe_u32 v103, v11, 16, 4
	s_delay_alu instid0(VALU_DEP_1) | instskip(SKIP_1) | instid1(VALU_DEP_1)
	v_mul_i32_i24_e32 v98, v98, v103
	v_bfe_u32 v103, v11, 24, 4
	v_mul_i32_i24_e32 v97, v97, v103
	v_lshrrev_b32_e32 v103, 28, v126
	s_delay_alu instid0(VALU_DEP_2) | instskip(SKIP_2) | instid1(VALU_DEP_4)
	v_add3_u32 v97, v100, v98, v97
	v_and_b32_e32 v98, 15, v8
	v_bfe_u32 v100, v8, 8, 4
	v_mul_i32_i24_e32 v103, v101, v103
	s_delay_alu instid0(VALU_DEP_3) | instskip(NEXT) | instid1(VALU_DEP_3)
	v_mul_i32_i24_e32 v98, v94, v98
	v_mul_i32_i24_e32 v100, v119, v100
	s_delay_alu instid0(VALU_DEP_1) | instskip(SKIP_1) | instid1(VALU_DEP_1)
	v_add3_u32 v98, v104, v100, v98
	v_bfe_u32 v100, v126, 20, 4
	v_mul_i32_i24_e32 v100, v102, v100
	s_delay_alu instid0(VALU_DEP_1) | instskip(SKIP_2) | instid1(VALU_DEP_2)
	v_add3_u32 v2, v2, v100, v103
	v_bfe_u32 v100, v11, 20, 4
	v_lshrrev_b32_e32 v11, 28, v11
	v_mul_i32_i24_e32 v100, v102, v100
	s_delay_alu instid0(VALU_DEP_2) | instskip(NEXT) | instid1(VALU_DEP_1)
	v_mul_i32_i24_e32 v11, v101, v11
	v_add3_u32 v3, v3, v100, v11
	v_bfe_u32 v11, v8, 4, 4
	v_bfe_u32 v100, v8, 12, 4
	s_delay_alu instid0(VALU_DEP_2) | instskip(NEXT) | instid1(VALU_DEP_2)
	v_mul_i32_i24_e32 v11, v99, v11
	v_mul_i32_i24_e32 v100, v114, v100
	s_delay_alu instid0(VALU_DEP_1) | instskip(SKIP_2) | instid1(VALU_DEP_2)
	v_add3_u32 v1, v1, v11, v100
	v_bfe_u32 v11, v8, 16, 4
	v_bfe_u32 v100, v8, 24, 4
	v_mul_i32_i24_e32 v11, v92, v11
	s_delay_alu instid0(VALU_DEP_2) | instskip(NEXT) | instid1(VALU_DEP_1)
	v_mul_i32_i24_e32 v100, v91, v100
	v_add3_u32 v11, v98, v11, v100
	v_and_b32_e32 v98, 15, v127
	v_bfe_u32 v100, v127, 8, 4
	s_delay_alu instid0(VALU_DEP_2) | instskip(NEXT) | instid1(VALU_DEP_2)
	v_mul_i32_i24_e32 v98, v94, v98
	v_mul_i32_i24_e32 v100, v119, v100
	s_delay_alu instid0(VALU_DEP_1) | instskip(SKIP_1) | instid1(VALU_DEP_1)
	v_add3_u32 v7, v7, v100, v98
	v_and_b32_e32 v98, 15, v12
	v_mul_i32_i24_e32 v94, v94, v98
	v_bfe_u32 v98, v12, 8, 4
	s_delay_alu instid0(VALU_DEP_1) | instskip(NEXT) | instid1(VALU_DEP_1)
	v_mul_i32_i24_e32 v98, v119, v98
	v_add3_u32 v94, v97, v98, v94
	v_bfe_u32 v97, v8, 20, 4
	v_lshrrev_b32_e32 v8, 28, v8
	s_delay_alu instid0(VALU_DEP_2) | instskip(NEXT) | instid1(VALU_DEP_2)
	v_mul_i32_i24_e32 v97, v96, v97
	v_mul_i32_i24_e32 v8, v95, v8
	s_delay_alu instid0(VALU_DEP_1) | instskip(SKIP_2) | instid1(VALU_DEP_2)
	v_add3_u32 v8, v1, v97, v8
	v_bfe_u32 v1, v127, 4, 4
	v_bfe_u32 v97, v127, 12, 4
	v_mul_i32_i24_e32 v1, v99, v1
	s_delay_alu instid0(VALU_DEP_2) | instskip(NEXT) | instid1(VALU_DEP_1)
	v_mul_i32_i24_e32 v97, v114, v97
	v_add3_u32 v97, v2, v1, v97
	v_bfe_u32 v1, v12, 4, 4
	v_bfe_u32 v2, v12, 12, 4
	s_delay_alu instid0(VALU_DEP_2) | instskip(NEXT) | instid1(VALU_DEP_2)
	v_mul_i32_i24_e32 v1, v99, v1
	v_mul_i32_i24_e32 v2, v114, v2
	s_delay_alu instid0(VALU_DEP_1) | instskip(SKIP_2) | instid1(VALU_DEP_2)
	v_add3_u32 v3, v3, v1, v2
	v_bfe_u32 v1, v127, 16, 4
	v_bfe_u32 v2, v127, 24, 4
	v_mul_i32_i24_e32 v1, v92, v1
	s_delay_alu instid0(VALU_DEP_2) | instskip(NEXT) | instid1(VALU_DEP_1)
	v_mul_i32_i24_e32 v2, v91, v2
	v_add3_u32 v7, v7, v1, v2
	ds_load_2addr_b32 v[1:2], v79 offset0:6 offset1:7
	s_wait_dscnt 0x0
	v_and_b32_e32 v98, 15, v1
	v_bfe_u32 v99, v1, 8, 4
	s_delay_alu instid0(VALU_DEP_2) | instskip(NEXT) | instid1(VALU_DEP_2)
	v_mul_i32_i24_e32 v98, v88, v98
	v_mul_i32_i24_e32 v99, v120, v99
	s_delay_alu instid0(VALU_DEP_1) | instskip(SKIP_1) | instid1(VALU_DEP_1)
	v_add3_u32 v11, v11, v99, v98
	v_bfe_u32 v98, v12, 16, 4
	v_mul_i32_i24_e32 v92, v92, v98
	v_bfe_u32 v98, v12, 24, 4
	s_delay_alu instid0(VALU_DEP_1) | instskip(NEXT) | instid1(VALU_DEP_1)
	v_mul_i32_i24_e32 v91, v91, v98
	v_add3_u32 v91, v94, v92, v91
	v_bfe_u32 v92, v127, 20, 4
	v_lshrrev_b32_e32 v94, 28, v127
	s_delay_alu instid0(VALU_DEP_2) | instskip(NEXT) | instid1(VALU_DEP_2)
	v_mul_i32_i24_e32 v92, v96, v92
	v_mul_i32_i24_e32 v94, v95, v94
	s_delay_alu instid0(VALU_DEP_1) | instskip(SKIP_2) | instid1(VALU_DEP_2)
	v_add3_u32 v92, v97, v92, v94
	v_bfe_u32 v94, v1, 4, 4
	v_bfe_u32 v97, v1, 12, 4
	v_mul_i32_i24_e32 v94, v93, v94
	s_delay_alu instid0(VALU_DEP_2) | instskip(NEXT) | instid1(VALU_DEP_1)
	v_mul_i32_i24_e32 v97, v115, v97
	v_add3_u32 v94, v8, v94, v97
	v_bfe_u32 v8, v12, 20, 4
	v_lshrrev_b32_e32 v12, 28, v12
	s_delay_alu instid0(VALU_DEP_2) | instskip(NEXT) | instid1(VALU_DEP_2)
	v_mul_i32_i24_e32 v8, v96, v8
	v_mul_i32_i24_e32 v12, v95, v12
	s_delay_alu instid0(VALU_DEP_1) | instskip(SKIP_2) | instid1(VALU_DEP_2)
	v_add3_u32 v3, v3, v8, v12
	v_bfe_u32 v8, v1, 16, 4
	v_bfe_u32 v12, v1, 24, 4
	v_mul_i32_i24_e32 v8, v86, v8
	s_delay_alu instid0(VALU_DEP_2) | instskip(NEXT) | instid1(VALU_DEP_1)
	v_mul_i32_i24_e32 v12, v85, v12
	v_add3_u32 v11, v11, v8, v12
	v_and_b32_e32 v8, 15, v128
	v_bfe_u32 v12, v128, 8, 4
	s_delay_alu instid0(VALU_DEP_2) | instskip(NEXT) | instid1(VALU_DEP_2)
	v_mul_i32_i24_e32 v8, v88, v8
	v_mul_i32_i24_e32 v12, v120, v12
	s_delay_alu instid0(VALU_DEP_1)
	v_add3_u32 v12, v7, v12, v8
	v_add_nc_u32_e32 v7, 0x2118, v79
	v_add_nc_u32_e32 v79, 32, v79
	ds_load_2addr_b32 v[7:8], v7 offset1:1
	s_wait_dscnt 0x0
	v_and_b32_e32 v95, 15, v7
	s_delay_alu instid0(VALU_DEP_1) | instskip(SKIP_1) | instid1(VALU_DEP_1)
	v_mul_i32_i24_e32 v88, v88, v95
	v_bfe_u32 v95, v7, 8, 4
	v_mul_i32_i24_e32 v95, v120, v95
	s_delay_alu instid0(VALU_DEP_1) | instskip(SKIP_2) | instid1(VALU_DEP_2)
	v_add3_u32 v88, v91, v95, v88
	v_bfe_u32 v91, v1, 20, 4
	v_lshrrev_b32_e32 v1, 28, v1
	v_mul_i32_i24_e32 v91, v90, v91
	s_delay_alu instid0(VALU_DEP_2) | instskip(NEXT) | instid1(VALU_DEP_1)
	v_mul_i32_i24_e32 v1, v89, v1
	v_add3_u32 v1, v94, v91, v1
	v_bfe_u32 v91, v128, 4, 4
	v_bfe_u32 v94, v128, 12, 4
	s_delay_alu instid0(VALU_DEP_2) | instskip(NEXT) | instid1(VALU_DEP_2)
	v_mul_i32_i24_e32 v91, v93, v91
	v_mul_i32_i24_e32 v94, v115, v94
	s_delay_alu instid0(VALU_DEP_1) | instskip(SKIP_1) | instid1(VALU_DEP_1)
	v_add3_u32 v91, v92, v91, v94
	v_bfe_u32 v92, v7, 4, 4
	v_mul_i32_i24_e32 v92, v93, v92
	v_bfe_u32 v93, v7, 12, 4
	s_delay_alu instid0(VALU_DEP_1) | instskip(NEXT) | instid1(VALU_DEP_1)
	v_mul_i32_i24_e32 v93, v115, v93
	v_add3_u32 v3, v3, v92, v93
	v_bfe_u32 v92, v128, 16, 4
	v_bfe_u32 v93, v128, 24, 4
	s_delay_alu instid0(VALU_DEP_2) | instskip(NEXT) | instid1(VALU_DEP_2)
	v_mul_i32_i24_e32 v92, v86, v92
	v_mul_i32_i24_e32 v93, v85, v93
	s_delay_alu instid0(VALU_DEP_1) | instskip(SKIP_2) | instid1(VALU_DEP_2)
	v_add3_u32 v12, v12, v92, v93
	v_and_b32_e32 v92, 15, v2
	v_bfe_u32 v93, v2, 8, 4
	v_mul_i32_i24_e32 v92, v84, v92
	s_delay_alu instid0(VALU_DEP_2) | instskip(NEXT) | instid1(VALU_DEP_1)
	v_mul_i32_i24_e32 v93, v112, v93
	v_add3_u32 v11, v11, v93, v92
	v_bfe_u32 v92, v7, 16, 4
	s_delay_alu instid0(VALU_DEP_1) | instskip(SKIP_1) | instid1(VALU_DEP_1)
	v_mul_i32_i24_e32 v86, v86, v92
	v_bfe_u32 v92, v7, 24, 4
	v_mul_i32_i24_e32 v85, v85, v92
	s_delay_alu instid0(VALU_DEP_1) | instskip(SKIP_2) | instid1(VALU_DEP_2)
	v_add3_u32 v85, v88, v86, v85
	v_bfe_u32 v86, v128, 20, 4
	v_lshrrev_b32_e32 v88, 28, v128
	v_mul_i32_i24_e32 v86, v90, v86
	s_delay_alu instid0(VALU_DEP_2) | instskip(NEXT) | instid1(VALU_DEP_1)
	v_mul_i32_i24_e32 v88, v89, v88
	v_add3_u32 v86, v91, v86, v88
	v_bfe_u32 v88, v2, 4, 4
	v_bfe_u32 v91, v2, 12, 4
	s_delay_alu instid0(VALU_DEP_2) | instskip(NEXT) | instid1(VALU_DEP_2)
	v_mul_i32_i24_e32 v88, v87, v88
	v_mul_i32_i24_e32 v91, v109, v91
	s_delay_alu instid0(VALU_DEP_1) | instskip(SKIP_2) | instid1(VALU_DEP_2)
	v_add3_u32 v1, v1, v88, v91
	v_bfe_u32 v88, v7, 20, 4
	v_lshrrev_b32_e32 v7, 28, v7
	v_mul_i32_i24_e32 v88, v90, v88
	s_delay_alu instid0(VALU_DEP_2) | instskip(SKIP_2) | instid1(VALU_DEP_3)
	v_mul_i32_i24_e32 v7, v89, v7
	v_cvt_f32_ubyte1_e32 v89, v147
	v_cvt_f32_ubyte1_e32 v90, v145
	v_add3_u32 v3, v3, v88, v7
	v_bfe_u32 v7, v2, 16, 4
	v_bfe_u32 v88, v2, 24, 4
	s_delay_alu instid0(VALU_DEP_2) | instskip(NEXT) | instid1(VALU_DEP_2)
	v_mul_i32_i24_e32 v7, v81, v7
	v_mul_i32_i24_e32 v88, v80, v88
	s_delay_alu instid0(VALU_DEP_1) | instskip(SKIP_2) | instid1(VALU_DEP_2)
	v_add3_u32 v7, v11, v7, v88
	v_and_b32_e32 v11, 15, v129
	v_bfe_u32 v88, v129, 8, 4
	v_mul_i32_i24_e32 v11, v84, v11
	s_delay_alu instid0(VALU_DEP_2) | instskip(NEXT) | instid1(VALU_DEP_1)
	v_mul_i32_i24_e32 v88, v112, v88
	v_add3_u32 v11, v12, v88, v11
	v_and_b32_e32 v12, 15, v8
	s_delay_alu instid0(VALU_DEP_1) | instskip(SKIP_1) | instid1(VALU_DEP_1)
	v_mul_i32_i24_e32 v12, v84, v12
	v_bfe_u32 v84, v8, 8, 4
	v_mul_i32_i24_e32 v84, v112, v84
	s_delay_alu instid0(VALU_DEP_1) | instskip(SKIP_3) | instid1(VALU_DEP_3)
	v_add3_u32 v12, v85, v84, v12
	v_bfe_u32 v84, v2, 20, 4
	v_lshrrev_b32_e32 v2, 28, v2
	v_bfe_u32 v85, v8, 12, 4
	v_mul_i32_i24_e32 v84, v83, v84
	s_delay_alu instid0(VALU_DEP_3) | instskip(NEXT) | instid1(VALU_DEP_3)
	v_mul_i32_i24_e32 v2, v82, v2
	v_mul_i32_i24_e32 v85, v109, v85
	s_delay_alu instid0(VALU_DEP_2) | instskip(SKIP_2) | instid1(VALU_DEP_2)
	v_add3_u32 v1, v1, v84, v2
	v_bfe_u32 v2, v129, 4, 4
	v_bfe_u32 v84, v129, 12, 4
	v_mul_i32_i24_e32 v2, v87, v2
	s_delay_alu instid0(VALU_DEP_2) | instskip(NEXT) | instid1(VALU_DEP_1)
	v_mul_i32_i24_e32 v84, v109, v84
	v_add3_u32 v2, v86, v2, v84
	v_bfe_u32 v84, v8, 4, 4
	s_delay_alu instid0(VALU_DEP_1) | instskip(SKIP_1) | instid1(VALU_DEP_2)
	v_mul_i32_i24_e32 v84, v87, v84
	v_bfe_u32 v87, v8, 20, 4
	v_add3_u32 v3, v3, v84, v85
	v_bfe_u32 v84, v129, 16, 4
	v_bfe_u32 v85, v129, 24, 4
	s_delay_alu instid0(VALU_DEP_2) | instskip(NEXT) | instid1(VALU_DEP_2)
	v_mul_i32_i24_e32 v84, v81, v84
	v_mul_i32_i24_e32 v85, v80, v85
	s_delay_alu instid0(VALU_DEP_1) | instskip(SKIP_1) | instid1(VALU_DEP_1)
	v_add3_u32 v11, v11, v84, v85
	v_bfe_u32 v84, v8, 16, 4
	v_mul_i32_i24_e32 v81, v81, v84
	v_bfe_u32 v84, v8, 24, 4
	v_lshrrev_b32_e32 v8, 28, v8
	s_delay_alu instid0(VALU_DEP_2) | instskip(SKIP_1) | instid1(VALU_DEP_3)
	v_mul_i32_i24_e32 v80, v80, v84
	v_lshrrev_b32_e32 v84, 28, v129
	v_mul_i32_i24_e32 v8, v82, v8
	s_delay_alu instid0(VALU_DEP_3) | instskip(SKIP_4) | instid1(VALU_DEP_4)
	v_add3_u32 v12, v12, v81, v80
	v_lshl_or_b32 v80, v51, 2, 0x4200
	v_bfe_u32 v81, v129, 20, 4
	v_mul_i32_i24_e32 v84, v82, v84
	v_cvt_f32_ubyte0_e32 v82, v147
	v_add3_u32 v80, v80, s21, v144
	s_delay_alu instid0(VALU_DEP_4)
	v_mul_i32_i24_e32 v81, v83, v81
	v_mul_i32_i24_e32 v83, v83, v87
	v_cvt_f32_ubyte0_e32 v87, v0
	v_cvt_f32_ubyte1_e32 v0, v0
	v_fma_mix_f32 v82, v9, v82, 0 op_sel:[1,0,0] op_sel_hi:[1,0,0]
	v_add3_u32 v2, v2, v81, v84
	ds_load_u16 v81, v80 offset:8
	ds_load_u16 v84, v148 offset:17920
	;; [unrolled: 1-line block ×4, first 2 shown]
	ds_load_u16 v80, v80
	v_fma_mix_f32 v87, v9, v87, 0 op_sel:[1,0,0] op_sel_hi:[1,0,0]
	v_add3_u32 v3, v3, v83, v8
	v_fma_mix_f32 v82, v10, v89, v82 op_sel:[1,0,0] op_sel_hi:[1,0,0]
	s_add_co_i32 s21, s20, 8
	s_add_co_i32 s20, s20, 16
	v_fma_mix_f32 v0, v10, v0, v87 op_sel:[1,0,0] op_sel_hi:[1,0,0]
	s_wait_alu 0xfffe
	s_cmp_lt_u32 s20, 24
	v_mul_f32_e32 v82, v82, v77
	s_mov_b32 s20, s21
	v_mul_f32_e32 v0, v0, v76
	s_wait_dscnt 0x4
	v_cvt_f32_ubyte0_e32 v88, v81
	v_cvt_f32_ubyte1_e32 v81, v81
	s_wait_dscnt 0x2
	v_and_b32_e32 v87, 0xff, v85
	v_lshrrev_b16 v85, 8, v85
	s_wait_dscnt 0x0
	v_and_b32_e32 v89, 0xff, v80
	v_fma_mix_f32 v88, v9, v88, 0 op_sel:[1,0,0] op_sel_hi:[1,0,0]
	v_lshrrev_b16 v80, 8, v80
	v_lshrrev_b16 v91, 8, v84
	v_and_b32_e32 v84, 0xff, v84
	v_mul_lo_u32 v87, v111, v87
	v_fma_mix_f32 v81, v10, v81, v88 op_sel:[1,0,0] op_sel_hi:[1,0,0]
	v_cvt_f32_ubyte0_e32 v88, v145
	v_and_b32_e32 v85, 0xffff, v85
	v_and_b32_e32 v80, 0xffff, v80
	;; [unrolled: 1-line block ×3, first 2 shown]
	v_mul_lo_u32 v7, v7, v89
	v_fma_mix_f32 v88, v88, v9, 0 op_sel:[0,1,0] op_sel_hi:[0,1,0]
	v_mul_lo_u32 v85, v106, v85
	v_mul_lo_u32 v1, v1, v80
	;; [unrolled: 1-line block ×3, first 2 shown]
	v_cvt_f32_i32_e32 v87, v87
	v_fma_mix_f32 v88, v90, v10, v88 op_sel:[0,1,0] op_sel_hi:[0,1,0]
	v_and_b32_e32 v90, 0xff, v86
	v_lshrrev_b16 v86, 8, v86
	v_cvt_f32_i32_e32 v7, v7
	v_cvt_f32_i32_e32 v85, v85
	v_fma_mix_f32 v87, v87, v9, 0 op_sel_hi:[0,1,0]
	v_mul_lo_u32 v8, v11, v90
	v_and_b32_e32 v86, 0xffff, v86
	v_mul_lo_u32 v11, v12, v84
	v_cvt_f32_i32_e32 v1, v1
	v_cvt_f32_i32_e32 v3, v3
	v_fma_mix_f32 v7, v9, v7, 0 op_sel_hi:[1,0,0]
	v_mul_lo_u32 v2, v2, v86
	v_mul_f32_e32 v81, v81, v75
	v_cvt_f32_i32_e32 v8, v8
	v_fma_mix_f32 v12, v85, v10, v87 op_sel_hi:[0,1,0]
	v_cvt_f32_i32_e32 v11, v11
	v_fma_mix_f32 v1, v10, v1, v7 op_sel_hi:[1,0,0]
	s_delay_alu instid0(VALU_DEP_4) | instskip(SKIP_1) | instid1(VALU_DEP_4)
	v_fma_mix_f32 v8, v9, v8, 0 op_sel_hi:[1,0,0]
	v_cvt_f32_i32_e32 v2, v2
	v_fma_mix_f32 v9, v9, v11, 0 op_sel_hi:[1,0,0]
	v_mul_f32_e32 v11, v88, v78
	v_fma_f32 v1, v1, v15, -v81
	s_delay_alu instid0(VALU_DEP_4) | instskip(NEXT) | instid1(VALU_DEP_4)
	v_fma_mix_f32 v2, v10, v2, v8 op_sel_hi:[1,0,0]
	v_fma_mix_f32 v3, v10, v3, v9 op_sel_hi:[1,0,0]
	s_delay_alu instid0(VALU_DEP_4) | instskip(NEXT) | instid1(VALU_DEP_4)
	v_fma_f32 v7, v12, v74, -v11
	v_add_f32_e32 v19, v19, v1
	s_delay_alu instid0(VALU_DEP_4) | instskip(NEXT) | instid1(VALU_DEP_4)
	v_fma_f32 v0, v2, v16, -v0
	v_fma_f32 v2, v3, v73, -v82
	s_delay_alu instid0(VALU_DEP_4) | instskip(NEXT) | instid1(VALU_DEP_3)
	v_add_f32_e32 v4, v4, v7
	v_add_f32_e32 v52, v52, v0
	s_delay_alu instid0(VALU_DEP_3)
	v_add_f32_e32 v44, v44, v2
	s_cbranch_scc1 .LBB211_19
; %bb.20:                               ;   in Loop: Header=BB211_5 Depth=1
	s_wait_loadcnt 0x0
	s_barrier_signal -1
	s_barrier_wait -1
	global_inv scope:SCOPE_SE
	s_branch .LBB211_4
.LBB211_21:
	s_mul_i32 s0, s7, s4
	s_wait_loadcnt 0x0
	v_cmp_gt_i32_e32 vcc_lo, s0, v17
	s_and_saveexec_b32 s0, vcc_lo
	s_cbranch_execz .LBB211_30
; %bb.22:
	v_mul_lo_u32 v0, v17, s6
	v_add_nc_u32_e32 v1, s18, v18
	s_mov_b32 s0, exec_lo
	s_delay_alu instid0(VALU_DEP_1)
	v_cmpx_gt_u32_e64 s6, v1
	s_cbranch_execz .LBB211_24
; %bb.23:
	s_delay_alu instid0(VALU_DEP_3) | instskip(SKIP_1) | instid1(VALU_DEP_2)
	v_dual_mov_b32 v3, 0 :: v_dual_add_nc_u32 v2, v0, v1
	v_cvt_f16_f32_e32 v5, v19
	v_lshlrev_b64_e32 v[2:3], 1, v[2:3]
	s_delay_alu instid0(VALU_DEP_1) | instskip(SKIP_1) | instid1(VALU_DEP_2)
	v_add_co_u32 v2, vcc_lo, s8, v2
	s_wait_alu 0xfffd
	v_add_co_ci_u32_e64 v3, null, s9, v3, vcc_lo
	global_store_b16 v[2:3], v5, off
.LBB211_24:
	s_wait_alu 0xfffe
	s_or_b32 exec_lo, exec_lo, s0
	v_add_nc_u32_e32 v2, 32, v1
	s_mov_b32 s0, exec_lo
	s_delay_alu instid0(VALU_DEP_1)
	v_cmpx_gt_u32_e64 s6, v2
	s_cbranch_execz .LBB211_26
; %bb.25:
	v_dual_mov_b32 v3, 0 :: v_dual_add_nc_u32 v2, v0, v2
	v_cvt_f16_f32_e32 v5, v52
	s_delay_alu instid0(VALU_DEP_2) | instskip(NEXT) | instid1(VALU_DEP_1)
	v_lshlrev_b64_e32 v[2:3], 1, v[2:3]
	v_add_co_u32 v2, vcc_lo, s8, v2
	s_wait_alu 0xfffd
	s_delay_alu instid0(VALU_DEP_2)
	v_add_co_ci_u32_e64 v3, null, s9, v3, vcc_lo
	global_store_b16 v[2:3], v5, off
.LBB211_26:
	s_wait_alu 0xfffe
	s_or_b32 exec_lo, exec_lo, s0
	v_add_nc_u32_e32 v2, 64, v1
	s_mov_b32 s0, exec_lo
	s_delay_alu instid0(VALU_DEP_1)
	v_cmpx_gt_u32_e64 s6, v2
	s_cbranch_execz .LBB211_28
; %bb.27:
	v_dual_mov_b32 v3, 0 :: v_dual_add_nc_u32 v2, v0, v2
	v_cvt_f16_f32_e32 v5, v44
	s_delay_alu instid0(VALU_DEP_2) | instskip(NEXT) | instid1(VALU_DEP_1)
	v_lshlrev_b64_e32 v[2:3], 1, v[2:3]
	v_add_co_u32 v2, vcc_lo, s8, v2
	s_wait_alu 0xfffd
	s_delay_alu instid0(VALU_DEP_2)
	v_add_co_ci_u32_e64 v3, null, s9, v3, vcc_lo
	global_store_b16 v[2:3], v5, off
.LBB211_28:
	s_wait_alu 0xfffe
	s_or_b32 exec_lo, exec_lo, s0
	v_add_nc_u32_e32 v1, 0x60, v1
	s_delay_alu instid0(VALU_DEP_1)
	v_cmp_gt_u32_e32 vcc_lo, s6, v1
	s_and_b32 exec_lo, exec_lo, vcc_lo
	s_cbranch_execz .LBB211_30
; %bb.29:
	v_dual_mov_b32 v1, 0 :: v_dual_add_nc_u32 v0, v0, v1
	v_cvt_f16_f32_e32 v2, v4
	s_delay_alu instid0(VALU_DEP_2) | instskip(NEXT) | instid1(VALU_DEP_1)
	v_lshlrev_b64_e32 v[0:1], 1, v[0:1]
	v_add_co_u32 v0, vcc_lo, s8, v0
	s_wait_alu 0xfffd
	s_delay_alu instid0(VALU_DEP_2)
	v_add_co_ci_u32_e64 v1, null, s9, v1, vcc_lo
	global_store_b16 v[0:1], v2, off
.LBB211_30:
	s_nop 0
	s_sendmsg sendmsg(MSG_DEALLOC_VGPRS)
	s_endpgm
	.section	.rodata,"a",@progbits
	.p2align	6, 0x0
	.amdhsa_kernel _ZL8moe_q4_KIN3c104HalfELb0EEvPKvS3_PT_PKiS7_S7_iiiiiii
		.amdhsa_group_segment_fixed_size 20688
		.amdhsa_private_segment_fixed_size 0
		.amdhsa_kernarg_size 76
		.amdhsa_user_sgpr_count 2
		.amdhsa_user_sgpr_dispatch_ptr 0
		.amdhsa_user_sgpr_queue_ptr 0
		.amdhsa_user_sgpr_kernarg_segment_ptr 1
		.amdhsa_user_sgpr_dispatch_id 0
		.amdhsa_user_sgpr_private_segment_size 0
		.amdhsa_wavefront_size32 1
		.amdhsa_uses_dynamic_stack 0
		.amdhsa_enable_private_segment 0
		.amdhsa_system_sgpr_workgroup_id_x 1
		.amdhsa_system_sgpr_workgroup_id_y 1
		.amdhsa_system_sgpr_workgroup_id_z 0
		.amdhsa_system_sgpr_workgroup_info 0
		.amdhsa_system_vgpr_workitem_id 1
		.amdhsa_next_free_vgpr 172
		.amdhsa_next_free_sgpr 24
		.amdhsa_reserve_vcc 1
		.amdhsa_float_round_mode_32 0
		.amdhsa_float_round_mode_16_64 0
		.amdhsa_float_denorm_mode_32 3
		.amdhsa_float_denorm_mode_16_64 3
		.amdhsa_fp16_overflow 0
		.amdhsa_workgroup_processor_mode 1
		.amdhsa_memory_ordered 1
		.amdhsa_forward_progress 1
		.amdhsa_inst_pref_size 128
		.amdhsa_round_robin_scheduling 0
		.amdhsa_exception_fp_ieee_invalid_op 0
		.amdhsa_exception_fp_denorm_src 0
		.amdhsa_exception_fp_ieee_div_zero 0
		.amdhsa_exception_fp_ieee_overflow 0
		.amdhsa_exception_fp_ieee_underflow 0
		.amdhsa_exception_fp_ieee_inexact 0
		.amdhsa_exception_int_div_zero 0
	.end_amdhsa_kernel
	.section	.text._ZL8moe_q4_KIN3c104HalfELb0EEvPKvS3_PT_PKiS7_S7_iiiiiii,"axG",@progbits,_ZL8moe_q4_KIN3c104HalfELb0EEvPKvS3_PT_PKiS7_S7_iiiiiii,comdat
.Lfunc_end211:
	.size	_ZL8moe_q4_KIN3c104HalfELb0EEvPKvS3_PT_PKiS7_S7_iiiiiii, .Lfunc_end211-_ZL8moe_q4_KIN3c104HalfELb0EEvPKvS3_PT_PKiS7_S7_iiiiiii
                                        ; -- End function
	.set _ZL8moe_q4_KIN3c104HalfELb0EEvPKvS3_PT_PKiS7_S7_iiiiiii.num_vgpr, 172
	.set _ZL8moe_q4_KIN3c104HalfELb0EEvPKvS3_PT_PKiS7_S7_iiiiiii.num_agpr, 0
	.set _ZL8moe_q4_KIN3c104HalfELb0EEvPKvS3_PT_PKiS7_S7_iiiiiii.numbered_sgpr, 24
	.set _ZL8moe_q4_KIN3c104HalfELb0EEvPKvS3_PT_PKiS7_S7_iiiiiii.num_named_barrier, 0
	.set _ZL8moe_q4_KIN3c104HalfELb0EEvPKvS3_PT_PKiS7_S7_iiiiiii.private_seg_size, 0
	.set _ZL8moe_q4_KIN3c104HalfELb0EEvPKvS3_PT_PKiS7_S7_iiiiiii.uses_vcc, 1
	.set _ZL8moe_q4_KIN3c104HalfELb0EEvPKvS3_PT_PKiS7_S7_iiiiiii.uses_flat_scratch, 0
	.set _ZL8moe_q4_KIN3c104HalfELb0EEvPKvS3_PT_PKiS7_S7_iiiiiii.has_dyn_sized_stack, 0
	.set _ZL8moe_q4_KIN3c104HalfELb0EEvPKvS3_PT_PKiS7_S7_iiiiiii.has_recursion, 0
	.set _ZL8moe_q4_KIN3c104HalfELb0EEvPKvS3_PT_PKiS7_S7_iiiiiii.has_indirect_call, 0
	.section	.AMDGPU.csdata,"",@progbits
; Kernel info:
; codeLenInByte = 16296
; TotalNumSgprs: 26
; NumVgprs: 172
; ScratchSize: 0
; MemoryBound: 0
; FloatMode: 240
; IeeeMode: 1
; LDSByteSize: 20688 bytes/workgroup (compile time only)
; SGPRBlocks: 0
; VGPRBlocks: 21
; NumSGPRsForWavesPerEU: 26
; NumVGPRsForWavesPerEU: 172
; Occupancy: 8
; WaveLimiterHint : 1
; COMPUTE_PGM_RSRC2:SCRATCH_EN: 0
; COMPUTE_PGM_RSRC2:USER_SGPR: 2
; COMPUTE_PGM_RSRC2:TRAP_HANDLER: 0
; COMPUTE_PGM_RSRC2:TGID_X_EN: 1
; COMPUTE_PGM_RSRC2:TGID_Y_EN: 1
; COMPUTE_PGM_RSRC2:TGID_Z_EN: 0
; COMPUTE_PGM_RSRC2:TIDIG_COMP_CNT: 1
	.section	.text._ZL8moe_q4_KIN3c104HalfELb1EEvPKvS3_PT_PKiS7_S7_iiiiiii,"axG",@progbits,_ZL8moe_q4_KIN3c104HalfELb1EEvPKvS3_PT_PKiS7_S7_iiiiiii,comdat
	.globl	_ZL8moe_q4_KIN3c104HalfELb1EEvPKvS3_PT_PKiS7_S7_iiiiiii ; -- Begin function _ZL8moe_q4_KIN3c104HalfELb1EEvPKvS3_PT_PKiS7_S7_iiiiiii
	.p2align	8
	.type	_ZL8moe_q4_KIN3c104HalfELb1EEvPKvS3_PT_PKiS7_S7_iiiiiii,@function
_ZL8moe_q4_KIN3c104HalfELb1EEvPKvS3_PT_PKiS7_S7_iiiiiii: ; @_ZL8moe_q4_KIN3c104HalfELb1EEvPKvS3_PT_PKiS7_S7_iiiiiii
; %bb.0:
	s_load_b128 s[4:7], s[0:1], 0x18
	s_mov_b32 s2, ttmp7
	s_mov_b32 s3, 0
	s_delay_alu instid0(SALU_CYCLE_1)
	s_lshl_b64 s[2:3], s[2:3], 2
	s_wait_kmcnt 0x0
	s_add_nc_u64 s[2:3], s[6:7], s[2:3]
	s_load_b32 s14, s[2:3], 0x0
	s_wait_kmcnt 0x0
	s_cmp_gt_u32 s14, 0xff
	s_cbranch_scc1 .LBB212_30
; %bb.1:
	s_load_b64 s[2:3], s[0:1], 0x28
	s_wait_kmcnt 0x0
	s_load_b32 s3, s[2:3], 0x0
	s_lshl_b32 s2, ttmp7, 3
	s_wait_kmcnt 0x0
	s_cmp_gt_u32 s2, s3
	s_cbranch_scc1 .LBB212_30
; %bb.2:
	v_bfe_u32 v1, v0, 10, 10
	v_mov_b32_e32 v20, 0
	s_lshl_b32 s11, ttmp9, 7
	s_delay_alu instid0(VALU_DEP_2) | instskip(NEXT) | instid1(VALU_DEP_2)
	v_add_nc_u32_e32 v19, s2, v1
	v_dual_mov_b32 v61, v20 :: v_dual_and_b32 v34, 0x3ff, v0
	v_mov_b32_e32 v67, v20
	v_mov_b32_e32 v35, v20
	s_delay_alu instid0(VALU_DEP_4) | instskip(NEXT) | instid1(VALU_DEP_1)
	v_lshlrev_b64_e32 v[2:3], 2, v[19:20]
	v_add_co_u32 v2, vcc_lo, s4, v2
	s_delay_alu instid0(VALU_DEP_1)
	v_add_co_ci_u32_e64 v3, null, s5, v3, vcc_lo
	global_load_b32 v33, v[2:3], off
	s_clause 0x2
	s_load_b128 s[4:7], s[0:1], 0x30
	s_load_b64 s[12:13], s[0:1], 0x10
	s_load_b96 s[8:10], s[0:1], 0x40
	s_wait_kmcnt 0x0
	s_cmp_lt_i32 s5, 0x100
	s_cbranch_scc1 .LBB212_21
; %bb.3:
	v_add_nc_u32_e32 v3, 8, v1
	s_ashr_i32 s16, s8, 31
	s_not_b32 s17, s11
	v_and_b32_e32 v24, 3, v0
	s_ashr_i32 s15, s5, 31
	s_lshr_b32 s20, s16, 27
	s_add_co_i32 s16, s6, s17
	s_mul_i32 s14, s14, s4
	s_lshr_b32 s4, s15, 24
	v_dual_mov_b32 v35, 0 :: v_dual_lshlrev_b32 v2, 2, v34
	v_min_i32_e32 v4, s16, v1
	v_min_i32_e32 v3, s16, v3
	s_wait_alu 0xfffe
	s_add_co_i32 s4, s5, s4
	v_cmp_gt_u32_e32 vcc_lo, 2, v24
	v_add_nc_u32_e32 v6, 16, v1
	s_wait_alu 0xfffe
	s_ashr_i32 s4, s4, 8
	v_add_nc_u32_e32 v8, 24, v1
	s_wait_alu 0xfffe
	v_mul_lo_u32 v38, v4, s4
	v_mad_co_u64_u32 v[4:5], null, 0x84, v4, v[2:3]
	v_mul_lo_u32 v39, v3, s4
	v_min_i32_e32 v7, s16, v6
	v_mad_co_u64_u32 v[5:6], null, 0x84, v3, v[2:3]
	v_add_nc_u32_e32 v3, 32, v1
	v_min_i32_e32 v8, s16, v8
	s_delay_alu instid0(VALU_DEP_4)
	v_mul_lo_u32 v40, v7, s4
	v_add_nc_u32_e32 v9, 40, v1
	v_lshlrev_b32_e32 v46, 5, v1
	v_mad_co_u64_u32 v[6:7], null, 0x84, v7, v[2:3]
	v_min_i32_e32 v3, s16, v3
	v_mul_lo_u32 v41, v8, s4
	v_min_i32_e32 v10, s16, v9
	v_add_nc_u32_e32 v11, 48, v1
	v_add_nc_u32_e32 v15, v46, v34
	v_mad_co_u64_u32 v[7:8], null, 0x84, v8, v[2:3]
	v_mul_lo_u32 v42, v3, s4
	v_mad_co_u64_u32 v[8:9], null, 0x84, v3, v[2:3]
	v_add_nc_u32_e32 v3, 56, v1
	v_mul_lo_u32 v43, v10, s4
	v_min_i32_e32 v11, s16, v11
	v_add_nc_u32_e32 v12, 64, v1
	v_add_nc_u32_e32 v14, 0x48, v1
	v_mad_co_u64_u32 v[9:10], null, 0x84, v10, v[2:3]
	v_min_i32_e32 v3, s16, v3
	v_and_b32_e32 v15, 0x7f, v15
	v_mul_lo_u32 v44, v11, s4
	v_min_i32_e32 v13, s16, v12
	v_add_nc_u32_e32 v17, 0x58, v1
	v_mad_co_u64_u32 v[10:11], null, 0x84, v11, v[2:3]
	v_mul_lo_u32 v45, v3, s4
	v_mad_co_u64_u32 v[11:12], null, 0x84, v3, v[2:3]
	v_min_i32_e32 v3, s16, v14
	v_add_nc_u32_e32 v14, 0x50, v1
	v_min_i32_e32 v21, s16, v15
	v_mul_lo_u32 v47, v13, s4
	s_load_b128 s[0:3], s[0:1], 0x0
	v_mad_co_u64_u32 v[12:13], null, 0x84, v13, v[2:3]
	v_mul_lo_u32 v48, v3, s4
	v_min_i32_e32 v16, s16, v14
	v_mad_co_u64_u32 v[13:14], null, 0x84, v3, v[2:3]
	v_min_i32_e32 v3, s16, v17
	v_add_nc_u32_e32 v17, 0x60, v1
	v_add_nc_u32_e32 v18, 0x68, v1
	v_ashrrev_i32_e32 v19, 31, v21
	v_mul_lo_u32 v49, v16, s4
	v_mad_co_u64_u32 v[14:15], null, 0x84, v16, v[2:3]
	v_mul_lo_u32 v50, v3, s4
	v_min_i32_e32 v17, s16, v17
	v_mad_co_u64_u32 v[15:16], null, 0x84, v3, v[2:3]
	v_min_i32_e32 v3, s16, v18
	v_add_nc_u32_e32 v18, 0x70, v1
	v_lshrrev_b32_e32 v19, 27, v19
	v_add_nc_u32_e32 v22, 0x78, v1
	v_mul_lo_u32 v51, v17, s4
	v_mad_co_u64_u32 v[16:17], null, 0x84, v17, v[2:3]
	v_mul_lo_u32 v52, v3, s4
	v_min_i32_e32 v20, s16, v18
	v_add_nc_u32_e32 v19, v21, v19
	v_mad_co_u64_u32 v[17:18], null, 0x84, v3, v[2:3]
	v_min_i32_e32 v3, s16, v22
	v_bfe_u32 v22, v0, 2, 8
	s_mul_i32 s18, s4, s11
	v_ashrrev_i32_e32 v23, 5, v19
	s_ashr_i32 s15, s14, 31
	v_mad_co_u64_u32 v[18:19], null, 0x84, v20, v[2:3]
	v_lshl_add_u32 v19, v1, 3, v22
	s_ashr_i32 s19, s18, 31
	s_wait_kmcnt 0x0
	s_add_nc_u64 s[0:1], s[0:1], s[14:15]
	s_mul_u64 s[18:19], s[18:19], 0x90
	v_add_nc_u32_e32 v25, 0xfe, v24
	s_add_nc_u64 s[14:15], s[0:1], s[18:19]
	v_and_b32_e32 v26, 0x7f, v19
	s_abs_i32 s1, s10
	v_mul_lo_u32 v53, v20, s4
	s_cvt_f32_u32 s0, s1
	v_mad_co_u64_u32 v[19:20], null, 0x84, v3, v[2:3]
	v_lshlrev_b32_e32 v22, 2, v23
	v_lshlrev_b32_e32 v23, 2, v21
	v_mul_lo_u32 v55, v21, s4
	v_min_i32_e32 v20, s16, v26
	v_xor_b32_e32 v21, 64, v26
	v_mul_lo_u32 v54, v3, s4
	v_and_b32_e32 v3, 0xff, v25
	v_rcp_iflag_f32_e32 v25, s0
	v_add3_u32 v56, v22, v23, 0x4e40
	v_ashrrev_i32_e32 v22, 31, v20
	v_min_i32_e32 v21, s16, v21
	v_cndmask_b32_e32 v3, v3, v24, vcc_lo
	v_cmp_ne_u32_e64 s0, 0, v24
	v_and_b32_e32 v23, 4, v2
	v_cmp_lt_u32_e32 vcc_lo, 1, v24
	v_lshrrev_b32_e32 v22, 29, v22
	v_ashrrev_i32_e32 v26, 31, v21
	s_wait_alu 0xf1ff
	v_add_co_ci_u32_e64 v27, null, 0, v3, s0
	v_readfirstlane_b32 s0, v25
	s_wait_alu 0xfffd
	v_dual_cndmask_b32 v57, 0, v23 :: v_dual_add_nc_u32 v22, v20, v22
	v_lshrrev_b32_e32 v23, 29, v26
	v_lshlrev_b32_e32 v58, 1, v3
	s_mul_f32 s0, s0, 0x4f7ffffe
	s_delay_alu instid0(VALU_DEP_3)
	v_ashrrev_i32_e32 v22, 3, v22
	s_add_co_i32 s6, s8, s20
	v_add_nc_u32_e32 v3, v21, v23
	s_wait_loadcnt 0x0
	v_sub_nc_u32_e32 v23, 0, v33
	s_wait_alu 0xfffe
	s_cvt_u32_f32 s0, s0
	s_sub_co_i32 s8, 0, s1
	v_lshlrev_b32_e32 v22, 2, v22
	v_lshlrev_b32_e32 v24, 2, v24
	s_wait_alu 0xfffe
	s_mul_i32 s8, s8, s0
	v_max_i32_e32 v23, v33, v23
	s_mul_hi_u32 s8, s0, s8
	v_ashrrev_i32_e32 v3, 3, v3
	s_add_co_i32 s0, s0, s8
	v_add3_u32 v26, v22, v24, 0x4200
	s_wait_alu 0xfffe
	v_mul_hi_u32 v22, v23, s0
	v_mul_lo_u32 v60, v21, s4
	v_lshlrev_b32_e32 v3, 2, v3
	v_lshlrev_b32_e32 v28, 4, v21
	v_bfe_u32 v36, v0, 5, 5
	v_lshl_add_u32 v62, v1, 7, 0x4a40
	v_cndmask_b32_e64 v25, 0, 1, vcc_lo
	v_add3_u32 v3, v3, v24, 0x4200
	v_mul_lo_u32 v21, v22, s1
	v_and_b32_e32 v24, 31, v0
	v_bfe_u32 v65, v0, 3, 7
	v_add_nc_u32_e32 v0, 1, v22
	v_xor_b32_e32 v61, s10, v33
	v_add_nc_u32_e32 v31, 32, v34
	v_lshl_add_u32 v63, v24, 2, v62
	v_lshlrev_b32_e32 v24, 2, v36
	v_sub_nc_u32_e32 v21, v23, v21
	v_ashrrev_i32_e32 v61, 31, v61
	v_lshrrev_b32_e32 v64, 3, v31
	v_add_nc_u32_e32 v32, 0x60, v34
	v_add3_u32 v66, v24, v2, 0x4e40
	v_subrev_nc_u32_e32 v24, s1, v21
	v_cmp_le_u32_e32 vcc_lo, s1, v21
	v_and_b32_e32 v23, 60, v64
	v_lshrrev_b32_e32 v76, 3, v32
	v_and_b32_e32 v30, 28, v2
	s_ashr_i32 s6, s6, 5
	s_wait_alu 0xfffd
	v_cndmask_b32_e32 v0, v22, v0, vcc_lo
	v_dual_cndmask_b32 v21, v21, v24 :: v_dual_add_nc_u32 v22, 64, v34
	v_mul_lo_u32 v59, v20, s4
	v_lshlrev_b32_e32 v20, 4, v20
	s_delay_alu instid0(VALU_DEP_4) | instskip(NEXT) | instid1(VALU_DEP_4)
	v_add_nc_u32_e32 v24, 1, v0
	v_cmp_le_u32_e32 vcc_lo, s1, v21
	v_and_b32_e32 v37, 0x7c, v2
	v_lshrrev_b32_e32 v67, 3, v22
	s_movk_i32 s1, 0x1080
	s_wait_alu 0xfffd
	v_dual_cndmask_b32 v0, v0, v24 :: v_dual_add_nc_u32 v29, 0x5050, v2
	v_lshlrev_b32_e32 v1, 4, v1
	v_and_b32_e32 v21, 60, v67
	v_lshlrev_b32_e32 v24, 2, v31
	v_add3_u32 v68, v2, v23, 0x4e40
	v_xor_b32_e32 v0, v0, v61
	v_and_b32_e32 v23, 60, v76
	v_lshlrev_b32_e32 v31, 2, v22
	v_lshlrev_b32_e32 v32, 2, v32
	s_wait_alu 0xfffe
	v_mad_u32_u24 v71, 0x84, v34, s1
	v_sub_nc_u32_e32 v0, v0, v61
	s_movk_i32 s1, 0x2100
	s_movk_i32 s8, 0x3180
	v_cmp_gt_u32_e64 s0, 4, v34
	v_add3_u32 v69, v2, v21, 0x4e40
	v_mul_lo_u32 v72, v0, s6
	s_wait_alu 0xfffe
	v_mad_u32_u24 v73, 0x84, v34, s1
	v_mad_u32_u24 v74, 0x84, v34, s8
	v_cmp_gt_i32_e64 s1, s7, v0
	v_add_co_u32 v21, s8, s2, v30
	v_add3_u32 v70, v2, v23, 0x4e40
	s_wait_alu 0xf1ff
	v_add_co_ci_u32_e64 v22, null, s3, 0, s8
	v_add_nc_u32_e32 v75, 0x5050, v1
	v_lshlrev_b32_e32 v76, 2, v76
	v_lshlrev_b32_e32 v77, 2, v67
	v_lshlrev_b32_e32 v78, 2, v64
	v_lshlrev_b32_e32 v79, 2, v27
	v_lshlrev_b32_e32 v80, 2, v25
	v_add_nc_u32_e32 v81, v26, v20
	v_add_nc_u32_e32 v82, v3, v28
	;; [unrolled: 1-line block ×3, first 2 shown]
	v_lshlrev_b32_e32 v84, 2, v2
	v_lshlrev_b32_e32 v85, 2, v24
	;; [unrolled: 1-line block ×4, first 2 shown]
	v_mov_b32_e32 v67, 0
	v_dual_mov_b32 v61, 0 :: v_dual_mov_b32 v20, 0
	s_mov_b32 s17, 0
	s_and_b32 s8, s0, s1
	s_wait_alu 0xfffe
	s_mov_b32 s16, s17
	s_branch .LBB212_5
.LBB212_4:                              ;   in Loop: Header=BB212_5 Depth=1
	s_add_co_i32 s16, s16, 1
	s_wait_alu 0xfffe
	s_cmp_eq_u32 s16, s4
	s_cbranch_scc1 .LBB212_21
.LBB212_5:                              ; =>This Loop Header: Depth=1
                                        ;     Child Loop BB212_11 Depth 2
                                        ;     Child Loop BB212_19 Depth 2
	s_wait_alu 0xfffe
	s_mul_u64 s[18:19], s[16:17], 0x90
	s_wait_alu 0xfffe
	s_add_nc_u64 s[18:19], s[14:15], s[18:19]
	s_wait_alu 0xfffe
	v_mad_co_u64_u32 v[0:1], null, 0x90, v36, s[18:19]
	s_delay_alu instid0(VALU_DEP_1) | instskip(SKIP_3) | instid1(VALU_DEP_4)
	v_mad_co_i64_i32 v[2:3], null, 0x90, v38, v[0:1]
	v_mad_co_i64_i32 v[23:24], null, 0x90, v39, v[0:1]
	;; [unrolled: 1-line block ×4, first 2 shown]
	v_add_co_u32 v2, vcc_lo, v2, v37
	v_mad_co_i64_i32 v[29:30], null, 0x90, v42, v[0:1]
	s_wait_alu 0xfffd
	v_add_co_ci_u32_e64 v3, null, 0, v3, vcc_lo
	v_add_co_u32 v23, vcc_lo, v23, v37
	v_mad_co_i64_i32 v[31:32], null, 0x90, v43, v[0:1]
	s_wait_alu 0xfffd
	v_add_co_ci_u32_e64 v24, null, 0, v24, vcc_lo
	;; [unrolled: 4-line block ×4, first 2 shown]
	v_add_co_u32 v29, vcc_lo, v29, v37
	s_wait_alu 0xfffd
	v_add_co_ci_u32_e64 v30, null, 0, v30, vcc_lo
	v_add_co_u32 v31, vcc_lo, v31, v37
	s_wait_alu 0xfffd
	v_add_co_ci_u32_e64 v32, null, 0, v32, vcc_lo
	;; [unrolled: 3-line block ×3, first 2 shown]
	v_add_co_u32 v90, vcc_lo, v90, v37
	v_mad_co_i64_i32 v[92:93], null, 0x90, v47, v[0:1]
	s_wait_alu 0xfffd
	v_add_co_ci_u32_e64 v91, null, 0, v91, vcc_lo
	s_clause 0x7
	global_load_b32 v98, v[2:3], off offset:16
	global_load_b32 v99, v[23:24], off offset:16
	;; [unrolled: 1-line block ×8, first 2 shown]
	v_mad_co_i64_i32 v[2:3], null, 0x90, v48, v[0:1]
	v_mad_co_i64_i32 v[25:26], null, 0x90, v49, v[0:1]
	v_mad_co_i64_i32 v[27:28], null, 0x90, v50, v[0:1]
	v_add_co_u32 v23, vcc_lo, v92, v37
	v_mad_co_i64_i32 v[29:30], null, 0x90, v51, v[0:1]
	s_wait_alu 0xfffd
	v_add_co_ci_u32_e64 v24, null, 0, v93, vcc_lo
	v_add_co_u32 v2, vcc_lo, v2, v37
	v_mad_co_i64_i32 v[88:89], null, 0x90, v59, s[18:19]
	s_wait_alu 0xfffd
	v_add_co_ci_u32_e64 v3, null, 0, v3, vcc_lo
	v_add_co_u32 v25, vcc_lo, v25, v37
	s_wait_alu 0xfffd
	v_add_co_ci_u32_e64 v26, null, 0, v26, vcc_lo
	v_add_co_u32 v27, vcc_lo, v27, v37
	v_mad_co_i64_i32 v[92:93], null, 0x90, v60, s[18:19]
	s_wait_alu 0xfffd
	v_add_co_ci_u32_e64 v28, null, 0, v28, vcc_lo
	v_add_co_u32 v29, vcc_lo, v29, v37
	s_wait_alu 0xfffd
	v_add_co_ci_u32_e64 v30, null, 0, v30, vcc_lo
	v_add_co_u32 v94, vcc_lo, v88, v79
	;; [unrolled: 3-line block ×4, first 2 shown]
	v_mad_co_i64_i32 v[31:32], null, 0x90, v52, v[0:1]
	s_wait_alu 0xfffd
	v_add_co_ci_u32_e64 v97, null, 0, v93, vcc_lo
	v_add_co_u32 v92, vcc_lo, v92, v80
	v_mad_co_i64_i32 v[90:91], null, 0x90, v53, v[0:1]
	s_wait_alu 0xfffd
	v_add_co_ci_u32_e64 v93, null, 0, v93, vcc_lo
	v_mad_co_i64_i32 v[0:1], null, 0x90, v54, v[0:1]
	s_clause 0x3
	global_load_b32 v94, v[94:95], off offset:4
	global_load_b32 v95, v[96:97], off offset:4
	;; [unrolled: 1-line block ×4, first 2 shown]
	v_add_co_u32 v31, vcc_lo, v31, v37
	s_wait_alu 0xfffd
	v_add_co_ci_u32_e64 v32, null, 0, v32, vcc_lo
	v_add_co_u32 v88, vcc_lo, v90, v37
	s_wait_alu 0xfffd
	v_add_co_ci_u32_e64 v89, null, 0, v91, vcc_lo
	;; [unrolled: 3-line block ×3, first 2 shown]
	v_mad_co_i64_i32 v[90:91], null, 0x90, v55, s[18:19]
	s_clause 0x8
	global_load_b32 v23, v[23:24], off offset:16
	global_load_b32 v2, v[2:3], off offset:16
	;; [unrolled: 1-line block ×8, first 2 shown]
	global_load_b32 v1, v[90:91], off
	s_lshl_b32 s18, s16, 8
	s_wait_loadcnt 0x14
	ds_store_b32 v4, v98
	s_wait_loadcnt 0x13
	ds_store_b32 v5, v99
	;; [unrolled: 2-line block ×14, first 2 shown]
	v_ashrrev_i32_e32 v28, v57, v94
	v_ashrrev_i32_e32 v29, v57, v95
	;; [unrolled: 1-line block ×4, first 2 shown]
	s_wait_alu 0xfffe
	s_cmp_lt_i32 s18, s5
	v_and_b32_e32 v28, 0xf0f0f0f, v28
	v_and_b32_e32 v29, 0xf0f0f0f, v29
	s_delay_alu instid0(VALU_DEP_2) | instskip(NEXT) | instid1(VALU_DEP_2)
	v_and_or_b32 v2, 0x30303030, v30, v28
	v_and_or_b32 v3, 0x30303030, v31, v29
	s_wait_loadcnt 0x2
	ds_store_b32 v18, v27
	s_wait_loadcnt 0x1
	ds_store_b32 v19, v0
	;; [unrolled: 2-line block ×3, first 2 shown]
	ds_store_b32 v81, v2
	ds_store_b32 v82, v3
	s_cbranch_scc0 .LBB212_4
; %bb.6:                                ;   in Loop: Header=BB212_5 Depth=1
	s_lshl_b32 s19, s16, 3
	s_wait_alu 0xfffe
	v_add_nc_u32_e32 v0, s19, v65
	s_delay_alu instid0(VALU_DEP_1)
	v_cmp_gt_i32_e32 vcc_lo, s6, v0
	s_and_b32 s21, s1, vcc_lo
	s_wait_alu 0xfffe
	s_and_saveexec_b32 s20, s21
	s_cbranch_execz .LBB212_8
; %bb.7:                                ;   in Loop: Header=BB212_5 Depth=1
	v_add_nc_u32_e32 v0, v72, v0
	s_delay_alu instid0(VALU_DEP_1)
	v_mad_co_i64_i32 v[0:1], null, v0, 36, v[21:22]
	global_load_b32 v0, v[0:1], off offset:4
	s_wait_loadcnt 0x0
	ds_store_b32 v63, v0
.LBB212_8:                              ;   in Loop: Header=BB212_5 Depth=1
	s_wait_alu 0xfffe
	s_or_b32 exec_lo, exec_lo, s20
	v_add_nc_u32_e32 v88, s19, v34
	s_delay_alu instid0(VALU_DEP_1)
	v_cmp_gt_i32_e32 vcc_lo, s6, v88
	s_and_b32 s21, s8, vcc_lo
	s_wait_alu 0xfffe
	s_and_saveexec_b32 s20, s21
	s_cbranch_execz .LBB212_10
; %bb.9:                                ;   in Loop: Header=BB212_5 Depth=1
	v_add_nc_u32_e32 v0, v72, v88
	s_delay_alu instid0(VALU_DEP_1)
	v_mad_co_i64_i32 v[0:1], null, v0, 36, s[2:3]
	global_load_b32 v0, v[0:1], off
	s_wait_loadcnt 0x0
	ds_store_b32 v83, v0
.LBB212_10:                             ;   in Loop: Header=BB212_5 Depth=1
	s_wait_alu 0xfffe
	s_or_b32 exec_lo, exec_lo, s20
	s_wait_dscnt 0x0
	s_barrier_signal -1
	s_barrier_wait -1
	global_inv scope:SCOPE_SE
	ds_load_b32 v0, v66
	ds_load_b32 v1, v68 offset:128
	ds_load_b32 v2, v69 offset:256
	;; [unrolled: 1-line block ×3, first 2 shown]
	s_mov_b32 s21, 0
	s_mov_b32 s20, -1
	s_wait_dscnt 0x3
	v_cvt_f32_f16_e32 v89, v0
	v_lshrrev_b32_e32 v0, 16, v0
	s_wait_dscnt 0x2
	v_cvt_f32_f16_e32 v90, v1
	v_lshrrev_b32_e32 v1, 16, v1
	s_wait_dscnt 0x1
	v_lshrrev_b32_e32 v23, 16, v2
	s_wait_dscnt 0x0
	v_lshrrev_b32_e32 v24, 16, v3
	v_cvt_f32_f16_e32 v91, v2
	v_cvt_f32_f16_e32 v92, v0
	;; [unrolled: 1-line block ×6, first 2 shown]
.LBB212_11:                             ;   Parent Loop BB212_5 Depth=1
                                        ; =>  This Inner Loop Header: Depth=2
	s_wait_alu 0xfffe
	v_lshl_or_b32 v97, s21, 1, v46
	s_lshr_b32 s22, s21, 2
	s_lshl_b32 s23, s21, 2
	s_wait_alu 0xfffe
	s_add_co_i32 s21, s22, 0x4200
	v_add_nc_u32_e32 v119, s23, v71
	v_lshlrev_b32_e32 v0, 2, v97
	s_wait_alu 0xfffe
	v_add3_u32 v153, s21, v78, v85
	v_add_nc_u32_e32 v161, s23, v74
	v_add3_u32 v154, s21, v76, v87
	s_and_b32 vcc_lo, exec_lo, s20
	ds_load_b128 v[23:26], v0 offset:19008
	ds_load_b128 v[27:30], v0 offset:19024
	s_mov_b32 s20, 0
	s_wait_dscnt 0x1
	v_lshrrev_b16 v31, 8, v23
	v_lshrrev_b16 v164, 8, v24
	;; [unrolled: 1-line block ×4, first 2 shown]
	v_ashrrev_i32_e32 v170, 24, v23
	v_bfe_i32 v172, v23, 16, 8
	v_bfe_i32 v175, v23, 0, 8
	v_ashrrev_i32_e32 v149, 24, v24
	v_bfe_i32 v150, v24, 16, 8
	v_bfe_i32 v163, v24, 0, 8
	;; [unrolled: 3-line block ×4, first 2 shown]
	ds_load_b128 v[23:26], v0 offset:19040
	ds_load_b128 v[0:3], v0 offset:19056
	s_wait_dscnt 0x2
	v_lshrrev_b16 v157, 8, v27
	v_lshrrev_b16 v143, 8, v28
	v_ashrrev_i32_e32 v121, 24, v27
	v_bfe_i32 v122, v27, 16, 8
	v_bfe_i32 v125, v27, 0, 8
	v_ashrrev_i32_e32 v114, 24, v28
	v_bfe_i32 v115, v28, 16, 8
	v_bfe_i32 v118, v28, 0, 8
	;; [unrolled: 1-line block ×3, first 2 shown]
	v_lshrrev_b16 v144, 8, v29
	v_lshrrev_b16 v138, 8, v30
	v_ashrrev_i32_e32 v107, 24, v29
	v_bfe_i32 v108, v29, 16, 8
	v_bfe_i32 v112, v29, 0, 8
	v_ashrrev_i32_e32 v98, 24, v30
	v_bfe_i32 v99, v30, 16, 8
	v_bfe_i32 v104, v30, 0, 8
	;; [unrolled: 1-line block ×3, first 2 shown]
	s_wait_dscnt 0x1
	v_lshrrev_b16 v173, 8, v23
	s_wait_dscnt 0x0
	v_lshrrev_b16 v147, 8, v0
	v_ashrrev_i32_e32 v123, 24, v0
	v_bfe_i32 v124, v0, 16, 8
	v_bfe_i32 v126, v0, 0, 8
	v_lshlrev_b32_e32 v0, 2, v65
	v_lshrrev_b16 v140, 8, v1
	v_ashrrev_i32_e32 v116, 24, v1
	v_bfe_i32 v117, v1, 16, 8
	v_bfe_i32 v120, v1, 0, 8
	v_add3_u32 v100, s21, v0, v84
	v_mul_u32_u24_e32 v0, 0x84, v34
	v_lshrrev_b16 v141, 8, v2
	v_ashrrev_i32_e32 v110, 24, v2
	v_bfe_i32 v111, v2, 16, 8
	v_bfe_i32 v113, v2, 0, 8
	v_add_nc_u32_e32 v148, s23, v0
	ds_load_u16 v102, v100 offset:8
	ds_load_2addr_b32 v[27:28], v148 offset1:1
	v_lshrrev_b16 v137, 8, v3
	v_ashrrev_i32_e32 v101, 24, v3
	v_bfe_i32 v103, v3, 16, 8
	v_bfe_i32 v106, v3, 0, 8
	v_ashrrev_i32_e32 v166, 24, v23
	v_bfe_i32 v167, v23, 16, 8
	v_bfe_i32 v168, v23, 0, 8
	v_lshrrev_b16 v160, 8, v24
	v_ashrrev_i32_e32 v151, 24, v24
	v_bfe_i32 v152, v24, 16, 8
	v_bfe_i32 v159, v24, 0, 8
	v_lshrrev_b16 v158, 8, v25
	;; [unrolled: 4-line block ×3, first 2 shown]
	v_ashrrev_i32_e32 v129, 24, v26
	v_bfe_i32 v130, v26, 16, 8
	v_bfe_i32 v132, v26, 0, 8
	s_wait_dscnt 0x0
	v_and_b32_e32 v0, 15, v27
	v_bfe_u32 v1, v27, 8, 4
	v_bfe_u32 v2, v27, 24, 4
	v_bfe_i32 v173, v173, 0, 8
	v_bfe_i32 v165, v165, 0, 8
	v_mul_i32_i24_e32 v0, v175, v0
	v_bfe_i32 v160, v160, 0, 8
	v_mul_i32_i24_e32 v2, v170, v2
	v_bfe_i32 v158, v158, 0, 8
	v_bfe_i32 v155, v155, 0, 8
	v_mad_i32_i24 v0, v171, v1, v0
	v_bfe_u32 v1, v27, 16, 4
	v_bfe_i32 v157, v157, 0, 8
	v_bfe_i32 v145, v145, 0, 8
	;; [unrolled: 1-line block ×4, first 2 shown]
	v_mul_i32_i24_e32 v1, v172, v1
	v_bfe_i32 v138, v138, 0, 8
	s_delay_alu instid0(VALU_DEP_2)
	v_add3_u32 v169, v0, v1, v2
	ds_load_2addr_b32 v[2:3], v119 offset0:2 offset1:3
	ds_load_2addr_b32 v[0:1], v119 offset0:4 offset1:5
	ds_load_u16 v105, v153 offset:8
	ds_load_2addr_b32 v[29:30], v119 offset1:1
	s_wait_dscnt 0x0
	v_and_b32_e32 v23, 15, v29
	v_bfe_u32 v24, v29, 8, 4
	v_bfe_u32 v25, v29, 24, 4
	s_delay_alu instid0(VALU_DEP_3) | instskip(NEXT) | instid1(VALU_DEP_2)
	v_mul_i32_i24_e32 v23, v175, v23
	v_mul_i32_i24_e32 v25, v170, v25
	s_delay_alu instid0(VALU_DEP_2) | instskip(SKIP_1) | instid1(VALU_DEP_1)
	v_mad_i32_i24 v23, v171, v24, v23
	v_bfe_u32 v24, v29, 16, 4
	v_mul_i32_i24_e32 v24, v172, v24
	s_delay_alu instid0(VALU_DEP_1)
	v_add3_u32 v174, v23, v24, v25
	ds_load_2addr_b32 v[25:26], v161 offset0:2 offset1:3
	ds_load_2addr_b32 v[23:24], v161 offset0:4 offset1:5
	ds_load_u16 v109, v154 offset:8
	ds_load_2addr_b32 v[31:32], v161 offset1:1
	s_wait_dscnt 0x0
	v_and_b32_e32 v146, 15, v32
	v_and_b32_e32 v156, 15, v31
	v_bfe_u32 v180, v31, 16, 4
	v_bfe_u32 v181, v31, 24, 4
	v_lshrrev_b32_e32 v182, 28, v31
	v_mul_i32_i24_e32 v146, v146, v163
	s_delay_alu instid0(VALU_DEP_1)
	v_mad_i32_i24 v178, v156, v175, v146
	v_add3_u32 v146, s21, v77, v86
	v_add_nc_u32_e32 v156, s23, v73
	ds_load_u16 v162, v146 offset:8
	ds_load_2addr_b32 v[176:177], v156 offset1:1
	s_mov_b32 s21, 8
	s_wait_dscnt 0x0
	v_and_b32_e32 v179, 15, v176
	s_delay_alu instid0(VALU_DEP_1) | instskip(SKIP_1) | instid1(VALU_DEP_1)
	v_mul_i32_i24_e32 v175, v175, v179
	v_bfe_u32 v179, v32, 16, 4
	v_mul_i32_i24_e32 v179, v179, v150
	s_delay_alu instid0(VALU_DEP_1) | instskip(SKIP_1) | instid1(VALU_DEP_1)
	v_mad_i32_i24 v179, v180, v172, v179
	v_bfe_u32 v180, v176, 16, 4
	v_mul_i32_i24_e32 v172, v172, v180
	v_bfe_u32 v180, v32, 24, 4
	s_delay_alu instid0(VALU_DEP_1) | instskip(NEXT) | instid1(VALU_DEP_1)
	v_mul_i32_i24_e32 v180, v180, v149
	v_mad_i32_i24 v180, v181, v170, v180
	v_bfe_u32 v181, v176, 24, 4
	s_delay_alu instid0(VALU_DEP_1) | instskip(SKIP_1) | instid1(VALU_DEP_1)
	v_mul_i32_i24_e32 v170, v170, v181
	v_bfe_u32 v181, v176, 8, 4
	v_mad_i32_i24 v175, v171, v181, v175
	v_bfe_u32 v181, v31, 20, 4
	s_delay_alu instid0(VALU_DEP_2) | instskip(SKIP_2) | instid1(VALU_DEP_2)
	v_add3_u32 v170, v175, v172, v170
	v_bfe_u32 v172, v25, 16, 4
	v_bfe_u32 v175, v26, 16, 4
	v_mul_i32_i24_e32 v172, v172, v134
	s_delay_alu instid0(VALU_DEP_2) | instskip(NEXT) | instid1(VALU_DEP_1)
	v_mul_i32_i24_e32 v175, v175, v128
	v_add3_u32 v172, v179, v172, v175
	v_and_b32_e32 v175, 15, v25
	v_and_b32_e32 v179, 15, v26
	s_delay_alu instid0(VALU_DEP_2) | instskip(NEXT) | instid1(VALU_DEP_2)
	v_mul_i32_i24_e32 v175, v175, v139
	v_mul_i32_i24_e32 v179, v179, v131
	s_delay_alu instid0(VALU_DEP_1) | instskip(SKIP_2) | instid1(VALU_DEP_2)
	v_add3_u32 v175, v178, v175, v179
	v_bfe_u32 v178, v25, 24, 4
	v_bfe_u32 v179, v26, 24, 4
	v_mul_i32_i24_e32 v178, v178, v133
	s_delay_alu instid0(VALU_DEP_2) | instskip(NEXT) | instid1(VALU_DEP_1)
	v_mul_i32_i24_e32 v179, v179, v127
	v_add3_u32 v178, v180, v178, v179
	v_bfe_u32 v179, v27, 4, 4
	v_bfe_u32 v180, v27, 12, 4
	s_delay_alu instid0(VALU_DEP_2) | instskip(NEXT) | instid1(VALU_DEP_1)
	v_mul_i32_i24_e32 v179, v168, v179
	v_mad_i32_i24 v179, v173, v180, v179
	v_bfe_u32 v180, v27, 20, 4
	v_lshrrev_b32_e32 v27, 28, v27
	s_delay_alu instid0(VALU_DEP_2) | instskip(NEXT) | instid1(VALU_DEP_2)
	v_mul_i32_i24_e32 v180, v167, v180
	v_mul_i32_i24_e32 v27, v166, v27
	s_delay_alu instid0(VALU_DEP_1) | instskip(SKIP_2) | instid1(VALU_DEP_2)
	v_add3_u32 v27, v179, v180, v27
	v_bfe_u32 v179, v29, 4, 4
	v_bfe_u32 v180, v29, 12, 4
	v_mul_i32_i24_e32 v179, v168, v179
	s_delay_alu instid0(VALU_DEP_1) | instskip(SKIP_2) | instid1(VALU_DEP_2)
	v_mad_i32_i24 v179, v173, v180, v179
	v_bfe_u32 v180, v29, 20, 4
	v_lshrrev_b32_e32 v29, 28, v29
	v_mul_i32_i24_e32 v180, v167, v180
	s_delay_alu instid0(VALU_DEP_2) | instskip(NEXT) | instid1(VALU_DEP_1)
	v_mul_i32_i24_e32 v29, v166, v29
	v_add3_u32 v29, v179, v180, v29
	v_bfe_u32 v179, v32, 4, 4
	v_bfe_u32 v180, v31, 4, 4
	s_delay_alu instid0(VALU_DEP_2) | instskip(NEXT) | instid1(VALU_DEP_1)
	v_mul_i32_i24_e32 v179, v179, v159
	v_mad_i32_i24 v179, v180, v168, v179
	v_bfe_u32 v180, v176, 4, 4
	s_delay_alu instid0(VALU_DEP_1) | instskip(SKIP_1) | instid1(VALU_DEP_1)
	v_mul_i32_i24_e32 v168, v168, v180
	v_bfe_u32 v180, v32, 20, 4
	v_mul_i32_i24_e32 v180, v180, v152
	s_delay_alu instid0(VALU_DEP_1) | instskip(SKIP_1) | instid1(VALU_DEP_1)
	v_mad_i32_i24 v180, v181, v167, v180
	v_bfe_u32 v181, v176, 20, 4
	v_mul_i32_i24_e32 v167, v167, v181
	v_lshrrev_b32_e32 v181, 28, v32
	s_delay_alu instid0(VALU_DEP_1) | instskip(NEXT) | instid1(VALU_DEP_1)
	v_mul_i32_i24_e32 v181, v181, v151
	v_mad_i32_i24 v181, v182, v166, v181
	v_lshrrev_b32_e32 v182, 28, v176
	v_bfe_u32 v176, v176, 12, 4
	s_delay_alu instid0(VALU_DEP_2) | instskip(NEXT) | instid1(VALU_DEP_2)
	v_mul_i32_i24_e32 v166, v166, v182
	v_mad_i32_i24 v168, v173, v176, v168
	v_bfe_u32 v176, v26, 4, 4
	s_delay_alu instid0(VALU_DEP_2) | instskip(SKIP_2) | instid1(VALU_DEP_4)
	v_add3_u32 v166, v168, v167, v166
	v_bfe_u32 v167, v25, 20, 4
	v_bfe_u32 v168, v26, 20, 4
	v_mul_i32_i24_e32 v176, v176, v132
	s_delay_alu instid0(VALU_DEP_3) | instskip(NEXT) | instid1(VALU_DEP_3)
	v_mul_i32_i24_e32 v167, v167, v136
	v_mul_i32_i24_e32 v168, v168, v130
	s_delay_alu instid0(VALU_DEP_1) | instskip(SKIP_2) | instid1(VALU_DEP_2)
	v_add3_u32 v167, v180, v167, v168
	v_bfe_u32 v168, v25, 4, 4
	v_and_b32_e32 v180, 0xf0f0f0f, v25
	v_mul_i32_i24_e32 v168, v168, v142
	s_delay_alu instid0(VALU_DEP_2) | instskip(NEXT) | instid1(VALU_DEP_2)
	v_lshrrev_b16 v180, 8, v180
	v_add3_u32 v168, v179, v168, v176
	v_lshrrev_b32_e32 v176, 28, v25
	v_lshrrev_b32_e32 v179, 28, v26
	s_delay_alu instid0(VALU_DEP_4) | instskip(SKIP_1) | instid1(VALU_DEP_4)
	v_and_b32_e32 v180, 0xffff, v180
	v_lshrrev_b32_e32 v25, 4, v25
	v_mul_i32_i24_e32 v176, v176, v135
	s_delay_alu instid0(VALU_DEP_4) | instskip(NEXT) | instid1(VALU_DEP_4)
	v_mul_i32_i24_e32 v179, v179, v129
	v_mul_i32_i24_e32 v180, v180, v165
	s_delay_alu instid0(VALU_DEP_4) | instskip(NEXT) | instid1(VALU_DEP_3)
	v_lshrrev_b16 v25, 8, v25
	v_add3_u32 v176, v181, v176, v179
	v_and_b32_e32 v179, 0xf0f0f0f, v31
	v_lshrrev_b32_e32 v31, 4, v31
	s_delay_alu instid0(VALU_DEP_4) | instskip(NEXT) | instid1(VALU_DEP_3)
	v_and_b32_e32 v25, 15, v25
	v_lshrrev_b16 v179, 8, v179
	s_delay_alu instid0(VALU_DEP_3) | instskip(NEXT) | instid1(VALU_DEP_3)
	v_lshrrev_b16 v31, 8, v31
	v_and_b32_e32 v25, 0xffff, v25
	s_delay_alu instid0(VALU_DEP_3) | instskip(NEXT) | instid1(VALU_DEP_3)
	v_and_b32_e32 v179, 0xffff, v179
	v_and_b32_e32 v31, 15, v31
	s_delay_alu instid0(VALU_DEP_3) | instskip(NEXT) | instid1(VALU_DEP_3)
	v_mul_i32_i24_e32 v25, v25, v158
	v_mul_i32_i24_e32 v171, v179, v171
	v_and_b32_e32 v179, 0xf0f0f0f, v32
	v_lshrrev_b32_e32 v32, 4, v32
	v_and_b32_e32 v31, 0xffff, v31
	s_delay_alu instid0(VALU_DEP_3) | instskip(NEXT) | instid1(VALU_DEP_3)
	v_lshrrev_b16 v179, 8, v179
	v_lshrrev_b16 v32, 8, v32
	s_delay_alu instid0(VALU_DEP_3) | instskip(NEXT) | instid1(VALU_DEP_3)
	v_mul_i32_i24_e32 v31, v31, v173
	v_and_b32_e32 v179, 0xffff, v179
	s_delay_alu instid0(VALU_DEP_3) | instskip(NEXT) | instid1(VALU_DEP_2)
	v_and_b32_e32 v32, 15, v32
	v_mul_i32_i24_e32 v179, v179, v164
	s_delay_alu instid0(VALU_DEP_2) | instskip(NEXT) | instid1(VALU_DEP_2)
	v_and_b32_e32 v32, 0xffff, v32
	v_add3_u32 v171, v171, v179, v180
	v_and_b32_e32 v179, 15, v28
	v_bfe_u32 v180, v28, 8, 4
	s_delay_alu instid0(VALU_DEP_4) | instskip(NEXT) | instid1(VALU_DEP_3)
	v_mul_i32_i24_e32 v32, v32, v160
	v_mul_i32_i24_e32 v179, v163, v179
	s_delay_alu instid0(VALU_DEP_3) | instskip(NEXT) | instid1(VALU_DEP_3)
	v_mul_i32_i24_e32 v180, v164, v180
	v_add3_u32 v25, v31, v32, v25
	v_bfe_u32 v31, v28, 16, 4
	v_bfe_u32 v32, v28, 24, 4
	s_delay_alu instid0(VALU_DEP_4) | instskip(SKIP_4) | instid1(VALU_DEP_4)
	v_add3_u32 v169, v169, v180, v179
	v_and_b32_e32 v179, 15, v30
	v_bfe_u32 v180, v30, 8, 4
	v_mul_i32_i24_e32 v31, v150, v31
	v_mul_i32_i24_e32 v32, v149, v32
	;; [unrolled: 1-line block ×3, first 2 shown]
	s_delay_alu instid0(VALU_DEP_4) | instskip(NEXT) | instid1(VALU_DEP_1)
	v_mul_i32_i24_e32 v180, v164, v180
	v_add3_u32 v174, v174, v180, v179
	v_and_b32_e32 v179, 15, v177
	s_delay_alu instid0(VALU_DEP_1) | instskip(SKIP_1) | instid1(VALU_DEP_1)
	v_mul_i32_i24_e32 v163, v163, v179
	v_bfe_u32 v179, v177, 8, 4
	v_mul_i32_i24_e32 v164, v164, v179
	s_delay_alu instid0(VALU_DEP_1) | instskip(SKIP_2) | instid1(VALU_DEP_2)
	v_add3_u32 v163, v170, v164, v163
	v_bfe_u32 v164, v23, 24, 4
	v_bfe_u32 v170, v24, 24, 4
	v_mul_i32_i24_e32 v164, v164, v121
	s_delay_alu instid0(VALU_DEP_2) | instskip(NEXT) | instid1(VALU_DEP_1)
	v_mul_i32_i24_e32 v170, v170, v114
	v_add3_u32 v164, v178, v164, v170
	v_and_b32_e32 v170, 15, v23
	v_and_b32_e32 v178, 15, v24
	s_delay_alu instid0(VALU_DEP_2) | instskip(NEXT) | instid1(VALU_DEP_2)
	v_mul_i32_i24_e32 v170, v170, v125
	v_mul_i32_i24_e32 v178, v178, v118
	s_delay_alu instid0(VALU_DEP_1) | instskip(SKIP_2) | instid1(VALU_DEP_2)
	v_add3_u32 v170, v175, v170, v178
	v_bfe_u32 v175, v23, 16, 4
	v_bfe_u32 v178, v24, 16, 4
	v_mul_i32_i24_e32 v175, v175, v122
	s_delay_alu instid0(VALU_DEP_2) | instskip(NEXT) | instid1(VALU_DEP_1)
	v_mul_i32_i24_e32 v178, v178, v115
	v_add3_u32 v172, v172, v175, v178
	v_bfe_u32 v175, v28, 4, 4
	v_bfe_u32 v178, v28, 12, 4
	s_delay_alu instid0(VALU_DEP_2) | instskip(NEXT) | instid1(VALU_DEP_2)
	v_mul_i32_i24_e32 v175, v159, v175
	v_mul_i32_i24_e32 v178, v160, v178
	s_delay_alu instid0(VALU_DEP_1) | instskip(SKIP_2) | instid1(VALU_DEP_2)
	v_add3_u32 v27, v27, v175, v178
	v_bfe_u32 v175, v30, 4, 4
	v_bfe_u32 v178, v30, 12, 4
	v_mul_i32_i24_e32 v175, v159, v175
	s_delay_alu instid0(VALU_DEP_2) | instskip(NEXT) | instid1(VALU_DEP_1)
	v_mul_i32_i24_e32 v178, v160, v178
	v_add3_u32 v29, v29, v175, v178
	v_bfe_u32 v175, v177, 4, 4
	s_delay_alu instid0(VALU_DEP_1) | instskip(SKIP_1) | instid1(VALU_DEP_1)
	v_mul_i32_i24_e32 v159, v159, v175
	v_bfe_u32 v175, v177, 12, 4
	v_mul_i32_i24_e32 v175, v160, v175
	v_add3_u32 v160, v169, v31, v32
	v_bfe_u32 v31, v30, 16, 4
	v_bfe_u32 v32, v30, 24, 4
	s_delay_alu instid0(VALU_DEP_4) | instskip(SKIP_1) | instid1(VALU_DEP_4)
	v_add3_u32 v159, v166, v159, v175
	v_lshrrev_b32_e32 v166, 28, v23
	v_mul_i32_i24_e32 v31, v150, v31
	s_delay_alu instid0(VALU_DEP_4) | instskip(SKIP_1) | instid1(VALU_DEP_4)
	v_mul_i32_i24_e32 v32, v149, v32
	v_lshrrev_b32_e32 v175, 28, v24
	v_mul_i32_i24_e32 v166, v166, v123
	s_delay_alu instid0(VALU_DEP_3) | instskip(SKIP_4) | instid1(VALU_DEP_4)
	v_add3_u32 v169, v174, v31, v32
	v_bfe_u32 v31, v177, 16, 4
	v_bfe_u32 v32, v177, 24, 4
	v_mul_i32_i24_e32 v175, v175, v116
	v_bfe_i32 v174, v147, 0, 8
	v_mul_i32_i24_e32 v31, v150, v31
	s_delay_alu instid0(VALU_DEP_4) | instskip(NEXT) | instid1(VALU_DEP_4)
	v_mul_i32_i24_e32 v32, v149, v32
	v_add3_u32 v166, v176, v166, v175
	v_bfe_u32 v175, v23, 4, 4
	v_bfe_u32 v176, v24, 4, 4
	s_delay_alu instid0(VALU_DEP_4) | instskip(SKIP_3) | instid1(VALU_DEP_1)
	v_add3_u32 v163, v163, v31, v32
	ds_load_2addr_b32 v[31:32], v161 offset0:6 offset1:7
	v_mul_i32_i24_e32 v175, v175, v126
	v_mul_i32_i24_e32 v176, v176, v120
	v_add3_u32 v168, v168, v175, v176
	v_bfe_u32 v175, v23, 20, 4
	v_bfe_u32 v176, v24, 20, 4
	s_delay_alu instid0(VALU_DEP_2) | instskip(NEXT) | instid1(VALU_DEP_2)
	v_mul_i32_i24_e32 v175, v175, v124
	v_mul_i32_i24_e32 v176, v176, v117
	s_delay_alu instid0(VALU_DEP_1)
	v_add3_u32 v167, v167, v175, v176
	s_wait_dscnt 0x0
	v_bfe_u32 v149, v31, 16, 4
	v_bfe_u32 v150, v32, 16, 4
	v_and_b32_e32 v175, 0xf0f0f0f, v26
	v_and_b32_e32 v176, 0xf0f0f0f, v23
	v_lshrrev_b32_e32 v26, 4, v26
	v_mul_i32_i24_e32 v149, v149, v108
	v_mul_i32_i24_e32 v150, v150, v99
	v_lshrrev_b32_e32 v23, 4, v23
	v_lshrrev_b16 v175, 8, v175
	v_lshrrev_b16 v176, 8, v176
	v_lshrrev_b16 v26, 8, v26
	v_add3_u32 v161, v172, v149, v150
	v_and_b32_e32 v149, 15, v31
	v_and_b32_e32 v150, 15, v32
	v_lshrrev_b16 v23, 8, v23
	v_and_b32_e32 v175, 0xffff, v175
	v_and_b32_e32 v176, 0xffff, v176
	v_mul_i32_i24_e32 v149, v149, v112
	v_mul_i32_i24_e32 v150, v150, v104
	v_and_b32_e32 v26, 15, v26
	v_and_b32_e32 v23, 15, v23
	v_mul_i32_i24_e32 v175, v175, v155
	v_mul_i32_i24_e32 v176, v176, v157
	v_add3_u32 v170, v170, v149, v150
	v_bfe_u32 v149, v31, 24, 4
	v_bfe_u32 v150, v32, 24, 4
	v_and_b32_e32 v26, 0xffff, v26
	v_and_b32_e32 v23, 0xffff, v23
	v_add3_u32 v171, v171, v175, v176
	v_mul_i32_i24_e32 v149, v149, v107
	v_mul_i32_i24_e32 v150, v150, v98
	;; [unrolled: 1-line block ×4, first 2 shown]
	s_delay_alu instid0(VALU_DEP_3) | instskip(SKIP_2) | instid1(VALU_DEP_4)
	v_add3_u32 v164, v164, v149, v150
	v_bfe_u32 v149, v28, 20, 4
	v_lshrrev_b32_e32 v28, 28, v28
	v_add3_u32 v23, v25, v26, v23
	s_delay_alu instid0(VALU_DEP_3) | instskip(NEXT) | instid1(VALU_DEP_3)
	v_mul_i32_i24_e32 v149, v152, v149
	v_mul_i32_i24_e32 v28, v151, v28
	s_delay_alu instid0(VALU_DEP_1) | instskip(SKIP_2) | instid1(VALU_DEP_2)
	v_add3_u32 v172, v27, v149, v28
	v_bfe_u32 v27, v30, 20, 4
	v_lshrrev_b32_e32 v28, 28, v30
	v_mul_i32_i24_e32 v27, v152, v27
	s_delay_alu instid0(VALU_DEP_2) | instskip(NEXT) | instid1(VALU_DEP_1)
	v_mul_i32_i24_e32 v28, v151, v28
	v_add3_u32 v173, v29, v27, v28
	v_bfe_u32 v27, v177, 20, 4
	v_lshrrev_b32_e32 v28, 28, v177
	s_delay_alu instid0(VALU_DEP_2) | instskip(NEXT) | instid1(VALU_DEP_2)
	v_mul_i32_i24_e32 v27, v152, v27
	v_mul_i32_i24_e32 v28, v151, v28
	s_delay_alu instid0(VALU_DEP_1) | instskip(SKIP_2) | instid1(VALU_DEP_2)
	v_add3_u32 v151, v159, v27, v28
	v_bfe_u32 v27, v31, 20, 4
	v_bfe_u32 v28, v32, 20, 4
	v_mul_i32_i24_e32 v27, v27, v111
	s_delay_alu instid0(VALU_DEP_2) | instskip(NEXT) | instid1(VALU_DEP_1)
	v_mul_i32_i24_e32 v28, v28, v103
	v_add3_u32 v152, v167, v27, v28
	v_bfe_u32 v27, v31, 4, 4
	v_bfe_u32 v28, v32, 4, 4
	v_bfe_i32 v167, v143, 0, 8
	s_delay_alu instid0(VALU_DEP_3) | instskip(NEXT) | instid1(VALU_DEP_3)
	v_mul_i32_i24_e32 v27, v27, v113
	v_mul_i32_i24_e32 v28, v28, v106
	s_delay_alu instid0(VALU_DEP_1) | instskip(SKIP_3) | instid1(VALU_DEP_3)
	v_add3_u32 v159, v168, v27, v28
	v_lshrrev_b32_e32 v27, 28, v31
	v_lshrrev_b32_e32 v28, 28, v32
	v_bfe_i32 v168, v144, 0, 8
	v_mul_i32_i24_e32 v27, v27, v110
	s_delay_alu instid0(VALU_DEP_3) | instskip(NEXT) | instid1(VALU_DEP_1)
	v_mul_i32_i24_e32 v28, v28, v101
	v_add3_u32 v166, v166, v27, v28
	v_and_b32_e32 v27, 0xf0f0f0f, v24
	v_and_b32_e32 v28, 0xf0f0f0f, v31
	v_lshrrev_b32_e32 v24, 4, v24
	v_lshrrev_b32_e32 v31, 4, v31
	s_delay_alu instid0(VALU_DEP_4) | instskip(NEXT) | instid1(VALU_DEP_4)
	v_lshrrev_b16 v27, 8, v27
	v_lshrrev_b16 v28, 8, v28
	s_delay_alu instid0(VALU_DEP_4) | instskip(NEXT) | instid1(VALU_DEP_4)
	v_lshrrev_b16 v24, 8, v24
	v_lshrrev_b16 v31, 8, v31
	s_delay_alu instid0(VALU_DEP_4) | instskip(NEXT) | instid1(VALU_DEP_4)
	v_and_b32_e32 v27, 0xffff, v27
	v_and_b32_e32 v28, 0xffff, v28
	s_delay_alu instid0(VALU_DEP_4) | instskip(NEXT) | instid1(VALU_DEP_4)
	v_and_b32_e32 v24, 15, v24
	v_and_b32_e32 v31, 15, v31
	s_delay_alu instid0(VALU_DEP_4) | instskip(NEXT) | instid1(VALU_DEP_4)
	v_mul_i32_i24_e32 v27, v27, v167
	v_mul_i32_i24_e32 v28, v28, v168
	s_delay_alu instid0(VALU_DEP_4) | instskip(NEXT) | instid1(VALU_DEP_4)
	v_and_b32_e32 v24, 0xffff, v24
	v_and_b32_e32 v31, 0xffff, v31
	s_delay_alu instid0(VALU_DEP_3)
	v_add3_u32 v171, v171, v27, v28
	ds_load_u16 v153, v153
	ds_load_2addr_b32 v[25:26], v148 offset0:2 offset1:3
	ds_load_2addr_b32 v[27:28], v148 offset0:4 offset1:5
	;; [unrolled: 1-line block ×3, first 2 shown]
	v_mul_i32_i24_e32 v24, v24, v140
	v_mul_i32_i24_e32 v31, v31, v141
	s_delay_alu instid0(VALU_DEP_1)
	v_add3_u32 v23, v23, v24, v31
	s_wait_dscnt 0x2
	v_and_b32_e32 v143, 15, v25
	v_bfe_u32 v144, v25, 8, 4
	v_bfe_u32 v24, v25, 16, 4
	;; [unrolled: 1-line block ×3, first 2 shown]
	s_delay_alu instid0(VALU_DEP_4) | instskip(NEXT) | instid1(VALU_DEP_4)
	v_mul_i32_i24_e32 v143, v139, v143
	v_mul_i32_i24_e32 v144, v165, v144
	s_delay_alu instid0(VALU_DEP_4) | instskip(NEXT) | instid1(VALU_DEP_4)
	v_mul_i32_i24_e32 v24, v134, v24
	v_mul_i32_i24_e32 v31, v133, v31
	s_delay_alu instid0(VALU_DEP_3) | instskip(SKIP_2) | instid1(VALU_DEP_3)
	v_add3_u32 v160, v160, v144, v143
	v_and_b32_e32 v143, 15, v2
	v_bfe_u32 v144, v2, 8, 4
	v_add3_u32 v24, v160, v24, v31
	s_delay_alu instid0(VALU_DEP_3) | instskip(NEXT) | instid1(VALU_DEP_3)
	v_mul_i32_i24_e32 v143, v139, v143
	v_mul_i32_i24_e32 v144, v165, v144
	v_bfe_u32 v31, v2, 16, 4
	s_delay_alu instid0(VALU_DEP_2)
	v_add3_u32 v169, v169, v144, v143
	ds_load_u16 v154, v154
	ds_load_2addr_b32 v[143:144], v156 offset0:2 offset1:3
	ds_load_2addr_b32 v[147:148], v156 offset0:4 offset1:5
	;; [unrolled: 1-line block ×3, first 2 shown]
	v_mul_i32_i24_e32 v31, v134, v31
	s_wait_dscnt 0x2
	v_and_b32_e32 v156, 15, v143
	s_delay_alu instid0(VALU_DEP_1) | instskip(SKIP_1) | instid1(VALU_DEP_1)
	v_mul_i32_i24_e32 v139, v139, v156
	v_bfe_u32 v156, v143, 8, 4
	v_mul_i32_i24_e32 v156, v165, v156
	v_bfe_u32 v165, v2, 12, 4
	s_delay_alu instid0(VALU_DEP_2) | instskip(SKIP_2) | instid1(VALU_DEP_4)
	v_add3_u32 v139, v163, v156, v139
	v_bfe_u32 v156, v25, 4, 4
	v_bfe_u32 v163, v25, 12, 4
	v_mul_i32_i24_e32 v165, v158, v165
	s_delay_alu instid0(VALU_DEP_3) | instskip(NEXT) | instid1(VALU_DEP_3)
	v_mul_i32_i24_e32 v156, v142, v156
	v_mul_i32_i24_e32 v163, v158, v163
	s_delay_alu instid0(VALU_DEP_1) | instskip(SKIP_1) | instid1(VALU_DEP_1)
	v_add3_u32 v156, v172, v156, v163
	v_bfe_u32 v163, v2, 4, 4
	v_mul_i32_i24_e32 v163, v142, v163
	s_delay_alu instid0(VALU_DEP_1) | instskip(SKIP_1) | instid1(VALU_DEP_1)
	v_add3_u32 v163, v173, v163, v165
	v_bfe_u32 v165, v143, 4, 4
	v_mul_i32_i24_e32 v142, v142, v165
	v_bfe_u32 v165, v143, 12, 4
	s_delay_alu instid0(VALU_DEP_1) | instskip(NEXT) | instid1(VALU_DEP_1)
	v_mul_i32_i24_e32 v158, v158, v165
	v_add3_u32 v142, v151, v142, v158
	v_bfe_u32 v158, v2, 24, 4
	v_and_b32_e32 v151, 0xf0f0f0f, v32
	v_lshrrev_b32_e32 v32, 4, v32
	s_delay_alu instid0(VALU_DEP_3) | instskip(NEXT) | instid1(VALU_DEP_3)
	v_mul_i32_i24_e32 v158, v133, v158
	v_lshrrev_b16 v151, 8, v151
	s_delay_alu instid0(VALU_DEP_3) | instskip(NEXT) | instid1(VALU_DEP_3)
	v_lshrrev_b16 v32, 8, v32
	v_add3_u32 v31, v169, v31, v158
	v_bfe_u32 v158, v143, 16, 4
	s_delay_alu instid0(VALU_DEP_3) | instskip(SKIP_1) | instid1(VALU_DEP_3)
	v_and_b32_e32 v32, 15, v32
	v_and_b32_e32 v151, 0xffff, v151
	v_mul_i32_i24_e32 v134, v134, v158
	v_bfe_u32 v158, v143, 24, 4
	s_delay_alu instid0(VALU_DEP_4) | instskip(NEXT) | instid1(VALU_DEP_4)
	v_and_b32_e32 v32, 0xffff, v32
	v_mul_i32_i24_e32 v151, v151, v138
	s_delay_alu instid0(VALU_DEP_3) | instskip(NEXT) | instid1(VALU_DEP_2)
	v_mul_i32_i24_e32 v133, v133, v158
	v_add3_u32 v151, v171, v151, v164
	s_delay_alu instid0(VALU_DEP_2) | instskip(SKIP_2) | instid1(VALU_DEP_2)
	v_add3_u32 v133, v139, v134, v133
	v_bfe_u32 v134, v25, 20, 4
	v_lshrrev_b32_e32 v25, 28, v25
	v_mul_i32_i24_e32 v134, v136, v134
	s_delay_alu instid0(VALU_DEP_2) | instskip(NEXT) | instid1(VALU_DEP_1)
	v_mul_i32_i24_e32 v25, v135, v25
	v_add3_u32 v25, v156, v134, v25
	v_bfe_u32 v134, v2, 20, 4
	v_lshrrev_b32_e32 v2, 28, v2
	s_delay_alu instid0(VALU_DEP_2) | instskip(NEXT) | instid1(VALU_DEP_2)
	v_mul_i32_i24_e32 v134, v136, v134
	v_mul_i32_i24_e32 v2, v135, v2
	s_delay_alu instid0(VALU_DEP_1) | instskip(SKIP_1) | instid1(VALU_DEP_1)
	v_add3_u32 v2, v163, v134, v2
	v_bfe_u32 v134, v143, 20, 4
	v_mul_i32_i24_e32 v134, v136, v134
	v_lshrrev_b32_e32 v136, 28, v143
	s_delay_alu instid0(VALU_DEP_1) | instskip(SKIP_2) | instid1(VALU_DEP_3)
	v_mul_i32_i24_e32 v135, v135, v136
	v_bfe_i32 v136, v137, 0, 8
	v_bfe_u32 v137, v26, 8, 4
	v_add3_u32 v134, v142, v134, v135
	s_delay_alu instid0(VALU_DEP_3) | instskip(NEXT) | instid1(VALU_DEP_3)
	v_mul_i32_i24_e32 v32, v32, v136
	v_mul_i32_i24_e32 v137, v155, v137
	v_add3_u32 v135, v170, v161, v151
	s_delay_alu instid0(VALU_DEP_3) | instskip(SKIP_1) | instid1(VALU_DEP_2)
	v_add3_u32 v23, v23, v32, v166
	v_and_b32_e32 v32, 15, v26
	v_add3_u32 v23, v159, v152, v23
	s_delay_alu instid0(VALU_DEP_2) | instskip(NEXT) | instid1(VALU_DEP_1)
	v_mul_i32_i24_e32 v32, v131, v32
	v_add3_u32 v24, v24, v137, v32
	v_and_b32_e32 v32, 15, v3
	v_bfe_u32 v137, v3, 8, 4
	s_delay_alu instid0(VALU_DEP_2) | instskip(NEXT) | instid1(VALU_DEP_2)
	v_mul_i32_i24_e32 v32, v131, v32
	v_mul_i32_i24_e32 v137, v155, v137
	s_delay_alu instid0(VALU_DEP_1) | instskip(SKIP_1) | instid1(VALU_DEP_1)
	v_add3_u32 v31, v31, v137, v32
	v_and_b32_e32 v32, 15, v144
	v_mul_i32_i24_e32 v32, v131, v32
	v_bfe_u32 v131, v144, 8, 4
	s_delay_alu instid0(VALU_DEP_1) | instskip(NEXT) | instid1(VALU_DEP_1)
	v_mul_i32_i24_e32 v131, v155, v131
	v_add3_u32 v32, v133, v131, v32
	v_bfe_u32 v131, v26, 4, 4
	v_bfe_u32 v133, v26, 12, 4
	s_delay_alu instid0(VALU_DEP_2) | instskip(NEXT) | instid1(VALU_DEP_2)
	v_mul_i32_i24_e32 v131, v132, v131
	v_mul_i32_i24_e32 v133, v145, v133
	s_delay_alu instid0(VALU_DEP_1) | instskip(SKIP_2) | instid1(VALU_DEP_2)
	v_add3_u32 v25, v25, v131, v133
	v_bfe_u32 v131, v3, 4, 4
	v_bfe_u32 v133, v3, 12, 4
	v_mul_i32_i24_e32 v131, v132, v131
	s_delay_alu instid0(VALU_DEP_2) | instskip(NEXT) | instid1(VALU_DEP_1)
	v_mul_i32_i24_e32 v133, v145, v133
	v_add3_u32 v2, v2, v131, v133
	v_bfe_u32 v131, v144, 4, 4
	v_bfe_u32 v133, v26, 24, 4
	s_delay_alu instid0(VALU_DEP_2) | instskip(SKIP_1) | instid1(VALU_DEP_3)
	v_mul_i32_i24_e32 v131, v132, v131
	v_bfe_u32 v132, v144, 12, 4
	v_mul_i32_i24_e32 v133, v127, v133
	s_delay_alu instid0(VALU_DEP_2) | instskip(NEXT) | instid1(VALU_DEP_1)
	v_mul_i32_i24_e32 v132, v145, v132
	v_add3_u32 v131, v134, v131, v132
	v_bfe_u32 v132, v26, 16, 4
	s_delay_alu instid0(VALU_DEP_1) | instskip(NEXT) | instid1(VALU_DEP_1)
	v_mul_i32_i24_e32 v132, v128, v132
	v_add3_u32 v24, v24, v132, v133
	v_bfe_u32 v132, v3, 16, 4
	v_bfe_u32 v133, v3, 24, 4
	s_delay_alu instid0(VALU_DEP_2) | instskip(NEXT) | instid1(VALU_DEP_2)
	v_mul_i32_i24_e32 v132, v128, v132
	v_mul_i32_i24_e32 v133, v127, v133
	s_delay_alu instid0(VALU_DEP_1) | instskip(SKIP_1) | instid1(VALU_DEP_1)
	v_add3_u32 v31, v31, v132, v133
	v_bfe_u32 v132, v144, 16, 4
	v_mul_i32_i24_e32 v128, v128, v132
	v_bfe_u32 v132, v144, 24, 4
	s_delay_alu instid0(VALU_DEP_1) | instskip(NEXT) | instid1(VALU_DEP_1)
	v_mul_i32_i24_e32 v127, v127, v132
	v_add3_u32 v32, v32, v128, v127
	v_bfe_u32 v127, v26, 20, 4
	v_lshrrev_b32_e32 v26, 28, v26
	s_delay_alu instid0(VALU_DEP_2) | instskip(NEXT) | instid1(VALU_DEP_2)
	v_mul_i32_i24_e32 v127, v130, v127
	v_mul_i32_i24_e32 v26, v129, v26
	s_delay_alu instid0(VALU_DEP_1) | instskip(SKIP_3) | instid1(VALU_DEP_3)
	v_add3_u32 v25, v25, v127, v26
	v_bfe_u32 v26, v3, 20, 4
	v_lshrrev_b32_e32 v3, 28, v3
	v_bfe_u32 v127, v27, 8, 4
	v_mul_i32_i24_e32 v26, v130, v26
	s_delay_alu instid0(VALU_DEP_3) | instskip(NEXT) | instid1(VALU_DEP_3)
	v_mul_i32_i24_e32 v3, v129, v3
	v_mul_i32_i24_e32 v127, v157, v127
	s_delay_alu instid0(VALU_DEP_2) | instskip(SKIP_2) | instid1(VALU_DEP_2)
	v_add3_u32 v2, v2, v26, v3
	v_bfe_u32 v3, v144, 20, 4
	v_lshrrev_b32_e32 v26, 28, v144
	v_mul_i32_i24_e32 v3, v130, v3
	s_delay_alu instid0(VALU_DEP_2) | instskip(NEXT) | instid1(VALU_DEP_1)
	v_mul_i32_i24_e32 v26, v129, v26
	v_add3_u32 v3, v131, v3, v26
	v_and_b32_e32 v26, 15, v27
	s_delay_alu instid0(VALU_DEP_1) | instskip(NEXT) | instid1(VALU_DEP_1)
	v_mul_i32_i24_e32 v26, v125, v26
	v_add3_u32 v24, v24, v127, v26
	v_and_b32_e32 v26, 15, v0
	v_bfe_u32 v127, v0, 8, 4
	s_delay_alu instid0(VALU_DEP_2) | instskip(NEXT) | instid1(VALU_DEP_2)
	v_mul_i32_i24_e32 v26, v125, v26
	v_mul_i32_i24_e32 v127, v157, v127
	s_delay_alu instid0(VALU_DEP_1) | instskip(SKIP_2) | instid1(VALU_DEP_1)
	v_add3_u32 v26, v31, v127, v26
	s_wait_dscnt 0x1
	v_and_b32_e32 v31, 15, v147
	v_mul_i32_i24_e32 v31, v125, v31
	v_bfe_u32 v125, v147, 8, 4
	s_delay_alu instid0(VALU_DEP_1) | instskip(NEXT) | instid1(VALU_DEP_1)
	v_mul_i32_i24_e32 v125, v157, v125
	v_add3_u32 v31, v32, v125, v31
	v_bfe_u32 v32, v27, 4, 4
	v_bfe_u32 v125, v27, 12, 4
	s_delay_alu instid0(VALU_DEP_2) | instskip(NEXT) | instid1(VALU_DEP_2)
	v_mul_i32_i24_e32 v32, v126, v32
	v_mul_i32_i24_e32 v125, v174, v125
	s_delay_alu instid0(VALU_DEP_1) | instskip(SKIP_2) | instid1(VALU_DEP_2)
	v_add3_u32 v25, v25, v32, v125
	v_bfe_u32 v32, v0, 4, 4
	v_bfe_u32 v125, v0, 12, 4
	v_mul_i32_i24_e32 v32, v126, v32
	s_delay_alu instid0(VALU_DEP_2) | instskip(NEXT) | instid1(VALU_DEP_1)
	v_mul_i32_i24_e32 v125, v174, v125
	v_add3_u32 v2, v2, v32, v125
	v_bfe_u32 v32, v147, 4, 4
	v_bfe_u32 v125, v147, 12, 4
	s_delay_alu instid0(VALU_DEP_2) | instskip(NEXT) | instid1(VALU_DEP_2)
	v_mul_i32_i24_e32 v32, v126, v32
	v_mul_i32_i24_e32 v125, v174, v125
	s_delay_alu instid0(VALU_DEP_1) | instskip(SKIP_2) | instid1(VALU_DEP_2)
	v_add3_u32 v3, v3, v32, v125
	v_bfe_u32 v32, v27, 16, 4
	v_bfe_u32 v125, v27, 24, 4
	v_mul_i32_i24_e32 v32, v122, v32
	s_delay_alu instid0(VALU_DEP_2) | instskip(NEXT) | instid1(VALU_DEP_1)
	v_mul_i32_i24_e32 v125, v121, v125
	v_add3_u32 v24, v24, v32, v125
	v_bfe_u32 v32, v0, 16, 4
	v_bfe_u32 v125, v0, 24, 4
	s_delay_alu instid0(VALU_DEP_2) | instskip(NEXT) | instid1(VALU_DEP_2)
	v_mul_i32_i24_e32 v32, v122, v32
	v_mul_i32_i24_e32 v125, v121, v125
	s_delay_alu instid0(VALU_DEP_1) | instskip(SKIP_1) | instid1(VALU_DEP_1)
	v_add3_u32 v26, v26, v32, v125
	v_bfe_u32 v32, v147, 16, 4
	v_mul_i32_i24_e32 v32, v122, v32
	v_bfe_u32 v122, v147, 24, 4
	s_delay_alu instid0(VALU_DEP_1) | instskip(NEXT) | instid1(VALU_DEP_1)
	v_mul_i32_i24_e32 v121, v121, v122
	v_add3_u32 v31, v31, v32, v121
	v_bfe_u32 v32, v27, 20, 4
	v_lshrrev_b32_e32 v27, 28, v27
	s_delay_alu instid0(VALU_DEP_2) | instskip(NEXT) | instid1(VALU_DEP_2)
	v_mul_i32_i24_e32 v32, v124, v32
	v_mul_i32_i24_e32 v27, v123, v27
	s_delay_alu instid0(VALU_DEP_1) | instskip(SKIP_2) | instid1(VALU_DEP_2)
	v_add3_u32 v25, v25, v32, v27
	v_bfe_u32 v27, v0, 20, 4
	v_lshrrev_b32_e32 v0, 28, v0
	v_mul_i32_i24_e32 v27, v124, v27
	s_delay_alu instid0(VALU_DEP_2) | instskip(NEXT) | instid1(VALU_DEP_1)
	v_mul_i32_i24_e32 v0, v123, v0
	v_add3_u32 v0, v2, v27, v0
	v_bfe_u32 v2, v147, 20, 4
	v_lshrrev_b32_e32 v27, 28, v147
	s_delay_alu instid0(VALU_DEP_2) | instskip(NEXT) | instid1(VALU_DEP_2)
	v_mul_i32_i24_e32 v2, v124, v2
	v_mul_i32_i24_e32 v27, v123, v27
	s_delay_alu instid0(VALU_DEP_1) | instskip(SKIP_2) | instid1(VALU_DEP_2)
	v_add3_u32 v2, v3, v2, v27
	v_and_b32_e32 v3, 15, v28
	v_bfe_u32 v27, v28, 8, 4
	v_mul_i32_i24_e32 v3, v118, v3
	s_delay_alu instid0(VALU_DEP_2) | instskip(NEXT) | instid1(VALU_DEP_1)
	v_mul_i32_i24_e32 v27, v167, v27
	v_add3_u32 v3, v24, v27, v3
	v_and_b32_e32 v24, 15, v1
	v_bfe_u32 v27, v1, 8, 4
	s_delay_alu instid0(VALU_DEP_2) | instskip(NEXT) | instid1(VALU_DEP_2)
	v_mul_i32_i24_e32 v24, v118, v24
	v_mul_i32_i24_e32 v27, v167, v27
	s_delay_alu instid0(VALU_DEP_1) | instskip(SKIP_2) | instid1(VALU_DEP_2)
	v_add3_u32 v24, v26, v27, v24
	v_and_b32_e32 v26, 15, v148
	v_bfe_u32 v27, v148, 8, 4
	v_mul_i32_i24_e32 v26, v118, v26
	s_delay_alu instid0(VALU_DEP_2) | instskip(NEXT) | instid1(VALU_DEP_1)
	v_mul_i32_i24_e32 v27, v167, v27
	v_add3_u32 v26, v31, v27, v26
	v_bfe_u32 v27, v28, 4, 4
	v_bfe_u32 v31, v28, 12, 4
	s_delay_alu instid0(VALU_DEP_2) | instskip(NEXT) | instid1(VALU_DEP_2)
	v_mul_i32_i24_e32 v27, v120, v27
	v_mul_i32_i24_e32 v31, v140, v31
	s_delay_alu instid0(VALU_DEP_1) | instskip(SKIP_2) | instid1(VALU_DEP_2)
	v_add3_u32 v25, v25, v27, v31
	v_bfe_u32 v27, v1, 4, 4
	v_bfe_u32 v31, v1, 12, 4
	v_mul_i32_i24_e32 v27, v120, v27
	s_delay_alu instid0(VALU_DEP_2) | instskip(NEXT) | instid1(VALU_DEP_1)
	v_mul_i32_i24_e32 v31, v140, v31
	v_add3_u32 v0, v0, v27, v31
	v_bfe_u32 v27, v148, 4, 4
	v_bfe_u32 v31, v148, 12, 4
	s_delay_alu instid0(VALU_DEP_2) | instskip(NEXT) | instid1(VALU_DEP_2)
	v_mul_i32_i24_e32 v27, v120, v27
	v_mul_i32_i24_e32 v31, v140, v31
	s_delay_alu instid0(VALU_DEP_1) | instskip(SKIP_2) | instid1(VALU_DEP_2)
	v_add3_u32 v2, v2, v27, v31
	v_bfe_u32 v27, v28, 16, 4
	;; [unrolled: 13-line block ×3, first 2 shown]
	v_bfe_u32 v31, v148, 24, 4
	v_mul_i32_i24_e32 v27, v115, v27
	s_delay_alu instid0(VALU_DEP_2) | instskip(NEXT) | instid1(VALU_DEP_1)
	v_mul_i32_i24_e32 v31, v114, v31
	v_add3_u32 v26, v26, v27, v31
	v_bfe_u32 v27, v28, 20, 4
	v_lshrrev_b32_e32 v28, 28, v28
	s_delay_alu instid0(VALU_DEP_2) | instskip(NEXT) | instid1(VALU_DEP_2)
	v_mul_i32_i24_e32 v27, v117, v27
	v_mul_i32_i24_e32 v28, v116, v28
	s_delay_alu instid0(VALU_DEP_1) | instskip(SKIP_2) | instid1(VALU_DEP_2)
	v_add3_u32 v25, v25, v27, v28
	v_bfe_u32 v27, v1, 20, 4
	v_lshrrev_b32_e32 v1, 28, v1
	v_mul_i32_i24_e32 v27, v117, v27
	s_delay_alu instid0(VALU_DEP_2) | instskip(NEXT) | instid1(VALU_DEP_1)
	v_mul_i32_i24_e32 v1, v116, v1
	v_add3_u32 v27, v0, v27, v1
	v_bfe_u32 v0, v148, 20, 4
	v_lshrrev_b32_e32 v1, 28, v148
	s_delay_alu instid0(VALU_DEP_2) | instskip(NEXT) | instid1(VALU_DEP_2)
	v_mul_i32_i24_e32 v0, v117, v0
	v_mul_i32_i24_e32 v1, v116, v1
	s_delay_alu instid0(VALU_DEP_1) | instskip(SKIP_2) | instid1(VALU_DEP_2)
	v_add3_u32 v2, v2, v0, v1
	v_and_b32_e32 v0, 15, v29
	v_bfe_u32 v1, v29, 8, 4
	v_mul_i32_i24_e32 v0, v112, v0
	s_delay_alu instid0(VALU_DEP_2) | instskip(NEXT) | instid1(VALU_DEP_1)
	v_mul_i32_i24_e32 v1, v168, v1
	v_add3_u32 v3, v3, v1, v0
	ds_load_u16 v28, v146
	ds_load_2addr_b32 v[0:1], v119 offset0:6 offset1:7
	s_wait_dscnt 0x0
	v_and_b32_e32 v31, 15, v0
	v_bfe_u32 v32, v0, 8, 4
	s_delay_alu instid0(VALU_DEP_2) | instskip(NEXT) | instid1(VALU_DEP_2)
	v_mul_i32_i24_e32 v31, v112, v31
	v_mul_i32_i24_e32 v32, v168, v32
	s_delay_alu instid0(VALU_DEP_1) | instskip(SKIP_2) | instid1(VALU_DEP_2)
	v_add3_u32 v24, v24, v32, v31
	v_and_b32_e32 v31, 15, v149
	v_bfe_u32 v32, v149, 8, 4
	v_mul_i32_i24_e32 v31, v112, v31
	s_delay_alu instid0(VALU_DEP_2) | instskip(NEXT) | instid1(VALU_DEP_1)
	v_mul_i32_i24_e32 v32, v168, v32
	v_add3_u32 v26, v26, v32, v31
	v_bfe_u32 v31, v29, 4, 4
	v_bfe_u32 v32, v29, 12, 4
	s_delay_alu instid0(VALU_DEP_2) | instskip(NEXT) | instid1(VALU_DEP_2)
	v_mul_i32_i24_e32 v31, v113, v31
	v_mul_i32_i24_e32 v32, v141, v32
	s_delay_alu instid0(VALU_DEP_1) | instskip(SKIP_2) | instid1(VALU_DEP_2)
	v_add3_u32 v25, v25, v31, v32
	v_bfe_u32 v31, v0, 4, 4
	v_bfe_u32 v32, v0, 12, 4
	v_mul_i32_i24_e32 v31, v113, v31
	s_delay_alu instid0(VALU_DEP_2) | instskip(NEXT) | instid1(VALU_DEP_1)
	v_mul_i32_i24_e32 v32, v141, v32
	v_add3_u32 v27, v27, v31, v32
	v_bfe_u32 v31, v149, 4, 4
	v_bfe_u32 v32, v149, 12, 4
	s_delay_alu instid0(VALU_DEP_2) | instskip(NEXT) | instid1(VALU_DEP_2)
	v_mul_i32_i24_e32 v31, v113, v31
	v_mul_i32_i24_e32 v32, v141, v32
	s_delay_alu instid0(VALU_DEP_1) | instskip(SKIP_2) | instid1(VALU_DEP_2)
	v_add3_u32 v2, v2, v31, v32
	v_bfe_u32 v31, v29, 16, 4
	;; [unrolled: 13-line block ×3, first 2 shown]
	v_bfe_u32 v32, v149, 24, 4
	v_mul_i32_i24_e32 v31, v108, v31
	s_delay_alu instid0(VALU_DEP_2) | instskip(NEXT) | instid1(VALU_DEP_1)
	v_mul_i32_i24_e32 v32, v107, v32
	v_add3_u32 v26, v26, v31, v32
	v_bfe_u32 v31, v29, 20, 4
	v_lshrrev_b32_e32 v29, 28, v29
	v_cvt_f32_ubyte1_e32 v32, v109
	s_delay_alu instid0(VALU_DEP_3) | instskip(NEXT) | instid1(VALU_DEP_3)
	v_mul_i32_i24_e32 v31, v111, v31
	v_mul_i32_i24_e32 v29, v110, v29
	s_delay_alu instid0(VALU_DEP_1) | instskip(SKIP_3) | instid1(VALU_DEP_3)
	v_add3_u32 v25, v25, v31, v29
	v_bfe_u32 v29, v0, 20, 4
	v_lshrrev_b32_e32 v0, 28, v0
	v_cvt_f32_ubyte1_e32 v31, v162
	v_mul_i32_i24_e32 v29, v111, v29
	s_delay_alu instid0(VALU_DEP_3) | instskip(NEXT) | instid1(VALU_DEP_1)
	v_mul_i32_i24_e32 v0, v110, v0
	v_add3_u32 v0, v27, v29, v0
	v_bfe_u32 v27, v149, 20, 4
	v_lshrrev_b32_e32 v29, 28, v149
	s_delay_alu instid0(VALU_DEP_2) | instskip(NEXT) | instid1(VALU_DEP_2)
	v_mul_i32_i24_e32 v27, v111, v27
	v_mul_i32_i24_e32 v29, v110, v29
	s_delay_alu instid0(VALU_DEP_1) | instskip(SKIP_2) | instid1(VALU_DEP_2)
	v_add3_u32 v2, v2, v27, v29
	v_and_b32_e32 v27, 15, v30
	v_bfe_u32 v29, v30, 8, 4
	v_mul_i32_i24_e32 v27, v104, v27
	s_delay_alu instid0(VALU_DEP_2) | instskip(NEXT) | instid1(VALU_DEP_1)
	v_mul_i32_i24_e32 v29, v138, v29
	v_add3_u32 v3, v3, v29, v27
	v_and_b32_e32 v27, 15, v1
	v_bfe_u32 v29, v1, 8, 4
	s_delay_alu instid0(VALU_DEP_2) | instskip(NEXT) | instid1(VALU_DEP_2)
	v_mul_i32_i24_e32 v27, v104, v27
	v_mul_i32_i24_e32 v29, v138, v29
	s_delay_alu instid0(VALU_DEP_1) | instskip(SKIP_2) | instid1(VALU_DEP_2)
	v_add3_u32 v24, v24, v29, v27
	v_and_b32_e32 v27, 15, v150
	v_bfe_u32 v29, v150, 8, 4
	v_mul_i32_i24_e32 v27, v104, v27
	s_delay_alu instid0(VALU_DEP_2) | instskip(NEXT) | instid1(VALU_DEP_1)
	v_mul_i32_i24_e32 v29, v138, v29
	v_add3_u32 v26, v26, v29, v27
	v_bfe_u32 v27, v30, 4, 4
	v_bfe_u32 v29, v30, 12, 4
	s_delay_alu instid0(VALU_DEP_2) | instskip(NEXT) | instid1(VALU_DEP_2)
	v_mul_i32_i24_e32 v27, v106, v27
	v_mul_i32_i24_e32 v29, v136, v29
	s_delay_alu instid0(VALU_DEP_1) | instskip(SKIP_2) | instid1(VALU_DEP_2)
	v_add3_u32 v25, v25, v27, v29
	v_bfe_u32 v27, v1, 4, 4
	v_bfe_u32 v29, v1, 12, 4
	v_mul_i32_i24_e32 v27, v106, v27
	s_delay_alu instid0(VALU_DEP_2) | instskip(NEXT) | instid1(VALU_DEP_1)
	v_mul_i32_i24_e32 v29, v136, v29
	v_add3_u32 v0, v0, v27, v29
	v_bfe_u32 v27, v150, 4, 4
	v_bfe_u32 v29, v150, 12, 4
	s_delay_alu instid0(VALU_DEP_2) | instskip(NEXT) | instid1(VALU_DEP_2)
	v_mul_i32_i24_e32 v27, v106, v27
	v_mul_i32_i24_e32 v29, v136, v29
	s_delay_alu instid0(VALU_DEP_1) | instskip(SKIP_2) | instid1(VALU_DEP_2)
	v_add3_u32 v2, v2, v27, v29
	v_bfe_u32 v27, v30, 16, 4
	v_bfe_u32 v29, v30, 24, 4
	v_mul_i32_i24_e32 v27, v99, v27
	s_delay_alu instid0(VALU_DEP_2) | instskip(NEXT) | instid1(VALU_DEP_1)
	v_mul_i32_i24_e32 v29, v98, v29
	v_add3_u32 v3, v3, v27, v29
	v_bfe_u32 v27, v1, 16, 4
	v_bfe_u32 v29, v1, 24, 4
	s_delay_alu instid0(VALU_DEP_2) | instskip(NEXT) | instid1(VALU_DEP_2)
	v_mul_i32_i24_e32 v27, v99, v27
	v_mul_i32_i24_e32 v29, v98, v29
	s_delay_alu instid0(VALU_DEP_1) | instskip(SKIP_2) | instid1(VALU_DEP_2)
	v_add3_u32 v24, v24, v27, v29
	v_bfe_u32 v27, v150, 16, 4
	v_bfe_u32 v29, v150, 24, 4
	v_mul_i32_i24_e32 v27, v99, v27
	s_delay_alu instid0(VALU_DEP_2) | instskip(SKIP_2) | instid1(VALU_DEP_3)
	v_mul_i32_i24_e32 v29, v98, v29
	v_lshrrev_b16 v99, 8, v154
	v_cvt_f32_ubyte1_e32 v98, v102
	v_add3_u32 v26, v26, v27, v29
	v_bfe_u32 v27, v30, 20, 4
	v_lshrrev_b32_e32 v29, 28, v30
	v_cvt_f32_ubyte1_e32 v30, v105
	v_and_b32_e32 v99, 0xffff, v99
	s_delay_alu instid0(VALU_DEP_4) | instskip(NEXT) | instid1(VALU_DEP_4)
	v_mul_i32_i24_e32 v27, v103, v27
	v_mul_i32_i24_e32 v29, v101, v29
	s_delay_alu instid0(VALU_DEP_3) | instskip(NEXT) | instid1(VALU_DEP_2)
	v_mul_lo_u32 v23, v23, v99
	v_add3_u32 v25, v25, v27, v29
	v_bfe_u32 v27, v1, 20, 4
	v_lshrrev_b32_e32 v1, 28, v1
	v_cvt_f32_ubyte0_e32 v29, v105
	v_cvt_f32_i32_e32 v23, v23
	s_delay_alu instid0(VALU_DEP_4) | instskip(NEXT) | instid1(VALU_DEP_4)
	v_mul_i32_i24_e32 v27, v103, v27
	v_mul_i32_i24_e32 v1, v101, v1
	s_delay_alu instid0(VALU_DEP_1) | instskip(SKIP_2) | instid1(VALU_DEP_2)
	v_add3_u32 v27, v0, v27, v1
	v_bfe_u32 v0, v150, 20, 4
	v_lshrrev_b32_e32 v1, 28, v150
	v_mul_i32_i24_e32 v0, v103, v0
	s_delay_alu instid0(VALU_DEP_2) | instskip(NEXT) | instid1(VALU_DEP_1)
	v_mul_i32_i24_e32 v1, v101, v1
	v_add3_u32 v2, v2, v0, v1
	v_lshrrev_b32_e32 v0, 1, v97
	v_cvt_f32_ubyte0_e32 v97, v102
	ds_load_b64 v[0:1], v0 offset:20560
	s_wait_dscnt 0x0
	v_fma_mix_f32 v29, v0, v29, 0 op_sel:[1,0,0] op_sel_hi:[1,0,0]
	v_fma_mix_f32 v97, v0, v97, 0 op_sel:[1,0,0] op_sel_hi:[1,0,0]
	s_delay_alu instid0(VALU_DEP_2) | instskip(SKIP_1) | instid1(VALU_DEP_3)
	v_fma_mix_f32 v29, v1, v30, v29 op_sel:[1,0,0] op_sel_hi:[1,0,0]
	v_cvt_f32_ubyte0_e32 v30, v162
	v_fma_mix_f32 v97, v1, v98, v97 op_sel:[1,0,0] op_sel_hi:[1,0,0]
	s_delay_alu instid0(VALU_DEP_3) | instskip(NEXT) | instid1(VALU_DEP_3)
	v_dual_mul_f32 v29, v29, v93 :: v_dual_and_b32 v98, 0xff, v154
	v_fma_mix_f32 v30, v0, v30, 0 op_sel:[1,0,0] op_sel_hi:[1,0,0]
	s_delay_alu instid0(VALU_DEP_2) | instskip(NEXT) | instid1(VALU_DEP_2)
	v_mul_lo_u32 v98, v135, v98
	v_fma_mix_f32 v30, v1, v31, v30 op_sel:[1,0,0] op_sel_hi:[1,0,0]
	v_cvt_f32_ubyte0_e32 v31, v109
	s_delay_alu instid0(VALU_DEP_3) | instskip(NEXT) | instid1(VALU_DEP_2)
	v_cvt_f32_i32_e32 v98, v98
	v_fma_mix_f32 v31, v31, v0, 0 op_sel:[0,1,0] op_sel_hi:[0,1,0]
	s_delay_alu instid0(VALU_DEP_4) | instskip(NEXT) | instid1(VALU_DEP_3)
	v_mul_f32_e32 v30, v30, v94
	v_fma_mix_f32 v98, v98, v0, 0 op_sel_hi:[0,1,0]
	s_delay_alu instid0(VALU_DEP_3) | instskip(SKIP_3) | instid1(VALU_DEP_2)
	v_fma_mix_f32 v31, v32, v1, v31 op_sel:[0,1,0] op_sel_hi:[0,1,0]
	ds_load_u16 v32, v100
	v_lshrrev_b16 v100, 8, v153
	v_fma_mix_f32 v23, v23, v1, v98 op_sel_hi:[0,1,0]
	v_dual_mul_f32 v31, v31, v95 :: v_dual_and_b32 v100, 0xffff, v100
	s_delay_alu instid0(VALU_DEP_1) | instskip(NEXT) | instid1(VALU_DEP_1)
	v_mul_lo_u32 v27, v27, v100
	v_cvt_f32_i32_e32 v27, v27
	s_wait_dscnt 0x0
	v_and_b32_e32 v99, 0xff, v32
	v_lshrrev_b16 v32, 8, v32
	s_delay_alu instid0(VALU_DEP_2) | instskip(SKIP_1) | instid1(VALU_DEP_3)
	v_mul_lo_u32 v3, v3, v99
	v_and_b32_e32 v99, 0xff, v153
	v_and_b32_e32 v32, 0xffff, v32
	s_delay_alu instid0(VALU_DEP_2) | instskip(SKIP_2) | instid1(VALU_DEP_4)
	v_mul_lo_u32 v24, v24, v99
	v_lshrrev_b16 v99, 8, v28
	v_and_b32_e32 v28, 0xff, v28
	v_mul_lo_u32 v25, v25, v32
	v_cvt_f32_i32_e32 v3, v3
	s_delay_alu instid0(VALU_DEP_4) | instskip(NEXT) | instid1(VALU_DEP_4)
	v_and_b32_e32 v99, 0xffff, v99
	v_mul_lo_u32 v26, v26, v28
	v_cvt_f32_i32_e32 v24, v24
	s_delay_alu instid0(VALU_DEP_4) | instskip(NEXT) | instid1(VALU_DEP_4)
	v_fma_mix_f32 v3, v0, v3, 0 op_sel_hi:[1,0,0]
	v_mul_lo_u32 v2, v2, v99
	v_cvt_f32_i32_e32 v25, v25
	s_delay_alu instid0(VALU_DEP_4) | instskip(SKIP_1) | instid1(VALU_DEP_3)
	v_fma_mix_f32 v24, v0, v24, 0 op_sel_hi:[1,0,0]
	v_cvt_f32_i32_e32 v26, v26
	v_fma_mix_f32 v3, v1, v25, v3 op_sel_hi:[1,0,0]
	s_delay_alu instid0(VALU_DEP_3) | instskip(SKIP_1) | instid1(VALU_DEP_4)
	v_fma_mix_f32 v24, v1, v27, v24 op_sel_hi:[1,0,0]
	v_cvt_f32_i32_e32 v2, v2
	v_fma_mix_f32 v0, v0, v26, 0 op_sel_hi:[1,0,0]
	v_mul_f32_e32 v26, v97, v92
	s_delay_alu instid0(VALU_DEP_2) | instskip(SKIP_1) | instid1(VALU_DEP_3)
	v_fma_mix_f32 v0, v1, v2, v0 op_sel_hi:[1,0,0]
	v_fma_f32 v1, v23, v96, -v31
	v_fma_f32 v2, v3, v89, -v26
	;; [unrolled: 1-line block ×3, first 2 shown]
	s_delay_alu instid0(VALU_DEP_4) | instskip(NEXT) | instid1(VALU_DEP_3)
	v_fma_f32 v0, v0, v91, -v30
	v_dual_add_f32 v20, v20, v1 :: v_dual_add_f32 v35, v35, v2
	s_delay_alu instid0(VALU_DEP_3) | instskip(NEXT) | instid1(VALU_DEP_3)
	v_add_f32_e32 v67, v67, v3
	v_add_f32_e32 v61, v61, v0
	s_wait_alu 0xfffe
	s_cbranch_vccnz .LBB212_11
; %bb.12:                               ;   in Loop: Header=BB212_5 Depth=1
	s_bitset1_b32 s18, 7
	s_wait_loadcnt 0x0
	s_wait_alu 0xfffe
	s_cmp_ge_i32 s18, s5
	s_barrier_signal -1
	s_barrier_wait -1
	global_inv scope:SCOPE_SE
	s_cbranch_scc1 .LBB212_4
; %bb.13:                               ;   in Loop: Header=BB212_5 Depth=1
	v_add_nc_u32_e32 v0, s19, v64
	s_delay_alu instid0(VALU_DEP_1)
	v_cmp_gt_i32_e32 vcc_lo, s6, v0
	s_and_b32 s19, s1, vcc_lo
	s_wait_alu 0xfffe
	s_and_saveexec_b32 s18, s19
	s_cbranch_execz .LBB212_15
; %bb.14:                               ;   in Loop: Header=BB212_5 Depth=1
	v_add_nc_u32_e32 v0, v72, v0
	s_delay_alu instid0(VALU_DEP_1)
	v_mad_co_i64_i32 v[0:1], null, v0, 36, v[21:22]
	global_load_b32 v0, v[0:1], off offset:4
	s_wait_loadcnt 0x0
	ds_store_b32 v63, v0
.LBB212_15:                             ;   in Loop: Header=BB212_5 Depth=1
	s_wait_alu 0xfffe
	s_or_b32 exec_lo, exec_lo, s18
	s_and_saveexec_b32 s18, s0
	s_cbranch_execz .LBB212_18
; %bb.16:                               ;   in Loop: Header=BB212_5 Depth=1
	v_or_b32_e32 v0, 4, v88
	s_delay_alu instid0(VALU_DEP_1)
	v_cmp_gt_i32_e32 vcc_lo, s6, v0
	s_and_b32 s19, s1, vcc_lo
	s_wait_alu 0xfffe
	s_and_b32 exec_lo, exec_lo, s19
	s_cbranch_execz .LBB212_18
; %bb.17:                               ;   in Loop: Header=BB212_5 Depth=1
	v_ashrrev_i32_e32 v0, 31, v88
	v_ashrrev_i32_e32 v1, 31, v72
	v_add_co_u32 v2, vcc_lo, v72, v88
	s_wait_alu 0xfffd
	s_delay_alu instid0(VALU_DEP_2) | instskip(NEXT) | instid1(VALU_DEP_2)
	v_add_co_ci_u32_e64 v3, null, v1, v0, vcc_lo
	v_mad_co_u64_u32 v[0:1], null, v2, 36, s[2:3]
	s_delay_alu instid0(VALU_DEP_1)
	v_mad_i32_i24 v1, v3, 36, v1
	global_load_b32 v0, v[0:1], off offset:144
	s_wait_loadcnt 0x0
	ds_store_b32 v83, v0
.LBB212_18:                             ;   in Loop: Header=BB212_5 Depth=1
	s_wait_alu 0xfffe
	s_or_b32 exec_lo, exec_lo, s18
	s_wait_loadcnt_dscnt 0x0
	s_barrier_signal -1
	s_barrier_wait -1
	global_inv scope:SCOPE_SE
	ds_load_b32 v0, v66
	ds_load_b32 v1, v68 offset:128
	ds_load_b32 v2, v69 offset:256
	;; [unrolled: 1-line block ×3, first 2 shown]
	v_dual_mov_b32 v29, v62 :: v_dual_mov_b32 v30, v75
	v_mad_u32_u24 v94, 0x84, v34, 64
	s_mov_b32 s18, 16
	s_mov_b32 s19, 0
	s_wait_dscnt 0x3
	v_cvt_f32_f16_e32 v31, v0
	v_lshrrev_b32_e32 v0, 16, v0
	s_wait_dscnt 0x2
	v_cvt_f32_f16_e32 v32, v1
	v_lshrrev_b32_e32 v1, 16, v1
	;; [unrolled: 3-line block ×3, first 2 shown]
	s_wait_dscnt 0x0
	v_lshrrev_b32_e32 v23, 16, v3
	v_cvt_f32_f16_e32 v89, v3
	v_cvt_f32_f16_e32 v90, v0
	;; [unrolled: 1-line block ×5, first 2 shown]
.LBB212_19:                             ;   Parent Loop BB212_5 Depth=1
                                        ; =>  This Inner Loop Header: Depth=2
	ds_load_b128 v[0:3], v29
	ds_load_b128 v[23:26], v29 offset:16
	s_wait_alu 0xfffe
	s_lshr_b32 s21, s18, 2
	v_add_nc_u32_e32 v162, 0x2110, v94
	s_wait_alu 0xfffe
	s_and_b32 s21, s21, 0x3ffffffc
	v_add_nc_u32_e32 v176, 0x3198, v94
	s_add_co_i32 s18, s18, 8
	s_wait_dscnt 0x1
	v_lshrrev_b16 v28, 8, v0
	v_lshrrev_b16 v150, 8, v1
	;; [unrolled: 1-line block ×4, first 2 shown]
	v_ashrrev_i32_e32 v152, 24, v0
	v_bfe_i32 v154, v0, 16, 8
	v_bfe_i32 v157, v0, 0, 8
	v_ashrrev_i32_e32 v140, 24, v1
	v_bfe_i32 v143, v1, 16, 8
	v_bfe_i32 v147, v1, 0, 8
	;; [unrolled: 3-line block ×4, first 2 shown]
	s_wait_dscnt 0x0
	v_lshrrev_b16 v142, 8, v23
	v_lshrrev_b16 v134, 8, v24
	;; [unrolled: 1-line block ×4, first 2 shown]
	v_ashrrev_i32_e32 v112, 24, v23
	v_bfe_i32 v113, v23, 16, 8
	v_bfe_i32 v115, v23, 0, 8
	v_ashrrev_i32_e32 v106, 24, v24
	v_bfe_i32 v107, v24, 16, 8
	v_bfe_i32 v109, v24, 0, 8
	;; [unrolled: 3-line block ×4, first 2 shown]
	ds_load_b128 v[0:3], v29 offset:32
	ds_load_b128 v[23:26], v29 offset:48
	v_bfe_i32 v156, v28, 0, 8
	v_bfe_i32 v150, v150, 0, 8
	;; [unrolled: 1-line block ×6, first 2 shown]
	v_add_nc_u32_e32 v29, 64, v29
	s_wait_dscnt 0x1
	v_lshrrev_b16 v27, 8, v0
	v_lshrrev_b16 v149, 8, v1
	;; [unrolled: 1-line block ×4, first 2 shown]
	v_ashrrev_i32_e32 v151, 24, v0
	v_bfe_i32 v153, v0, 16, 8
	v_bfe_i32 v155, v0, 0, 8
	v_ashrrev_i32_e32 v144, 24, v1
	v_bfe_i32 v145, v1, 16, 8
	v_bfe_i32 v148, v1, 0, 8
	;; [unrolled: 3-line block ×4, first 2 shown]
	s_wait_dscnt 0x0
	v_lshrrev_b16 v137, 8, v23
	v_lshrrev_b16 v129, 8, v24
	;; [unrolled: 1-line block ×4, first 2 shown]
	v_ashrrev_i32_e32 v116, 24, v23
	v_bfe_i32 v117, v23, 16, 8
	v_bfe_i32 v120, v23, 0, 8
	v_ashrrev_i32_e32 v110, 24, v24
	v_bfe_i32 v111, v24, 16, 8
	v_bfe_i32 v114, v24, 0, 8
	;; [unrolled: 3-line block ×4, first 2 shown]
	ds_load_2addr_b32 v[0:1], v94 offset1:1
	ds_load_2addr_b32 v[2:3], v94 offset0:2 offset1:3
	ds_load_2addr_b32 v[23:24], v94 offset0:4 offset1:5
	ds_load_b64 v[25:26], v30
	v_bfe_i32 v178, v27, 0, 8
	v_bfe_i32 v149, v149, 0, 8
	;; [unrolled: 1-line block ×7, first 2 shown]
	v_add_nc_u32_e32 v30, 8, v30
	s_wait_dscnt 0x3
	v_and_b32_e32 v28, 15, v0
	v_bfe_u32 v158, v0, 8, 4
	v_bfe_u32 v159, v0, 24, 4
	;; [unrolled: 1-line block ×3, first 2 shown]
	s_delay_alu instid0(VALU_DEP_4) | instskip(NEXT) | instid1(VALU_DEP_3)
	v_mul_i32_i24_e32 v28, v157, v28
	v_mul_i32_i24_e32 v159, v152, v159
	s_delay_alu instid0(VALU_DEP_3) | instskip(NEXT) | instid1(VALU_DEP_3)
	v_mul_i32_i24_e32 v27, v155, v27
	v_mad_i32_i24 v28, v156, v158, v28
	v_bfe_u32 v158, v0, 16, 4
	s_delay_alu instid0(VALU_DEP_1) | instskip(NEXT) | instid1(VALU_DEP_1)
	v_mul_i32_i24_e32 v158, v154, v158
	v_add3_u32 v172, v28, v158, v159
	v_bfe_u32 v28, v0, 12, 4
	s_delay_alu instid0(VALU_DEP_1) | instskip(SKIP_2) | instid1(VALU_DEP_2)
	v_mad_i32_i24 v27, v178, v28, v27
	v_bfe_u32 v28, v0, 20, 4
	v_lshrrev_b32_e32 v0, 28, v0
	v_mul_i32_i24_e32 v28, v153, v28
	s_delay_alu instid0(VALU_DEP_2) | instskip(NEXT) | instid1(VALU_DEP_1)
	v_mul_i32_i24_e32 v0, v151, v0
	v_add3_u32 v179, v27, v28, v0
	v_lshlrev_b32_e32 v0, 4, v34
	s_delay_alu instid0(VALU_DEP_1) | instskip(SKIP_3) | instid1(VALU_DEP_2)
	v_add_nc_u32_e32 v159, s19, v0
	v_add_nc_u32_e32 v0, 0x1080, v94
	s_add_co_i32 s19, s19, 2
	s_wait_alu 0xfffe
	v_add3_u32 v158, v78, s21, v159
	ds_load_2addr_b32 v[164:165], v0 offset1:1
	v_add3_u32 v161, v76, s21, v159
	v_add3_u32 v163, v77, s21, v159
	ds_load_u16 v0, v158 offset:17416
	s_wait_dscnt 0x1
	v_and_b32_e32 v27, 15, v164
	v_bfe_u32 v28, v164, 8, 4
	v_bfe_u32 v160, v164, 24, 4
	s_delay_alu instid0(VALU_DEP_3) | instskip(NEXT) | instid1(VALU_DEP_2)
	v_mul_i32_i24_e32 v27, v157, v27
	v_mul_i32_i24_e32 v160, v152, v160
	s_delay_alu instid0(VALU_DEP_2) | instskip(SKIP_1) | instid1(VALU_DEP_1)
	v_mad_i32_i24 v27, v156, v28, v27
	v_bfe_u32 v28, v164, 16, 4
	v_mul_i32_i24_e32 v28, v154, v28
	s_delay_alu instid0(VALU_DEP_1)
	v_add3_u32 v180, v27, v28, v160
	v_add_nc_u32_e32 v27, 0x3180, v94
	ds_load_u16 v160, v161 offset:18440
	ds_load_2addr_b32 v[166:167], v27 offset1:1
	s_wait_dscnt 0x0
	v_and_b32_e32 v27, 15, v167
	v_and_b32_e32 v28, 15, v166
	v_bfe_u32 v174, v166, 16, 4
	v_bfe_u32 v185, v166, 20, 4
	v_lshrrev_b32_e32 v186, 28, v166
	v_mul_i32_i24_e32 v27, v27, v147
	s_delay_alu instid0(VALU_DEP_1)
	v_mad_i32_i24 v181, v28, v157, v27
	v_add_nc_u32_e32 v27, 0x2100, v94
	v_add_nc_u32_e32 v28, 0x2108, v94
	ds_load_2addr_b32 v[168:169], v27 offset1:1
	ds_load_2addr_b32 v[170:171], v28 offset1:1
	;; [unrolled: 1-line block ×3, first 2 shown]
	ds_load_u16 v162, v163 offset:17928
	s_wait_dscnt 0x3
	v_and_b32_e32 v173, 15, v168
	s_delay_alu instid0(VALU_DEP_1) | instskip(SKIP_1) | instid1(VALU_DEP_1)
	v_mul_i32_i24_e32 v157, v157, v173
	v_bfe_u32 v173, v167, 16, 4
	v_mul_i32_i24_e32 v173, v173, v143
	s_delay_alu instid0(VALU_DEP_1) | instskip(SKIP_2) | instid1(VALU_DEP_2)
	v_mad_i32_i24 v182, v174, v154, v173
	v_bfe_u32 v173, v168, 16, 4
	v_bfe_u32 v174, v166, 24, 4
	v_mul_i32_i24_e32 v154, v154, v173
	v_bfe_u32 v173, v167, 24, 4
	s_delay_alu instid0(VALU_DEP_1) | instskip(NEXT) | instid1(VALU_DEP_1)
	v_mul_i32_i24_e32 v173, v173, v140
	v_mad_i32_i24 v183, v174, v152, v173
	v_bfe_u32 v173, v168, 24, 4
	v_add_nc_u32_e32 v174, 0x3190, v94
	s_delay_alu instid0(VALU_DEP_2) | instskip(SKIP_1) | instid1(VALU_DEP_1)
	v_mul_i32_i24_e32 v152, v152, v173
	v_bfe_u32 v173, v168, 8, 4
	v_mad_i32_i24 v157, v156, v173, v157
	s_delay_alu instid0(VALU_DEP_1) | instskip(SKIP_2) | instid1(VALU_DEP_2)
	v_add3_u32 v152, v157, v154, v152
	v_and_b32_e32 v154, 15, v1
	v_bfe_u32 v157, v1, 8, 4
	v_mul_i32_i24_e32 v154, v147, v154
	s_delay_alu instid0(VALU_DEP_2) | instskip(NEXT) | instid1(VALU_DEP_1)
	v_mul_i32_i24_e32 v157, v150, v157
	v_add3_u32 v154, v172, v157, v154
	v_add_nc_u32_e32 v157, 0x3188, v94
	ds_load_2addr_b32 v[172:173], v157 offset1:1
	ds_load_2addr_b32 v[174:175], v174 offset1:1
	;; [unrolled: 1-line block ×3, first 2 shown]
	s_wait_dscnt 0x2
	v_bfe_u32 v157, v172, 24, 4
	v_bfe_u32 v184, v173, 24, 4
	s_delay_alu instid0(VALU_DEP_2) | instskip(NEXT) | instid1(VALU_DEP_2)
	v_mul_i32_i24_e32 v157, v157, v126
	v_mul_i32_i24_e32 v184, v184, v118
	s_delay_alu instid0(VALU_DEP_1) | instskip(SKIP_2) | instid1(VALU_DEP_2)
	v_add3_u32 v157, v183, v157, v184
	v_bfe_u32 v183, v172, 16, 4
	v_bfe_u32 v184, v173, 16, 4
	v_mul_i32_i24_e32 v183, v183, v128
	s_delay_alu instid0(VALU_DEP_2) | instskip(NEXT) | instid1(VALU_DEP_1)
	v_mul_i32_i24_e32 v184, v184, v119
	v_add3_u32 v182, v182, v183, v184
	v_and_b32_e32 v183, 15, v172
	v_and_b32_e32 v184, 15, v173
	s_delay_alu instid0(VALU_DEP_2) | instskip(NEXT) | instid1(VALU_DEP_2)
	v_mul_i32_i24_e32 v183, v183, v133
	v_mul_i32_i24_e32 v184, v184, v122
	s_delay_alu instid0(VALU_DEP_1) | instskip(SKIP_2) | instid1(VALU_DEP_2)
	v_add3_u32 v181, v181, v183, v184
	v_bfe_u32 v183, v164, 4, 4
	v_bfe_u32 v184, v164, 12, 4
	v_mul_i32_i24_e32 v183, v155, v183
	s_delay_alu instid0(VALU_DEP_1) | instskip(SKIP_2) | instid1(VALU_DEP_2)
	v_mad_i32_i24 v183, v178, v184, v183
	v_bfe_u32 v184, v164, 20, 4
	v_lshrrev_b32_e32 v164, 28, v164
	v_mul_i32_i24_e32 v184, v153, v184
	s_delay_alu instid0(VALU_DEP_2) | instskip(NEXT) | instid1(VALU_DEP_1)
	v_mul_i32_i24_e32 v164, v151, v164
	v_add3_u32 v164, v183, v184, v164
	v_bfe_u32 v183, v167, 4, 4
	v_bfe_u32 v184, v166, 4, 4
	s_delay_alu instid0(VALU_DEP_2) | instskip(NEXT) | instid1(VALU_DEP_1)
	v_mul_i32_i24_e32 v183, v183, v148
	v_mad_i32_i24 v183, v184, v155, v183
	v_bfe_u32 v184, v168, 4, 4
	s_delay_alu instid0(VALU_DEP_1) | instskip(SKIP_1) | instid1(VALU_DEP_1)
	v_mul_i32_i24_e32 v155, v155, v184
	v_bfe_u32 v184, v167, 20, 4
	v_mul_i32_i24_e32 v184, v184, v145
	s_delay_alu instid0(VALU_DEP_1) | instskip(SKIP_1) | instid1(VALU_DEP_1)
	v_mad_i32_i24 v184, v185, v153, v184
	v_bfe_u32 v185, v168, 20, 4
	v_mul_i32_i24_e32 v153, v153, v185
	v_lshrrev_b32_e32 v185, 28, v167
	s_delay_alu instid0(VALU_DEP_1) | instskip(NEXT) | instid1(VALU_DEP_1)
	v_mul_i32_i24_e32 v185, v185, v144
	v_mad_i32_i24 v185, v186, v151, v185
	v_lshrrev_b32_e32 v186, 28, v168
	v_bfe_u32 v168, v168, 12, 4
	s_delay_alu instid0(VALU_DEP_2) | instskip(NEXT) | instid1(VALU_DEP_2)
	v_mul_i32_i24_e32 v151, v151, v186
	v_mad_i32_i24 v155, v178, v168, v155
	v_lshrrev_b32_e32 v168, 28, v173
	s_delay_alu instid0(VALU_DEP_2) | instskip(SKIP_2) | instid1(VALU_DEP_4)
	v_add3_u32 v151, v155, v153, v151
	v_bfe_u32 v153, v1, 4, 4
	v_bfe_u32 v155, v1, 12, 4
	v_mul_i32_i24_e32 v168, v168, v121
	s_delay_alu instid0(VALU_DEP_3) | instskip(NEXT) | instid1(VALU_DEP_3)
	v_mul_i32_i24_e32 v153, v148, v153
	v_mul_i32_i24_e32 v155, v149, v155
	s_delay_alu instid0(VALU_DEP_1) | instskip(SKIP_2) | instid1(VALU_DEP_2)
	v_add3_u32 v153, v179, v153, v155
	v_lshrrev_b32_e32 v155, 28, v172
	v_bfe_u32 v179, v173, 20, 4
	v_mul_i32_i24_e32 v155, v155, v131
	s_delay_alu instid0(VALU_DEP_2) | instskip(NEXT) | instid1(VALU_DEP_2)
	v_mul_i32_i24_e32 v179, v179, v123
	v_add3_u32 v155, v185, v155, v168
	v_bfe_u32 v168, v172, 20, 4
	s_delay_alu instid0(VALU_DEP_1) | instskip(NEXT) | instid1(VALU_DEP_1)
	v_mul_i32_i24_e32 v168, v168, v132
	v_add3_u32 v168, v184, v168, v179
	v_bfe_u32 v179, v172, 4, 4
	v_bfe_u32 v184, v173, 4, 4
	s_delay_alu instid0(VALU_DEP_2) | instskip(NEXT) | instid1(VALU_DEP_2)
	v_mul_i32_i24_e32 v179, v179, v138
	v_mul_i32_i24_e32 v184, v184, v125
	s_delay_alu instid0(VALU_DEP_1) | instskip(SKIP_2) | instid1(VALU_DEP_2)
	v_add3_u32 v179, v183, v179, v184
	v_bfe_u32 v183, v1, 16, 4
	v_bfe_u32 v184, v1, 24, 4
	v_mul_i32_i24_e32 v183, v143, v183
	s_delay_alu instid0(VALU_DEP_2) | instskip(NEXT) | instid1(VALU_DEP_1)
	v_mul_i32_i24_e32 v184, v140, v184
	v_add3_u32 v154, v154, v183, v184
	v_and_b32_e32 v183, 15, v165
	v_bfe_u32 v184, v165, 8, 4
	s_delay_alu instid0(VALU_DEP_2) | instskip(NEXT) | instid1(VALU_DEP_2)
	v_mul_i32_i24_e32 v183, v147, v183
	v_mul_i32_i24_e32 v184, v150, v184
	s_delay_alu instid0(VALU_DEP_1) | instskip(SKIP_1) | instid1(VALU_DEP_1)
	v_add3_u32 v180, v180, v184, v183
	v_and_b32_e32 v183, 15, v169
	v_mul_i32_i24_e32 v147, v147, v183
	v_bfe_u32 v183, v169, 8, 4
	s_delay_alu instid0(VALU_DEP_1) | instskip(NEXT) | instid1(VALU_DEP_1)
	v_mul_i32_i24_e32 v183, v150, v183
	v_add3_u32 v147, v152, v183, v147
	v_and_b32_e32 v152, 0xf0f0f0f, v166
	s_delay_alu instid0(VALU_DEP_1) | instskip(NEXT) | instid1(VALU_DEP_1)
	v_lshrrev_b16 v152, 8, v152
	v_and_b32_e32 v152, 0xffff, v152
	s_delay_alu instid0(VALU_DEP_1) | instskip(SKIP_1) | instid1(VALU_DEP_1)
	v_mul_i32_i24_e32 v152, v152, v156
	v_and_b32_e32 v156, 0xf0f0f0f, v167
	v_lshrrev_b16 v156, 8, v156
	s_delay_alu instid0(VALU_DEP_1) | instskip(NEXT) | instid1(VALU_DEP_1)
	v_and_b32_e32 v156, 0xffff, v156
	v_mul_i32_i24_e32 v150, v156, v150
	v_and_b32_e32 v156, 0xf0f0f0f, v172
	s_delay_alu instid0(VALU_DEP_1) | instskip(NEXT) | instid1(VALU_DEP_1)
	v_lshrrev_b16 v156, 8, v156
	v_and_b32_e32 v156, 0xffff, v156
	s_delay_alu instid0(VALU_DEP_1) | instskip(NEXT) | instid1(VALU_DEP_1)
	v_mul_i32_i24_e32 v156, v156, v146
	v_add3_u32 v150, v152, v150, v156
	s_wait_dscnt 0x1
	v_bfe_u32 v152, v174, 24, 4
	v_bfe_u32 v156, v175, 24, 4
	s_delay_alu instid0(VALU_DEP_2) | instskip(NEXT) | instid1(VALU_DEP_2)
	v_mul_i32_i24_e32 v152, v152, v112
	v_mul_i32_i24_e32 v156, v156, v106
	s_delay_alu instid0(VALU_DEP_1) | instskip(SKIP_2) | instid1(VALU_DEP_2)
	v_add3_u32 v152, v157, v152, v156
	v_and_b32_e32 v156, 15, v174
	v_and_b32_e32 v157, 15, v175
	v_mul_i32_i24_e32 v156, v156, v115
	s_delay_alu instid0(VALU_DEP_2) | instskip(NEXT) | instid1(VALU_DEP_1)
	v_mul_i32_i24_e32 v157, v157, v109
	v_add3_u32 v156, v181, v156, v157
	v_bfe_u32 v157, v174, 16, 4
	v_bfe_u32 v181, v175, 16, 4
	s_delay_alu instid0(VALU_DEP_2) | instskip(NEXT) | instid1(VALU_DEP_2)
	v_mul_i32_i24_e32 v157, v157, v113
	v_mul_i32_i24_e32 v181, v181, v107
	s_delay_alu instid0(VALU_DEP_1) | instskip(SKIP_2) | instid1(VALU_DEP_2)
	v_add3_u32 v157, v182, v157, v181
	v_bfe_u32 v181, v1, 20, 4
	v_lshrrev_b32_e32 v1, 28, v1
	v_mul_i32_i24_e32 v181, v145, v181
	s_delay_alu instid0(VALU_DEP_2) | instskip(NEXT) | instid1(VALU_DEP_1)
	v_mul_i32_i24_e32 v1, v144, v1
	v_add3_u32 v1, v153, v181, v1
	v_bfe_u32 v153, v165, 4, 4
	v_bfe_u32 v181, v165, 12, 4
	s_delay_alu instid0(VALU_DEP_2) | instskip(NEXT) | instid1(VALU_DEP_2)
	v_mul_i32_i24_e32 v153, v148, v153
	v_mul_i32_i24_e32 v181, v149, v181
	s_delay_alu instid0(VALU_DEP_1) | instskip(SKIP_1) | instid1(VALU_DEP_1)
	v_add3_u32 v153, v164, v153, v181
	v_bfe_u32 v164, v169, 4, 4
	v_mul_i32_i24_e32 v148, v148, v164
	v_bfe_u32 v164, v169, 12, 4
	s_delay_alu instid0(VALU_DEP_1) | instskip(NEXT) | instid1(VALU_DEP_1)
	v_mul_i32_i24_e32 v164, v149, v164
	v_add3_u32 v148, v151, v148, v164
	v_lshrrev_b32_e32 v151, 28, v174
	v_lshrrev_b32_e32 v164, 28, v175
	s_delay_alu instid0(VALU_DEP_2) | instskip(NEXT) | instid1(VALU_DEP_2)
	v_mul_i32_i24_e32 v151, v151, v116
	v_mul_i32_i24_e32 v164, v164, v110
	s_delay_alu instid0(VALU_DEP_1) | instskip(SKIP_2) | instid1(VALU_DEP_2)
	v_add3_u32 v151, v155, v151, v164
	v_bfe_u32 v155, v174, 4, 4
	v_bfe_u32 v164, v175, 4, 4
	v_mul_i32_i24_e32 v155, v155, v120
	s_delay_alu instid0(VALU_DEP_2) | instskip(NEXT) | instid1(VALU_DEP_1)
	v_mul_i32_i24_e32 v164, v164, v114
	v_add3_u32 v155, v179, v155, v164
	v_bfe_u32 v164, v174, 20, 4
	v_bfe_u32 v179, v175, 20, 4
	s_delay_alu instid0(VALU_DEP_2) | instskip(NEXT) | instid1(VALU_DEP_2)
	v_mul_i32_i24_e32 v164, v164, v117
	v_mul_i32_i24_e32 v179, v179, v111
	s_delay_alu instid0(VALU_DEP_1) | instskip(SKIP_2) | instid1(VALU_DEP_2)
	v_add3_u32 v164, v168, v164, v179
	v_bfe_u32 v168, v165, 16, 4
	v_bfe_u32 v179, v165, 24, 4
	v_mul_i32_i24_e32 v168, v143, v168
	s_delay_alu instid0(VALU_DEP_2) | instskip(NEXT) | instid1(VALU_DEP_1)
	v_mul_i32_i24_e32 v179, v140, v179
	v_add3_u32 v168, v180, v168, v179
	v_bfe_u32 v179, v169, 16, 4
	s_delay_alu instid0(VALU_DEP_1) | instskip(SKIP_1) | instid1(VALU_DEP_1)
	v_mul_i32_i24_e32 v143, v143, v179
	v_bfe_u32 v179, v169, 24, 4
	v_mul_i32_i24_e32 v140, v140, v179
	v_bfe_i32 v179, v142, 0, 8
	v_and_b32_e32 v142, 0xf0f0f0f, v174
	s_delay_alu instid0(VALU_DEP_3) | instskip(SKIP_2) | instid1(VALU_DEP_4)
	v_add3_u32 v147, v147, v143, v140
	v_and_b32_e32 v140, 15, v2
	v_bfe_u32 v143, v2, 8, 4
	v_lshrrev_b16 v142, 8, v142
	s_delay_alu instid0(VALU_DEP_3) | instskip(NEXT) | instid1(VALU_DEP_3)
	v_mul_i32_i24_e32 v140, v133, v140
	v_mul_i32_i24_e32 v143, v146, v143
	s_delay_alu instid0(VALU_DEP_3) | instskip(NEXT) | instid1(VALU_DEP_2)
	v_and_b32_e32 v142, 0xffff, v142
	v_add3_u32 v140, v154, v143, v140
	v_bfe_i32 v154, v139, 0, 8
	v_and_b32_e32 v139, 0xf0f0f0f, v173
	s_delay_alu instid0(VALU_DEP_4) | instskip(SKIP_1) | instid1(VALU_DEP_3)
	v_mul_i32_i24_e32 v142, v142, v179
	v_add_nc_u32_e32 v143, 0x1098, v94
	v_lshrrev_b16 v139, 8, v139
	s_delay_alu instid0(VALU_DEP_1) | instskip(NEXT) | instid1(VALU_DEP_1)
	v_and_b32_e32 v139, 0xffff, v139
	v_mul_i32_i24_e32 v139, v139, v154
	s_delay_alu instid0(VALU_DEP_1) | instskip(SKIP_3) | instid1(VALU_DEP_2)
	v_add3_u32 v150, v150, v139, v142
	s_wait_dscnt 0x0
	v_bfe_u32 v139, v176, 24, 4
	v_bfe_u32 v142, v177, 24, 4
	v_mul_i32_i24_e32 v139, v139, v100
	s_delay_alu instid0(VALU_DEP_2) | instskip(NEXT) | instid1(VALU_DEP_1)
	v_mul_i32_i24_e32 v142, v142, v95
	v_add3_u32 v152, v152, v139, v142
	v_bfe_u32 v139, v176, 16, 4
	v_bfe_u32 v142, v177, 16, 4
	s_delay_alu instid0(VALU_DEP_2) | instskip(NEXT) | instid1(VALU_DEP_2)
	v_mul_i32_i24_e32 v139, v139, v101
	v_mul_i32_i24_e32 v142, v142, v96
	s_delay_alu instid0(VALU_DEP_1) | instskip(SKIP_2) | instid1(VALU_DEP_2)
	v_add3_u32 v157, v157, v139, v142
	v_and_b32_e32 v139, 15, v176
	v_and_b32_e32 v142, 15, v177
	v_mul_i32_i24_e32 v139, v139, v103
	s_delay_alu instid0(VALU_DEP_2) | instskip(NEXT) | instid1(VALU_DEP_1)
	v_mul_i32_i24_e32 v142, v142, v99
	v_add3_u32 v156, v156, v139, v142
	v_bfe_u32 v139, v165, 20, 4
	v_lshrrev_b32_e32 v142, 28, v165
	s_delay_alu instid0(VALU_DEP_2) | instskip(NEXT) | instid1(VALU_DEP_2)
	v_mul_i32_i24_e32 v139, v145, v139
	v_mul_i32_i24_e32 v142, v144, v142
	s_delay_alu instid0(VALU_DEP_1) | instskip(SKIP_2) | instid1(VALU_DEP_2)
	v_add3_u32 v153, v153, v139, v142
	v_bfe_u32 v139, v169, 20, 4
	v_lshrrev_b32_e32 v142, 28, v169
	v_mul_i32_i24_e32 v139, v145, v139
	s_delay_alu instid0(VALU_DEP_2) | instskip(NEXT) | instid1(VALU_DEP_1)
	v_mul_i32_i24_e32 v142, v144, v142
	v_add3_u32 v145, v148, v139, v142
	v_bfe_u32 v139, v2, 4, 4
	v_bfe_i32 v148, v141, 0, 8
	v_bfe_u32 v141, v2, 12, 4
	v_lshrrev_b32_e32 v142, 4, v172
	s_delay_alu instid0(VALU_DEP_4) | instskip(NEXT) | instid1(VALU_DEP_3)
	v_mul_i32_i24_e32 v139, v138, v139
	v_mul_i32_i24_e32 v141, v148, v141
	s_delay_alu instid0(VALU_DEP_3) | instskip(NEXT) | instid1(VALU_DEP_2)
	v_lshrrev_b16 v142, 8, v142
	v_add3_u32 v1, v1, v139, v141
	v_lshrrev_b32_e32 v139, 4, v166
	v_lshrrev_b32_e32 v141, 4, v167
	s_delay_alu instid0(VALU_DEP_4) | instskip(NEXT) | instid1(VALU_DEP_3)
	v_and_b32_e32 v142, 15, v142
	v_lshrrev_b16 v139, 8, v139
	s_delay_alu instid0(VALU_DEP_3) | instskip(NEXT) | instid1(VALU_DEP_3)
	v_lshrrev_b16 v141, 8, v141
	v_and_b32_e32 v142, 0xffff, v142
	s_delay_alu instid0(VALU_DEP_3) | instskip(NEXT) | instid1(VALU_DEP_3)
	v_and_b32_e32 v139, 15, v139
	v_and_b32_e32 v141, 15, v141
	s_delay_alu instid0(VALU_DEP_3) | instskip(NEXT) | instid1(VALU_DEP_3)
	v_mul_i32_i24_e32 v142, v142, v148
	v_and_b32_e32 v139, 0xffff, v139
	s_delay_alu instid0(VALU_DEP_3) | instskip(NEXT) | instid1(VALU_DEP_2)
	v_and_b32_e32 v141, 0xffff, v141
	v_mul_i32_i24_e32 v139, v139, v178
	s_delay_alu instid0(VALU_DEP_2) | instskip(NEXT) | instid1(VALU_DEP_1)
	v_mul_i32_i24_e32 v141, v141, v149
	v_add3_u32 v149, v139, v141, v142
	v_lshrrev_b32_e32 v139, 28, v176
	v_lshrrev_b32_e32 v141, 28, v177
	s_delay_alu instid0(VALU_DEP_2) | instskip(NEXT) | instid1(VALU_DEP_2)
	v_mul_i32_i24_e32 v139, v139, v104
	v_mul_i32_i24_e32 v141, v141, v97
	s_delay_alu instid0(VALU_DEP_1) | instskip(SKIP_2) | instid1(VALU_DEP_2)
	v_add3_u32 v151, v151, v139, v141
	v_bfe_u32 v139, v176, 20, 4
	v_bfe_u32 v141, v177, 20, 4
	v_mul_i32_i24_e32 v139, v139, v105
	s_delay_alu instid0(VALU_DEP_2) | instskip(NEXT) | instid1(VALU_DEP_1)
	v_mul_i32_i24_e32 v141, v141, v98
	v_add3_u32 v164, v164, v139, v141
	v_bfe_u32 v139, v176, 4, 4
	v_bfe_u32 v141, v177, 4, 4
	s_delay_alu instid0(VALU_DEP_2) | instskip(NEXT) | instid1(VALU_DEP_2)
	v_mul_i32_i24_e32 v139, v139, v108
	v_mul_i32_i24_e32 v141, v141, v102
	s_delay_alu instid0(VALU_DEP_1) | instskip(SKIP_2) | instid1(VALU_DEP_2)
	v_add3_u32 v155, v155, v139, v141
	v_bfe_u32 v139, v2, 16, 4
	v_bfe_u32 v141, v2, 24, 4
	v_mul_i32_i24_e32 v139, v128, v139
	s_delay_alu instid0(VALU_DEP_2) | instskip(NEXT) | instid1(VALU_DEP_1)
	v_mul_i32_i24_e32 v141, v126, v141
	v_add3_u32 v165, v140, v139, v141
	v_add_nc_u32_e32 v139, 0x1088, v94
	v_add_nc_u32_e32 v141, 0x1090, v94
	ds_load_2addr_b32 v[139:140], v139 offset1:1
	ds_load_2addr_b32 v[141:142], v141 offset1:1
	;; [unrolled: 1-line block ×3, first 2 shown]
	s_wait_dscnt 0x2
	v_and_b32_e32 v166, 15, v139
	v_bfe_u32 v167, v139, 8, 4
	s_delay_alu instid0(VALU_DEP_2) | instskip(NEXT) | instid1(VALU_DEP_2)
	v_mul_i32_i24_e32 v166, v133, v166
	v_mul_i32_i24_e32 v167, v146, v167
	s_delay_alu instid0(VALU_DEP_1) | instskip(SKIP_1) | instid1(VALU_DEP_1)
	v_add3_u32 v166, v168, v167, v166
	v_and_b32_e32 v167, 15, v170
	v_mul_i32_i24_e32 v133, v133, v167
	v_bfe_u32 v167, v170, 8, 4
	s_delay_alu instid0(VALU_DEP_1) | instskip(NEXT) | instid1(VALU_DEP_1)
	v_mul_i32_i24_e32 v146, v146, v167
	v_add3_u32 v133, v147, v146, v133
	v_and_b32_e32 v146, 0xf0f0f0f, v175
	v_and_b32_e32 v147, 0xf0f0f0f, v176
	s_delay_alu instid0(VALU_DEP_2) | instskip(NEXT) | instid1(VALU_DEP_2)
	v_lshrrev_b16 v146, 8, v146
	v_lshrrev_b16 v147, 8, v147
	s_delay_alu instid0(VALU_DEP_2) | instskip(NEXT) | instid1(VALU_DEP_2)
	v_and_b32_e32 v146, 0xffff, v146
	v_and_b32_e32 v147, 0xffff, v147
	s_delay_alu instid0(VALU_DEP_2) | instskip(NEXT) | instid1(VALU_DEP_2)
	v_mul_i32_i24_e32 v146, v146, v134
	v_mul_i32_i24_e32 v147, v147, v135
	s_delay_alu instid0(VALU_DEP_1) | instskip(SKIP_2) | instid1(VALU_DEP_2)
	v_add3_u32 v146, v150, v146, v147
	v_bfe_u32 v147, v2, 20, 4
	v_lshrrev_b32_e32 v2, 28, v2
	v_mul_i32_i24_e32 v147, v132, v147
	s_delay_alu instid0(VALU_DEP_2) | instskip(NEXT) | instid1(VALU_DEP_1)
	v_mul_i32_i24_e32 v2, v131, v2
	v_add3_u32 v1, v1, v147, v2
	v_bfe_u32 v2, v139, 4, 4
	v_bfe_u32 v147, v139, 12, 4
	s_delay_alu instid0(VALU_DEP_2) | instskip(NEXT) | instid1(VALU_DEP_2)
	v_mul_i32_i24_e32 v2, v138, v2
	v_mul_i32_i24_e32 v147, v148, v147
	s_delay_alu instid0(VALU_DEP_1) | instskip(SKIP_1) | instid1(VALU_DEP_1)
	v_add3_u32 v2, v153, v2, v147
	v_bfe_u32 v147, v170, 4, 4
	v_mul_i32_i24_e32 v138, v138, v147
	v_bfe_u32 v147, v170, 12, 4
	s_delay_alu instid0(VALU_DEP_1) | instskip(SKIP_1) | instid1(VALU_DEP_2)
	v_mul_i32_i24_e32 v147, v148, v147
	v_bfe_u32 v148, v139, 24, 4
	v_add3_u32 v138, v145, v138, v147
	v_lshrrev_b32_e32 v145, 4, v173
	v_lshrrev_b32_e32 v147, 4, v174
	s_delay_alu instid0(VALU_DEP_4) | instskip(NEXT) | instid1(VALU_DEP_3)
	v_mul_i32_i24_e32 v148, v126, v148
	v_lshrrev_b16 v145, 8, v145
	s_delay_alu instid0(VALU_DEP_3) | instskip(NEXT) | instid1(VALU_DEP_2)
	v_lshrrev_b16 v147, 8, v147
	v_and_b32_e32 v145, 15, v145
	s_delay_alu instid0(VALU_DEP_2) | instskip(NEXT) | instid1(VALU_DEP_2)
	v_and_b32_e32 v147, 15, v147
	v_and_b32_e32 v145, 0xffff, v145
	s_delay_alu instid0(VALU_DEP_2) | instskip(NEXT) | instid1(VALU_DEP_2)
	v_and_b32_e32 v147, 0xffff, v147
	v_mul_i32_i24_e32 v145, v145, v136
	s_delay_alu instid0(VALU_DEP_2) | instskip(NEXT) | instid1(VALU_DEP_1)
	v_mul_i32_i24_e32 v147, v147, v137
	v_add3_u32 v145, v149, v145, v147
	v_bfe_u32 v147, v139, 16, 4
	s_delay_alu instid0(VALU_DEP_1) | instskip(NEXT) | instid1(VALU_DEP_1)
	v_mul_i32_i24_e32 v147, v128, v147
	v_add3_u32 v147, v166, v147, v148
	v_bfe_u32 v148, v170, 16, 4
	s_delay_alu instid0(VALU_DEP_1) | instskip(SKIP_1) | instid1(VALU_DEP_1)
	v_mul_i32_i24_e32 v128, v128, v148
	v_bfe_u32 v148, v170, 24, 4
	v_mul_i32_i24_e32 v126, v126, v148
	s_delay_alu instid0(VALU_DEP_1) | instskip(SKIP_2) | instid1(VALU_DEP_2)
	v_add3_u32 v126, v133, v128, v126
	v_and_b32_e32 v128, 15, v3
	v_bfe_u32 v133, v3, 8, 4
	v_mul_i32_i24_e32 v128, v122, v128
	s_delay_alu instid0(VALU_DEP_2) | instskip(NEXT) | instid1(VALU_DEP_1)
	v_mul_i32_i24_e32 v133, v154, v133
	v_add3_u32 v128, v165, v133, v128
	v_and_b32_e32 v133, 0xf0f0f0f, v177
	s_delay_alu instid0(VALU_DEP_1) | instskip(NEXT) | instid1(VALU_DEP_1)
	v_lshrrev_b16 v133, 8, v133
	v_and_b32_e32 v133, 0xffff, v133
	s_delay_alu instid0(VALU_DEP_1) | instskip(NEXT) | instid1(VALU_DEP_1)
	v_mul_i32_i24_e32 v133, v133, v127
	v_add3_u32 v133, v146, v133, v152
	v_bfe_u32 v146, v139, 20, 4
	v_lshrrev_b32_e32 v139, 28, v139
	s_delay_alu instid0(VALU_DEP_2) | instskip(NEXT) | instid1(VALU_DEP_2)
	v_mul_i32_i24_e32 v146, v132, v146
	v_mul_i32_i24_e32 v139, v131, v139
	s_delay_alu instid0(VALU_DEP_1) | instskip(SKIP_1) | instid1(VALU_DEP_1)
	v_add3_u32 v2, v2, v146, v139
	v_bfe_u32 v139, v170, 20, 4
	v_mul_i32_i24_e32 v132, v132, v139
	v_lshrrev_b32_e32 v139, 28, v170
	s_delay_alu instid0(VALU_DEP_1) | instskip(SKIP_1) | instid1(VALU_DEP_2)
	v_mul_i32_i24_e32 v131, v131, v139
	v_bfe_u32 v139, v3, 24, 4
	v_add3_u32 v131, v138, v132, v131
	v_bfe_u32 v132, v3, 4, 4
	v_bfe_u32 v138, v3, 12, 4
	s_delay_alu instid0(VALU_DEP_4) | instskip(NEXT) | instid1(VALU_DEP_3)
	v_mul_i32_i24_e32 v139, v118, v139
	v_mul_i32_i24_e32 v132, v125, v132
	s_delay_alu instid0(VALU_DEP_3) | instskip(NEXT) | instid1(VALU_DEP_1)
	v_mul_i32_i24_e32 v138, v136, v138
	v_add3_u32 v1, v1, v132, v138
	v_lshrrev_b32_e32 v132, 4, v175
	v_lshrrev_b32_e32 v138, 4, v176
	s_delay_alu instid0(VALU_DEP_2) | instskip(NEXT) | instid1(VALU_DEP_2)
	v_lshrrev_b16 v132, 8, v132
	v_lshrrev_b16 v138, 8, v138
	s_delay_alu instid0(VALU_DEP_2) | instskip(NEXT) | instid1(VALU_DEP_2)
	v_and_b32_e32 v132, 15, v132
	v_and_b32_e32 v138, 15, v138
	s_delay_alu instid0(VALU_DEP_2) | instskip(NEXT) | instid1(VALU_DEP_2)
	v_and_b32_e32 v132, 0xffff, v132
	v_and_b32_e32 v138, 0xffff, v138
	s_delay_alu instid0(VALU_DEP_2) | instskip(NEXT) | instid1(VALU_DEP_2)
	v_mul_i32_i24_e32 v132, v132, v129
	v_mul_i32_i24_e32 v138, v138, v130
	s_delay_alu instid0(VALU_DEP_1) | instskip(SKIP_1) | instid1(VALU_DEP_1)
	v_add3_u32 v132, v145, v132, v138
	v_bfe_u32 v138, v3, 16, 4
	v_mul_i32_i24_e32 v138, v119, v138
	s_delay_alu instid0(VALU_DEP_1) | instskip(SKIP_2) | instid1(VALU_DEP_2)
	v_add3_u32 v128, v128, v138, v139
	v_and_b32_e32 v138, 15, v140
	v_bfe_u32 v139, v140, 8, 4
	v_mul_i32_i24_e32 v138, v122, v138
	s_delay_alu instid0(VALU_DEP_2) | instskip(NEXT) | instid1(VALU_DEP_1)
	v_mul_i32_i24_e32 v139, v154, v139
	v_add3_u32 v138, v147, v139, v138
	v_and_b32_e32 v139, 15, v171
	s_delay_alu instid0(VALU_DEP_1) | instskip(SKIP_1) | instid1(VALU_DEP_1)
	v_mul_i32_i24_e32 v122, v122, v139
	v_bfe_u32 v139, v171, 8, 4
	v_mul_i32_i24_e32 v139, v154, v139
	s_delay_alu instid0(VALU_DEP_1) | instskip(SKIP_3) | instid1(VALU_DEP_2)
	v_add3_u32 v122, v126, v139, v122
	v_add3_u32 v126, v156, v157, v133
	v_bfe_u32 v133, v3, 20, 4
	v_lshrrev_b32_e32 v3, 28, v3
	v_mul_i32_i24_e32 v133, v123, v133
	s_delay_alu instid0(VALU_DEP_2) | instskip(NEXT) | instid1(VALU_DEP_1)
	v_mul_i32_i24_e32 v3, v121, v3
	v_add3_u32 v1, v1, v133, v3
	v_bfe_u32 v3, v140, 4, 4
	v_bfe_u32 v133, v140, 12, 4
	s_delay_alu instid0(VALU_DEP_2) | instskip(NEXT) | instid1(VALU_DEP_2)
	v_mul_i32_i24_e32 v3, v125, v3
	v_mul_i32_i24_e32 v133, v136, v133
	s_delay_alu instid0(VALU_DEP_1) | instskip(SKIP_1) | instid1(VALU_DEP_1)
	v_add3_u32 v2, v2, v3, v133
	v_bfe_u32 v3, v171, 4, 4
	v_mul_i32_i24_e32 v3, v125, v3
	v_bfe_u32 v125, v171, 12, 4
	s_delay_alu instid0(VALU_DEP_1) | instskip(NEXT) | instid1(VALU_DEP_1)
	v_mul_i32_i24_e32 v125, v136, v125
	v_add3_u32 v3, v131, v3, v125
	v_lshrrev_b32_e32 v125, 4, v177
	v_bfe_u32 v131, v140, 16, 4
	s_delay_alu instid0(VALU_DEP_2) | instskip(NEXT) | instid1(VALU_DEP_2)
	v_lshrrev_b16 v125, 8, v125
	v_mul_i32_i24_e32 v131, v119, v131
	s_delay_alu instid0(VALU_DEP_2) | instskip(NEXT) | instid1(VALU_DEP_1)
	v_and_b32_e32 v125, 15, v125
	v_and_b32_e32 v125, 0xffff, v125
	s_delay_alu instid0(VALU_DEP_1) | instskip(NEXT) | instid1(VALU_DEP_1)
	v_mul_i32_i24_e32 v125, v125, v124
	v_add3_u32 v125, v132, v125, v151
	v_bfe_u32 v132, v140, 24, 4
	s_delay_alu instid0(VALU_DEP_1) | instskip(NEXT) | instid1(VALU_DEP_1)
	v_mul_i32_i24_e32 v132, v118, v132
	v_add3_u32 v131, v138, v131, v132
	v_bfe_u32 v132, v171, 16, 4
	s_delay_alu instid0(VALU_DEP_1) | instskip(SKIP_1) | instid1(VALU_DEP_1)
	v_mul_i32_i24_e32 v119, v119, v132
	v_bfe_u32 v132, v171, 24, 4
	v_mul_i32_i24_e32 v118, v118, v132
	s_delay_alu instid0(VALU_DEP_1) | instskip(SKIP_2) | instid1(VALU_DEP_2)
	v_add3_u32 v118, v122, v119, v118
	v_and_b32_e32 v119, 15, v23
	v_bfe_u32 v122, v23, 8, 4
	v_mul_i32_i24_e32 v119, v115, v119
	s_delay_alu instid0(VALU_DEP_2) | instskip(NEXT) | instid1(VALU_DEP_1)
	v_mul_i32_i24_e32 v122, v179, v122
	v_add3_u32 v119, v128, v122, v119
	v_bfe_u32 v122, v140, 20, 4
	v_lshrrev_b32_e32 v128, 28, v140
	s_delay_alu instid0(VALU_DEP_2) | instskip(NEXT) | instid1(VALU_DEP_2)
	v_mul_i32_i24_e32 v122, v123, v122
	v_mul_i32_i24_e32 v128, v121, v128
	s_delay_alu instid0(VALU_DEP_1) | instskip(SKIP_2) | instid1(VALU_DEP_2)
	v_add3_u32 v2, v2, v122, v128
	v_bfe_u32 v122, v171, 20, 4
	v_lshrrev_b32_e32 v128, 28, v171
	v_mul_i32_i24_e32 v122, v123, v122
	s_delay_alu instid0(VALU_DEP_2) | instskip(SKIP_1) | instid1(VALU_DEP_2)
	v_mul_i32_i24_e32 v121, v121, v128
	v_bfe_u32 v123, v23, 24, 4
	v_add3_u32 v3, v3, v122, v121
	v_bfe_u32 v121, v23, 4, 4
	v_bfe_u32 v122, v23, 12, 4
	s_delay_alu instid0(VALU_DEP_4) | instskip(NEXT) | instid1(VALU_DEP_3)
	v_mul_i32_i24_e32 v123, v112, v123
	v_mul_i32_i24_e32 v121, v120, v121
	s_delay_alu instid0(VALU_DEP_3) | instskip(NEXT) | instid1(VALU_DEP_1)
	v_mul_i32_i24_e32 v122, v137, v122
	v_add3_u32 v1, v1, v121, v122
	v_bfe_u32 v122, v23, 16, 4
	v_add3_u32 v121, v155, v164, v125
	s_delay_alu instid0(VALU_DEP_2) | instskip(NEXT) | instid1(VALU_DEP_1)
	v_mul_i32_i24_e32 v122, v113, v122
	v_add3_u32 v119, v119, v122, v123
	s_wait_dscnt 0x1
	v_and_b32_e32 v122, 15, v141
	v_bfe_u32 v123, v141, 8, 4
	s_delay_alu instid0(VALU_DEP_2) | instskip(NEXT) | instid1(VALU_DEP_2)
	v_mul_i32_i24_e32 v122, v115, v122
	v_mul_i32_i24_e32 v123, v179, v123
	s_delay_alu instid0(VALU_DEP_1) | instskip(SKIP_1) | instid1(VALU_DEP_1)
	v_add3_u32 v122, v131, v123, v122
	v_and_b32_e32 v123, 15, v27
	v_mul_i32_i24_e32 v115, v115, v123
	v_bfe_u32 v123, v27, 8, 4
	s_delay_alu instid0(VALU_DEP_1) | instskip(NEXT) | instid1(VALU_DEP_1)
	v_mul_i32_i24_e32 v123, v179, v123
	v_add3_u32 v115, v118, v123, v115
	v_bfe_u32 v118, v23, 20, 4
	v_lshrrev_b32_e32 v23, 28, v23
	s_delay_alu instid0(VALU_DEP_2) | instskip(NEXT) | instid1(VALU_DEP_2)
	v_mul_i32_i24_e32 v118, v117, v118
	v_mul_i32_i24_e32 v23, v116, v23
	s_delay_alu instid0(VALU_DEP_1) | instskip(SKIP_2) | instid1(VALU_DEP_2)
	v_add3_u32 v1, v1, v118, v23
	v_bfe_u32 v23, v141, 4, 4
	v_bfe_u32 v118, v141, 12, 4
	v_mul_i32_i24_e32 v23, v120, v23
	s_delay_alu instid0(VALU_DEP_2) | instskip(NEXT) | instid1(VALU_DEP_1)
	v_mul_i32_i24_e32 v118, v137, v118
	v_add3_u32 v2, v2, v23, v118
	v_bfe_u32 v23, v27, 4, 4
	v_bfe_u32 v118, v27, 12, 4
	s_delay_alu instid0(VALU_DEP_2) | instskip(NEXT) | instid1(VALU_DEP_2)
	v_mul_i32_i24_e32 v23, v120, v23
	v_mul_i32_i24_e32 v118, v137, v118
	s_delay_alu instid0(VALU_DEP_1) | instskip(SKIP_2) | instid1(VALU_DEP_2)
	v_add3_u32 v3, v3, v23, v118
	v_bfe_u32 v23, v141, 16, 4
	v_bfe_u32 v118, v141, 24, 4
	v_mul_i32_i24_e32 v23, v113, v23
	s_delay_alu instid0(VALU_DEP_2) | instskip(NEXT) | instid1(VALU_DEP_1)
	v_mul_i32_i24_e32 v118, v112, v118
	v_add3_u32 v23, v122, v23, v118
	v_bfe_u32 v118, v27, 16, 4
	s_delay_alu instid0(VALU_DEP_1) | instskip(SKIP_1) | instid1(VALU_DEP_1)
	v_mul_i32_i24_e32 v113, v113, v118
	v_bfe_u32 v118, v27, 24, 4
	v_mul_i32_i24_e32 v112, v112, v118
	v_lshrrev_b32_e32 v118, 28, v141
	s_delay_alu instid0(VALU_DEP_2) | instskip(SKIP_2) | instid1(VALU_DEP_4)
	v_add3_u32 v112, v115, v113, v112
	v_and_b32_e32 v113, 15, v24
	v_bfe_u32 v115, v24, 8, 4
	v_mul_i32_i24_e32 v118, v116, v118
	s_delay_alu instid0(VALU_DEP_3) | instskip(NEXT) | instid1(VALU_DEP_3)
	v_mul_i32_i24_e32 v113, v109, v113
	v_mul_i32_i24_e32 v115, v134, v115
	s_delay_alu instid0(VALU_DEP_1) | instskip(SKIP_1) | instid1(VALU_DEP_1)
	v_add3_u32 v113, v119, v115, v113
	v_bfe_u32 v115, v141, 20, 4
	v_mul_i32_i24_e32 v115, v117, v115
	s_delay_alu instid0(VALU_DEP_1) | instskip(SKIP_2) | instid1(VALU_DEP_2)
	v_add3_u32 v2, v2, v115, v118
	v_bfe_u32 v115, v27, 20, 4
	v_lshrrev_b32_e32 v27, 28, v27
	v_mul_i32_i24_e32 v115, v117, v115
	s_delay_alu instid0(VALU_DEP_2) | instskip(NEXT) | instid1(VALU_DEP_1)
	v_mul_i32_i24_e32 v27, v116, v27
	v_add3_u32 v3, v3, v115, v27
	v_bfe_u32 v27, v24, 4, 4
	v_bfe_u32 v115, v24, 12, 4
	s_delay_alu instid0(VALU_DEP_2) | instskip(NEXT) | instid1(VALU_DEP_2)
	v_mul_i32_i24_e32 v27, v114, v27
	v_mul_i32_i24_e32 v115, v129, v115
	s_delay_alu instid0(VALU_DEP_1) | instskip(SKIP_2) | instid1(VALU_DEP_2)
	v_add3_u32 v1, v1, v27, v115
	v_bfe_u32 v27, v24, 16, 4
	v_bfe_u32 v115, v24, 24, 4
	v_mul_i32_i24_e32 v27, v107, v27
	s_delay_alu instid0(VALU_DEP_2) | instskip(NEXT) | instid1(VALU_DEP_1)
	v_mul_i32_i24_e32 v115, v106, v115
	v_add3_u32 v27, v113, v27, v115
	v_and_b32_e32 v113, 15, v142
	v_bfe_u32 v115, v142, 8, 4
	s_delay_alu instid0(VALU_DEP_2) | instskip(NEXT) | instid1(VALU_DEP_2)
	v_mul_i32_i24_e32 v113, v109, v113
	v_mul_i32_i24_e32 v115, v134, v115
	s_delay_alu instid0(VALU_DEP_1) | instskip(SKIP_1) | instid1(VALU_DEP_1)
	v_add3_u32 v23, v23, v115, v113
	v_and_b32_e32 v113, 15, v28
	v_mul_i32_i24_e32 v109, v109, v113
	v_bfe_u32 v113, v28, 8, 4
	s_delay_alu instid0(VALU_DEP_1) | instskip(NEXT) | instid1(VALU_DEP_1)
	v_mul_i32_i24_e32 v113, v134, v113
	v_add3_u32 v109, v112, v113, v109
	v_bfe_u32 v112, v24, 20, 4
	v_lshrrev_b32_e32 v24, 28, v24
	s_delay_alu instid0(VALU_DEP_2) | instskip(NEXT) | instid1(VALU_DEP_2)
	v_mul_i32_i24_e32 v112, v111, v112
	v_mul_i32_i24_e32 v24, v110, v24
	s_delay_alu instid0(VALU_DEP_1) | instskip(SKIP_2) | instid1(VALU_DEP_2)
	v_add3_u32 v24, v1, v112, v24
	v_bfe_u32 v1, v142, 4, 4
	v_bfe_u32 v112, v142, 12, 4
	v_mul_i32_i24_e32 v1, v114, v1
	s_delay_alu instid0(VALU_DEP_2) | instskip(NEXT) | instid1(VALU_DEP_1)
	v_mul_i32_i24_e32 v112, v129, v112
	v_add3_u32 v112, v2, v1, v112
	v_bfe_u32 v1, v28, 4, 4
	v_bfe_u32 v2, v28, 12, 4
	s_delay_alu instid0(VALU_DEP_2) | instskip(NEXT) | instid1(VALU_DEP_2)
	v_mul_i32_i24_e32 v1, v114, v1
	v_mul_i32_i24_e32 v2, v129, v2
	s_delay_alu instid0(VALU_DEP_1) | instskip(SKIP_2) | instid1(VALU_DEP_2)
	v_add3_u32 v3, v3, v1, v2
	v_bfe_u32 v1, v142, 16, 4
	v_bfe_u32 v2, v142, 24, 4
	v_mul_i32_i24_e32 v1, v107, v1
	s_delay_alu instid0(VALU_DEP_2) | instskip(NEXT) | instid1(VALU_DEP_1)
	v_mul_i32_i24_e32 v2, v106, v2
	v_add3_u32 v23, v23, v1, v2
	ds_load_2addr_b32 v[1:2], v94 offset0:6 offset1:7
	s_wait_dscnt 0x0
	v_and_b32_e32 v113, 15, v1
	v_bfe_u32 v114, v1, 8, 4
	s_delay_alu instid0(VALU_DEP_2) | instskip(NEXT) | instid1(VALU_DEP_2)
	v_mul_i32_i24_e32 v113, v103, v113
	v_mul_i32_i24_e32 v114, v135, v114
	s_delay_alu instid0(VALU_DEP_1) | instskip(SKIP_1) | instid1(VALU_DEP_1)
	v_add3_u32 v27, v27, v114, v113
	v_bfe_u32 v113, v28, 16, 4
	v_mul_i32_i24_e32 v107, v107, v113
	v_bfe_u32 v113, v28, 24, 4
	s_delay_alu instid0(VALU_DEP_1) | instskip(NEXT) | instid1(VALU_DEP_1)
	v_mul_i32_i24_e32 v106, v106, v113
	v_add3_u32 v106, v109, v107, v106
	v_bfe_u32 v107, v142, 20, 4
	v_lshrrev_b32_e32 v109, 28, v142
	s_delay_alu instid0(VALU_DEP_2) | instskip(NEXT) | instid1(VALU_DEP_2)
	v_mul_i32_i24_e32 v107, v111, v107
	v_mul_i32_i24_e32 v109, v110, v109
	s_delay_alu instid0(VALU_DEP_1) | instskip(SKIP_2) | instid1(VALU_DEP_2)
	v_add3_u32 v107, v112, v107, v109
	v_bfe_u32 v109, v1, 4, 4
	v_bfe_u32 v112, v1, 12, 4
	v_mul_i32_i24_e32 v109, v108, v109
	s_delay_alu instid0(VALU_DEP_2) | instskip(NEXT) | instid1(VALU_DEP_1)
	v_mul_i32_i24_e32 v112, v130, v112
	v_add3_u32 v109, v24, v109, v112
	v_bfe_u32 v24, v28, 20, 4
	v_lshrrev_b32_e32 v28, 28, v28
	s_delay_alu instid0(VALU_DEP_2) | instskip(NEXT) | instid1(VALU_DEP_2)
	v_mul_i32_i24_e32 v24, v111, v24
	v_mul_i32_i24_e32 v28, v110, v28
	s_delay_alu instid0(VALU_DEP_1) | instskip(SKIP_2) | instid1(VALU_DEP_2)
	v_add3_u32 v3, v3, v24, v28
	v_bfe_u32 v24, v1, 16, 4
	v_bfe_u32 v28, v1, 24, 4
	v_mul_i32_i24_e32 v24, v101, v24
	s_delay_alu instid0(VALU_DEP_2) | instskip(NEXT) | instid1(VALU_DEP_1)
	v_mul_i32_i24_e32 v28, v100, v28
	v_add3_u32 v27, v27, v24, v28
	v_and_b32_e32 v24, 15, v143
	v_bfe_u32 v28, v143, 8, 4
	s_delay_alu instid0(VALU_DEP_2) | instskip(NEXT) | instid1(VALU_DEP_2)
	v_mul_i32_i24_e32 v24, v103, v24
	v_mul_i32_i24_e32 v28, v135, v28
	s_delay_alu instid0(VALU_DEP_1)
	v_add3_u32 v28, v23, v28, v24
	v_add_nc_u32_e32 v23, 0x2118, v94
	v_add_nc_u32_e32 v94, 32, v94
	ds_load_2addr_b32 v[23:24], v23 offset1:1
	s_wait_dscnt 0x0
	v_and_b32_e32 v110, 15, v23
	s_delay_alu instid0(VALU_DEP_1) | instskip(SKIP_1) | instid1(VALU_DEP_1)
	v_mul_i32_i24_e32 v103, v103, v110
	v_bfe_u32 v110, v23, 8, 4
	v_mul_i32_i24_e32 v110, v135, v110
	s_delay_alu instid0(VALU_DEP_1) | instskip(SKIP_2) | instid1(VALU_DEP_2)
	v_add3_u32 v103, v106, v110, v103
	v_bfe_u32 v106, v1, 20, 4
	v_lshrrev_b32_e32 v1, 28, v1
	v_mul_i32_i24_e32 v106, v105, v106
	s_delay_alu instid0(VALU_DEP_2) | instskip(NEXT) | instid1(VALU_DEP_1)
	v_mul_i32_i24_e32 v1, v104, v1
	v_add3_u32 v1, v109, v106, v1
	v_bfe_u32 v106, v143, 4, 4
	v_bfe_u32 v109, v143, 12, 4
	s_delay_alu instid0(VALU_DEP_2) | instskip(NEXT) | instid1(VALU_DEP_2)
	v_mul_i32_i24_e32 v106, v108, v106
	v_mul_i32_i24_e32 v109, v130, v109
	s_delay_alu instid0(VALU_DEP_1) | instskip(SKIP_1) | instid1(VALU_DEP_1)
	v_add3_u32 v106, v107, v106, v109
	v_bfe_u32 v107, v23, 4, 4
	v_mul_i32_i24_e32 v107, v108, v107
	v_bfe_u32 v108, v23, 12, 4
	s_delay_alu instid0(VALU_DEP_1) | instskip(NEXT) | instid1(VALU_DEP_1)
	v_mul_i32_i24_e32 v108, v130, v108
	v_add3_u32 v3, v3, v107, v108
	v_bfe_u32 v107, v143, 16, 4
	v_bfe_u32 v108, v143, 24, 4
	s_delay_alu instid0(VALU_DEP_2) | instskip(NEXT) | instid1(VALU_DEP_2)
	v_mul_i32_i24_e32 v107, v101, v107
	v_mul_i32_i24_e32 v108, v100, v108
	s_delay_alu instid0(VALU_DEP_1) | instskip(SKIP_2) | instid1(VALU_DEP_2)
	v_add3_u32 v28, v28, v107, v108
	v_and_b32_e32 v107, 15, v2
	v_bfe_u32 v108, v2, 8, 4
	v_mul_i32_i24_e32 v107, v99, v107
	s_delay_alu instid0(VALU_DEP_2) | instskip(NEXT) | instid1(VALU_DEP_1)
	v_mul_i32_i24_e32 v108, v127, v108
	v_add3_u32 v27, v27, v108, v107
	v_bfe_u32 v107, v23, 16, 4
	s_delay_alu instid0(VALU_DEP_1) | instskip(SKIP_1) | instid1(VALU_DEP_1)
	v_mul_i32_i24_e32 v101, v101, v107
	v_bfe_u32 v107, v23, 24, 4
	v_mul_i32_i24_e32 v100, v100, v107
	s_delay_alu instid0(VALU_DEP_1) | instskip(SKIP_2) | instid1(VALU_DEP_2)
	v_add3_u32 v100, v103, v101, v100
	v_bfe_u32 v101, v143, 20, 4
	v_lshrrev_b32_e32 v103, 28, v143
	v_mul_i32_i24_e32 v101, v105, v101
	s_delay_alu instid0(VALU_DEP_2) | instskip(NEXT) | instid1(VALU_DEP_1)
	v_mul_i32_i24_e32 v103, v104, v103
	v_add3_u32 v101, v106, v101, v103
	v_bfe_u32 v103, v2, 4, 4
	v_bfe_u32 v106, v2, 12, 4
	s_delay_alu instid0(VALU_DEP_2) | instskip(NEXT) | instid1(VALU_DEP_2)
	v_mul_i32_i24_e32 v103, v102, v103
	v_mul_i32_i24_e32 v106, v124, v106
	s_delay_alu instid0(VALU_DEP_1) | instskip(SKIP_2) | instid1(VALU_DEP_2)
	v_add3_u32 v1, v1, v103, v106
	v_bfe_u32 v103, v23, 20, 4
	v_lshrrev_b32_e32 v23, 28, v23
	v_mul_i32_i24_e32 v103, v105, v103
	s_delay_alu instid0(VALU_DEP_2) | instskip(SKIP_2) | instid1(VALU_DEP_3)
	v_mul_i32_i24_e32 v23, v104, v23
	v_cvt_f32_ubyte1_e32 v104, v162
	v_cvt_f32_ubyte1_e32 v105, v160
	v_add3_u32 v3, v3, v103, v23
	v_bfe_u32 v23, v2, 16, 4
	v_bfe_u32 v103, v2, 24, 4
	s_delay_alu instid0(VALU_DEP_2) | instskip(NEXT) | instid1(VALU_DEP_2)
	v_mul_i32_i24_e32 v23, v96, v23
	v_mul_i32_i24_e32 v103, v95, v103
	s_delay_alu instid0(VALU_DEP_1) | instskip(SKIP_2) | instid1(VALU_DEP_2)
	v_add3_u32 v23, v27, v23, v103
	v_and_b32_e32 v27, 15, v144
	v_bfe_u32 v103, v144, 8, 4
	v_mul_i32_i24_e32 v27, v99, v27
	s_delay_alu instid0(VALU_DEP_2) | instskip(NEXT) | instid1(VALU_DEP_1)
	v_mul_i32_i24_e32 v103, v127, v103
	v_add3_u32 v27, v28, v103, v27
	v_and_b32_e32 v28, 15, v24
	s_delay_alu instid0(VALU_DEP_1) | instskip(SKIP_1) | instid1(VALU_DEP_1)
	v_mul_i32_i24_e32 v28, v99, v28
	v_bfe_u32 v99, v24, 8, 4
	v_mul_i32_i24_e32 v99, v127, v99
	s_delay_alu instid0(VALU_DEP_1) | instskip(SKIP_3) | instid1(VALU_DEP_3)
	v_add3_u32 v28, v100, v99, v28
	v_bfe_u32 v99, v2, 20, 4
	v_lshrrev_b32_e32 v2, 28, v2
	v_bfe_u32 v100, v24, 12, 4
	v_mul_i32_i24_e32 v99, v98, v99
	s_delay_alu instid0(VALU_DEP_3) | instskip(NEXT) | instid1(VALU_DEP_3)
	v_mul_i32_i24_e32 v2, v97, v2
	v_mul_i32_i24_e32 v100, v124, v100
	s_delay_alu instid0(VALU_DEP_2) | instskip(SKIP_2) | instid1(VALU_DEP_2)
	v_add3_u32 v1, v1, v99, v2
	v_bfe_u32 v2, v144, 4, 4
	v_bfe_u32 v99, v144, 12, 4
	v_mul_i32_i24_e32 v2, v102, v2
	s_delay_alu instid0(VALU_DEP_2) | instskip(NEXT) | instid1(VALU_DEP_1)
	v_mul_i32_i24_e32 v99, v124, v99
	v_add3_u32 v2, v101, v2, v99
	v_bfe_u32 v99, v24, 4, 4
	s_delay_alu instid0(VALU_DEP_1) | instskip(SKIP_1) | instid1(VALU_DEP_2)
	v_mul_i32_i24_e32 v99, v102, v99
	v_bfe_u32 v102, v24, 20, 4
	v_add3_u32 v3, v3, v99, v100
	v_bfe_u32 v99, v144, 16, 4
	v_bfe_u32 v100, v144, 24, 4
	s_delay_alu instid0(VALU_DEP_2) | instskip(NEXT) | instid1(VALU_DEP_2)
	v_mul_i32_i24_e32 v99, v96, v99
	v_mul_i32_i24_e32 v100, v95, v100
	s_delay_alu instid0(VALU_DEP_1) | instskip(SKIP_1) | instid1(VALU_DEP_1)
	v_add3_u32 v27, v27, v99, v100
	v_bfe_u32 v99, v24, 16, 4
	v_mul_i32_i24_e32 v96, v96, v99
	v_bfe_u32 v99, v24, 24, 4
	v_lshrrev_b32_e32 v24, 28, v24
	s_delay_alu instid0(VALU_DEP_2) | instskip(SKIP_1) | instid1(VALU_DEP_3)
	v_mul_i32_i24_e32 v95, v95, v99
	v_lshrrev_b32_e32 v99, 28, v144
	v_mul_i32_i24_e32 v24, v97, v24
	s_delay_alu instid0(VALU_DEP_3) | instskip(SKIP_4) | instid1(VALU_DEP_4)
	v_add3_u32 v28, v28, v96, v95
	v_lshl_or_b32 v95, v65, 2, 0x4200
	v_bfe_u32 v96, v144, 20, 4
	v_mul_i32_i24_e32 v99, v97, v99
	v_cvt_f32_ubyte0_e32 v97, v162
	v_add3_u32 v95, v95, s21, v159
	s_delay_alu instid0(VALU_DEP_4)
	v_mul_i32_i24_e32 v96, v98, v96
	v_mul_i32_i24_e32 v98, v98, v102
	v_cvt_f32_ubyte0_e32 v102, v0
	v_cvt_f32_ubyte1_e32 v0, v0
	v_fma_mix_f32 v97, v25, v97, 0 op_sel:[1,0,0] op_sel_hi:[1,0,0]
	v_add3_u32 v2, v2, v96, v99
	ds_load_u16 v96, v95 offset:8
	ds_load_u16 v99, v163 offset:17920
	;; [unrolled: 1-line block ×4, first 2 shown]
	ds_load_u16 v95, v95
	v_fma_mix_f32 v102, v25, v102, 0 op_sel:[1,0,0] op_sel_hi:[1,0,0]
	v_add3_u32 v3, v3, v98, v24
	v_fma_mix_f32 v97, v26, v104, v97 op_sel:[1,0,0] op_sel_hi:[1,0,0]
	s_add_co_i32 s21, s20, 8
	s_add_co_i32 s20, s20, 16
	v_fma_mix_f32 v0, v26, v0, v102 op_sel:[1,0,0] op_sel_hi:[1,0,0]
	s_wait_alu 0xfffe
	s_cmp_lt_u32 s20, 24
	v_mul_f32_e32 v97, v97, v92
	s_mov_b32 s20, s21
	v_mul_f32_e32 v0, v0, v91
	s_wait_dscnt 0x4
	v_cvt_f32_ubyte0_e32 v103, v96
	v_cvt_f32_ubyte1_e32 v96, v96
	s_wait_dscnt 0x2
	v_and_b32_e32 v102, 0xff, v100
	v_lshrrev_b16 v100, 8, v100
	s_wait_dscnt 0x0
	v_and_b32_e32 v104, 0xff, v95
	v_fma_mix_f32 v103, v25, v103, 0 op_sel:[1,0,0] op_sel_hi:[1,0,0]
	v_lshrrev_b16 v95, 8, v95
	v_lshrrev_b16 v106, 8, v99
	v_and_b32_e32 v99, 0xff, v99
	v_mul_lo_u32 v102, v126, v102
	v_fma_mix_f32 v96, v26, v96, v103 op_sel:[1,0,0] op_sel_hi:[1,0,0]
	v_cvt_f32_ubyte0_e32 v103, v160
	v_and_b32_e32 v100, 0xffff, v100
	v_and_b32_e32 v95, 0xffff, v95
	;; [unrolled: 1-line block ×3, first 2 shown]
	v_mul_lo_u32 v23, v23, v104
	v_fma_mix_f32 v103, v103, v25, 0 op_sel:[0,1,0] op_sel_hi:[0,1,0]
	v_mul_lo_u32 v100, v121, v100
	v_mul_lo_u32 v1, v1, v95
	;; [unrolled: 1-line block ×3, first 2 shown]
	v_cvt_f32_i32_e32 v102, v102
	v_fma_mix_f32 v103, v105, v26, v103 op_sel:[0,1,0] op_sel_hi:[0,1,0]
	v_and_b32_e32 v105, 0xff, v101
	v_lshrrev_b16 v101, 8, v101
	v_cvt_f32_i32_e32 v23, v23
	v_cvt_f32_i32_e32 v100, v100
	v_fma_mix_f32 v102, v102, v25, 0 op_sel_hi:[0,1,0]
	v_mul_lo_u32 v24, v27, v105
	v_and_b32_e32 v101, 0xffff, v101
	v_mul_lo_u32 v27, v28, v99
	v_cvt_f32_i32_e32 v1, v1
	v_cvt_f32_i32_e32 v3, v3
	v_fma_mix_f32 v23, v25, v23, 0 op_sel_hi:[1,0,0]
	v_mul_lo_u32 v2, v2, v101
	v_mul_f32_e32 v96, v96, v90
	v_cvt_f32_i32_e32 v24, v24
	v_fma_mix_f32 v28, v100, v26, v102 op_sel_hi:[0,1,0]
	v_cvt_f32_i32_e32 v27, v27
	v_fma_mix_f32 v1, v26, v1, v23 op_sel_hi:[1,0,0]
	s_delay_alu instid0(VALU_DEP_4) | instskip(SKIP_1) | instid1(VALU_DEP_4)
	v_fma_mix_f32 v24, v25, v24, 0 op_sel_hi:[1,0,0]
	v_cvt_f32_i32_e32 v2, v2
	v_fma_mix_f32 v25, v25, v27, 0 op_sel_hi:[1,0,0]
	v_mul_f32_e32 v27, v103, v93
	v_fma_f32 v1, v1, v31, -v96
	s_delay_alu instid0(VALU_DEP_4) | instskip(NEXT) | instid1(VALU_DEP_4)
	v_fma_mix_f32 v2, v26, v2, v24 op_sel_hi:[1,0,0]
	v_fma_mix_f32 v3, v26, v3, v25 op_sel_hi:[1,0,0]
	s_delay_alu instid0(VALU_DEP_4) | instskip(NEXT) | instid1(VALU_DEP_4)
	v_fma_f32 v23, v28, v89, -v27
	v_add_f32_e32 v35, v35, v1
	s_delay_alu instid0(VALU_DEP_4) | instskip(NEXT) | instid1(VALU_DEP_4)
	v_fma_f32 v0, v2, v32, -v0
	v_fma_f32 v2, v3, v88, -v97
	s_delay_alu instid0(VALU_DEP_2) | instskip(NEXT) | instid1(VALU_DEP_2)
	v_dual_add_f32 v20, v20, v23 :: v_dual_add_f32 v67, v67, v0
	v_add_f32_e32 v61, v61, v2
	s_cbranch_scc1 .LBB212_19
; %bb.20:                               ;   in Loop: Header=BB212_5 Depth=1
	s_wait_loadcnt 0x0
	s_barrier_signal -1
	s_barrier_wait -1
	global_inv scope:SCOPE_SE
	s_branch .LBB212_4
.LBB212_21:
	s_mul_i32 s0, s10, s7
	s_wait_loadcnt 0x0
	s_wait_alu 0xfffe
	v_cmp_gt_i32_e32 vcc_lo, s0, v33
	s_and_saveexec_b32 s0, vcc_lo
	s_cbranch_execz .LBB212_30
; %bb.22:
	v_mul_lo_u32 v0, v33, s9
	v_add_nc_u32_e32 v1, s11, v34
	s_mov_b32 s0, exec_lo
	s_delay_alu instid0(VALU_DEP_1)
	v_cmpx_gt_u32_e64 s9, v1
	s_cbranch_execz .LBB212_24
; %bb.23:
	s_delay_alu instid0(VALU_DEP_3) | instskip(SKIP_1) | instid1(VALU_DEP_2)
	v_dual_mov_b32 v3, 0 :: v_dual_add_nc_u32 v2, v0, v1
	v_cvt_f16_f32_e32 v4, v35
	v_lshlrev_b64_e32 v[2:3], 1, v[2:3]
	s_delay_alu instid0(VALU_DEP_1) | instskip(SKIP_1) | instid1(VALU_DEP_2)
	v_add_co_u32 v2, vcc_lo, s12, v2
	s_wait_alu 0xfffd
	v_add_co_ci_u32_e64 v3, null, s13, v3, vcc_lo
	global_store_b16 v[2:3], v4, off
.LBB212_24:
	s_wait_alu 0xfffe
	s_or_b32 exec_lo, exec_lo, s0
	v_add_nc_u32_e32 v2, 32, v1
	s_mov_b32 s0, exec_lo
	s_delay_alu instid0(VALU_DEP_1)
	v_cmpx_gt_u32_e64 s9, v2
	s_cbranch_execz .LBB212_26
; %bb.25:
	v_dual_mov_b32 v3, 0 :: v_dual_add_nc_u32 v2, v0, v2
	v_cvt_f16_f32_e32 v4, v67
	s_delay_alu instid0(VALU_DEP_2) | instskip(NEXT) | instid1(VALU_DEP_1)
	v_lshlrev_b64_e32 v[2:3], 1, v[2:3]
	v_add_co_u32 v2, vcc_lo, s12, v2
	s_wait_alu 0xfffd
	s_delay_alu instid0(VALU_DEP_2)
	v_add_co_ci_u32_e64 v3, null, s13, v3, vcc_lo
	global_store_b16 v[2:3], v4, off
.LBB212_26:
	s_wait_alu 0xfffe
	s_or_b32 exec_lo, exec_lo, s0
	v_add_nc_u32_e32 v2, 64, v1
	s_mov_b32 s0, exec_lo
	s_delay_alu instid0(VALU_DEP_1)
	v_cmpx_gt_u32_e64 s9, v2
	s_cbranch_execz .LBB212_28
; %bb.27:
	v_dual_mov_b32 v3, 0 :: v_dual_add_nc_u32 v2, v0, v2
	v_cvt_f16_f32_e32 v4, v61
	s_delay_alu instid0(VALU_DEP_2) | instskip(NEXT) | instid1(VALU_DEP_1)
	v_lshlrev_b64_e32 v[2:3], 1, v[2:3]
	v_add_co_u32 v2, vcc_lo, s12, v2
	s_wait_alu 0xfffd
	s_delay_alu instid0(VALU_DEP_2)
	v_add_co_ci_u32_e64 v3, null, s13, v3, vcc_lo
	global_store_b16 v[2:3], v4, off
.LBB212_28:
	s_wait_alu 0xfffe
	s_or_b32 exec_lo, exec_lo, s0
	v_add_nc_u32_e32 v1, 0x60, v1
	s_delay_alu instid0(VALU_DEP_1)
	v_cmp_gt_u32_e32 vcc_lo, s9, v1
	s_and_b32 exec_lo, exec_lo, vcc_lo
	s_cbranch_execz .LBB212_30
; %bb.29:
	v_dual_mov_b32 v1, 0 :: v_dual_add_nc_u32 v0, v0, v1
	v_cvt_f16_f32_e32 v2, v20
	s_delay_alu instid0(VALU_DEP_2) | instskip(NEXT) | instid1(VALU_DEP_1)
	v_lshlrev_b64_e32 v[0:1], 1, v[0:1]
	v_add_co_u32 v0, vcc_lo, s12, v0
	s_wait_alu 0xfffd
	s_delay_alu instid0(VALU_DEP_2)
	v_add_co_ci_u32_e64 v1, null, s13, v1, vcc_lo
	global_store_b16 v[0:1], v2, off
.LBB212_30:
	s_nop 0
	s_sendmsg sendmsg(MSG_DEALLOC_VGPRS)
	s_endpgm
	.section	.rodata,"a",@progbits
	.p2align	6, 0x0
	.amdhsa_kernel _ZL8moe_q4_KIN3c104HalfELb1EEvPKvS3_PT_PKiS7_S7_iiiiiii
		.amdhsa_group_segment_fixed_size 20688
		.amdhsa_private_segment_fixed_size 0
		.amdhsa_kernarg_size 76
		.amdhsa_user_sgpr_count 2
		.amdhsa_user_sgpr_dispatch_ptr 0
		.amdhsa_user_sgpr_queue_ptr 0
		.amdhsa_user_sgpr_kernarg_segment_ptr 1
		.amdhsa_user_sgpr_dispatch_id 0
		.amdhsa_user_sgpr_private_segment_size 0
		.amdhsa_wavefront_size32 1
		.amdhsa_uses_dynamic_stack 0
		.amdhsa_enable_private_segment 0
		.amdhsa_system_sgpr_workgroup_id_x 1
		.amdhsa_system_sgpr_workgroup_id_y 1
		.amdhsa_system_sgpr_workgroup_id_z 0
		.amdhsa_system_sgpr_workgroup_info 0
		.amdhsa_system_vgpr_workitem_id 1
		.amdhsa_next_free_vgpr 187
		.amdhsa_next_free_sgpr 24
		.amdhsa_reserve_vcc 1
		.amdhsa_float_round_mode_32 0
		.amdhsa_float_round_mode_16_64 0
		.amdhsa_float_denorm_mode_32 3
		.amdhsa_float_denorm_mode_16_64 3
		.amdhsa_fp16_overflow 0
		.amdhsa_workgroup_processor_mode 1
		.amdhsa_memory_ordered 1
		.amdhsa_forward_progress 1
		.amdhsa_inst_pref_size 130
		.amdhsa_round_robin_scheduling 0
		.amdhsa_exception_fp_ieee_invalid_op 0
		.amdhsa_exception_fp_denorm_src 0
		.amdhsa_exception_fp_ieee_div_zero 0
		.amdhsa_exception_fp_ieee_overflow 0
		.amdhsa_exception_fp_ieee_underflow 0
		.amdhsa_exception_fp_ieee_inexact 0
		.amdhsa_exception_int_div_zero 0
	.end_amdhsa_kernel
	.section	.text._ZL8moe_q4_KIN3c104HalfELb1EEvPKvS3_PT_PKiS7_S7_iiiiiii,"axG",@progbits,_ZL8moe_q4_KIN3c104HalfELb1EEvPKvS3_PT_PKiS7_S7_iiiiiii,comdat
.Lfunc_end212:
	.size	_ZL8moe_q4_KIN3c104HalfELb1EEvPKvS3_PT_PKiS7_S7_iiiiiii, .Lfunc_end212-_ZL8moe_q4_KIN3c104HalfELb1EEvPKvS3_PT_PKiS7_S7_iiiiiii
                                        ; -- End function
	.set _ZL8moe_q4_KIN3c104HalfELb1EEvPKvS3_PT_PKiS7_S7_iiiiiii.num_vgpr, 187
	.set _ZL8moe_q4_KIN3c104HalfELb1EEvPKvS3_PT_PKiS7_S7_iiiiiii.num_agpr, 0
	.set _ZL8moe_q4_KIN3c104HalfELb1EEvPKvS3_PT_PKiS7_S7_iiiiiii.numbered_sgpr, 24
	.set _ZL8moe_q4_KIN3c104HalfELb1EEvPKvS3_PT_PKiS7_S7_iiiiiii.num_named_barrier, 0
	.set _ZL8moe_q4_KIN3c104HalfELb1EEvPKvS3_PT_PKiS7_S7_iiiiiii.private_seg_size, 0
	.set _ZL8moe_q4_KIN3c104HalfELb1EEvPKvS3_PT_PKiS7_S7_iiiiiii.uses_vcc, 1
	.set _ZL8moe_q4_KIN3c104HalfELb1EEvPKvS3_PT_PKiS7_S7_iiiiiii.uses_flat_scratch, 0
	.set _ZL8moe_q4_KIN3c104HalfELb1EEvPKvS3_PT_PKiS7_S7_iiiiiii.has_dyn_sized_stack, 0
	.set _ZL8moe_q4_KIN3c104HalfELb1EEvPKvS3_PT_PKiS7_S7_iiiiiii.has_recursion, 0
	.set _ZL8moe_q4_KIN3c104HalfELb1EEvPKvS3_PT_PKiS7_S7_iiiiiii.has_indirect_call, 0
	.section	.AMDGPU.csdata,"",@progbits
; Kernel info:
; codeLenInByte = 16632
; TotalNumSgprs: 26
; NumVgprs: 187
; ScratchSize: 0
; MemoryBound: 0
; FloatMode: 240
; IeeeMode: 1
; LDSByteSize: 20688 bytes/workgroup (compile time only)
; SGPRBlocks: 0
; VGPRBlocks: 23
; NumSGPRsForWavesPerEU: 26
; NumVGPRsForWavesPerEU: 187
; Occupancy: 8
; WaveLimiterHint : 1
; COMPUTE_PGM_RSRC2:SCRATCH_EN: 0
; COMPUTE_PGM_RSRC2:USER_SGPR: 2
; COMPUTE_PGM_RSRC2:TRAP_HANDLER: 0
; COMPUTE_PGM_RSRC2:TGID_X_EN: 1
; COMPUTE_PGM_RSRC2:TGID_Y_EN: 1
; COMPUTE_PGM_RSRC2:TGID_Z_EN: 0
; COMPUTE_PGM_RSRC2:TIDIG_COMP_CNT: 1
	.section	.text._ZL8moe_q5_KIN3c104HalfELb0EEvPKvS3_PT_PKiS7_S7_iiiiiii,"axG",@progbits,_ZL8moe_q5_KIN3c104HalfELb0EEvPKvS3_PT_PKiS7_S7_iiiiiii,comdat
	.globl	_ZL8moe_q5_KIN3c104HalfELb0EEvPKvS3_PT_PKiS7_S7_iiiiiii ; -- Begin function _ZL8moe_q5_KIN3c104HalfELb0EEvPKvS3_PT_PKiS7_S7_iiiiiii
	.p2align	8
	.type	_ZL8moe_q5_KIN3c104HalfELb0EEvPKvS3_PT_PKiS7_S7_iiiiiii,@function
_ZL8moe_q5_KIN3c104HalfELb0EEvPKvS3_PT_PKiS7_S7_iiiiiii: ; @_ZL8moe_q5_KIN3c104HalfELb0EEvPKvS3_PT_PKiS7_S7_iiiiiii
; %bb.0:
	s_load_b128 s[4:7], s[0:1], 0x18
	s_mov_b32 s2, ttmp7
	s_mov_b32 s3, 0
	s_delay_alu instid0(SALU_CYCLE_1)
	s_lshl_b64 s[2:3], s[2:3], 2
	s_wait_kmcnt 0x0
	s_add_nc_u64 s[2:3], s[6:7], s[2:3]
	s_load_b32 s12, s[2:3], 0x0
	s_wait_kmcnt 0x0
	s_cmp_gt_u32 s12, 0xff
	s_cbranch_scc1 .LBB213_30
; %bb.1:
	s_load_b64 s[2:3], s[0:1], 0x28
	s_wait_kmcnt 0x0
	s_load_b32 s3, s[2:3], 0x0
	s_lshl_b32 s2, ttmp7, 3
	s_wait_kmcnt 0x0
	s_cmp_gt_u32 s2, s3
	s_cbranch_scc1 .LBB213_30
; %bb.2:
	v_bfe_u32 v39, v0, 10, 10
	v_mov_b32_e32 v2, 0
	s_lshl_b32 s18, ttmp9, 7
	s_delay_alu instid0(VALU_DEP_1) | instskip(SKIP_2) | instid1(VALU_DEP_3)
	v_dual_mov_b32 v42, v2 :: v_dual_add_nc_u32 v1, s2, v39
	v_mov_b32_e32 v5, v2
	v_mov_b32_e32 v35, v2
	v_lshlrev_b64_e32 v[3:4], 2, v[1:2]
	s_delay_alu instid0(VALU_DEP_1) | instskip(NEXT) | instid1(VALU_DEP_1)
	v_add_co_u32 v3, vcc_lo, s4, v3
	v_add_co_ci_u32_e64 v4, null, s5, v4, vcc_lo
	global_load_b32 v3, v[3:4], off
	s_clause 0x2
	s_load_b64 s[10:11], s[0:1], 0x30
	s_load_b64 s[8:9], s[0:1], 0x10
	s_load_b128 s[4:7], s[0:1], 0x3c
	v_and_b32_e32 v4, 0x3ff, v0
	s_wait_kmcnt 0x0
	s_cmp_lt_i32 s11, 0x100
	s_cbranch_scc1 .LBB213_21
; %bb.3:
	s_ashr_i32 s2, s11, 31
	s_mul_i32 s12, s12, s10
	s_wait_alu 0xfffe
	s_lshr_b32 s2, s2, 24
	s_abs_i32 s10, s7
	s_wait_alu 0xfffe
	s_add_co_i32 s13, s11, s2
	s_cvt_f32_u32 s15, s10
	s_ashr_i32 s19, s13, 8
	s_load_b128 s[0:3], s[0:1], 0x0
	s_lshl_b32 s16, s19, 3
	v_dual_mov_b32 v5, 0 :: v_dual_lshlrev_b32 v2, 2, v4
	v_mad_i32_i24 v6, s19, v39, s16
	v_and_b32_e32 v16, 7, v0
	v_lshlrev_b32_e32 v9, 5, v39
	v_and_b32_e32 v31, 3, v0
	v_rcp_iflag_f32_e32 v29, s15
	v_lshlrev_b32_e32 v22, 3, v4
	v_lshlrev_b32_e32 v23, 2, v16
	v_add_nc_u32_e32 v24, v9, v4
	v_add_nc_u32_e32 v27, 0xfe, v31
	v_and_b32_e32 v28, 4, v2
	v_cmp_lt_u32_e32 vcc_lo, 1, v31
	v_add_nc_u32_e32 v8, s16, v6
	v_bfe_u32 v1, v0, 2, 8
	v_lshlrev_b32_e32 v18, 3, v39
	s_ashr_i32 s13, s5, 31
	v_mul_u32_u24_e32 v25, 0x41, v39
	v_and_or_b32 v30, 0xc0, v22, v23
	v_lshrrev_b32_e32 v34, 3, v24
	v_and_b32_e32 v35, 0xff, v27
	s_wait_alu 0xfffd
	v_cndmask_b32_e32 v23, 0, v28, vcc_lo
	v_add_nc_u32_e32 v10, s16, v8
	v_cndmask_b32_e64 v42, 0, 1, vcc_lo
	v_cmp_gt_u32_e32 vcc_lo, 2, v31
	v_readfirstlane_b32 s17, v29
	s_lshr_b32 s14, s13, 27
	v_add_nc_u32_e32 v26, v1, v18
	s_wait_alu 0xfffe
	s_add_co_i32 s5, s5, s14
	s_mul_i32 s14, s19, s18
	v_add_nc_u32_e32 v11, s16, v10
	v_lshl_add_u32 v25, v25, 2, v30
	v_and_b32_e32 v30, 12, v34
	s_wait_alu 0xfffd
	v_cndmask_b32_e32 v34, v35, v31, vcc_lo
	v_cmp_ne_u32_e32 vcc_lo, 0, v31
	s_ashr_i32 s13, s12, 31
	s_wait_alu 0xfffe
	s_ashr_i32 s15, s14, 31
	s_mul_f32 s17, s17, 0x4f7ffffe
	v_and_b32_e32 v36, 0x7f, v26
	s_wait_alu 0xfffe
	s_mul_u64 s[14:15], s[14:15], 0xb0
	s_wait_kmcnt 0x0
	s_add_nc_u64 s[0:1], s[0:1], s[12:13]
	v_lshlrev_b32_e32 v33, 2, v31
	s_wait_alu 0xfffd
	v_add_co_ci_u32_e64 v52, null, 0, v34, vcc_lo
	v_lshlrev_b32_e32 v31, 1, v34
	s_wait_alu 0xfffe
	s_add_nc_u64 s[12:13], s[0:1], s[14:15]
	s_wait_loadcnt 0x0
	v_sub_nc_u32_e32 v34, 0, v3
	s_cvt_u32_f32 s0, s17
	s_sub_co_i32 s1, 0, s10
	v_xor_b32_e32 v37, 64, v36
	v_and_b32_e32 v15, 6, v1
	s_mul_i32 s1, s1, s0
	v_max_i32_e32 v41, v3, v34
	s_mul_hi_u32 s1, s0, s1
	v_lshrrev_b32_e32 v38, 1, v37
	s_add_co_i32 s0, s0, s1
	v_add_nc_u16 v1, v1, v18
	v_mul_hi_u32 v44, v41, s0
	v_lshl_or_b32 v43, v37, 4, v33
	v_and_b32_e32 v38, 60, v38
	v_and_b32_e32 v40, 31, v0
	v_lshrrev_b16 v1, 1, v1
	v_lshl_or_b32 v35, v36, 4, v33
	v_mul_i32_i24_e32 v33, s19, v36
	v_mul_i32_i24_e32 v36, s19, v37
	v_add3_u32 v37, v43, v38, 0x8200
	v_mul_lo_u32 v43, v44, s10
	v_add_nc_u32_e32 v13, s16, v11
	v_bfe_u32 v7, v0, 5, 5
	v_and_b32_e32 v1, 60, v1
	v_lshlrev_b32_e32 v40, 2, v40
	v_dual_mov_b32 v42, 0 :: v_dual_lshlrev_b32 v53, 2, v42
	v_add_nc_u32_e32 v16, s16, v13
	v_mul_i32_i24_e32 v19, s19, v39
	v_add3_u32 v34, v35, v1, 0x8200
	v_lshl_or_b32 v1, v39, 7, v40
	v_lshlrev_b32_e32 v45, 2, v7
	v_lshlrev_b32_e32 v54, 4, v39
	v_bfe_u32 v39, v0, 3, 7
	v_sub_nc_u32_e32 v0, v41, v43
	v_add_nc_u32_e32 v17, s16, v16
	v_add3_u32 v41, v45, v2, 0x8e40
	v_add_nc_u32_e32 v43, 1, v44
	v_xor_b32_e32 v47, s7, v3
	v_subrev_nc_u32_e32 v45, s10, v0
	v_cmp_le_u32_e32 vcc_lo, s10, v0
	v_add_nc_u32_e32 v18, s16, v17
	v_and_b32_e32 v32, 0x7f, v24
	v_ashrrev_i32_e32 v47, 31, v47
	s_wait_alu 0xfffd
	v_dual_cndmask_b32 v43, v44, v43 :: v_dual_add_nc_u32 v38, 0x8a40, v1
	v_dual_cndmask_b32 v0, v0, v45 :: v_dual_add_nc_u32 v21, s16, v18
	v_add_nc_u32_e32 v1, 32, v4
	v_add_nc_u32_e32 v44, 64, v4
	s_delay_alu instid0(VALU_DEP_4) | instskip(NEXT) | instid1(VALU_DEP_4)
	v_add_nc_u32_e32 v45, 1, v43
	v_cmp_le_u32_e32 vcc_lo, s10, v0
	v_add_nc_u32_e32 v22, s16, v21
	v_lshrrev_b32_e32 v40, 3, v1
	v_add_nc_u32_e32 v46, 0x60, v4
	s_ashr_i32 s5, s5, 5
	s_wait_alu 0xfffd
	v_cndmask_b32_e32 v0, v43, v45, vcc_lo
	v_add_nc_u32_e32 v24, s16, v22
	v_mul_i32_i24_e32 v26, s19, v32
	v_lshlrev_b32_e32 v32, 2, v32
	v_lshlrev_b32_e32 v58, 2, v1
	v_xor_b32_e32 v0, v0, v47
	v_add_nc_u32_e32 v27, s16, v24
	v_and_b32_e32 v1, 60, v40
	v_lshrrev_b32_e32 v59, 3, v44
	v_lshrrev_b32_e32 v61, 3, v46
	v_sub_nc_u32_e32 v0, v0, v47
	v_add_nc_u32_e32 v28, s16, v27
	v_and_b32_e32 v14, 28, v2
	s_movk_i32 s1, 0x2080
	v_add3_u32 v29, v32, v30, 0x8e40
	s_wait_alu 0xfffe
	v_mul_lo_u32 v48, v0, s5
	v_add_nc_u32_e32 v30, s16, v28
	v_add_nc_u32_e32 v35, 0x9050, v2
	v_and_b32_e32 v45, 60, v59
	v_add3_u32 v43, v2, v1, 0x8e40
	v_and_b32_e32 v1, 60, v61
	v_lshlrev_b32_e32 v60, 2, v44
	v_lshlrev_b32_e32 v62, 2, v46
	v_mad_u32_u24 v47, 0x104, v4, s1
	s_movk_i32 s1, 0x4100
	s_movk_i32 s10, 0x6180
	v_cmp_gt_u32_e64 s0, 4, v4
	s_wait_alu 0xfffe
	v_mad_u32_u24 v49, 0x104, v4, s1
	v_mad_u32_u24 v50, 0x104, v4, s10
	v_cmp_gt_i32_e64 s1, s4, v0
	v_add_co_u32 v0, s10, s2, v14
	v_and_b32_e32 v12, 0x7c, v2
	v_add_nc_u32_e32 v32, s16, v30
	v_add3_u32 v44, v2, v45, 0x8e40
	v_add3_u32 v45, v2, v1, 0x8e40
	v_mul_u32_u24_e32 v46, 0x104, v4
	s_wait_alu 0xf1ff
	v_add_co_ci_u32_e64 v1, null, s3, 0, s10
	v_ashrrev_i32_e32 v51, 31, v48
	v_lshlrev_b32_e32 v52, 2, v52
	v_add_nc_u32_e32 v54, v35, v54
	v_lshlrev_b32_e32 v55, 2, v39
	v_lshlrev_b32_e32 v56, 2, v2
	;; [unrolled: 1-line block ×8, first 2 shown]
	v_add_nc_u32_e32 v63, 0x800, v25
	v_add_nc_u32_e32 v64, 0x1000, v25
	;; [unrolled: 1-line block ×15, first 2 shown]
	v_dual_mov_b32 v35, 0 :: v_dual_mov_b32 v2, 0
	v_or_b32_e32 v20, 1, v15
	s_mov_b32 s15, 0
	s_and_b32 s10, s0, s1
	s_wait_alu 0xfffe
	s_mov_b32 s14, s15
	s_branch .LBB213_5
.LBB213_4:                              ;   in Loop: Header=BB213_5 Depth=1
	s_add_co_i32 s14, s14, 1
	s_wait_alu 0xfffe
	s_cmp_eq_u32 s14, s19
	s_cbranch_scc1 .LBB213_21
.LBB213_5:                              ; =>This Loop Header: Depth=1
                                        ;     Child Loop BB213_11 Depth 2
                                        ;     Child Loop BB213_19 Depth 2
	s_wait_alu 0xfffe
	s_mul_u64 s[16:17], s[14:15], 0xb0
	s_wait_alu 0xfffe
	s_add_nc_u64 s[16:17], s[12:13], s[16:17]
	s_wait_alu 0xfffe
	v_mad_co_u64_u32 v[78:79], null, 0xb0, v7, s[16:17]
	s_delay_alu instid0(VALU_DEP_1) | instskip(SKIP_3) | instid1(VALU_DEP_4)
	v_mad_co_u64_u32 v[80:81], null, 0xb0, v19, v[78:79]
	v_mad_co_u64_u32 v[82:83], null, 0xb0, v6, v[78:79]
	;; [unrolled: 1-line block ×4, first 2 shown]
	v_add_co_u32 v86, vcc_lo, v80, v12
	s_wait_alu 0xfffd
	v_add_co_ci_u32_e64 v87, null, 0, v81, vcc_lo
	v_add_co_u32 v80, vcc_lo, v80, v14
	s_wait_alu 0xfffd
	v_add_co_ci_u32_e64 v81, null, 0, v81, vcc_lo
	;; [unrolled: 3-line block ×6, first 2 shown]
	v_add_co_u32 v94, vcc_lo, v90, v12
	v_mad_co_u64_u32 v[96:97], null, 0xb0, v11, v[78:79]
	s_wait_alu 0xfffd
	v_add_co_ci_u32_e64 v95, null, 0, v91, vcc_lo
	v_add_co_u32 v90, vcc_lo, v90, v14
	s_wait_alu 0xfffd
	v_add_co_ci_u32_e64 v91, null, 0, v91, vcc_lo
	s_clause 0x7
	global_load_b32 v98, v[86:87], off offset:48
	global_load_b32 v99, v[80:81], off offset:16
	;; [unrolled: 1-line block ×8, first 2 shown]
	v_mad_co_u64_u32 v[80:81], null, 0xb0, v13, v[78:79]
	v_add_co_u32 v82, vcc_lo, v96, v12
	v_mad_co_u64_u32 v[88:89], null, 0xb0, v16, v[78:79]
	s_wait_alu 0xfffd
	v_add_co_ci_u32_e64 v83, null, 0, v97, vcc_lo
	v_add_co_u32 v84, vcc_lo, v96, v14
	s_wait_alu 0xfffd
	v_add_co_ci_u32_e64 v85, null, 0, v97, vcc_lo
	v_add_co_u32 v86, vcc_lo, v80, v12
	v_mad_co_u64_u32 v[90:91], null, 0xb0, v17, v[78:79]
	s_wait_alu 0xfffd
	v_add_co_ci_u32_e64 v87, null, 0, v81, vcc_lo
	v_add_co_u32 v80, vcc_lo, v80, v14
	s_wait_alu 0xfffd
	v_add_co_ci_u32_e64 v81, null, 0, v81, vcc_lo
	v_add_co_u32 v92, vcc_lo, v88, v12
	;; [unrolled: 3-line block ×4, first 2 shown]
	v_mad_co_u64_u32 v[96:97], null, 0xb0, v18, v[78:79]
	s_wait_alu 0xfffd
	v_add_co_ci_u32_e64 v95, null, 0, v91, vcc_lo
	v_add_co_u32 v90, vcc_lo, v90, v14
	s_wait_alu 0xfffd
	v_add_co_ci_u32_e64 v91, null, 0, v91, vcc_lo
	s_clause 0x7
	global_load_b32 v106, v[82:83], off offset:48
	global_load_b32 v107, v[84:85], off offset:16
	;; [unrolled: 1-line block ×8, first 2 shown]
	v_mad_co_u64_u32 v[80:81], null, 0xb0, v21, v[78:79]
	v_add_co_u32 v82, vcc_lo, v96, v12
	v_mad_co_u64_u32 v[88:89], null, 0xb0, v22, v[78:79]
	s_wait_alu 0xfffd
	v_add_co_ci_u32_e64 v83, null, 0, v97, vcc_lo
	v_add_co_u32 v84, vcc_lo, v96, v14
	s_wait_alu 0xfffd
	v_add_co_ci_u32_e64 v85, null, 0, v97, vcc_lo
	v_add_co_u32 v86, vcc_lo, v80, v12
	v_mad_co_u64_u32 v[90:91], null, 0xb0, v24, v[78:79]
	s_wait_alu 0xfffd
	v_add_co_ci_u32_e64 v87, null, 0, v81, vcc_lo
	v_add_co_u32 v80, vcc_lo, v80, v14
	s_wait_alu 0xfffd
	v_add_co_ci_u32_e64 v81, null, 0, v81, vcc_lo
	v_add_co_u32 v92, vcc_lo, v88, v12
	s_wait_alu 0xfffd
	v_add_co_ci_u32_e64 v93, null, 0, v89, vcc_lo
	v_add_co_u32 v88, vcc_lo, v88, v14
	s_wait_alu 0xfffd
	v_add_co_ci_u32_e64 v89, null, 0, v89, vcc_lo
	v_add_co_u32 v94, vcc_lo, v90, v12
	v_mad_co_u64_u32 v[96:97], null, 0xb0, v27, v[78:79]
	s_wait_alu 0xfffd
	v_add_co_ci_u32_e64 v95, null, 0, v91, vcc_lo
	v_add_co_u32 v90, vcc_lo, v90, v14
	s_wait_alu 0xfffd
	v_add_co_ci_u32_e64 v91, null, 0, v91, vcc_lo
	s_clause 0x7
	global_load_b32 v114, v[82:83], off offset:48
	global_load_b32 v115, v[84:85], off offset:16
	;; [unrolled: 1-line block ×8, first 2 shown]
	v_mad_co_u64_u32 v[80:81], null, 0xb0, v28, v[78:79]
	v_add_co_u32 v82, vcc_lo, v96, v12
	v_mad_co_u64_u32 v[88:89], null, 0xb0, v30, v[78:79]
	s_wait_alu 0xfffd
	v_add_co_ci_u32_e64 v83, null, 0, v97, vcc_lo
	v_add_co_u32 v84, vcc_lo, v96, v14
	s_wait_alu 0xfffd
	v_add_co_ci_u32_e64 v85, null, 0, v97, vcc_lo
	v_add_co_u32 v86, vcc_lo, v80, v12
	s_wait_alu 0xfffd
	v_add_co_ci_u32_e64 v87, null, 0, v81, vcc_lo
	v_add_co_u32 v80, vcc_lo, v80, v14
	s_clause 0x2
	global_load_b32 v91, v[82:83], off offset:48
	global_load_b32 v95, v[84:85], off offset:16
	;; [unrolled: 1-line block ×3, first 2 shown]
	s_wait_alu 0xfffd
	v_add_co_ci_u32_e64 v81, null, 0, v81, vcc_lo
	v_add_co_u32 v82, vcc_lo, v88, v12
	s_wait_alu 0xfffd
	v_add_co_ci_u32_e64 v83, null, 0, v89, vcc_lo
	v_add_co_u32 v84, vcc_lo, v88, v14
	v_mad_co_u64_u32 v[78:79], null, 0xb0, v32, v[78:79]
	s_wait_alu 0xfffd
	v_add_co_ci_u32_e64 v85, null, 0, v89, vcc_lo
	s_clause 0x2
	global_load_b32 v88, v[80:81], off offset:16
	global_load_b32 v89, v[82:83], off offset:48
	;; [unrolled: 1-line block ×3, first 2 shown]
	v_mad_co_u64_u32 v[80:81], null, 0xb0, v33, s[16:17]
	v_add_co_u32 v82, vcc_lo, v78, v12
	s_wait_alu 0xfffd
	v_add_co_ci_u32_e64 v83, null, 0, v79, vcc_lo
	v_add_co_u32 v78, vcc_lo, v78, v14
	v_mad_co_u64_u32 v[86:87], null, 0xb0, v36, s[16:17]
	s_wait_alu 0xfffd
	v_add_co_ci_u32_e64 v79, null, 0, v79, vcc_lo
	v_add_co_u32 v84, vcc_lo, v80, v52
	s_wait_alu 0xfffd
	v_add_co_ci_u32_e64 v85, null, 0, v81, vcc_lo
	s_clause 0x2
	global_load_b32 v118, v[82:83], off offset:48
	global_load_b32 v119, v[78:79], off offset:16
	global_load_b32 v84, v[84:85], off offset:4
	v_add_co_u32 v78, vcc_lo, v80, v53
	s_wait_alu 0xfffd
	v_add_co_ci_u32_e64 v79, null, 0, v81, vcc_lo
	v_add_co_u32 v80, vcc_lo, v86, v52
	s_wait_alu 0xfffd
	v_add_co_ci_u32_e64 v81, null, 0, v87, vcc_lo
	;; [unrolled: 3-line block ×3, first 2 shown]
	s_clause 0x2
	global_load_b32 v80, v[80:81], off offset:4
	global_load_b32 v81, v[78:79], off offset:4
	global_load_b32 v82, v[82:83], off offset:4
	v_mad_co_u64_u32 v[78:79], null, 0xb0, v26, s[16:17]
	s_lshl_b32 s16, s14, 8
	s_wait_alu 0xfffe
	s_cmp_lt_i32 s16, s11
	global_load_b32 v78, v[78:79], off
	s_wait_loadcnt 0x24
	v_lshrrev_b32_e32 v83, 4, v98
	s_wait_loadcnt 0x23
	v_ashrrev_i32_e32 v85, v15, v99
	v_ashrrev_i32_e32 v86, v20, v99
	v_and_b32_e32 v79, 0xf0f0f0f, v98
	s_wait_loadcnt 0x22
	v_and_b32_e32 v87, 0xf0f0f0f, v100
	v_lshrrev_b32_e32 v98, 4, v100
	s_wait_loadcnt 0x21
	v_ashrrev_i32_e32 v99, v15, v101
	v_ashrrev_i32_e32 v100, v20, v101
	s_wait_loadcnt 0x20
	v_and_b32_e32 v101, 0xf0f0f0f, v102
	v_lshrrev_b32_e32 v102, 4, v102
	s_wait_loadcnt 0x1f
	v_ashrrev_i32_e32 v120, v15, v103
	v_ashrrev_i32_e32 v103, v20, v103
	;; [unrolled: 6-line block ×3, first 2 shown]
	v_and_b32_e32 v83, 0xf0f0f0f, v83
	v_lshlrev_b32_e32 v85, 4, v85
	v_lshlrev_b32_e32 v86, 4, v86
	v_and_b32_e32 v98, 0xf0f0f0f, v98
	v_lshlrev_b32_e32 v99, 4, v99
	v_lshlrev_b32_e32 v100, 4, v100
	;; [unrolled: 3-line block ×4, first 2 shown]
	v_and_or_b32 v79, 0x10101010, v85, v79
	v_and_or_b32 v83, 0x10101010, v86, v83
	;; [unrolled: 1-line block ×8, first 2 shown]
	s_wait_loadcnt 0x1c
	v_and_b32_e32 v123, 0xf0f0f0f, v106
	v_lshrrev_b32_e32 v106, 4, v106
	s_wait_loadcnt 0x1b
	v_ashrrev_i32_e32 v124, v15, v107
	v_ashrrev_i32_e32 v107, v20, v107
	s_wait_loadcnt 0x1a
	v_and_b32_e32 v125, 0xf0f0f0f, v108
	v_lshrrev_b32_e32 v108, 4, v108
	s_wait_loadcnt 0x19
	v_ashrrev_i32_e32 v126, v15, v109
	v_ashrrev_i32_e32 v109, v20, v109
	;; [unrolled: 6-line block ×4, first 2 shown]
	v_and_b32_e32 v106, 0xf0f0f0f, v106
	v_lshlrev_b32_e32 v124, 4, v124
	v_lshlrev_b32_e32 v107, 4, v107
	v_and_b32_e32 v108, 0xf0f0f0f, v108
	v_lshlrev_b32_e32 v126, 4, v126
	v_lshlrev_b32_e32 v109, 4, v109
	;; [unrolled: 3-line block ×4, first 2 shown]
	v_and_or_b32 v101, 0x10101010, v124, v123
	v_and_or_b32 v102, 0x10101010, v107, v106
	v_and_or_b32 v103, 0x10101010, v126, v125
	v_and_or_b32 v104, 0x10101010, v109, v108
	v_and_or_b32 v105, 0x10101010, v128, v127
	v_and_or_b32 v106, 0x10101010, v111, v110
	v_and_or_b32 v107, 0x10101010, v130, v129
	v_and_or_b32 v108, 0x10101010, v113, v112
	s_wait_loadcnt 0x14
	v_and_b32_e32 v131, 0xf0f0f0f, v114
	v_lshrrev_b32_e32 v114, 4, v114
	s_wait_loadcnt 0x13
	v_ashrrev_i32_e32 v132, v15, v115
	v_ashrrev_i32_e32 v115, v20, v115
	s_wait_loadcnt 0x12
	v_and_b32_e32 v133, 0xf0f0f0f, v116
	v_lshrrev_b32_e32 v116, 4, v116
	s_wait_loadcnt 0x11
	v_ashrrev_i32_e32 v134, v15, v117
	v_ashrrev_i32_e32 v117, v20, v117
	;; [unrolled: 6-line block ×4, first 2 shown]
	v_and_b32_e32 v114, 0xf0f0f0f, v114
	v_lshlrev_b32_e32 v132, 4, v132
	v_lshlrev_b32_e32 v115, 4, v115
	v_and_b32_e32 v116, 0xf0f0f0f, v116
	v_lshlrev_b32_e32 v134, 4, v134
	v_lshlrev_b32_e32 v117, 4, v117
	v_and_b32_e32 v92, 0xf0f0f0f, v92
	v_lshlrev_b32_e32 v136, 4, v136
	s_wait_loadcnt 0xc
	v_and_b32_e32 v139, 0xf0f0f0f, v91
	v_lshrrev_b32_e32 v91, 4, v91
	s_wait_loadcnt 0xb
	v_ashrrev_i32_e32 v140, v15, v95
	v_ashrrev_i32_e32 v95, v20, v95
	s_wait_loadcnt 0xa
	v_and_b32_e32 v141, 0xf0f0f0f, v96
	v_lshrrev_b32_e32 v96, 4, v96
	v_lshlrev_b32_e32 v93, 4, v93
	v_and_b32_e32 v94, 0xf0f0f0f, v94
	v_lshlrev_b32_e32 v138, 4, v138
	v_lshlrev_b32_e32 v90, 4, v90
	v_and_b32_e32 v91, 0xf0f0f0f, v91
	v_lshlrev_b32_e32 v140, 4, v140
	v_lshlrev_b32_e32 v95, 4, v95
	v_and_b32_e32 v96, 0xf0f0f0f, v96
	s_wait_loadcnt 0x9
	v_ashrrev_i32_e32 v142, v15, v88
	v_ashrrev_i32_e32 v88, v20, v88
	s_wait_loadcnt 0x8
	v_and_b32_e32 v143, 0xf0f0f0f, v89
	v_lshrrev_b32_e32 v89, 4, v89
	s_wait_loadcnt 0x7
	v_ashrrev_i32_e32 v144, v15, v97
	v_ashrrev_i32_e32 v97, v20, v97
	v_lshlrev_b32_e32 v142, 4, v142
	v_lshlrev_b32_e32 v88, 4, v88
	v_and_or_b32 v109, 0x10101010, v132, v131
	v_and_or_b32 v110, 0x10101010, v115, v114
	;; [unrolled: 1-line block ×8, first 2 shown]
	ds_store_2addr_b32 v25, v79, v83 offset1:8
	ds_store_2addr_b32 v63, v85, v86 offset0:8 offset1:16
	ds_store_2addr_b32 v64, v87, v98 offset0:16 offset1:24
	;; [unrolled: 1-line block ×10, first 2 shown]
	v_and_b32_e32 v79, 0xf0f0f0f, v89
	v_lshlrev_b32_e32 v85, 4, v97
	v_and_or_b32 v94, 0x10101010, v140, v139
	v_and_or_b32 v91, 0x10101010, v95, v91
	;; [unrolled: 1-line block ×4, first 2 shown]
	ds_store_2addr_b32 v73, v93, v90 offset0:88 offset1:96
	ds_store_2addr_b32 v74, v94, v91 offset0:96 offset1:104
	;; [unrolled: 1-line block ×3, first 2 shown]
	v_and_or_b32 v79, 0x10101010, v85, v79
	s_wait_loadcnt 0x6
	v_lshrrev_b32_e32 v85, 4, v118
	s_wait_loadcnt 0x5
	v_ashrrev_i32_e32 v87, v15, v119
	v_ashrrev_i32_e32 v88, v20, v119
	v_lshlrev_b32_e32 v83, 4, v144
	s_wait_loadcnt 0x4
	v_ashrrev_i32_e32 v84, v23, v84
	s_wait_loadcnt 0x3
	v_ashrrev_i32_e32 v80, v23, v80
	v_and_b32_e32 v86, 0xf0f0f0f, v118
	v_and_b32_e32 v85, 0xf0f0f0f, v85
	v_lshlrev_b32_e32 v87, 4, v87
	v_lshlrev_b32_e32 v88, 4, v88
	v_and_or_b32 v83, 0x10101010, v83, v143
	v_and_b32_e32 v84, 0xf0f0f0f, v84
	s_wait_loadcnt 0x2
	v_ashrrev_i32_e32 v81, v31, v81
	v_and_b32_e32 v80, 0xf0f0f0f, v80
	s_wait_loadcnt 0x1
	v_ashrrev_i32_e32 v82, v31, v82
	v_and_or_b32 v86, 0x10101010, v87, v86
	v_and_or_b32 v85, 0x10101010, v88, v85
	ds_store_2addr_b32 v76, v83, v79 offset0:112 offset1:120
	v_and_or_b32 v79, 0x30303030, v81, v84
	v_and_or_b32 v80, 0x30303030, v82, v80
	ds_store_2addr_b32 v77, v86, v85 offset0:120 offset1:128
	s_wait_loadcnt 0x0
	ds_store_b32 v29, v78
	ds_store_b32 v34, v79
	;; [unrolled: 1-line block ×3, first 2 shown]
	s_cbranch_scc0 .LBB213_4
; %bb.6:                                ;   in Loop: Header=BB213_5 Depth=1
	s_lshl_b32 s17, s14, 3
	s_wait_alu 0xfffe
	v_add_nc_u32_e32 v78, s17, v39
	s_delay_alu instid0(VALU_DEP_1)
	v_cmp_gt_i32_e32 vcc_lo, s5, v78
	s_and_b32 s21, s1, vcc_lo
	s_wait_alu 0xfffe
	s_and_saveexec_b32 s20, s21
	s_cbranch_execz .LBB213_8
; %bb.7:                                ;   in Loop: Header=BB213_5 Depth=1
	v_add_nc_u32_e32 v78, v48, v78
	s_delay_alu instid0(VALU_DEP_1)
	v_mad_co_i64_i32 v[78:79], null, v78, 36, v[0:1]
	global_load_b32 v78, v[78:79], off offset:4
	s_wait_loadcnt 0x0
	ds_store_b32 v38, v78
.LBB213_8:                              ;   in Loop: Header=BB213_5 Depth=1
	s_wait_alu 0xfffe
	s_or_b32 exec_lo, exec_lo, s20
	v_add_nc_u32_e32 v78, s17, v4
	s_delay_alu instid0(VALU_DEP_1)
	v_cmp_gt_i32_e32 vcc_lo, s5, v78
	s_and_b32 s21, s10, vcc_lo
	s_wait_alu 0xfffe
	s_and_saveexec_b32 s20, s21
	s_cbranch_execz .LBB213_10
; %bb.9:                                ;   in Loop: Header=BB213_5 Depth=1
	v_add_nc_u32_e32 v79, v48, v78
	s_delay_alu instid0(VALU_DEP_1)
	v_mad_co_i64_i32 v[79:80], null, v79, 36, s[2:3]
	global_load_b32 v79, v[79:80], off
	s_wait_loadcnt 0x0
	ds_store_b32 v54, v79
.LBB213_10:                             ;   in Loop: Header=BB213_5 Depth=1
	s_wait_alu 0xfffe
	s_or_b32 exec_lo, exec_lo, s20
	s_wait_dscnt 0x0
	s_barrier_signal -1
	s_barrier_wait -1
	global_inv scope:SCOPE_SE
	ds_load_b32 v80, v41
	ds_load_b32 v81, v43 offset:128
	ds_load_b32 v82, v44 offset:256
	;; [unrolled: 1-line block ×3, first 2 shown]
	s_mov_b32 s21, 0
	s_mov_b32 s20, -1
	s_wait_dscnt 0x3
	v_lshrrev_b32_e32 v83, 16, v80
	s_wait_dscnt 0x2
	v_lshrrev_b32_e32 v84, 16, v81
	s_wait_dscnt 0x1
	v_lshrrev_b32_e32 v85, 16, v82
	s_wait_dscnt 0x0
	v_lshrrev_b32_e32 v87, 16, v86
	v_cvt_f32_f16_e32 v79, v80
	v_cvt_f32_f16_e32 v80, v81
	;; [unrolled: 1-line block ×8, first 2 shown]
.LBB213_11:                             ;   Parent Loop BB213_5 Depth=1
                                        ; =>  This Inner Loop Header: Depth=2
	s_wait_alu 0xfffe
	s_lshr_b32 s22, s21, 2
	v_lshl_or_b32 v87, s21, 1, v9
	s_lshl_b32 s21, s21, 3
	s_wait_alu 0xfffe
	s_add_co_i32 s22, s22, 0x8200
	v_add_nc_u32_e32 v88, s21, v46
	v_add_nc_u32_e32 v89, s21, v47
	;; [unrolled: 1-line block ×4, first 2 shown]
	s_wait_alu 0xfffe
	v_add3_u32 v92, s22, v55, v56
	v_add3_u32 v93, s22, v57, v58
	;; [unrolled: 1-line block ×4, first 2 shown]
	v_lshlrev_b32_e32 v99, 2, v87
	v_lshrrev_b32_e32 v167, 1, v87
	ds_load_2addr_b32 v[103:104], v88 offset0:2 offset1:3
	ds_load_2addr_b32 v[105:106], v88 offset0:4 offset1:5
	ds_load_2addr_b32 v[107:108], v88 offset0:6 offset1:7
	ds_load_2addr_b32 v[109:110], v88 offset0:8 offset1:9
	ds_load_2addr_b32 v[111:112], v88 offset0:10 offset1:11
	ds_load_2addr_b32 v[113:114], v88 offset0:12 offset1:13
	ds_load_2addr_b32 v[115:116], v88 offset0:14 offset1:15
	ds_load_2addr_b32 v[117:118], v89 offset1:1
	ds_load_2addr_b32 v[119:120], v89 offset0:2 offset1:3
	ds_load_2addr_b32 v[121:122], v89 offset0:4 offset1:5
	ds_load_2addr_b32 v[123:124], v89 offset0:6 offset1:7
	ds_load_2addr_b32 v[125:126], v89 offset0:8 offset1:9
	ds_load_2addr_b32 v[127:128], v89 offset0:10 offset1:11
	ds_load_2addr_b32 v[129:130], v89 offset0:12 offset1:13
	ds_load_2addr_b32 v[131:132], v89 offset0:14 offset1:15
	ds_load_2addr_b32 v[133:134], v90 offset1:1
	;; [unrolled: 8-line block ×4, first 2 shown]
	ds_load_u16 v169, v92
	ds_load_u16 v170, v92 offset:8
	ds_load_u16 v171, v93
	ds_load_u16 v172, v93 offset:8
	ds_load_u16 v173, v94
	ds_load_u16 v174, v94 offset:8
	ds_load_u16 v175, v95
	ds_load_u16 v176, v95 offset:8
	ds_load_b128 v[87:90], v99 offset:35392
	ds_load_b128 v[91:94], v99 offset:35408
	;; [unrolled: 1-line block ×4, first 2 shown]
	ds_load_b64 v[167:168], v167 offset:36944
	s_wait_dscnt 0x15
	v_perm_b32 v177, v149, v150, 0xc0c0501
	s_wait_dscnt 0x14
	v_perm_b32 v178, v152, v151, 0x5010c0c
	v_perm_b32 v179, v149, v150, 0xc0c0703
	;; [unrolled: 1-line block ×7, first 2 shown]
	s_wait_dscnt 0x13
	v_perm_b32 v151, v154, v153, 0xc0c0602
	s_wait_dscnt 0x12
	v_perm_b32 v152, v156, v155, 0x6020c0c
	v_perm_b32 v183, v154, v153, 0xc0c0400
	s_wait_dscnt 0x8
	v_lshrrev_b16 v197, 8, v173
	v_and_b32_e32 v173, 0xff, v173
	v_perm_b32 v184, v156, v155, 0x4000c0c
	v_perm_b32 v185, v154, v153, 0xc0c0703
	s_wait_dscnt 0x4
	v_dot4_i32_iu8 v165, v87, v165, 0 neg_lo:[1,1,0]
	v_dot4_i32_iu8 v117, v87, v117, 0 neg_lo:[1,1,0]
	;; [unrolled: 1-line block ×3, first 2 shown]
	s_wait_dscnt 0x2
	v_dot4_i32_iu8 v109, v95, v109, 0 neg_lo:[1,1,0]
	v_dot4_i32_iu8 v125, v95, v125, 0 neg_lo:[1,1,0]
	;; [unrolled: 1-line block ×3, first 2 shown]
	v_perm_b32 v201, v87, v88, 0xc0c0501
	v_perm_b32 v203, v87, v88, 0xc0c0703
	;; [unrolled: 1-line block ×4, first 2 shown]
	v_dot4_i32_iu8 v165, v88, v166, v165 neg_lo:[1,1,0]
	v_dot4_i32_iu8 v117, v88, v118, v117 neg_lo:[1,1,0]
	;; [unrolled: 1-line block ×3, first 2 shown]
	v_perm_b32 v216, v95, v96, 0xc0c0501
	v_perm_b32 v218, v95, v96, 0xc0c0703
	;; [unrolled: 1-line block ×4, first 2 shown]
	v_dot4_i32_iu8 v109, v96, v110, v109 neg_lo:[1,1,0]
	v_dot4_i32_iu8 v110, v96, v126, v125 neg_lo:[1,1,0]
	;; [unrolled: 1-line block ×4, first 2 shown]
	v_perm_b32 v202, v90, v89, 0x5010c0c
	v_perm_b32 v204, v90, v89, 0x7030c0c
	;; [unrolled: 1-line block ×4, first 2 shown]
	v_dot4_i32_iu8 v103, v89, v103, v165 neg_lo:[1,1,0]
	v_dot4_i32_iu8 v117, v89, v119, v117 neg_lo:[1,1,0]
	;; [unrolled: 1-line block ×4, first 2 shown]
	v_perm_b32 v186, v156, v155, 0x7030c0c
	v_perm_b32 v153, v154, v153, 0xc0c0501
	;; [unrolled: 1-line block ×3, first 2 shown]
	v_dot4_i32_iu8 v89, v98, v144, v89 neg_lo:[1,1,0]
	v_dot4_i32_iu8 v88, v91, v137, v88 neg_lo:[1,1,0]
	v_perm_b32 v155, v157, v158, 0xc0c0501
	v_perm_b32 v156, v160, v159, 0x5010c0c
	;; [unrolled: 1-line block ×3, first 2 shown]
	s_wait_dscnt 0x1
	v_dot4_i32_iu8 v89, v99, v145, v89 neg_lo:[1,1,0]
	v_dot4_i32_iu8 v88, v92, v138, v88 neg_lo:[1,1,0]
	v_perm_b32 v188, v160, v159, 0x7030c0c
	v_perm_b32 v212, v92, v91, 0xc0c0703
	;; [unrolled: 1-line block ×3, first 2 shown]
	v_dot4_i32_iu8 v89, v100, v146, v89 neg_lo:[1,1,0]
	v_dot4_i32_iu8 v88, v93, v139, v88 neg_lo:[1,1,0]
	v_perm_b32 v214, v92, v91, 0xc0c0501
	v_perm_b32 v215, v94, v93, 0x5010c0c
	v_perm_b32 v217, v98, v97, 0x5010c0c
	v_dot4_i32_iu8 v89, v101, v147, v89 neg_lo:[1,1,0]
	v_dot4_i32_iu8 v88, v94, v140, v88 neg_lo:[1,1,0]
	v_perm_b32 v219, v98, v97, 0x7030c0c
	v_or_b32_e32 v177, v178, v177
	v_or_b32_e32 v178, v180, v179
	;; [unrolled: 1-line block ×5, first 2 shown]
	v_and_b32_e32 v182, 0xffff, v197
	v_dot4_i32_iu8 v89, v102, v148, v89 neg_lo:[1,1,0]
	v_mul_lo_u32 v88, v88, v173
	v_perm_b32 v189, v157, v158, 0xc0c0400
	v_perm_b32 v190, v160, v159, 0x4000c0c
	;; [unrolled: 1-line block ×12, first 2 shown]
	v_lshrrev_b16 v163, 8, v169
	v_and_b32_e32 v164, 0xff, v169
	v_cvt_f32_ubyte0_e32 v169, v170
	v_cvt_f32_ubyte0_e32 v198, v174
	v_perm_b32 v208, v92, v91, 0xc0c0602
	v_perm_b32 v209, v94, v93, 0x6020c0c
	;; [unrolled: 1-line block ×10, first 2 shown]
	v_or_b32_e32 v149, v150, v149
	v_or_b32_e32 v150, v152, v151
	;; [unrolled: 1-line block ×12, first 2 shown]
	v_dot4_i32_iu8 v109, v97, v111, v109 neg_lo:[1,1,0]
	v_dot4_i32_iu8 v110, v97, v127, v110 neg_lo:[1,1,0]
	;; [unrolled: 1-line block ×6, first 2 shown]
	v_mul_lo_u32 v89, v89, v182
	v_cvt_f32_ubyte1_e32 v170, v170
	v_cvt_f32_ubyte1_e32 v174, v174
	v_perm_b32 v223, v100, v99, 0xc0c0602
	v_perm_b32 v224, v102, v101, 0x6020c0c
	;; [unrolled: 1-line block ×4, first 2 shown]
	v_or_b32_e32 v151, v184, v183
	v_or_b32_e32 v156, v190, v189
	;; [unrolled: 1-line block ×6, first 2 shown]
	v_and_b32_e32 v162, 0xffff, v163
	s_wait_dscnt 0x0
	v_fma_mix_f32 v163, v167, v169, 0 op_sel:[1,0,0] op_sel_hi:[1,0,0]
	v_fma_mix_f32 v181, v167, v198, 0 op_sel:[1,0,0] op_sel_hi:[1,0,0]
	v_or_b32_e32 v133, v209, v208
	v_or_b32_e32 v134, v211, v210
	;; [unrolled: 1-line block ×6, first 2 shown]
	v_dot4_i32_iu8 v111, v179, v126, 0 neg_lo:[1,1,0]
	v_dot4_i32_iu8 v87, v149, v87, 0 neg_lo:[1,1,0]
	v_dot4_i32_iu8 v118, v154, v166, 0 neg_lo:[1,1,0]
	v_dot4_i32_iu8 v119, v155, v185, 0 neg_lo:[1,1,0]
	v_dot4_i32_iu8 v109, v98, v112, v109 neg_lo:[1,1,0]
	v_dot4_i32_iu8 v110, v98, v128, v110 neg_lo:[1,1,0]
	v_dot4_i32_iu8 v97, v152, v141, v97 neg_lo:[1,1,0]
	v_dot4_i32_iu8 v96, v153, v142, v96 neg_lo:[1,1,0]
	v_dot4_i32_iu8 v103, v91, v105, v103 neg_lo:[1,1,0]
	v_dot4_i32_iu8 v104, v91, v121, v104 neg_lo:[1,1,0]
	v_cvt_f32_i32_e32 v88, v88
	v_or_b32_e32 v159, v192, v191
	v_or_b32_e32 v187, v224, v223
	;; [unrolled: 1-line block ×3, first 2 shown]
	v_fma_mix_f32 v163, v168, v170, v163 op_sel:[1,0,0] op_sel_hi:[1,0,0]
	v_fma_mix_f32 v170, v168, v174, v181 op_sel:[1,0,0] op_sel_hi:[1,0,0]
	v_dot4_i32_iu8 v125, v156, v186, 0 neg_lo:[1,1,0]
	v_dot4_i32_iu8 v95, v157, v95, 0 neg_lo:[1,1,0]
	;; [unrolled: 1-line block ×8, first 2 shown]
	v_add_nc_u32_e32 v91, v96, v97
	v_dot4_i32_iu8 v97, v92, v106, v103 neg_lo:[1,1,0]
	v_dot4_i32_iu8 v99, v92, v122, v104 neg_lo:[1,1,0]
	v_cvt_f32_i32_e32 v89, v89
	v_fma_mix_f32 v88, v167, v88, 0 op_sel_hi:[1,0,0]
	v_cvt_f32_ubyte0_e32 v196, v172
	v_cvt_f32_ubyte0_e32 v200, v176
	v_mul_f32_e32 v135, v170, v84
	v_dot4_i32_iu8 v95, v158, v187, v95 neg_lo:[1,1,0]
	v_dot4_i32_iu8 v98, v159, v188, v125 neg_lo:[1,1,0]
	v_add_nc_u32_e32 v96, v112, v111
	v_dot4_i32_iu8 v103, v100, v114, v105 neg_lo:[1,1,0]
	v_dot4_i32_iu8 v104, v100, v130, v109 neg_lo:[1,1,0]
	v_add3_u32 v87, v90, v87, v91
	v_dot4_i32_iu8 v91, v93, v107, v97 neg_lo:[1,1,0]
	v_dot4_i32_iu8 v92, v93, v123, v99 neg_lo:[1,1,0]
	v_fma_mix_f32 v88, v168, v89, v88 op_sel_hi:[1,0,0]
	v_lshrrev_b16 v195, 8, v171
	v_and_b32_e32 v171, 0xff, v171
	v_cvt_f32_ubyte1_e32 v172, v172
	v_lshrrev_b16 v199, 8, v175
	v_and_b32_e32 v175, 0xff, v175
	v_cvt_f32_ubyte1_e32 v176, v176
	v_fma_mix_f32 v169, v167, v196, 0 op_sel:[1,0,0] op_sel_hi:[1,0,0]
	v_fma_mix_f32 v183, v200, v167, 0 op_sel:[0,1,0] op_sel_hi:[0,1,0]
	v_add3_u32 v90, v98, v95, v96
	v_dot4_i32_iu8 v95, v101, v115, v103 neg_lo:[1,1,0]
	v_dot4_i32_iu8 v96, v101, v131, v104 neg_lo:[1,1,0]
	;; [unrolled: 1-line block ×4, first 2 shown]
	v_fma_f32 v88, v88, v81, -v135
	v_and_b32_e32 v180, 0xffff, v195
	v_and_b32_e32 v184, 0xffff, v199
	v_fma_mix_f32 v169, v168, v172, v169 op_sel:[1,0,0] op_sel_hi:[1,0,0]
	v_fma_mix_f32 v172, v176, v168, v183 op_sel:[0,1,0] op_sel_hi:[0,1,0]
	v_mul_lo_u32 v87, v87, v175
	v_dot4_i32_iu8 v93, v102, v116, v95 neg_lo:[1,1,0]
	v_dot4_i32_iu8 v95, v102, v132, v96 neg_lo:[1,1,0]
	v_mul_lo_u32 v92, v92, v171
	v_add_f32_e32 v35, v35, v88
	v_mul_lo_u32 v91, v91, v164
	v_mul_lo_u32 v90, v90, v184
	;; [unrolled: 1-line block ×3, first 2 shown]
	v_mul_f32_e32 v95, v172, v85
	v_mul_lo_u32 v93, v93, v162
	v_cvt_f32_i32_e32 v87, v87
	v_cvt_f32_i32_e32 v92, v92
	v_mul_f32_e32 v126, v163, v82
	v_cvt_f32_i32_e32 v91, v91
	v_cvt_f32_i32_e32 v90, v90
	v_fma_mix_f32 v87, v87, v167, 0 op_sel_hi:[0,1,0]
	v_cvt_f32_i32_e32 v94, v94
	v_cvt_f32_i32_e32 v93, v93
	v_fma_mix_f32 v91, v167, v91, 0 op_sel_hi:[1,0,0]
	v_fma_mix_f32 v92, v167, v92, 0 op_sel_hi:[1,0,0]
	v_mul_f32_e32 v127, v169, v83
	v_fma_mix_f32 v87, v90, v168, v87 op_sel_hi:[0,1,0]
	s_mov_b32 s21, 8
	v_fma_mix_f32 v90, v168, v93, v91 op_sel_hi:[1,0,0]
	v_fma_mix_f32 v91, v168, v94, v92 op_sel_hi:[1,0,0]
	s_and_b32 vcc_lo, exec_lo, s20
	v_fma_f32 v87, v87, v86, -v95
	s_mov_b32 s20, 0
	v_fma_f32 v89, v90, v79, -v126
	v_fma_f32 v90, v91, v80, -v127
	s_delay_alu instid0(VALU_DEP_2) | instskip(NEXT) | instid1(VALU_DEP_2)
	v_dual_add_f32 v2, v2, v87 :: v_dual_add_f32 v5, v5, v89
	v_add_f32_e32 v42, v42, v90
	s_wait_alu 0xfffe
	s_cbranch_vccnz .LBB213_11
; %bb.12:                               ;   in Loop: Header=BB213_5 Depth=1
	s_bitset1_b32 s16, 7
	s_wait_loadcnt 0x0
	s_wait_alu 0xfffe
	s_cmp_ge_i32 s16, s11
	s_barrier_signal -1
	s_barrier_wait -1
	global_inv scope:SCOPE_SE
	s_cbranch_scc1 .LBB213_4
; %bb.13:                               ;   in Loop: Header=BB213_5 Depth=1
	v_add_nc_u32_e32 v79, s17, v40
	s_delay_alu instid0(VALU_DEP_1)
	v_cmp_gt_i32_e32 vcc_lo, s5, v79
	s_and_b32 s17, s1, vcc_lo
	s_wait_alu 0xfffe
	s_and_saveexec_b32 s16, s17
	s_cbranch_execz .LBB213_15
; %bb.14:                               ;   in Loop: Header=BB213_5 Depth=1
	v_add_nc_u32_e32 v79, v48, v79
	s_delay_alu instid0(VALU_DEP_1)
	v_mad_co_i64_i32 v[79:80], null, v79, 36, v[0:1]
	global_load_b32 v79, v[79:80], off offset:4
	s_wait_loadcnt 0x0
	ds_store_b32 v38, v79
.LBB213_15:                             ;   in Loop: Header=BB213_5 Depth=1
	s_wait_alu 0xfffe
	s_or_b32 exec_lo, exec_lo, s16
	s_and_saveexec_b32 s16, s0
	s_cbranch_execz .LBB213_18
; %bb.16:                               ;   in Loop: Header=BB213_5 Depth=1
	v_or_b32_e32 v79, 4, v78
	s_delay_alu instid0(VALU_DEP_1)
	v_cmp_gt_i32_e32 vcc_lo, s5, v79
	s_and_b32 s17, s1, vcc_lo
	s_wait_alu 0xfffe
	s_and_b32 exec_lo, exec_lo, s17
	s_cbranch_execz .LBB213_18
; %bb.17:                               ;   in Loop: Header=BB213_5 Depth=1
	v_ashrrev_i32_e32 v79, 31, v78
	v_add_co_u32 v78, vcc_lo, v48, v78
	s_wait_alu 0xfffd
	s_delay_alu instid0(VALU_DEP_2) | instskip(NEXT) | instid1(VALU_DEP_2)
	v_add_co_ci_u32_e64 v80, null, v51, v79, vcc_lo
	v_mad_co_u64_u32 v[78:79], null, v78, 36, s[2:3]
	s_delay_alu instid0(VALU_DEP_1)
	v_mad_i32_i24 v79, v80, 36, v79
	global_load_b32 v78, v[78:79], off offset:144
	s_wait_loadcnt 0x0
	ds_store_b32 v54, v78
.LBB213_18:                             ;   in Loop: Header=BB213_5 Depth=1
	s_wait_alu 0xfffe
	s_or_b32 exec_lo, exec_lo, s16
	s_wait_loadcnt_dscnt 0x0
	s_barrier_signal -1
	s_barrier_wait -1
	global_inv scope:SCOPE_SE
	ds_load_b32 v79, v41
	ds_load_b32 v80, v43 offset:128
	ds_load_b32 v81, v44 offset:256
	;; [unrolled: 1-line block ×3, first 2 shown]
	s_mov_b32 s16, 16
	s_wait_dscnt 0x3
	v_lshrrev_b32_e32 v82, 16, v79
	s_wait_dscnt 0x2
	v_lshrrev_b32_e32 v83, 16, v80
	;; [unrolled: 2-line block ×4, first 2 shown]
	v_cvt_f32_f16_e32 v78, v79
	v_cvt_f32_f16_e32 v79, v80
	;; [unrolled: 1-line block ×8, first 2 shown]
.LBB213_19:                             ;   Parent Loop BB213_5 Depth=1
                                        ; =>  This Inner Loop Header: Depth=2
	s_wait_alu 0xfffe
	s_lshl_b32 s20, s16, 1
	s_lshr_b32 s17, s16, 2
	s_lshl_b32 s21, s16, 3
	s_wait_alu 0xfffe
	v_and_or_b32 v86, s20, 16, v9
	s_and_b32 s17, s17, 0x3ffffffe
	v_add_nc_u32_e32 v87, s21, v46
	s_wait_alu 0xfffe
	s_add_co_i32 s17, s17, 0x8200
	v_add_nc_u32_e32 v88, s21, v47
	v_add_nc_u32_e32 v89, s21, v49
	;; [unrolled: 1-line block ×3, first 2 shown]
	s_wait_alu 0xfffe
	v_add3_u32 v91, s17, v55, v56
	v_add3_u32 v92, s17, v57, v58
	;; [unrolled: 1-line block ×4, first 2 shown]
	v_lshlrev_b32_e32 v98, 2, v86
	v_lshrrev_b32_e32 v166, 1, v86
	ds_load_2addr_b32 v[102:103], v87 offset0:2 offset1:3
	ds_load_2addr_b32 v[104:105], v87 offset0:4 offset1:5
	ds_load_2addr_b32 v[106:107], v87 offset0:6 offset1:7
	ds_load_2addr_b32 v[108:109], v87 offset0:8 offset1:9
	ds_load_2addr_b32 v[110:111], v87 offset0:10 offset1:11
	ds_load_2addr_b32 v[112:113], v87 offset0:12 offset1:13
	ds_load_2addr_b32 v[114:115], v87 offset0:14 offset1:15
	ds_load_2addr_b32 v[116:117], v88 offset1:1
	ds_load_2addr_b32 v[118:119], v88 offset0:2 offset1:3
	ds_load_2addr_b32 v[120:121], v88 offset0:4 offset1:5
	ds_load_2addr_b32 v[122:123], v88 offset0:6 offset1:7
	ds_load_2addr_b32 v[124:125], v88 offset0:8 offset1:9
	ds_load_2addr_b32 v[126:127], v88 offset0:10 offset1:11
	ds_load_2addr_b32 v[128:129], v88 offset0:12 offset1:13
	ds_load_2addr_b32 v[130:131], v88 offset0:14 offset1:15
	ds_load_2addr_b32 v[132:133], v89 offset1:1
	;; [unrolled: 8-line block ×4, first 2 shown]
	ds_load_u16 v168, v91
	ds_load_u16 v169, v91 offset:8
	ds_load_u16 v170, v92
	ds_load_u16 v171, v92 offset:8
	;; [unrolled: 2-line block ×4, first 2 shown]
	ds_load_b128 v[86:89], v98 offset:35392
	ds_load_b128 v[90:93], v98 offset:35408
	ds_load_b128 v[94:97], v98 offset:35424
	ds_load_b128 v[98:101], v98 offset:35440
	ds_load_b64 v[166:167], v166 offset:36944
	s_wait_dscnt 0x15
	v_perm_b32 v176, v148, v149, 0xc0c0501
	s_wait_dscnt 0x14
	v_perm_b32 v177, v151, v150, 0x5010c0c
	v_perm_b32 v178, v148, v149, 0xc0c0703
	;; [unrolled: 1-line block ×7, first 2 shown]
	s_wait_dscnt 0x13
	v_perm_b32 v150, v153, v152, 0xc0c0602
	s_wait_dscnt 0x12
	v_perm_b32 v151, v155, v154, 0x6020c0c
	v_perm_b32 v182, v153, v152, 0xc0c0400
	;; [unrolled: 1-line block ×7, first 2 shown]
	s_wait_dscnt 0x11
	v_perm_b32 v154, v156, v157, 0xc0c0501
	s_wait_dscnt 0x10
	v_perm_b32 v155, v159, v158, 0x5010c0c
	v_perm_b32 v186, v156, v157, 0xc0c0703
	;; [unrolled: 1-line block ×5, first 2 shown]
	s_wait_dscnt 0x4
	v_dot4_i32_iu8 v164, v86, v164, 0 neg_lo:[1,1,0]
	v_dot4_i32_iu8 v116, v86, v116, 0 neg_lo:[1,1,0]
	s_wait_dscnt 0x2
	v_dot4_i32_iu8 v108, v94, v108, 0 neg_lo:[1,1,0]
	v_dot4_i32_iu8 v124, v94, v124, 0 neg_lo:[1,1,0]
	;; [unrolled: 1-line block ×4, first 2 shown]
	v_or_b32_e32 v176, v177, v176
	v_perm_b32 v177, v86, v87, 0xc0c0501
	v_perm_b32 v200, v89, v88, 0x5010c0c
	v_or_b32_e32 v178, v179, v178
	v_perm_b32 v179, v86, v87, 0xc0c0703
	v_perm_b32 v201, v89, v88, 0x7030c0c
	;; [unrolled: 1-line block ×11, first 2 shown]
	v_or_b32_e32 v180, v181, v180
	v_perm_b32 v181, v86, v87, 0xc0c0400
	v_perm_b32 v202, v89, v88, 0x4000c0c
	v_or_b32_e32 v148, v149, v148
	v_perm_b32 v86, v86, v87, 0xc0c0602
	v_perm_b32 v149, v89, v88, 0x6020c0c
	;; [unrolled: 3-line block ×8, first 2 shown]
	v_dot4_i32_iu8 v164, v87, v165, v164 neg_lo:[1,1,0]
	v_dot4_i32_iu8 v116, v87, v117, v116 neg_lo:[1,1,0]
	;; [unrolled: 1-line block ×6, first 2 shown]
	v_or_b32_e32 v117, v200, v177
	v_or_b32_e32 v124, v201, v179
	v_perm_b32 v191, v163, v162, 0x4000c0c
	v_or_b32_e32 v182, v183, v182
	v_perm_b32 v183, v91, v90, 0xc0c0400
	v_perm_b32 v204, v93, v92, 0x4000c0c
	;; [unrolled: 1-line block ×3, first 2 shown]
	v_or_b32_e32 v156, v157, v156
	v_perm_b32 v157, v97, v96, 0x6020c0c
	v_or_b32_e32 v158, v159, v158
	s_wait_dscnt 0x1
	v_perm_b32 v159, v99, v98, 0xc0c0602
	v_perm_b32 v210, v101, v100, 0x6020c0c
	v_or_b32_e32 v192, v193, v192
	v_perm_b32 v193, v99, v98, 0xc0c0703
	v_perm_b32 v212, v101, v100, 0x7030c0c
	v_or_b32_e32 v160, v161, v160
	v_perm_b32 v161, v99, v98, 0xc0c0501
	v_perm_b32 v213, v101, v100, 0x5010c0c
	v_or_b32_e32 v125, v202, v181
	v_or_b32_e32 v86, v149, v86
	v_or_b32_e32 v132, v203, v151
	;; [unrolled: 1-line block ×6, first 2 shown]
	v_dot4_i32_iu8 v102, v88, v102, v164 neg_lo:[1,1,0]
	v_dot4_i32_iu8 v116, v88, v118, v116 neg_lo:[1,1,0]
	;; [unrolled: 1-line block ×8, first 2 shown]
	v_or_b32_e32 v190, v191, v190
	v_perm_b32 v191, v99, v98, 0xc0c0400
	v_perm_b32 v211, v101, v100, 0x4000c0c
	v_or_b32_e32 v133, v204, v183
	v_or_b32_e32 v153, v209, v189
	;; [unrolled: 1-line block ×6, first 2 shown]
	v_dot4_i32_iu8 v110, v180, v125, 0 neg_lo:[1,1,0]
	v_dot4_i32_iu8 v86, v148, v86, 0 neg_lo:[1,1,0]
	v_dot4_i32_iu8 v117, v154, v149, 0 neg_lo:[1,1,0]
	v_dot4_i32_iu8 v118, v186, v151, 0 neg_lo:[1,1,0]
	v_dot4_i32_iu8 v102, v89, v103, v102 neg_lo:[1,1,0]
	v_dot4_i32_iu8 v103, v89, v119, v116 neg_lo:[1,1,0]
	v_dot4_i32_iu8 v87, v89, v135, v87 neg_lo:[1,1,0]
	v_dot4_i32_iu8 v96, v184, v140, v96 neg_lo:[1,1,0]
	v_dot4_i32_iu8 v95, v152, v141, v95 neg_lo:[1,1,0]
	v_or_b32_e32 v157, v211, v191
	v_dot4_i32_iu8 v124, v188, v153, 0 neg_lo:[1,1,0]
	v_dot4_i32_iu8 v94, v156, v94, 0 neg_lo:[1,1,0]
	;; [unrolled: 1-line block ×10, first 2 shown]
	v_add_nc_u32_e32 v90, v95, v96
	v_dot4_i32_iu8 v109, v97, v127, v109 neg_lo:[1,1,0]
	v_lshrrev_b16 v198, 8, v174
	v_and_b32_e32 v174, 0xff, v174
	v_dot4_i32_iu8 v88, v97, v143, v88 neg_lo:[1,1,0]
	v_dot4_i32_iu8 v94, v158, v155, v94 neg_lo:[1,1,0]
	;; [unrolled: 1-line block ×3, first 2 shown]
	v_add_nc_u32_e32 v95, v111, v110
	v_add3_u32 v86, v89, v86, v90
	v_dot4_i32_iu8 v104, v98, v112, v108 neg_lo:[1,1,0]
	v_dot4_i32_iu8 v108, v98, v128, v109 neg_lo:[1,1,0]
	v_and_b32_e32 v198, 0xffff, v198
	v_add3_u32 v89, v97, v94, v95
	v_mul_lo_u32 v86, v86, v174
	v_lshrrev_b16 v162, 8, v168
	v_and_b32_e32 v163, 0xff, v168
	v_cvt_f32_ubyte0_e32 v168, v169
	v_cvt_f32_ubyte0_e32 v195, v171
	;; [unrolled: 1-line block ×3, first 2 shown]
	v_dot4_i32_iu8 v88, v98, v144, v88 neg_lo:[1,1,0]
	v_dot4_i32_iu8 v96, v91, v105, v102 neg_lo:[1,1,0]
	;; [unrolled: 1-line block ×5, first 2 shown]
	v_mul_lo_u32 v89, v89, v198
	v_cvt_f32_ubyte1_e32 v169, v169
	v_lshrrev_b16 v194, 8, v170
	v_cvt_f32_ubyte1_e32 v171, v171
	v_cvt_f32_ubyte1_e32 v175, v175
	s_wait_dscnt 0x0
	v_fma_mix_f32 v168, v166, v168, 0 op_sel:[1,0,0] op_sel_hi:[1,0,0]
	v_fma_mix_f32 v195, v166, v195, 0 op_sel:[1,0,0] op_sel_hi:[1,0,0]
	v_fma_mix_f32 v199, v199, v166, 0 op_sel:[0,1,0] op_sel_hi:[0,1,0]
	v_dot4_i32_iu8 v87, v91, v137, v87 neg_lo:[1,1,0]
	v_dot4_i32_iu8 v94, v100, v114, v102 neg_lo:[1,1,0]
	;; [unrolled: 1-line block ×3, first 2 shown]
	v_cvt_f32_i32_e32 v86, v86
	v_and_b32_e32 v194, 0xffff, v194
	v_fma_mix_f32 v165, v167, v169, v168 op_sel:[1,0,0] op_sel_hi:[1,0,0]
	v_fma_mix_f32 v168, v167, v171, v195 op_sel:[1,0,0] op_sel_hi:[1,0,0]
	v_fma_mix_f32 v171, v175, v167, v199 op_sel:[0,1,0] op_sel_hi:[0,1,0]
	v_dot4_i32_iu8 v90, v92, v106, v96 neg_lo:[1,1,0]
	v_dot4_i32_iu8 v91, v92, v122, v98 neg_lo:[1,1,0]
	;; [unrolled: 1-line block ×5, first 2 shown]
	v_cvt_f32_i32_e32 v89, v89
	v_fma_mix_f32 v86, v86, v166, 0 op_sel_hi:[0,1,0]
	v_dot4_i32_iu8 v88, v99, v145, v88 neg_lo:[1,1,0]
	v_dot4_i32_iu8 v90, v93, v107, v90 neg_lo:[1,1,0]
	;; [unrolled: 1-line block ×4, first 2 shown]
	v_mul_lo_u32 v93, v94, v194
	v_mul_f32_e32 v94, v171, v84
	v_fma_mix_f32 v86, v89, v167, v86 op_sel_hi:[0,1,0]
	v_and_b32_e32 v170, 0xff, v170
	v_lshrrev_b16 v196, 8, v172
	v_and_b32_e32 v172, 0xff, v172
	v_dot4_i32_iu8 v88, v100, v146, v88 neg_lo:[1,1,0]
	v_fma_f32 v86, v86, v85, -v94
	v_and_b32_e32 v162, 0xffff, v162
	v_and_b32_e32 v196, 0xffff, v196
	v_mul_lo_u32 v91, v91, v170
	v_dot4_i32_iu8 v88, v101, v147, v88 neg_lo:[1,1,0]
	v_mul_lo_u32 v87, v87, v172
	v_add_f32_e32 v2, v2, v86
	v_mul_lo_u32 v90, v90, v163
	v_cvt_f32_ubyte0_e32 v197, v173
	v_mul_lo_u32 v92, v92, v162
	v_mul_lo_u32 v88, v88, v196
	v_cvt_f32_ubyte1_e32 v173, v173
	v_cvt_f32_i32_e32 v91, v91
	v_fma_mix_f32 v197, v166, v197, 0 op_sel:[1,0,0] op_sel_hi:[1,0,0]
	v_cvt_f32_i32_e32 v87, v87
	v_cvt_f32_i32_e32 v90, v90
	v_cvt_f32_i32_e32 v93, v93
	v_cvt_f32_i32_e32 v92, v92
	v_fma_mix_f32 v169, v167, v173, v197 op_sel:[1,0,0] op_sel_hi:[1,0,0]
	v_cvt_f32_i32_e32 v88, v88
	v_fma_mix_f32 v90, v166, v90, 0 op_sel_hi:[1,0,0]
	v_fma_mix_f32 v91, v166, v91, 0 op_sel_hi:[1,0,0]
	;; [unrolled: 1-line block ×3, first 2 shown]
	v_dual_mul_f32 v125, v165, v81 :: v_dual_mul_f32 v126, v168, v82
	v_mul_f32_e32 v134, v169, v83
	v_fma_mix_f32 v89, v167, v92, v90 op_sel_hi:[1,0,0]
	v_fma_mix_f32 v90, v167, v93, v91 op_sel_hi:[1,0,0]
	;; [unrolled: 1-line block ×3, first 2 shown]
	s_add_co_i32 s17, s16, 8
	s_cmp_lt_u32 s16, 24
	v_fma_f32 v88, v89, v78, -v125
	v_fma_f32 v89, v90, v79, -v126
	;; [unrolled: 1-line block ×3, first 2 shown]
	s_wait_alu 0xfffe
	s_mov_b32 s16, s17
	s_delay_alu instid0(VALU_DEP_2) | instskip(NEXT) | instid1(VALU_DEP_2)
	v_dual_add_f32 v5, v5, v88 :: v_dual_add_f32 v42, v42, v89
	v_add_f32_e32 v35, v35, v87
	s_cbranch_scc1 .LBB213_19
; %bb.20:                               ;   in Loop: Header=BB213_5 Depth=1
	s_wait_loadcnt 0x0
	s_barrier_signal -1
	s_barrier_wait -1
	global_inv scope:SCOPE_SE
	s_branch .LBB213_4
.LBB213_21:
	s_mul_i32 s0, s7, s4
	s_wait_loadcnt 0x0
	s_wait_alu 0xfffe
	v_cmp_gt_i32_e32 vcc_lo, s0, v3
	s_and_saveexec_b32 s0, vcc_lo
	s_cbranch_execz .LBB213_30
; %bb.22:
	v_mul_lo_u32 v0, v3, s6
	v_add_nc_u32_e32 v1, s18, v4
	s_mov_b32 s0, exec_lo
	s_delay_alu instid0(VALU_DEP_1)
	v_cmpx_gt_u32_e64 s6, v1
	s_cbranch_execz .LBB213_24
; %bb.23:
	s_delay_alu instid0(VALU_DEP_3) | instskip(SKIP_1) | instid1(VALU_DEP_2)
	v_dual_mov_b32 v4, 0 :: v_dual_add_nc_u32 v3, v0, v1
	v_cvt_f16_f32_e32 v5, v5
	v_lshlrev_b64_e32 v[3:4], 1, v[3:4]
	s_delay_alu instid0(VALU_DEP_1) | instskip(SKIP_1) | instid1(VALU_DEP_2)
	v_add_co_u32 v3, vcc_lo, s8, v3
	s_wait_alu 0xfffd
	v_add_co_ci_u32_e64 v4, null, s9, v4, vcc_lo
	global_store_b16 v[3:4], v5, off
.LBB213_24:
	s_wait_alu 0xfffe
	s_or_b32 exec_lo, exec_lo, s0
	v_add_nc_u32_e32 v3, 32, v1
	s_mov_b32 s0, exec_lo
	s_delay_alu instid0(VALU_DEP_1)
	v_cmpx_gt_u32_e64 s6, v3
	s_cbranch_execz .LBB213_26
; %bb.25:
	v_dual_mov_b32 v4, 0 :: v_dual_add_nc_u32 v3, v0, v3
	v_cvt_f16_f32_e32 v5, v42
	s_delay_alu instid0(VALU_DEP_2) | instskip(NEXT) | instid1(VALU_DEP_1)
	v_lshlrev_b64_e32 v[3:4], 1, v[3:4]
	v_add_co_u32 v3, vcc_lo, s8, v3
	s_wait_alu 0xfffd
	s_delay_alu instid0(VALU_DEP_2)
	v_add_co_ci_u32_e64 v4, null, s9, v4, vcc_lo
	global_store_b16 v[3:4], v5, off
.LBB213_26:
	s_wait_alu 0xfffe
	s_or_b32 exec_lo, exec_lo, s0
	v_add_nc_u32_e32 v3, 64, v1
	s_mov_b32 s0, exec_lo
	s_delay_alu instid0(VALU_DEP_1)
	v_cmpx_gt_u32_e64 s6, v3
	s_cbranch_execz .LBB213_28
; %bb.27:
	v_dual_mov_b32 v4, 0 :: v_dual_add_nc_u32 v3, v0, v3
	v_cvt_f16_f32_e32 v5, v35
	s_delay_alu instid0(VALU_DEP_2) | instskip(NEXT) | instid1(VALU_DEP_1)
	v_lshlrev_b64_e32 v[3:4], 1, v[3:4]
	v_add_co_u32 v3, vcc_lo, s8, v3
	s_wait_alu 0xfffd
	s_delay_alu instid0(VALU_DEP_2)
	v_add_co_ci_u32_e64 v4, null, s9, v4, vcc_lo
	global_store_b16 v[3:4], v5, off
.LBB213_28:
	s_wait_alu 0xfffe
	s_or_b32 exec_lo, exec_lo, s0
	v_add_nc_u32_e32 v1, 0x60, v1
	s_delay_alu instid0(VALU_DEP_1)
	v_cmp_gt_u32_e32 vcc_lo, s6, v1
	s_and_b32 exec_lo, exec_lo, vcc_lo
	s_cbranch_execz .LBB213_30
; %bb.29:
	v_dual_mov_b32 v1, 0 :: v_dual_add_nc_u32 v0, v0, v1
	v_cvt_f16_f32_e32 v2, v2
	s_delay_alu instid0(VALU_DEP_2) | instskip(NEXT) | instid1(VALU_DEP_1)
	v_lshlrev_b64_e32 v[0:1], 1, v[0:1]
	v_add_co_u32 v0, vcc_lo, s8, v0
	s_wait_alu 0xfffd
	s_delay_alu instid0(VALU_DEP_2)
	v_add_co_ci_u32_e64 v1, null, s9, v1, vcc_lo
	global_store_b16 v[0:1], v2, off
.LBB213_30:
	s_nop 0
	s_sendmsg sendmsg(MSG_DEALLOC_VGPRS)
	s_endpgm
	.section	.rodata,"a",@progbits
	.p2align	6, 0x0
	.amdhsa_kernel _ZL8moe_q5_KIN3c104HalfELb0EEvPKvS3_PT_PKiS7_S7_iiiiiii
		.amdhsa_group_segment_fixed_size 37072
		.amdhsa_private_segment_fixed_size 0
		.amdhsa_kernarg_size 76
		.amdhsa_user_sgpr_count 2
		.amdhsa_user_sgpr_dispatch_ptr 0
		.amdhsa_user_sgpr_queue_ptr 0
		.amdhsa_user_sgpr_kernarg_segment_ptr 1
		.amdhsa_user_sgpr_dispatch_id 0
		.amdhsa_user_sgpr_private_segment_size 0
		.amdhsa_wavefront_size32 1
		.amdhsa_uses_dynamic_stack 0
		.amdhsa_enable_private_segment 0
		.amdhsa_system_sgpr_workgroup_id_x 1
		.amdhsa_system_sgpr_workgroup_id_y 1
		.amdhsa_system_sgpr_workgroup_id_z 0
		.amdhsa_system_sgpr_workgroup_info 0
		.amdhsa_system_vgpr_workitem_id 1
		.amdhsa_next_free_vgpr 231
		.amdhsa_next_free_sgpr 23
		.amdhsa_reserve_vcc 1
		.amdhsa_float_round_mode_32 0
		.amdhsa_float_round_mode_16_64 0
		.amdhsa_float_denorm_mode_32 3
		.amdhsa_float_denorm_mode_16_64 3
		.amdhsa_fp16_overflow 0
		.amdhsa_workgroup_processor_mode 1
		.amdhsa_memory_ordered 1
		.amdhsa_forward_progress 1
		.amdhsa_inst_pref_size 78
		.amdhsa_round_robin_scheduling 0
		.amdhsa_exception_fp_ieee_invalid_op 0
		.amdhsa_exception_fp_denorm_src 0
		.amdhsa_exception_fp_ieee_div_zero 0
		.amdhsa_exception_fp_ieee_overflow 0
		.amdhsa_exception_fp_ieee_underflow 0
		.amdhsa_exception_fp_ieee_inexact 0
		.amdhsa_exception_int_div_zero 0
	.end_amdhsa_kernel
	.section	.text._ZL8moe_q5_KIN3c104HalfELb0EEvPKvS3_PT_PKiS7_S7_iiiiiii,"axG",@progbits,_ZL8moe_q5_KIN3c104HalfELb0EEvPKvS3_PT_PKiS7_S7_iiiiiii,comdat
.Lfunc_end213:
	.size	_ZL8moe_q5_KIN3c104HalfELb0EEvPKvS3_PT_PKiS7_S7_iiiiiii, .Lfunc_end213-_ZL8moe_q5_KIN3c104HalfELb0EEvPKvS3_PT_PKiS7_S7_iiiiiii
                                        ; -- End function
	.set _ZL8moe_q5_KIN3c104HalfELb0EEvPKvS3_PT_PKiS7_S7_iiiiiii.num_vgpr, 231
	.set _ZL8moe_q5_KIN3c104HalfELb0EEvPKvS3_PT_PKiS7_S7_iiiiiii.num_agpr, 0
	.set _ZL8moe_q5_KIN3c104HalfELb0EEvPKvS3_PT_PKiS7_S7_iiiiiii.numbered_sgpr, 23
	.set _ZL8moe_q5_KIN3c104HalfELb0EEvPKvS3_PT_PKiS7_S7_iiiiiii.num_named_barrier, 0
	.set _ZL8moe_q5_KIN3c104HalfELb0EEvPKvS3_PT_PKiS7_S7_iiiiiii.private_seg_size, 0
	.set _ZL8moe_q5_KIN3c104HalfELb0EEvPKvS3_PT_PKiS7_S7_iiiiiii.uses_vcc, 1
	.set _ZL8moe_q5_KIN3c104HalfELb0EEvPKvS3_PT_PKiS7_S7_iiiiiii.uses_flat_scratch, 0
	.set _ZL8moe_q5_KIN3c104HalfELb0EEvPKvS3_PT_PKiS7_S7_iiiiiii.has_dyn_sized_stack, 0
	.set _ZL8moe_q5_KIN3c104HalfELb0EEvPKvS3_PT_PKiS7_S7_iiiiiii.has_recursion, 0
	.set _ZL8moe_q5_KIN3c104HalfELb0EEvPKvS3_PT_PKiS7_S7_iiiiiii.has_indirect_call, 0
	.section	.AMDGPU.csdata,"",@progbits
; Kernel info:
; codeLenInByte = 9892
; TotalNumSgprs: 25
; NumVgprs: 231
; ScratchSize: 0
; MemoryBound: 0
; FloatMode: 240
; IeeeMode: 1
; LDSByteSize: 37072 bytes/workgroup (compile time only)
; SGPRBlocks: 0
; VGPRBlocks: 28
; NumSGPRsForWavesPerEU: 25
; NumVGPRsForWavesPerEU: 231
; Occupancy: 6
; WaveLimiterHint : 1
; COMPUTE_PGM_RSRC2:SCRATCH_EN: 0
; COMPUTE_PGM_RSRC2:USER_SGPR: 2
; COMPUTE_PGM_RSRC2:TRAP_HANDLER: 0
; COMPUTE_PGM_RSRC2:TGID_X_EN: 1
; COMPUTE_PGM_RSRC2:TGID_Y_EN: 1
; COMPUTE_PGM_RSRC2:TGID_Z_EN: 0
; COMPUTE_PGM_RSRC2:TIDIG_COMP_CNT: 1
	.section	.text._ZL8moe_q5_KIN3c104HalfELb1EEvPKvS3_PT_PKiS7_S7_iiiiiii,"axG",@progbits,_ZL8moe_q5_KIN3c104HalfELb1EEvPKvS3_PT_PKiS7_S7_iiiiiii,comdat
	.globl	_ZL8moe_q5_KIN3c104HalfELb1EEvPKvS3_PT_PKiS7_S7_iiiiiii ; -- Begin function _ZL8moe_q5_KIN3c104HalfELb1EEvPKvS3_PT_PKiS7_S7_iiiiiii
	.p2align	8
	.type	_ZL8moe_q5_KIN3c104HalfELb1EEvPKvS3_PT_PKiS7_S7_iiiiiii,@function
_ZL8moe_q5_KIN3c104HalfELb1EEvPKvS3_PT_PKiS7_S7_iiiiiii: ; @_ZL8moe_q5_KIN3c104HalfELb1EEvPKvS3_PT_PKiS7_S7_iiiiiii
; %bb.0:
	s_load_b128 s[4:7], s[0:1], 0x18
	s_mov_b32 s2, ttmp7
	s_mov_b32 s3, 0
	s_delay_alu instid0(SALU_CYCLE_1)
	s_lshl_b64 s[2:3], s[2:3], 2
	s_wait_kmcnt 0x0
	s_add_nc_u64 s[2:3], s[6:7], s[2:3]
	s_load_b32 s14, s[2:3], 0x0
	s_wait_kmcnt 0x0
	s_cmp_gt_u32 s14, 0xff
	s_cbranch_scc1 .LBB214_30
; %bb.1:
	s_load_b64 s[2:3], s[0:1], 0x28
	s_wait_kmcnt 0x0
	s_load_b32 s3, s[2:3], 0x0
	s_lshl_b32 s2, ttmp7, 3
	s_wait_kmcnt 0x0
	s_cmp_gt_u32 s2, s3
	s_cbranch_scc1 .LBB214_30
; %bb.2:
	v_bfe_u32 v18, v0, 10, 10
	v_mov_b32_e32 v17, 0
	s_lshl_b32 s11, ttmp9, 7
	s_delay_alu instid0(VALU_DEP_2) | instskip(NEXT) | instid1(VALU_DEP_2)
	v_add_nc_u32_e32 v16, s2, v18
	v_dual_mov_b32 v50, v17 :: v_dual_and_b32 v21, 0x3ff, v0
	v_dual_mov_b32 v53, v17 :: v_dual_mov_b32 v22, v17
	s_delay_alu instid0(VALU_DEP_3) | instskip(NEXT) | instid1(VALU_DEP_1)
	v_lshlrev_b64_e32 v[1:2], 2, v[16:17]
	v_add_co_u32 v1, vcc_lo, s4, v1
	s_delay_alu instid0(VALU_DEP_1)
	v_add_co_ci_u32_e64 v2, null, s5, v2, vcc_lo
	global_load_b32 v20, v[1:2], off
	s_clause 0x2
	s_load_b128 s[4:7], s[0:1], 0x30
	s_load_b64 s[12:13], s[0:1], 0x10
	s_load_b96 s[8:10], s[0:1], 0x40
	s_wait_kmcnt 0x0
	s_cmp_lt_i32 s5, 0x100
	s_cbranch_scc1 .LBB214_21
; %bb.3:
	s_ashr_i32 s15, s5, 31
	s_mul_i32 s14, s14, s4
	s_lshr_b32 s4, s15, 24
	v_dual_mov_b32 v22, 0 :: v_dual_lshlrev_b32 v1, 1, v0
	s_wait_alu 0xfffe
	s_add_co_i32 s4, s5, s4
	v_and_b32_e32 v2, 7, v0
	s_wait_alu 0xfffe
	s_ashr_i32 s4, s4, 8
	v_lshlrev_b32_e32 v36, 5, v18
	s_ashr_i32 s17, s8, 31
	s_wait_alu 0xfffe
	s_mul_i32 s16, s4, s11
	v_and_or_b32 v1, v1, 48, v2
	s_not_b32 s20, s11
	s_lshr_b32 s21, s17, 27
	s_ashr_i32 s17, s16, 31
	v_add_nc_u32_e32 v2, 8, v18
	v_add_nc_u32_e32 v5, 16, v18
	;; [unrolled: 1-line block ×3, first 2 shown]
	s_mul_u64 s[18:19], s[16:17], 0xb0
	s_add_co_i32 s16, s6, s20
	v_add_nc_u32_e32 v6, 24, v18
	v_add_nc_u32_e32 v7, 32, v18
	v_min_i32_e32 v3, s16, v18
	v_lshlrev_b32_e32 v17, 2, v1
	v_add_nc_u32_e32 v8, 40, v18
	v_min_i32_e32 v4, s16, v2
	v_add_nc_u32_e32 v9, 48, v18
	v_min_i32_e32 v5, s16, v5
	v_add_nc_u32_e32 v10, 56, v18
	v_and_b32_e32 v14, 0x7f, v14
	v_min_i32_e32 v6, s16, v6
	v_add_nc_u32_e32 v11, 64, v18
	v_min_i32_e32 v7, s16, v7
	v_add_nc_u32_e32 v12, 0x48, v18
	v_mad_co_u64_u32 v[1:2], null, 0x104, v3, v[17:18]
	v_min_i32_e32 v8, s16, v8
	v_add_nc_u32_e32 v13, 0x50, v18
	v_mul_lo_u32 v28, v3, s4
	v_mad_co_u64_u32 v[2:3], null, 0x104, v4, v[17:18]
	v_min_i32_e32 v9, s16, v9
	v_add_nc_u32_e32 v15, 0x58, v18
	v_add_nc_u32_e32 v16, 0x60, v18
	v_mul_lo_u32 v29, v4, s4
	v_mad_co_u64_u32 v[3:4], null, 0x104, v5, v[17:18]
	v_min_i32_e32 v10, s16, v10
	v_min_i32_e32 v45, s16, v14
	v_mul_lo_u32 v30, v5, s4
	v_mad_co_u64_u32 v[4:5], null, 0x104, v6, v[17:18]
	v_min_i32_e32 v11, s16, v11
	v_mul_lo_u32 v31, v6, s4
	v_mad_co_u64_u32 v[5:6], null, 0x104, v7, v[17:18]
	;; [unrolled: 3-line block ×4, first 2 shown]
	v_min_i32_e32 v15, s16, v15
	v_min_i32_e32 v14, s16, v16
	v_add_nc_u32_e32 v16, 0x68, v18
	v_mul_lo_u32 v34, v9, s4
	v_mad_co_u64_u32 v[8:9], null, 0x104, v10, v[17:18]
	v_ashrrev_i32_e32 v42, 31, v45
	v_mul_lo_u32 v35, v10, s4
	v_mad_co_u64_u32 v[9:10], null, 0x104, v11, v[17:18]
	v_mul_lo_u32 v37, v11, s4
	v_mad_co_u64_u32 v[10:11], null, 0x104, v12, v[17:18]
	s_load_b128 s[0:3], s[0:1], 0x0
	v_mul_lo_u32 v38, v12, s4
	v_mad_co_u64_u32 v[11:12], null, 0x104, v13, v[17:18]
	v_mul_lo_u32 v39, v13, s4
	v_mul_lo_u32 v40, v15, s4
	v_mad_co_u64_u32 v[12:13], null, 0x104, v15, v[17:18]
	v_min_i32_e32 v15, s16, v16
	v_add_nc_u32_e32 v16, 0x70, v18
	v_lshrrev_b32_e32 v43, 27, v42
	v_bfe_u32 v19, v0, 2, 8
	v_mul_lo_u32 v41, v14, s4
	v_mad_co_u64_u32 v[13:14], null, 0x104, v14, v[17:18]
	v_min_i32_e32 v16, s16, v16
	v_add_nc_u32_e32 v46, v45, v43
	v_mul_lo_u32 v42, v15, s4
	v_mad_co_u64_u32 v[14:15], null, 0x104, v15, v[17:18]
	s_delay_alu instid0(VALU_DEP_4)
	v_mul_lo_u32 v43, v16, s4
	v_mad_co_u64_u32 v[15:16], null, 0x104, v16, v[17:18]
	v_ashrrev_i32_e32 v46, 5, v46
	v_lshl_add_u32 v16, v18, 3, v19
	v_add_nc_u32_e32 v44, 0x78, v18
	v_and_b32_e32 v25, 6, v19
	v_and_b32_e32 v51, 3, v0
	v_lshlrev_b32_e32 v19, 2, v46
	v_lshlrev_b32_e32 v46, 2, v45
	v_and_b32_e32 v49, 0x7f, v16
	s_ashr_i32 s15, s14, 31
	v_min_i32_e32 v47, s16, v44
	s_wait_kmcnt 0x0
	s_add_nc_u64 s[0:1], s[0:1], s[14:15]
	v_add_nc_u32_e32 v48, 0xfe, v51
	s_add_nc_u64 s[14:15], s[0:1], s[18:19]
	v_add3_u32 v46, v19, v46, 0x8e40
	v_min_i32_e32 v19, s16, v49
	s_abs_i32 s1, s10
	v_mad_co_u64_u32 v[16:17], null, 0x104, v47, v[17:18]
	s_cvt_f32_u32 s0, s1
	v_mul_lo_u32 v44, v47, s4
	v_and_b32_e32 v17, 0xff, v48
	v_xor_b32_e32 v47, 64, v49
	v_ashrrev_i32_e32 v48, 31, v19
	v_cmp_gt_u32_e32 vcc_lo, 2, v51
	v_rcp_iflag_f32_e32 v49, s0
	v_lshlrev_b32_e32 v50, 2, v21
	v_min_i32_e32 v52, s16, v47
	v_lshrrev_b32_e32 v48, 29, v48
	s_wait_alu 0xfffd
	v_cndmask_b32_e32 v17, v17, v51, vcc_lo
	v_cmp_ne_u32_e64 s0, 0, v51
	v_cmp_lt_u32_e32 vcc_lo, 1, v51
	v_ashrrev_i32_e32 v53, 31, v52
	v_add_nc_u32_e32 v48, v19, v48
	s_add_co_i32 s6, s8, s21
	s_wait_alu 0xf1ff
	v_add_co_ci_u32_e64 v65, null, 0, v17, s0
	v_readfirstlane_b32 s0, v49
	v_lshrrev_b32_e32 v53, 29, v53
	v_ashrrev_i32_e32 v54, 3, v48
	v_lshlrev_b32_e32 v48, 1, v17
	s_sub_co_i32 s8, 0, s1
	s_mul_f32 s0, s0, 0x4f7ffffe
	v_add_nc_u32_e32 v17, v52, v53
	v_lshlrev_b32_e32 v53, 2, v54
	v_lshlrev_b32_e32 v54, 2, v51
	s_wait_loadcnt 0x0
	v_sub_nc_u32_e32 v51, 0, v20
	s_wait_alu 0xfffe
	s_cvt_u32_f32 s0, s0
	v_and_b32_e32 v55, 31, v0
	v_mul_lo_u32 v49, v19, s4
	v_lshlrev_b32_e32 v67, 4, v19
	s_wait_alu 0xfffe
	s_mul_i32 s8, s8, s0
	v_max_i32_e32 v56, v20, v51
	s_mul_hi_u32 s8, s0, s8
	v_lshlrev_b32_e32 v55, 2, v55
	s_add_co_i32 s0, s0, s8
	v_bfe_u32 v23, v0, 5, 5
	s_wait_alu 0xfffe
	v_mul_hi_u32 v57, v56, s0
	v_and_b32_e32 v47, 4, v50
	v_lshl_or_b32 v19, v18, 7, v55
	v_lshlrev_b32_e32 v70, 4, v18
	v_lshlrev_b32_e32 v58, 2, v23
	s_wait_alu 0xfffd
	v_cndmask_b32_e64 v66, 0, 1, vcc_lo
	v_cndmask_b32_e32 v47, 0, v47, vcc_lo
	v_xor_b32_e32 v60, s10, v20
	v_mul_lo_u32 v55, v57, s1
	v_ashrrev_i32_e32 v17, 3, v17
	v_mul_lo_u32 v51, v52, s4
	v_lshlrev_b32_e32 v68, 4, v52
	v_ashrrev_i32_e32 v60, 31, v60
	v_add_nc_u32_e32 v52, 0x8a40, v19
	v_lshlrev_b32_e32 v17, 2, v17
	v_add_nc_u32_e32 v19, 32, v21
	v_sub_nc_u32_e32 v18, v56, v55
	v_add3_u32 v55, v58, v50, 0x8e40
	v_add_nc_u32_e32 v56, 1, v57
	v_add3_u32 v53, v53, v54, 0x8200
	v_add3_u32 v17, v17, v54, 0x8200
	v_subrev_nc_u32_e32 v58, s1, v18
	v_cmp_le_u32_e32 vcc_lo, s1, v18
	v_lshrrev_b32_e32 v54, 3, v19
	v_add_nc_u32_e32 v59, 0x60, v21
	s_ashr_i32 s6, s6, 5
	s_wait_alu 0xfffd
	v_dual_cndmask_b32 v56, v57, v56 :: v_dual_lshlrev_b32 v73, 2, v19
	v_dual_cndmask_b32 v18, v18, v58 :: v_dual_add_nc_u32 v57, 64, v21
	v_and_b32_e32 v19, 60, v54
	v_lshrrev_b32_e32 v76, 3, v59
	s_delay_alu instid0(VALU_DEP_4) | instskip(NEXT) | instid1(VALU_DEP_4)
	v_add_nc_u32_e32 v58, 1, v56
	v_cmp_le_u32_e32 vcc_lo, s1, v18
	v_lshrrev_b32_e32 v74, 3, v57
	v_and_b32_e32 v26, 28, v50
	s_movk_i32 s1, 0x2080
	v_add_nc_u32_e32 v69, 0x9050, v50
	s_wait_alu 0xfffd
	v_cndmask_b32_e32 v18, v56, v58, vcc_lo
	v_bfe_u32 v0, v0, 3, 7
	v_and_b32_e32 v58, 60, v74
	v_add3_u32 v56, v50, v19, 0x8e40
	v_and_b32_e32 v19, 60, v76
	v_xor_b32_e32 v18, v18, v60
	v_lshlrev_b32_e32 v75, 2, v57
	v_lshlrev_b32_e32 v77, 2, v59
	s_movk_i32 s8, 0x6180
	v_mul_lo_u32 v45, v45, s4
	v_sub_nc_u32_e32 v18, v18, v60
	s_wait_alu 0xfffe
	v_mad_u32_u24 v60, 0x104, v21, s1
	s_movk_i32 s1, 0x4100
	v_cmp_gt_u32_e64 s0, 4, v21
	s_wait_alu 0xfffe
	v_mad_u32_u24 v62, 0x104, v21, s1
	v_mul_lo_u32 v61, v18, s6
	v_mad_u32_u24 v63, 0x104, v21, s8
	v_cmp_gt_i32_e64 s1, s7, v18
	v_add_co_u32 v18, s8, s2, v26
	v_and_b32_e32 v24, 0x7c, v50
	v_or_b32_e32 v27, 1, v25
	v_add3_u32 v57, v50, v58, 0x8e40
	v_add3_u32 v58, v50, v19, 0x8e40
	v_mul_u32_u24_e32 v59, 0x104, v21
	s_wait_alu 0xf1ff
	v_add_co_ci_u32_e64 v19, null, s3, 0, s8
	v_ashrrev_i32_e32 v64, 31, v61
	v_lshlrev_b32_e32 v65, 2, v65
	v_lshlrev_b32_e32 v66, 2, v66
	v_add_nc_u32_e32 v67, v53, v67
	v_add_nc_u32_e32 v68, v17, v68
	;; [unrolled: 1-line block ×3, first 2 shown]
	v_lshlrev_b32_e32 v70, 2, v0
	v_lshlrev_b32_e32 v71, 2, v50
	;; [unrolled: 1-line block ×8, first 2 shown]
	v_dual_mov_b32 v53, 0 :: v_dual_mov_b32 v50, 0
	v_mov_b32_e32 v17, 0
	s_mov_b32 s17, 0
	s_and_b32 s8, s0, s1
	s_wait_alu 0xfffe
	s_mov_b32 s16, s17
	s_branch .LBB214_5
.LBB214_4:                              ;   in Loop: Header=BB214_5 Depth=1
	s_add_co_i32 s16, s16, 1
	s_wait_alu 0xfffe
	s_cmp_eq_u32 s16, s4
	s_cbranch_scc1 .LBB214_21
.LBB214_5:                              ; =>This Loop Header: Depth=1
                                        ;     Child Loop BB214_11 Depth 2
                                        ;     Child Loop BB214_19 Depth 2
	s_wait_alu 0xfffe
	s_mul_u64 s[18:19], s[16:17], 0xb0
	s_wait_alu 0xfffe
	s_add_nc_u64 s[18:19], s[14:15], s[18:19]
	s_wait_alu 0xfffe
	v_mad_co_u64_u32 v[78:79], null, 0xb0, v23, s[18:19]
	s_delay_alu instid0(VALU_DEP_1) | instskip(SKIP_3) | instid1(VALU_DEP_4)
	v_mad_co_i64_i32 v[80:81], null, 0xb0, v28, v[78:79]
	v_mad_co_i64_i32 v[82:83], null, 0xb0, v29, v[78:79]
	;; [unrolled: 1-line block ×4, first 2 shown]
	v_add_co_u32 v86, vcc_lo, v80, v24
	s_wait_alu 0xfffd
	v_add_co_ci_u32_e64 v87, null, 0, v81, vcc_lo
	v_add_co_u32 v80, vcc_lo, v80, v26
	s_wait_alu 0xfffd
	v_add_co_ci_u32_e64 v81, null, 0, v81, vcc_lo
	;; [unrolled: 3-line block ×6, first 2 shown]
	v_add_co_u32 v94, vcc_lo, v90, v24
	v_mad_co_i64_i32 v[96:97], null, 0xb0, v32, v[78:79]
	s_wait_alu 0xfffd
	v_add_co_ci_u32_e64 v95, null, 0, v91, vcc_lo
	v_add_co_u32 v90, vcc_lo, v90, v26
	s_wait_alu 0xfffd
	v_add_co_ci_u32_e64 v91, null, 0, v91, vcc_lo
	s_clause 0x7
	global_load_b32 v102, v[86:87], off offset:48
	global_load_b32 v103, v[80:81], off offset:16
	;; [unrolled: 1-line block ×8, first 2 shown]
	v_mad_co_i64_i32 v[80:81], null, 0xb0, v33, v[78:79]
	v_add_co_u32 v82, vcc_lo, v96, v24
	v_mad_co_i64_i32 v[88:89], null, 0xb0, v34, v[78:79]
	s_wait_alu 0xfffd
	v_add_co_ci_u32_e64 v83, null, 0, v97, vcc_lo
	v_add_co_u32 v84, vcc_lo, v96, v26
	s_wait_alu 0xfffd
	v_add_co_ci_u32_e64 v85, null, 0, v97, vcc_lo
	v_add_co_u32 v86, vcc_lo, v80, v24
	v_mad_co_i64_i32 v[90:91], null, 0xb0, v35, v[78:79]
	s_wait_alu 0xfffd
	v_add_co_ci_u32_e64 v87, null, 0, v81, vcc_lo
	v_add_co_u32 v80, vcc_lo, v80, v26
	s_wait_alu 0xfffd
	v_add_co_ci_u32_e64 v81, null, 0, v81, vcc_lo
	v_add_co_u32 v92, vcc_lo, v88, v24
	;; [unrolled: 3-line block ×4, first 2 shown]
	v_mad_co_i64_i32 v[96:97], null, 0xb0, v37, v[78:79]
	s_wait_alu 0xfffd
	v_add_co_ci_u32_e64 v95, null, 0, v91, vcc_lo
	v_add_co_u32 v90, vcc_lo, v90, v26
	s_wait_alu 0xfffd
	v_add_co_ci_u32_e64 v91, null, 0, v91, vcc_lo
	s_clause 0x7
	global_load_b32 v110, v[82:83], off offset:48
	global_load_b32 v111, v[84:85], off offset:16
	;; [unrolled: 1-line block ×8, first 2 shown]
	v_mad_co_i64_i32 v[82:83], null, 0xb0, v38, v[78:79]
	v_add_co_u32 v80, vcc_lo, v96, v24
	v_mad_co_i64_i32 v[86:87], null, 0xb0, v39, v[78:79]
	s_wait_alu 0xfffd
	v_add_co_ci_u32_e64 v81, null, 0, v97, vcc_lo
	v_add_co_u32 v84, vcc_lo, v96, v26
	s_wait_alu 0xfffd
	v_add_co_ci_u32_e64 v85, null, 0, v97, vcc_lo
	v_add_co_u32 v88, vcc_lo, v82, v24
	v_mad_co_i64_i32 v[92:93], null, 0xb0, v40, v[78:79]
	s_wait_alu 0xfffd
	v_add_co_ci_u32_e64 v89, null, 0, v83, vcc_lo
	v_add_co_u32 v82, vcc_lo, v82, v26
	s_wait_alu 0xfffd
	v_add_co_ci_u32_e64 v83, null, 0, v83, vcc_lo
	;; [unrolled: 7-line block ×3, first 2 shown]
	v_add_co_u32 v96, vcc_lo, v92, v24
	s_wait_alu 0xfffd
	v_add_co_ci_u32_e64 v97, null, 0, v93, vcc_lo
	v_add_co_u32 v92, vcc_lo, v92, v26
	s_wait_alu 0xfffd
	v_add_co_ci_u32_e64 v93, null, 0, v93, vcc_lo
	v_add_co_u32 v98, vcc_lo, v94, v24
	v_mad_co_i64_i32 v[100:101], null, 0xb0, v42, v[78:79]
	s_wait_alu 0xfffd
	v_add_co_ci_u32_e64 v99, null, 0, v95, vcc_lo
	v_add_co_u32 v94, vcc_lo, v94, v26
	s_wait_alu 0xfffd
	v_add_co_ci_u32_e64 v95, null, 0, v95, vcc_lo
	s_clause 0x9
	global_load_b32 v118, v[80:81], off offset:48
	global_load_b32 v119, v[84:85], off offset:16
	;; [unrolled: 1-line block ×10, first 2 shown]
	v_mad_co_i64_i32 v[80:81], null, 0xb0, v43, v[78:79]
	v_add_co_u32 v82, vcc_lo, v100, v24
	s_wait_alu 0xfffd
	v_add_co_ci_u32_e64 v83, null, 0, v101, vcc_lo
	v_add_co_u32 v84, vcc_lo, v100, v26
	v_mad_co_i64_i32 v[78:79], null, 0xb0, v44, v[78:79]
	s_wait_alu 0xfffd
	v_add_co_ci_u32_e64 v85, null, 0, v101, vcc_lo
	v_add_co_u32 v86, vcc_lo, v80, v24
	s_wait_alu 0xfffd
	v_add_co_ci_u32_e64 v87, null, 0, v81, vcc_lo
	v_add_co_u32 v80, vcc_lo, v80, v26
	s_wait_alu 0xfffd
	v_add_co_ci_u32_e64 v81, null, 0, v81, vcc_lo
	s_clause 0x3
	global_load_b32 v95, v[82:83], off offset:48
	global_load_b32 v97, v[84:85], off offset:16
	;; [unrolled: 1-line block ×4, first 2 shown]
	v_add_co_u32 v80, vcc_lo, v78, v24
	v_mad_co_i64_i32 v[82:83], null, 0xb0, v49, s[18:19]
	s_wait_alu 0xfffd
	v_add_co_ci_u32_e64 v81, null, 0, v79, vcc_lo
	v_add_co_u32 v78, vcc_lo, v78, v26
	v_mad_co_i64_i32 v[84:85], null, 0xb0, v51, s[18:19]
	s_wait_alu 0xfffd
	v_add_co_ci_u32_e64 v79, null, 0, v79, vcc_lo
	s_clause 0x1
	global_load_b32 v98, v[80:81], off offset:48
	global_load_b32 v99, v[78:79], off offset:16
	v_add_co_u32 v78, vcc_lo, v82, v65
	s_wait_alu 0xfffd
	v_add_co_ci_u32_e64 v79, null, 0, v83, vcc_lo
	v_add_co_u32 v80, vcc_lo, v84, v65
	s_wait_alu 0xfffd
	v_add_co_ci_u32_e64 v81, null, 0, v85, vcc_lo
	;; [unrolled: 3-line block ×3, first 2 shown]
	s_clause 0x1
	global_load_b32 v100, v[78:79], off offset:4
	global_load_b32 v101, v[80:81], off offset:4
	v_add_co_u32 v78, vcc_lo, v84, v66
	v_mad_co_i64_i32 v[80:81], null, 0xb0, v45, s[18:19]
	s_wait_alu 0xfffd
	v_add_co_ci_u32_e64 v79, null, 0, v85, vcc_lo
	s_clause 0x2
	global_load_b32 v82, v[82:83], off offset:4
	global_load_b32 v78, v[78:79], off offset:4
	global_load_b32 v79, v[80:81], off
	s_lshl_b32 s18, s16, 8
	s_wait_alu 0xfffe
	s_cmp_lt_i32 s18, s5
	s_wait_loadcnt 0x24
	v_lshrrev_b32_e32 v81, 4, v102
	s_wait_loadcnt 0x23
	v_ashrrev_i32_e32 v83, v25, v103
	v_ashrrev_i32_e32 v84, v27, v103
	v_and_b32_e32 v80, 0xf0f0f0f, v102
	s_wait_loadcnt 0x22
	v_and_b32_e32 v85, 0xf0f0f0f, v104
	v_lshrrev_b32_e32 v102, 4, v104
	s_wait_loadcnt 0x21
	v_ashrrev_i32_e32 v103, v25, v105
	v_ashrrev_i32_e32 v104, v27, v105
	s_wait_loadcnt 0x20
	v_and_b32_e32 v105, 0xf0f0f0f, v106
	v_lshrrev_b32_e32 v106, 4, v106
	s_wait_loadcnt 0x1f
	v_ashrrev_i32_e32 v120, v25, v107
	v_ashrrev_i32_e32 v107, v27, v107
	;; [unrolled: 6-line block ×3, first 2 shown]
	v_and_b32_e32 v81, 0xf0f0f0f, v81
	v_lshlrev_b32_e32 v83, 4, v83
	v_lshlrev_b32_e32 v84, 4, v84
	v_and_b32_e32 v102, 0xf0f0f0f, v102
	v_lshlrev_b32_e32 v103, 4, v103
	v_lshlrev_b32_e32 v104, 4, v104
	;; [unrolled: 3-line block ×4, first 2 shown]
	v_and_or_b32 v80, 0x10101010, v83, v80
	v_and_or_b32 v81, 0x10101010, v84, v81
	;; [unrolled: 1-line block ×8, first 2 shown]
	s_wait_loadcnt 0x1c
	v_and_b32_e32 v123, 0xf0f0f0f, v110
	v_lshrrev_b32_e32 v110, 4, v110
	s_wait_loadcnt 0x1b
	v_ashrrev_i32_e32 v124, v25, v111
	v_ashrrev_i32_e32 v111, v27, v111
	s_wait_loadcnt 0x1a
	v_and_b32_e32 v125, 0xf0f0f0f, v112
	v_lshrrev_b32_e32 v112, 4, v112
	s_wait_loadcnt 0x19
	v_ashrrev_i32_e32 v126, v25, v113
	v_ashrrev_i32_e32 v113, v27, v113
	;; [unrolled: 6-line block ×4, first 2 shown]
	v_and_b32_e32 v110, 0xf0f0f0f, v110
	v_lshlrev_b32_e32 v124, 4, v124
	v_lshlrev_b32_e32 v111, 4, v111
	v_and_b32_e32 v112, 0xf0f0f0f, v112
	v_lshlrev_b32_e32 v126, 4, v126
	v_lshlrev_b32_e32 v113, 4, v113
	;; [unrolled: 3-line block ×4, first 2 shown]
	v_and_or_b32 v105, 0x10101010, v124, v123
	v_and_or_b32 v106, 0x10101010, v111, v110
	;; [unrolled: 1-line block ×8, first 2 shown]
	s_wait_loadcnt 0x14
	v_and_b32_e32 v131, 0xf0f0f0f, v118
	v_lshrrev_b32_e32 v118, 4, v118
	s_wait_loadcnt 0x13
	v_ashrrev_i32_e32 v132, v25, v119
	v_ashrrev_i32_e32 v119, v27, v119
	s_wait_loadcnt 0x12
	v_and_b32_e32 v133, 0xf0f0f0f, v88
	v_lshrrev_b32_e32 v88, 4, v88
	s_wait_loadcnt 0x11
	v_ashrrev_i32_e32 v134, v25, v89
	v_ashrrev_i32_e32 v89, v27, v89
	s_wait_loadcnt 0x10
	v_and_b32_e32 v135, 0xf0f0f0f, v90
	v_lshrrev_b32_e32 v90, 4, v90
	s_wait_loadcnt 0xf
	v_ashrrev_i32_e32 v136, v25, v91
	v_ashrrev_i32_e32 v91, v27, v91
	s_wait_loadcnt 0xe
	v_and_b32_e32 v137, 0xf0f0f0f, v96
	v_lshrrev_b32_e32 v96, 4, v96
	s_wait_loadcnt 0xd
	v_ashrrev_i32_e32 v138, v25, v92
	v_ashrrev_i32_e32 v92, v27, v92
	s_wait_loadcnt 0xc
	v_and_b32_e32 v139, 0xf0f0f0f, v93
	v_lshrrev_b32_e32 v93, 4, v93
	s_wait_loadcnt 0xb
	v_ashrrev_i32_e32 v140, v25, v94
	v_ashrrev_i32_e32 v94, v27, v94
	v_and_b32_e32 v118, 0xf0f0f0f, v118
	v_lshlrev_b32_e32 v132, 4, v132
	v_lshlrev_b32_e32 v119, 4, v119
	v_and_b32_e32 v88, 0xf0f0f0f, v88
	v_lshlrev_b32_e32 v134, 4, v134
	v_lshlrev_b32_e32 v89, 4, v89
	;; [unrolled: 3-line block ×3, first 2 shown]
	v_and_b32_e32 v96, 0xf0f0f0f, v96
	s_wait_loadcnt 0x7
	v_ashrrev_i32_e32 v144, v25, v87
	v_ashrrev_i32_e32 v87, v27, v87
	v_lshlrev_b32_e32 v138, 4, v138
	v_lshlrev_b32_e32 v92, 4, v92
	v_and_b32_e32 v93, 0xf0f0f0f, v93
	v_lshlrev_b32_e32 v140, 4, v140
	v_lshlrev_b32_e32 v94, 4, v94
	v_lshrrev_b32_e32 v143, 4, v86
	v_and_b32_e32 v141, 0xf0f0f0f, v95
	v_lshrrev_b32_e32 v95, 4, v95
	v_ashrrev_i32_e32 v142, v25, v97
	v_ashrrev_i32_e32 v97, v27, v97
	v_and_or_b32 v113, 0x10101010, v132, v131
	v_and_or_b32 v114, 0x10101010, v119, v118
	;; [unrolled: 1-line block ×10, first 2 shown]
	ds_store_2addr_b32 v1, v80, v81 offset1:8
	ds_store_2addr_b32 v2, v83, v84 offset1:8
	;; [unrolled: 1-line block ×13, first 2 shown]
	v_and_b32_e32 v81, 0xf0f0f0f, v86
	v_lshlrev_b32_e32 v84, 4, v144
	v_lshlrev_b32_e32 v85, 4, v87
	s_wait_loadcnt 0x5
	v_ashrrev_i32_e32 v87, v25, v99
	v_and_b32_e32 v83, 0xf0f0f0f, v143
	v_lshrrev_b32_e32 v86, 4, v98
	v_ashrrev_i32_e32 v88, v27, v99
	v_and_b32_e32 v95, 0xf0f0f0f, v95
	v_lshlrev_b32_e32 v142, 4, v142
	v_lshlrev_b32_e32 v97, 4, v97
	v_and_or_b32 v81, 0x10101010, v84, v81
	v_and_b32_e32 v84, 0xf0f0f0f, v98
	v_lshlrev_b32_e32 v87, 4, v87
	s_wait_loadcnt 0x4
	v_ashrrev_i32_e32 v89, v47, v100
	v_and_or_b32 v83, 0x10101010, v85, v83
	s_wait_loadcnt 0x3
	v_ashrrev_i32_e32 v85, v47, v101
	v_and_b32_e32 v86, 0xf0f0f0f, v86
	v_lshlrev_b32_e32 v88, 4, v88
	v_and_or_b32 v94, 0x10101010, v142, v141
	v_and_or_b32 v80, 0x10101010, v97, v95
	;; [unrolled: 1-line block ×3, first 2 shown]
	v_and_b32_e32 v87, 0xf0f0f0f, v89
	s_wait_loadcnt 0x2
	v_ashrrev_i32_e32 v82, v48, v82
	v_and_b32_e32 v85, 0xf0f0f0f, v85
	s_wait_loadcnt 0x1
	v_ashrrev_i32_e32 v78, v48, v78
	v_and_or_b32 v86, 0x10101010, v88, v86
	ds_store_2addr_b32 v14, v94, v80 offset1:8
	ds_store_2addr_b32 v15, v81, v83 offset1:8
	ds_store_2addr_b32 v16, v84, v86 offset1:8
	v_and_or_b32 v80, 0x30303030, v82, v87
	v_and_or_b32 v78, 0x30303030, v78, v85
	s_wait_loadcnt 0x0
	ds_store_b32 v46, v79
	ds_store_b32 v67, v80
	;; [unrolled: 1-line block ×3, first 2 shown]
	s_cbranch_scc0 .LBB214_4
; %bb.6:                                ;   in Loop: Header=BB214_5 Depth=1
	s_lshl_b32 s19, s16, 3
	s_wait_alu 0xfffe
	v_add_nc_u32_e32 v78, s19, v0
	s_delay_alu instid0(VALU_DEP_1)
	v_cmp_gt_i32_e32 vcc_lo, s6, v78
	s_and_b32 s21, s1, vcc_lo
	s_wait_alu 0xfffe
	s_and_saveexec_b32 s20, s21
	s_cbranch_execz .LBB214_8
; %bb.7:                                ;   in Loop: Header=BB214_5 Depth=1
	v_add_nc_u32_e32 v78, v61, v78
	s_delay_alu instid0(VALU_DEP_1)
	v_mad_co_i64_i32 v[78:79], null, v78, 36, v[18:19]
	global_load_b32 v78, v[78:79], off offset:4
	s_wait_loadcnt 0x0
	ds_store_b32 v52, v78
.LBB214_8:                              ;   in Loop: Header=BB214_5 Depth=1
	s_wait_alu 0xfffe
	s_or_b32 exec_lo, exec_lo, s20
	v_add_nc_u32_e32 v78, s19, v21
	s_delay_alu instid0(VALU_DEP_1)
	v_cmp_gt_i32_e32 vcc_lo, s6, v78
	s_and_b32 s21, s8, vcc_lo
	s_wait_alu 0xfffe
	s_and_saveexec_b32 s20, s21
	s_cbranch_execz .LBB214_10
; %bb.9:                                ;   in Loop: Header=BB214_5 Depth=1
	v_add_nc_u32_e32 v79, v61, v78
	s_delay_alu instid0(VALU_DEP_1)
	v_mad_co_i64_i32 v[79:80], null, v79, 36, s[2:3]
	global_load_b32 v79, v[79:80], off
	s_wait_loadcnt 0x0
	ds_store_b32 v69, v79
.LBB214_10:                             ;   in Loop: Header=BB214_5 Depth=1
	s_wait_alu 0xfffe
	s_or_b32 exec_lo, exec_lo, s20
	s_wait_dscnt 0x0
	s_barrier_signal -1
	s_barrier_wait -1
	global_inv scope:SCOPE_SE
	ds_load_b32 v80, v55
	ds_load_b32 v81, v56 offset:128
	ds_load_b32 v82, v57 offset:256
	;; [unrolled: 1-line block ×3, first 2 shown]
	s_mov_b32 s21, 0
	s_mov_b32 s20, -1
	s_wait_dscnt 0x3
	v_lshrrev_b32_e32 v83, 16, v80
	s_wait_dscnt 0x2
	v_lshrrev_b32_e32 v84, 16, v81
	s_wait_dscnt 0x1
	v_lshrrev_b32_e32 v85, 16, v82
	s_wait_dscnt 0x0
	v_lshrrev_b32_e32 v87, 16, v86
	v_cvt_f32_f16_e32 v79, v80
	v_cvt_f32_f16_e32 v80, v81
	;; [unrolled: 1-line block ×8, first 2 shown]
.LBB214_11:                             ;   Parent Loop BB214_5 Depth=1
                                        ; =>  This Inner Loop Header: Depth=2
	s_wait_alu 0xfffe
	s_lshr_b32 s22, s21, 2
	v_lshl_or_b32 v87, s21, 1, v36
	s_lshl_b32 s21, s21, 3
	s_wait_alu 0xfffe
	s_add_co_i32 s22, s22, 0x8200
	v_add_nc_u32_e32 v88, s21, v59
	v_add_nc_u32_e32 v89, s21, v60
	;; [unrolled: 1-line block ×4, first 2 shown]
	s_wait_alu 0xfffe
	v_add3_u32 v92, s22, v70, v71
	v_add3_u32 v93, s22, v72, v73
	;; [unrolled: 1-line block ×4, first 2 shown]
	v_lshlrev_b32_e32 v99, 2, v87
	v_lshrrev_b32_e32 v167, 1, v87
	ds_load_2addr_b32 v[103:104], v88 offset0:2 offset1:3
	ds_load_2addr_b32 v[105:106], v88 offset0:4 offset1:5
	ds_load_2addr_b32 v[107:108], v88 offset0:6 offset1:7
	ds_load_2addr_b32 v[109:110], v88 offset0:8 offset1:9
	ds_load_2addr_b32 v[111:112], v88 offset0:10 offset1:11
	ds_load_2addr_b32 v[113:114], v88 offset0:12 offset1:13
	ds_load_2addr_b32 v[115:116], v88 offset0:14 offset1:15
	ds_load_2addr_b32 v[117:118], v89 offset1:1
	ds_load_2addr_b32 v[119:120], v89 offset0:2 offset1:3
	ds_load_2addr_b32 v[121:122], v89 offset0:4 offset1:5
	ds_load_2addr_b32 v[123:124], v89 offset0:6 offset1:7
	ds_load_2addr_b32 v[125:126], v89 offset0:8 offset1:9
	ds_load_2addr_b32 v[127:128], v89 offset0:10 offset1:11
	ds_load_2addr_b32 v[129:130], v89 offset0:12 offset1:13
	ds_load_2addr_b32 v[131:132], v89 offset0:14 offset1:15
	ds_load_2addr_b32 v[133:134], v90 offset1:1
	;; [unrolled: 8-line block ×4, first 2 shown]
	ds_load_u16 v169, v92
	ds_load_u16 v170, v92 offset:8
	ds_load_u16 v171, v93
	ds_load_u16 v172, v93 offset:8
	;; [unrolled: 2-line block ×4, first 2 shown]
	ds_load_b128 v[87:90], v99 offset:35392
	ds_load_b128 v[91:94], v99 offset:35408
	;; [unrolled: 1-line block ×4, first 2 shown]
	ds_load_b64 v[167:168], v167 offset:36944
	s_wait_dscnt 0x15
	v_perm_b32 v177, v149, v150, 0xc0c0501
	s_wait_dscnt 0x14
	v_perm_b32 v178, v152, v151, 0x5010c0c
	v_perm_b32 v179, v149, v150, 0xc0c0703
	;; [unrolled: 1-line block ×7, first 2 shown]
	s_wait_dscnt 0x13
	v_perm_b32 v151, v154, v153, 0xc0c0602
	s_wait_dscnt 0x12
	v_perm_b32 v152, v156, v155, 0x6020c0c
	v_perm_b32 v183, v154, v153, 0xc0c0400
	v_perm_b32 v184, v156, v155, 0x4000c0c
	v_perm_b32 v185, v154, v153, 0xc0c0703
	v_perm_b32 v186, v156, v155, 0x7030c0c
	v_perm_b32 v153, v154, v153, 0xc0c0501
	s_wait_dscnt 0x4
	v_dot4_i32_iu8 v165, v87, v165, 0 neg_lo:[1,1,0]
	v_dot4_i32_iu8 v117, v87, v117, 0 neg_lo:[1,1,0]
	s_wait_dscnt 0x2
	v_dot4_i32_iu8 v109, v95, v109, 0 neg_lo:[1,1,0]
	v_dot4_i32_iu8 v125, v95, v125, 0 neg_lo:[1,1,0]
	;; [unrolled: 1-line block ×4, first 2 shown]
	v_perm_b32 v201, v87, v88, 0xc0c0501
	v_perm_b32 v202, v90, v89, 0x5010c0c
	;; [unrolled: 1-line block ×23, first 2 shown]
	v_or_b32_e32 v177, v178, v177
	v_or_b32_e32 v178, v180, v179
	v_dot4_i32_iu8 v165, v88, v166, v165 neg_lo:[1,1,0]
	v_dot4_i32_iu8 v117, v88, v118, v117 neg_lo:[1,1,0]
	;; [unrolled: 1-line block ×6, first 2 shown]
	v_or_b32_e32 v118, v202, v201
	v_or_b32_e32 v125, v204, v203
	v_perm_b32 v189, v157, v158, 0xc0c0400
	v_perm_b32 v190, v160, v159, 0x4000c0c
	;; [unrolled: 1-line block ×17, first 2 shown]
	s_wait_dscnt 0x1
	v_perm_b32 v227, v100, v99, 0xc0c0703
	v_perm_b32 v228, v102, v101, 0x7030c0c
	v_perm_b32 v229, v100, v99, 0xc0c0501
	v_perm_b32 v230, v102, v101, 0x5010c0c
	v_or_b32_e32 v179, v182, v181
	v_or_b32_e32 v149, v150, v149
	;; [unrolled: 1-line block ×13, first 2 shown]
	v_dot4_i32_iu8 v103, v89, v103, v165 neg_lo:[1,1,0]
	v_dot4_i32_iu8 v117, v89, v119, v117 neg_lo:[1,1,0]
	;; [unrolled: 1-line block ×8, first 2 shown]
	v_perm_b32 v192, v164, v163, 0x4000c0c
	v_perm_b32 v223, v100, v99, 0xc0c0602
	;; [unrolled: 1-line block ×5, first 2 shown]
	v_or_b32_e32 v151, v184, v183
	v_or_b32_e32 v156, v190, v189
	;; [unrolled: 1-line block ×12, first 2 shown]
	v_dot4_i32_iu8 v111, v179, v126, 0 neg_lo:[1,1,0]
	v_dot4_i32_iu8 v87, v149, v87, 0 neg_lo:[1,1,0]
	;; [unrolled: 1-line block ×9, first 2 shown]
	v_or_b32_e32 v159, v192, v191
	v_or_b32_e32 v187, v224, v223
	v_or_b32_e32 v188, v226, v225
	v_dot4_i32_iu8 v125, v156, v186, 0 neg_lo:[1,1,0]
	v_dot4_i32_iu8 v95, v157, v95, 0 neg_lo:[1,1,0]
	;; [unrolled: 1-line block ×10, first 2 shown]
	v_add_nc_u32_e32 v91, v96, v97
	v_dot4_i32_iu8 v110, v98, v128, v110 neg_lo:[1,1,0]
	v_lshrrev_b16 v199, 8, v175
	v_and_b32_e32 v175, 0xff, v175
	v_dot4_i32_iu8 v89, v98, v144, v89 neg_lo:[1,1,0]
	v_dot4_i32_iu8 v95, v158, v187, v95 neg_lo:[1,1,0]
	;; [unrolled: 1-line block ×3, first 2 shown]
	v_add_nc_u32_e32 v96, v112, v111
	v_add3_u32 v87, v90, v87, v91
	v_dot4_i32_iu8 v105, v99, v113, v109 neg_lo:[1,1,0]
	v_dot4_i32_iu8 v109, v99, v129, v110 neg_lo:[1,1,0]
	v_and_b32_e32 v184, 0xffff, v199
	v_add3_u32 v90, v98, v95, v96
	v_mul_lo_u32 v87, v87, v175
	v_lshrrev_b16 v163, 8, v169
	v_and_b32_e32 v164, 0xff, v169
	v_cvt_f32_ubyte0_e32 v169, v170
	v_cvt_f32_ubyte0_e32 v196, v172
	;; [unrolled: 1-line block ×3, first 2 shown]
	v_dot4_i32_iu8 v89, v99, v145, v89 neg_lo:[1,1,0]
	v_dot4_i32_iu8 v97, v92, v106, v103 neg_lo:[1,1,0]
	;; [unrolled: 1-line block ×5, first 2 shown]
	v_mul_lo_u32 v90, v90, v184
	v_lshrrev_b16 v195, 8, v171
	v_cvt_f32_ubyte1_e32 v172, v172
	v_cvt_f32_ubyte1_e32 v176, v176
	v_and_b32_e32 v162, 0xffff, v163
	s_wait_dscnt 0x0
	v_fma_mix_f32 v163, v167, v169, 0 op_sel:[1,0,0] op_sel_hi:[1,0,0]
	v_fma_mix_f32 v169, v167, v196, 0 op_sel:[1,0,0] op_sel_hi:[1,0,0]
	;; [unrolled: 1-line block ×3, first 2 shown]
	v_dot4_i32_iu8 v88, v92, v138, v88 neg_lo:[1,1,0]
	v_dot4_i32_iu8 v95, v101, v115, v103 neg_lo:[1,1,0]
	v_dot4_i32_iu8 v96, v101, v131, v104 neg_lo:[1,1,0]
	v_cvt_f32_i32_e32 v87, v87
	v_and_b32_e32 v180, 0xffff, v195
	v_fma_mix_f32 v169, v168, v172, v169 op_sel:[1,0,0] op_sel_hi:[1,0,0]
	v_fma_mix_f32 v172, v176, v168, v183 op_sel:[0,1,0] op_sel_hi:[0,1,0]
	v_dot4_i32_iu8 v91, v93, v107, v97 neg_lo:[1,1,0]
	v_dot4_i32_iu8 v92, v93, v123, v99 neg_lo:[1,1,0]
	;; [unrolled: 1-line block ×5, first 2 shown]
	v_cvt_f32_i32_e32 v90, v90
	v_fma_mix_f32 v87, v87, v167, 0 op_sel_hi:[0,1,0]
	v_dot4_i32_iu8 v89, v100, v146, v89 neg_lo:[1,1,0]
	v_dot4_i32_iu8 v91, v94, v108, v91 neg_lo:[1,1,0]
	;; [unrolled: 1-line block ×4, first 2 shown]
	v_mul_lo_u32 v94, v95, v180
	v_mul_f32_e32 v95, v172, v85
	v_fma_mix_f32 v87, v90, v168, v87 op_sel_hi:[0,1,0]
	v_and_b32_e32 v171, 0xff, v171
	v_lshrrev_b16 v197, 8, v173
	v_and_b32_e32 v173, 0xff, v173
	v_dot4_i32_iu8 v89, v101, v147, v89 neg_lo:[1,1,0]
	v_fma_f32 v87, v87, v86, -v95
	v_mul_lo_u32 v92, v92, v171
	v_and_b32_e32 v182, 0xffff, v197
	v_mul_lo_u32 v88, v88, v173
	v_dot4_i32_iu8 v89, v102, v148, v89 neg_lo:[1,1,0]
	v_add_f32_e32 v17, v17, v87
	v_mul_lo_u32 v91, v91, v164
	v_cvt_f32_ubyte0_e32 v198, v174
	v_mul_lo_u32 v93, v93, v162
	v_mul_lo_u32 v89, v89, v182
	v_cvt_f32_ubyte1_e32 v170, v170
	v_cvt_f32_ubyte1_e32 v174, v174
	v_fma_mix_f32 v181, v167, v198, 0 op_sel:[1,0,0] op_sel_hi:[1,0,0]
	v_cvt_f32_i32_e32 v92, v92
	v_cvt_f32_i32_e32 v91, v91
	;; [unrolled: 1-line block ×3, first 2 shown]
	v_fma_mix_f32 v163, v168, v170, v163 op_sel:[1,0,0] op_sel_hi:[1,0,0]
	v_fma_mix_f32 v170, v168, v174, v181 op_sel:[1,0,0] op_sel_hi:[1,0,0]
	v_cvt_f32_i32_e32 v93, v93
	v_cvt_f32_i32_e32 v94, v94
	;; [unrolled: 1-line block ×3, first 2 shown]
	v_fma_mix_f32 v91, v167, v91, 0 op_sel_hi:[1,0,0]
	v_fma_mix_f32 v92, v167, v92, 0 op_sel_hi:[1,0,0]
	;; [unrolled: 1-line block ×3, first 2 shown]
	v_dual_mul_f32 v126, v163, v82 :: v_dual_mul_f32 v127, v169, v83
	v_mul_f32_e32 v135, v170, v84
	v_fma_mix_f32 v90, v168, v93, v91 op_sel_hi:[1,0,0]
	v_fma_mix_f32 v91, v168, v94, v92 op_sel_hi:[1,0,0]
	v_fma_mix_f32 v88, v168, v89, v88 op_sel_hi:[1,0,0]
	s_mov_b32 s21, 8
	s_and_b32 vcc_lo, exec_lo, s20
	v_fma_f32 v89, v90, v79, -v126
	v_fma_f32 v90, v91, v80, -v127
	;; [unrolled: 1-line block ×3, first 2 shown]
	s_mov_b32 s20, 0
	s_delay_alu instid0(VALU_DEP_2) | instskip(NEXT) | instid1(VALU_DEP_2)
	v_dual_add_f32 v22, v22, v89 :: v_dual_add_f32 v53, v53, v90
	v_add_f32_e32 v50, v50, v88
	s_wait_alu 0xfffe
	s_cbranch_vccnz .LBB214_11
; %bb.12:                               ;   in Loop: Header=BB214_5 Depth=1
	s_bitset1_b32 s18, 7
	s_wait_loadcnt 0x0
	s_wait_alu 0xfffe
	s_cmp_ge_i32 s18, s5
	s_barrier_signal -1
	s_barrier_wait -1
	global_inv scope:SCOPE_SE
	s_cbranch_scc1 .LBB214_4
; %bb.13:                               ;   in Loop: Header=BB214_5 Depth=1
	v_add_nc_u32_e32 v79, s19, v54
	s_delay_alu instid0(VALU_DEP_1)
	v_cmp_gt_i32_e32 vcc_lo, s6, v79
	s_and_b32 s19, s1, vcc_lo
	s_wait_alu 0xfffe
	s_and_saveexec_b32 s18, s19
	s_cbranch_execz .LBB214_15
; %bb.14:                               ;   in Loop: Header=BB214_5 Depth=1
	v_add_nc_u32_e32 v79, v61, v79
	s_delay_alu instid0(VALU_DEP_1)
	v_mad_co_i64_i32 v[79:80], null, v79, 36, v[18:19]
	global_load_b32 v79, v[79:80], off offset:4
	s_wait_loadcnt 0x0
	ds_store_b32 v52, v79
.LBB214_15:                             ;   in Loop: Header=BB214_5 Depth=1
	s_wait_alu 0xfffe
	s_or_b32 exec_lo, exec_lo, s18
	s_and_saveexec_b32 s18, s0
	s_cbranch_execz .LBB214_18
; %bb.16:                               ;   in Loop: Header=BB214_5 Depth=1
	v_or_b32_e32 v79, 4, v78
	s_delay_alu instid0(VALU_DEP_1)
	v_cmp_gt_i32_e32 vcc_lo, s6, v79
	s_and_b32 s19, s1, vcc_lo
	s_wait_alu 0xfffe
	s_and_b32 exec_lo, exec_lo, s19
	s_cbranch_execz .LBB214_18
; %bb.17:                               ;   in Loop: Header=BB214_5 Depth=1
	v_ashrrev_i32_e32 v79, 31, v78
	v_add_co_u32 v78, vcc_lo, v61, v78
	s_wait_alu 0xfffd
	s_delay_alu instid0(VALU_DEP_2) | instskip(NEXT) | instid1(VALU_DEP_2)
	v_add_co_ci_u32_e64 v80, null, v64, v79, vcc_lo
	v_mad_co_u64_u32 v[78:79], null, v78, 36, s[2:3]
	s_delay_alu instid0(VALU_DEP_1)
	v_mad_i32_i24 v79, v80, 36, v79
	global_load_b32 v78, v[78:79], off offset:144
	s_wait_loadcnt 0x0
	ds_store_b32 v69, v78
.LBB214_18:                             ;   in Loop: Header=BB214_5 Depth=1
	s_wait_alu 0xfffe
	s_or_b32 exec_lo, exec_lo, s18
	s_wait_loadcnt_dscnt 0x0
	s_barrier_signal -1
	s_barrier_wait -1
	global_inv scope:SCOPE_SE
	ds_load_b32 v79, v55
	ds_load_b32 v80, v56 offset:128
	ds_load_b32 v81, v57 offset:256
	;; [unrolled: 1-line block ×3, first 2 shown]
	s_mov_b32 s18, 16
	s_wait_dscnt 0x3
	v_lshrrev_b32_e32 v82, 16, v79
	s_wait_dscnt 0x2
	v_lshrrev_b32_e32 v83, 16, v80
	s_wait_dscnt 0x1
	v_lshrrev_b32_e32 v84, 16, v81
	s_wait_dscnt 0x0
	v_lshrrev_b32_e32 v86, 16, v85
	v_cvt_f32_f16_e32 v78, v79
	v_cvt_f32_f16_e32 v79, v80
	;; [unrolled: 1-line block ×8, first 2 shown]
.LBB214_19:                             ;   Parent Loop BB214_5 Depth=1
                                        ; =>  This Inner Loop Header: Depth=2
	s_wait_alu 0xfffe
	s_lshl_b32 s20, s18, 1
	s_lshr_b32 s19, s18, 2
	s_lshl_b32 s21, s18, 3
	s_wait_alu 0xfffe
	v_and_or_b32 v86, s20, 16, v36
	s_and_b32 s19, s19, 0x3ffffffe
	v_add_nc_u32_e32 v87, s21, v59
	s_wait_alu 0xfffe
	s_add_co_i32 s19, s19, 0x8200
	v_add_nc_u32_e32 v88, s21, v60
	v_add_nc_u32_e32 v89, s21, v62
	v_add_nc_u32_e32 v90, s21, v63
	s_wait_alu 0xfffe
	v_add3_u32 v91, s19, v70, v71
	v_add3_u32 v92, s19, v72, v73
	v_add3_u32 v93, s19, v74, v75
	v_add3_u32 v94, s19, v76, v77
	v_lshlrev_b32_e32 v98, 2, v86
	v_lshrrev_b32_e32 v166, 1, v86
	ds_load_2addr_b32 v[102:103], v87 offset0:2 offset1:3
	ds_load_2addr_b32 v[104:105], v87 offset0:4 offset1:5
	ds_load_2addr_b32 v[106:107], v87 offset0:6 offset1:7
	ds_load_2addr_b32 v[108:109], v87 offset0:8 offset1:9
	ds_load_2addr_b32 v[110:111], v87 offset0:10 offset1:11
	ds_load_2addr_b32 v[112:113], v87 offset0:12 offset1:13
	ds_load_2addr_b32 v[114:115], v87 offset0:14 offset1:15
	ds_load_2addr_b32 v[116:117], v88 offset1:1
	ds_load_2addr_b32 v[118:119], v88 offset0:2 offset1:3
	ds_load_2addr_b32 v[120:121], v88 offset0:4 offset1:5
	ds_load_2addr_b32 v[122:123], v88 offset0:6 offset1:7
	ds_load_2addr_b32 v[124:125], v88 offset0:8 offset1:9
	ds_load_2addr_b32 v[126:127], v88 offset0:10 offset1:11
	ds_load_2addr_b32 v[128:129], v88 offset0:12 offset1:13
	ds_load_2addr_b32 v[130:131], v88 offset0:14 offset1:15
	ds_load_2addr_b32 v[132:133], v89 offset1:1
	;; [unrolled: 8-line block ×4, first 2 shown]
	ds_load_u16 v168, v91
	ds_load_u16 v169, v91 offset:8
	ds_load_u16 v170, v92
	ds_load_u16 v171, v92 offset:8
	;; [unrolled: 2-line block ×4, first 2 shown]
	ds_load_b128 v[86:89], v98 offset:35392
	ds_load_b128 v[90:93], v98 offset:35408
	;; [unrolled: 1-line block ×4, first 2 shown]
	ds_load_b64 v[166:167], v166 offset:36944
	s_wait_dscnt 0x15
	v_perm_b32 v176, v148, v149, 0xc0c0501
	s_wait_dscnt 0x14
	v_perm_b32 v177, v151, v150, 0x5010c0c
	v_perm_b32 v178, v148, v149, 0xc0c0703
	;; [unrolled: 1-line block ×7, first 2 shown]
	s_wait_dscnt 0x13
	v_perm_b32 v150, v153, v152, 0xc0c0602
	s_wait_dscnt 0x12
	v_perm_b32 v151, v155, v154, 0x6020c0c
	v_perm_b32 v182, v153, v152, 0xc0c0400
	;; [unrolled: 1-line block ×6, first 2 shown]
	s_wait_dscnt 0x4
	v_dot4_i32_iu8 v164, v86, v164, 0 neg_lo:[1,1,0]
	v_dot4_i32_iu8 v116, v86, v116, 0 neg_lo:[1,1,0]
	;; [unrolled: 1-line block ×3, first 2 shown]
	v_perm_b32 v153, v155, v154, 0x5010c0c
	v_perm_b32 v154, v156, v157, 0xc0c0501
	;; [unrolled: 1-line block ×7, first 2 shown]
	s_wait_dscnt 0x2
	v_dot4_i32_iu8 v108, v94, v108, 0 neg_lo:[1,1,0]
	v_dot4_i32_iu8 v124, v94, v124, 0 neg_lo:[1,1,0]
	v_dot4_i32_iu8 v140, v94, v140, 0 neg_lo:[1,1,0]
	v_or_b32_e32 v176, v177, v176
	v_perm_b32 v177, v86, v87, 0xc0c0501
	v_or_b32_e32 v178, v179, v178
	v_perm_b32 v179, v86, v87, 0xc0c0703
	;; [unrolled: 2-line block ×3, first 2 shown]
	v_perm_b32 v86, v86, v87, 0xc0c0602
	v_dot4_i32_iu8 v164, v87, v165, v164 neg_lo:[1,1,0]
	v_dot4_i32_iu8 v116, v87, v117, v116 neg_lo:[1,1,0]
	;; [unrolled: 1-line block ×3, first 2 shown]
	v_or_b32_e32 v154, v155, v154
	v_perm_b32 v155, v94, v95, 0xc0c0501
	v_or_b32_e32 v186, v187, v186
	v_perm_b32 v187, v94, v95, 0xc0c0703
	;; [unrolled: 2-line block ×3, first 2 shown]
	v_perm_b32 v94, v94, v95, 0xc0c0602
	v_dot4_i32_iu8 v108, v95, v109, v108 neg_lo:[1,1,0]
	v_dot4_i32_iu8 v109, v95, v125, v124 neg_lo:[1,1,0]
	;; [unrolled: 1-line block ×4, first 2 shown]
	v_perm_b32 v200, v89, v88, 0x5010c0c
	v_perm_b32 v201, v89, v88, 0x7030c0c
	;; [unrolled: 1-line block ×3, first 2 shown]
	v_or_b32_e32 v148, v149, v148
	v_perm_b32 v149, v89, v88, 0x6020c0c
	v_dot4_i32_iu8 v102, v88, v102, v164 neg_lo:[1,1,0]
	v_dot4_i32_iu8 v116, v88, v118, v116 neg_lo:[1,1,0]
	v_dot4_i32_iu8 v88, v96, v142, v95 neg_lo:[1,1,0]
	v_dot4_i32_iu8 v87, v89, v135, v87 neg_lo:[1,1,0]
	v_lshrrev_b16 v196, 8, v172
	v_and_b32_e32 v172, 0xff, v172
	v_perm_b32 v156, v156, v157, 0xc0c0602
	v_dot4_i32_iu8 v88, v97, v143, v88 neg_lo:[1,1,0]
	v_dot4_i32_iu8 v87, v90, v136, v87 neg_lo:[1,1,0]
	v_perm_b32 v157, v159, v158, 0x6020c0c
	v_perm_b32 v158, v161, v160, 0xc0c0602
	v_perm_b32 v159, v163, v162, 0x6020c0c
	s_wait_dscnt 0x1
	v_dot4_i32_iu8 v88, v98, v144, v88 neg_lo:[1,1,0]
	v_dot4_i32_iu8 v87, v91, v137, v87 neg_lo:[1,1,0]
	v_perm_b32 v190, v161, v160, 0xc0c0400
	v_perm_b32 v192, v161, v160, 0xc0c0703
	;; [unrolled: 1-line block ×3, first 2 shown]
	v_dot4_i32_iu8 v88, v99, v145, v88 neg_lo:[1,1,0]
	v_dot4_i32_iu8 v87, v92, v138, v87 neg_lo:[1,1,0]
	v_perm_b32 v160, v161, v160, 0xc0c0501
	v_perm_b32 v161, v163, v162, 0x5010c0c
	v_or_b32_e32 v150, v151, v150
	v_dot4_i32_iu8 v88, v100, v146, v88 neg_lo:[1,1,0]
	v_dot4_i32_iu8 v87, v93, v139, v87 neg_lo:[1,1,0]
	v_perm_b32 v151, v91, v90, 0xc0c0602
	v_perm_b32 v203, v93, v92, 0x6020c0c
	v_or_b32_e32 v184, v185, v184
	v_perm_b32 v185, v91, v90, 0xc0c0703
	v_perm_b32 v205, v93, v92, 0x7030c0c
	v_or_b32_e32 v152, v153, v152
	v_perm_b32 v153, v91, v90, 0xc0c0501
	v_perm_b32 v206, v93, v92, 0x5010c0c
	;; [unrolled: 1-line block ×4, first 2 shown]
	v_or_b32_e32 v117, v200, v177
	v_or_b32_e32 v124, v201, v179
	v_and_b32_e32 v196, 0xffff, v196
	v_dot4_i32_iu8 v88, v101, v147, v88 neg_lo:[1,1,0]
	v_mul_lo_u32 v87, v87, v172
	v_perm_b32 v191, v163, v162, 0x4000c0c
	v_lshrrev_b16 v162, 8, v168
	v_and_b32_e32 v163, 0xff, v168
	v_cvt_f32_ubyte0_e32 v168, v169
	v_cvt_f32_ubyte0_e32 v197, v173
	v_or_b32_e32 v182, v183, v182
	v_perm_b32 v183, v91, v90, 0xc0c0400
	v_perm_b32 v204, v93, v92, 0x4000c0c
	;; [unrolled: 1-line block ×3, first 2 shown]
	v_or_b32_e32 v156, v157, v156
	v_perm_b32 v157, v97, v96, 0x6020c0c
	v_or_b32_e32 v158, v159, v158
	v_perm_b32 v159, v99, v98, 0xc0c0602
	v_perm_b32 v210, v101, v100, 0x6020c0c
	v_or_b32_e32 v192, v193, v192
	v_perm_b32 v193, v99, v98, 0xc0c0703
	;; [unrolled: 3-line block ×3, first 2 shown]
	v_perm_b32 v213, v101, v100, 0x5010c0c
	v_or_b32_e32 v125, v202, v181
	v_or_b32_e32 v86, v149, v86
	;; [unrolled: 1-line block ×7, first 2 shown]
	v_dot4_i32_iu8 v108, v96, v110, v108 neg_lo:[1,1,0]
	v_dot4_i32_iu8 v109, v96, v126, v109 neg_lo:[1,1,0]
	;; [unrolled: 1-line block ×6, first 2 shown]
	v_mul_lo_u32 v88, v88, v196
	v_cvt_f32_ubyte1_e32 v169, v169
	v_cvt_f32_ubyte1_e32 v173, v173
	v_or_b32_e32 v190, v191, v190
	v_perm_b32 v191, v99, v98, 0xc0c0400
	v_perm_b32 v211, v101, v100, 0x4000c0c
	s_wait_dscnt 0x0
	v_fma_mix_f32 v168, v166, v168, 0 op_sel:[1,0,0] op_sel_hi:[1,0,0]
	v_fma_mix_f32 v197, v166, v197, 0 op_sel:[1,0,0] op_sel_hi:[1,0,0]
	v_or_b32_e32 v133, v204, v183
	v_or_b32_e32 v153, v209, v189
	;; [unrolled: 1-line block ×6, first 2 shown]
	v_dot4_i32_iu8 v110, v180, v125, 0 neg_lo:[1,1,0]
	v_dot4_i32_iu8 v86, v148, v86, 0 neg_lo:[1,1,0]
	;; [unrolled: 1-line block ×10, first 2 shown]
	v_cvt_f32_i32_e32 v87, v87
	v_or_b32_e32 v157, v211, v191
	v_fma_mix_f32 v165, v167, v169, v168 op_sel:[1,0,0] op_sel_hi:[1,0,0]
	v_fma_mix_f32 v169, v167, v173, v197 op_sel:[1,0,0] op_sel_hi:[1,0,0]
	v_dot4_i32_iu8 v124, v188, v153, 0 neg_lo:[1,1,0]
	v_dot4_i32_iu8 v94, v156, v94, 0 neg_lo:[1,1,0]
	;; [unrolled: 1-line block ×8, first 2 shown]
	v_add_nc_u32_e32 v90, v95, v96
	v_dot4_i32_iu8 v96, v91, v105, v102 neg_lo:[1,1,0]
	v_dot4_i32_iu8 v98, v91, v121, v103 neg_lo:[1,1,0]
	v_cvt_f32_i32_e32 v88, v88
	v_fma_mix_f32 v87, v166, v87, 0 op_sel_hi:[1,0,0]
	v_mul_f32_e32 v134, v169, v83
	v_dot4_i32_iu8 v94, v158, v155, v94 neg_lo:[1,1,0]
	v_dot4_i32_iu8 v97, v190, v157, v124 neg_lo:[1,1,0]
	v_add_nc_u32_e32 v95, v111, v110
	v_dot4_i32_iu8 v102, v99, v113, v104 neg_lo:[1,1,0]
	v_dot4_i32_iu8 v103, v99, v129, v108 neg_lo:[1,1,0]
	v_add3_u32 v86, v89, v86, v90
	v_dot4_i32_iu8 v90, v92, v106, v96 neg_lo:[1,1,0]
	v_dot4_i32_iu8 v91, v92, v122, v98 neg_lo:[1,1,0]
	v_fma_mix_f32 v87, v167, v88, v87 op_sel_hi:[1,0,0]
	v_lshrrev_b16 v194, 8, v170
	v_and_b32_e32 v170, 0xff, v170
	v_lshrrev_b16 v198, 8, v174
	v_and_b32_e32 v174, 0xff, v174
	v_add3_u32 v89, v97, v94, v95
	v_dot4_i32_iu8 v94, v100, v114, v102 neg_lo:[1,1,0]
	v_dot4_i32_iu8 v95, v100, v130, v103 neg_lo:[1,1,0]
	;; [unrolled: 1-line block ×4, first 2 shown]
	v_fma_f32 v87, v87, v80, -v134
	v_and_b32_e32 v162, 0xffff, v162
	v_and_b32_e32 v194, 0xffff, v194
	v_and_b32_e32 v198, 0xffff, v198
	v_mul_lo_u32 v86, v86, v174
	v_dot4_i32_iu8 v92, v101, v115, v94 neg_lo:[1,1,0]
	v_dot4_i32_iu8 v94, v101, v131, v95 neg_lo:[1,1,0]
	v_mul_lo_u32 v91, v91, v170
	v_add_f32_e32 v50, v50, v87
	v_mul_lo_u32 v90, v90, v163
	v_cvt_f32_ubyte0_e32 v195, v171
	v_cvt_f32_ubyte0_e32 v199, v175
	v_mul_lo_u32 v89, v89, v198
	v_mul_lo_u32 v92, v92, v162
	;; [unrolled: 1-line block ×3, first 2 shown]
	v_cvt_f32_ubyte1_e32 v171, v171
	v_cvt_f32_ubyte1_e32 v175, v175
	v_fma_mix_f32 v195, v166, v195, 0 op_sel:[1,0,0] op_sel_hi:[1,0,0]
	v_fma_mix_f32 v199, v199, v166, 0 op_sel:[0,1,0] op_sel_hi:[0,1,0]
	v_cvt_f32_i32_e32 v86, v86
	v_cvt_f32_i32_e32 v90, v90
	;; [unrolled: 1-line block ×3, first 2 shown]
	v_fma_mix_f32 v168, v167, v171, v195 op_sel:[1,0,0] op_sel_hi:[1,0,0]
	v_fma_mix_f32 v171, v175, v167, v199 op_sel:[0,1,0] op_sel_hi:[0,1,0]
	v_cvt_f32_i32_e32 v89, v89
	v_fma_mix_f32 v86, v86, v166, 0 op_sel_hi:[0,1,0]
	v_cvt_f32_i32_e32 v92, v92
	v_cvt_f32_i32_e32 v93, v93
	v_fma_mix_f32 v90, v166, v90, 0 op_sel_hi:[1,0,0]
	v_fma_mix_f32 v91, v166, v91, 0 op_sel_hi:[1,0,0]
	v_dual_mul_f32 v125, v165, v81 :: v_dual_mul_f32 v126, v168, v82
	v_mul_f32_e32 v94, v171, v84
	v_fma_mix_f32 v86, v89, v167, v86 op_sel_hi:[0,1,0]
	v_fma_mix_f32 v89, v167, v92, v90 op_sel_hi:[1,0,0]
	;; [unrolled: 1-line block ×3, first 2 shown]
	s_add_co_i32 s19, s18, 8
	s_cmp_lt_u32 s18, 24
	v_fma_f32 v86, v86, v85, -v94
	v_fma_f32 v88, v89, v78, -v125
	;; [unrolled: 1-line block ×3, first 2 shown]
	s_wait_alu 0xfffe
	s_mov_b32 s18, s19
	s_delay_alu instid0(VALU_DEP_2) | instskip(NEXT) | instid1(VALU_DEP_2)
	v_dual_add_f32 v17, v17, v86 :: v_dual_add_f32 v22, v22, v88
	v_add_f32_e32 v53, v53, v89
	s_cbranch_scc1 .LBB214_19
; %bb.20:                               ;   in Loop: Header=BB214_5 Depth=1
	s_wait_loadcnt 0x0
	s_barrier_signal -1
	s_barrier_wait -1
	global_inv scope:SCOPE_SE
	s_branch .LBB214_4
.LBB214_21:
	s_mul_i32 s0, s10, s7
	s_wait_loadcnt 0x0
	s_wait_alu 0xfffe
	v_cmp_gt_i32_e32 vcc_lo, s0, v20
	s_and_saveexec_b32 s0, vcc_lo
	s_cbranch_execz .LBB214_30
; %bb.22:
	v_mul_lo_u32 v0, v20, s9
	v_add_nc_u32_e32 v1, s11, v21
	s_mov_b32 s0, exec_lo
	s_delay_alu instid0(VALU_DEP_1)
	v_cmpx_gt_u32_e64 s9, v1
	s_cbranch_execz .LBB214_24
; %bb.23:
	s_delay_alu instid0(VALU_DEP_3) | instskip(SKIP_1) | instid1(VALU_DEP_2)
	v_dual_mov_b32 v3, 0 :: v_dual_add_nc_u32 v2, v0, v1
	v_cvt_f16_f32_e32 v4, v22
	v_lshlrev_b64_e32 v[2:3], 1, v[2:3]
	s_delay_alu instid0(VALU_DEP_1) | instskip(SKIP_1) | instid1(VALU_DEP_2)
	v_add_co_u32 v2, vcc_lo, s12, v2
	s_wait_alu 0xfffd
	v_add_co_ci_u32_e64 v3, null, s13, v3, vcc_lo
	global_store_b16 v[2:3], v4, off
.LBB214_24:
	s_wait_alu 0xfffe
	s_or_b32 exec_lo, exec_lo, s0
	v_add_nc_u32_e32 v2, 32, v1
	s_mov_b32 s0, exec_lo
	s_delay_alu instid0(VALU_DEP_1)
	v_cmpx_gt_u32_e64 s9, v2
	s_cbranch_execz .LBB214_26
; %bb.25:
	v_dual_mov_b32 v3, 0 :: v_dual_add_nc_u32 v2, v0, v2
	v_cvt_f16_f32_e32 v4, v53
	s_delay_alu instid0(VALU_DEP_2) | instskip(NEXT) | instid1(VALU_DEP_1)
	v_lshlrev_b64_e32 v[2:3], 1, v[2:3]
	v_add_co_u32 v2, vcc_lo, s12, v2
	s_wait_alu 0xfffd
	s_delay_alu instid0(VALU_DEP_2)
	v_add_co_ci_u32_e64 v3, null, s13, v3, vcc_lo
	global_store_b16 v[2:3], v4, off
.LBB214_26:
	s_wait_alu 0xfffe
	s_or_b32 exec_lo, exec_lo, s0
	v_add_nc_u32_e32 v2, 64, v1
	s_mov_b32 s0, exec_lo
	s_delay_alu instid0(VALU_DEP_1)
	v_cmpx_gt_u32_e64 s9, v2
	s_cbranch_execz .LBB214_28
; %bb.27:
	v_dual_mov_b32 v3, 0 :: v_dual_add_nc_u32 v2, v0, v2
	v_cvt_f16_f32_e32 v4, v50
	s_delay_alu instid0(VALU_DEP_2) | instskip(NEXT) | instid1(VALU_DEP_1)
	v_lshlrev_b64_e32 v[2:3], 1, v[2:3]
	v_add_co_u32 v2, vcc_lo, s12, v2
	s_wait_alu 0xfffd
	s_delay_alu instid0(VALU_DEP_2)
	v_add_co_ci_u32_e64 v3, null, s13, v3, vcc_lo
	global_store_b16 v[2:3], v4, off
.LBB214_28:
	s_wait_alu 0xfffe
	s_or_b32 exec_lo, exec_lo, s0
	v_add_nc_u32_e32 v1, 0x60, v1
	s_delay_alu instid0(VALU_DEP_1)
	v_cmp_gt_u32_e32 vcc_lo, s9, v1
	s_and_b32 exec_lo, exec_lo, vcc_lo
	s_cbranch_execz .LBB214_30
; %bb.29:
	v_dual_mov_b32 v1, 0 :: v_dual_add_nc_u32 v0, v0, v1
	v_cvt_f16_f32_e32 v2, v17
	s_delay_alu instid0(VALU_DEP_2) | instskip(NEXT) | instid1(VALU_DEP_1)
	v_lshlrev_b64_e32 v[0:1], 1, v[0:1]
	v_add_co_u32 v0, vcc_lo, s12, v0
	s_wait_alu 0xfffd
	s_delay_alu instid0(VALU_DEP_2)
	v_add_co_ci_u32_e64 v1, null, s13, v1, vcc_lo
	global_store_b16 v[0:1], v2, off
.LBB214_30:
	s_nop 0
	s_sendmsg sendmsg(MSG_DEALLOC_VGPRS)
	s_endpgm
	.section	.rodata,"a",@progbits
	.p2align	6, 0x0
	.amdhsa_kernel _ZL8moe_q5_KIN3c104HalfELb1EEvPKvS3_PT_PKiS7_S7_iiiiiii
		.amdhsa_group_segment_fixed_size 37072
		.amdhsa_private_segment_fixed_size 0
		.amdhsa_kernarg_size 76
		.amdhsa_user_sgpr_count 2
		.amdhsa_user_sgpr_dispatch_ptr 0
		.amdhsa_user_sgpr_queue_ptr 0
		.amdhsa_user_sgpr_kernarg_segment_ptr 1
		.amdhsa_user_sgpr_dispatch_id 0
		.amdhsa_user_sgpr_private_segment_size 0
		.amdhsa_wavefront_size32 1
		.amdhsa_uses_dynamic_stack 0
		.amdhsa_enable_private_segment 0
		.amdhsa_system_sgpr_workgroup_id_x 1
		.amdhsa_system_sgpr_workgroup_id_y 1
		.amdhsa_system_sgpr_workgroup_id_z 0
		.amdhsa_system_sgpr_workgroup_info 0
		.amdhsa_system_vgpr_workitem_id 1
		.amdhsa_next_free_vgpr 231
		.amdhsa_next_free_sgpr 23
		.amdhsa_reserve_vcc 1
		.amdhsa_float_round_mode_32 0
		.amdhsa_float_round_mode_16_64 0
		.amdhsa_float_denorm_mode_32 3
		.amdhsa_float_denorm_mode_16_64 3
		.amdhsa_fp16_overflow 0
		.amdhsa_workgroup_processor_mode 1
		.amdhsa_memory_ordered 1
		.amdhsa_forward_progress 1
		.amdhsa_inst_pref_size 80
		.amdhsa_round_robin_scheduling 0
		.amdhsa_exception_fp_ieee_invalid_op 0
		.amdhsa_exception_fp_denorm_src 0
		.amdhsa_exception_fp_ieee_div_zero 0
		.amdhsa_exception_fp_ieee_overflow 0
		.amdhsa_exception_fp_ieee_underflow 0
		.amdhsa_exception_fp_ieee_inexact 0
		.amdhsa_exception_int_div_zero 0
	.end_amdhsa_kernel
	.section	.text._ZL8moe_q5_KIN3c104HalfELb1EEvPKvS3_PT_PKiS7_S7_iiiiiii,"axG",@progbits,_ZL8moe_q5_KIN3c104HalfELb1EEvPKvS3_PT_PKiS7_S7_iiiiiii,comdat
.Lfunc_end214:
	.size	_ZL8moe_q5_KIN3c104HalfELb1EEvPKvS3_PT_PKiS7_S7_iiiiiii, .Lfunc_end214-_ZL8moe_q5_KIN3c104HalfELb1EEvPKvS3_PT_PKiS7_S7_iiiiiii
                                        ; -- End function
	.set _ZL8moe_q5_KIN3c104HalfELb1EEvPKvS3_PT_PKiS7_S7_iiiiiii.num_vgpr, 231
	.set _ZL8moe_q5_KIN3c104HalfELb1EEvPKvS3_PT_PKiS7_S7_iiiiiii.num_agpr, 0
	.set _ZL8moe_q5_KIN3c104HalfELb1EEvPKvS3_PT_PKiS7_S7_iiiiiii.numbered_sgpr, 23
	.set _ZL8moe_q5_KIN3c104HalfELb1EEvPKvS3_PT_PKiS7_S7_iiiiiii.num_named_barrier, 0
	.set _ZL8moe_q5_KIN3c104HalfELb1EEvPKvS3_PT_PKiS7_S7_iiiiiii.private_seg_size, 0
	.set _ZL8moe_q5_KIN3c104HalfELb1EEvPKvS3_PT_PKiS7_S7_iiiiiii.uses_vcc, 1
	.set _ZL8moe_q5_KIN3c104HalfELb1EEvPKvS3_PT_PKiS7_S7_iiiiiii.uses_flat_scratch, 0
	.set _ZL8moe_q5_KIN3c104HalfELb1EEvPKvS3_PT_PKiS7_S7_iiiiiii.has_dyn_sized_stack, 0
	.set _ZL8moe_q5_KIN3c104HalfELb1EEvPKvS3_PT_PKiS7_S7_iiiiiii.has_recursion, 0
	.set _ZL8moe_q5_KIN3c104HalfELb1EEvPKvS3_PT_PKiS7_S7_iiiiiii.has_indirect_call, 0
	.section	.AMDGPU.csdata,"",@progbits
; Kernel info:
; codeLenInByte = 10192
; TotalNumSgprs: 25
; NumVgprs: 231
; ScratchSize: 0
; MemoryBound: 0
; FloatMode: 240
; IeeeMode: 1
; LDSByteSize: 37072 bytes/workgroup (compile time only)
; SGPRBlocks: 0
; VGPRBlocks: 28
; NumSGPRsForWavesPerEU: 25
; NumVGPRsForWavesPerEU: 231
; Occupancy: 6
; WaveLimiterHint : 1
; COMPUTE_PGM_RSRC2:SCRATCH_EN: 0
; COMPUTE_PGM_RSRC2:USER_SGPR: 2
; COMPUTE_PGM_RSRC2:TRAP_HANDLER: 0
; COMPUTE_PGM_RSRC2:TGID_X_EN: 1
; COMPUTE_PGM_RSRC2:TGID_Y_EN: 1
; COMPUTE_PGM_RSRC2:TGID_Z_EN: 0
; COMPUTE_PGM_RSRC2:TIDIG_COMP_CNT: 1
	.section	.text._ZL8moe_q6_KIN3c104HalfELb0EEvPKvS3_PT_PKiS7_S7_iiiiiii,"axG",@progbits,_ZL8moe_q6_KIN3c104HalfELb0EEvPKvS3_PT_PKiS7_S7_iiiiiii,comdat
	.globl	_ZL8moe_q6_KIN3c104HalfELb0EEvPKvS3_PT_PKiS7_S7_iiiiiii ; -- Begin function _ZL8moe_q6_KIN3c104HalfELb0EEvPKvS3_PT_PKiS7_S7_iiiiiii
	.p2align	8
	.type	_ZL8moe_q6_KIN3c104HalfELb0EEvPKvS3_PT_PKiS7_S7_iiiiiii,@function
_ZL8moe_q6_KIN3c104HalfELb0EEvPKvS3_PT_PKiS7_S7_iiiiiii: ; @_ZL8moe_q6_KIN3c104HalfELb0EEvPKvS3_PT_PKiS7_S7_iiiiiii
; %bb.0:
	s_load_b128 s[4:7], s[0:1], 0x18
	s_mov_b32 s2, ttmp7
	s_mov_b32 s3, 0
	s_delay_alu instid0(SALU_CYCLE_1)
	s_lshl_b64 s[2:3], s[2:3], 2
	s_wait_kmcnt 0x0
	s_add_nc_u64 s[2:3], s[6:7], s[2:3]
	s_load_b32 s12, s[2:3], 0x0
	s_wait_kmcnt 0x0
	s_cmp_gt_u32 s12, 0xff
	s_cbranch_scc1 .LBB215_30
; %bb.1:
	s_load_b64 s[2:3], s[0:1], 0x28
	s_wait_kmcnt 0x0
	s_load_b32 s3, s[2:3], 0x0
	s_lshl_b32 s2, ttmp7, 3
	s_wait_kmcnt 0x0
	s_cmp_gt_u32 s2, s3
	s_cbranch_scc1 .LBB215_30
; %bb.2:
	v_bfe_u32 v3, v0, 10, 10
	v_mov_b32_e32 v2, 0
	s_lshl_b32 s18, ttmp9, 7
	s_delay_alu instid0(VALU_DEP_2) | instskip(NEXT) | instid1(VALU_DEP_2)
	v_add_nc_u32_e32 v1, s2, v3
	v_dual_mov_b32 v41, v2 :: v_dual_and_b32 v6, 0x3ff, v0
	v_mov_b32_e32 v47, v2
	v_mov_b32_e32 v7, v2
	s_delay_alu instid0(VALU_DEP_4) | instskip(NEXT) | instid1(VALU_DEP_1)
	v_lshlrev_b64_e32 v[4:5], 2, v[1:2]
	v_add_co_u32 v4, vcc_lo, s4, v4
	s_delay_alu instid0(VALU_DEP_1)
	v_add_co_ci_u32_e64 v5, null, s5, v5, vcc_lo
	global_load_b32 v5, v[4:5], off
	s_clause 0x2
	s_load_b64 s[10:11], s[0:1], 0x30
	s_load_b64 s[8:9], s[0:1], 0x10
	s_load_b128 s[4:7], s[0:1], 0x3c
	s_wait_kmcnt 0x0
	s_cmp_lt_i32 s11, 0x100
	s_cbranch_scc1 .LBB215_21
; %bb.3:
	v_and_b32_e32 v1, 31, v0
	v_dual_mov_b32 v7, 0 :: v_dual_and_b32 v4, 7, v0
	v_lshrrev_b32_e32 v2, 1, v0
	v_lshlrev_b32_e32 v19, 3, v3
	v_bfe_u32 v20, v0, 2, 8
	v_lshlrev_b32_e32 v23, 1, v1
	s_ashr_i32 s2, s11, 31
	s_abs_i32 s16, s7
	s_wait_alu 0xfffe
	s_lshr_b32 s13, s2, 24
	s_load_b128 s[0:3], s[0:1], 0x0
	v_and_or_b32 v2, v2, 8, v4
	v_add_nc_u16 v4, v1, -16
	v_cmp_gt_u32_e32 vcc_lo, 16, v1
	v_add_nc_u32_e32 v25, v20, v19
	v_add_nc_u16 v41, v20, v19
	v_add_nc_u32_e32 v19, 0xe0, v23
	s_cvt_f32_u32 s15, s16
	v_lshlrev_b32_e32 v38, 2, v0
	v_lshlrev_b32_e32 v15, 2, v1
	s_wait_alu 0xfffd
	v_dual_cndmask_b32 v1, v4, v1 :: v_dual_cndmask_b32 v4, v19, v23
	v_rcp_iflag_f32_e32 v29, s15
	v_lshlrev_b32_e32 v21, 2, v2
	s_add_co_i32 s13, s11, s13
	s_ashr_i32 s14, s5, 31
	v_and_b32_e32 v2, 0xfe, v4
	s_ashr_i32 s19, s13, 8
	s_wait_alu 0xfffe
	s_lshr_b32 s14, s14, 27
	s_mul_i32 s12, s12, s10
	v_and_b32_e32 v17, 15, v0
	v_mul_u32_u24_e32 v18, 0x41, v3
	s_wait_alu 0xfffe
	s_add_co_i32 s5, s5, s14
	s_mul_i32 s14, s19, s18
	v_sub_nc_u32_e32 v2, v23, v2
	v_readfirstlane_b32 s17, v29
	s_ashr_i32 s13, s12, 31
	s_wait_alu 0xfffe
	s_ashr_i32 s15, s14, 31
	s_wait_kmcnt 0x0
	s_add_nc_u64 s[0:1], s[0:1], s[12:13]
	s_wait_alu 0xfffe
	s_mul_u64 s[14:15], s[14:15], 0xd2
	v_lshlrev_b32_e32 v27, 2, v17
	v_lshlrev_b32_e32 v28, 2, v18
	v_cmp_lt_u16_e32 vcc_lo, 7, v1
	v_lshlrev_b32_e32 v1, 2, v2
	v_lshlrev_b32_e32 v11, 5, v3
	s_wait_alu 0xfffe
	s_add_nc_u64 s[12:13], s[0:1], s[14:15]
	s_mul_f32 s0, s17, 0x4f7ffffe
	s_sub_co_i32 s1, 0, s16
	v_add3_u32 v27, v1, v27, v28
	v_lshrrev_b16 v1, 1, v41
	s_wait_loadcnt 0x0
	v_sub_nc_u32_e32 v41, 0, v5
	s_cvt_u32_f32 s0, s0
	v_add_nc_u32_e32 v24, v11, v6
	v_and_b32_e32 v42, 0x7f, v25
	v_and_b32_e32 v38, 12, v38
	s_mul_i32 s1, s1, s0
	v_max_i32_e32 v41, v5, v41
	v_and_b32_e32 v4, 0x7f, v24
	v_lshrrev_b32_e32 v26, 3, v24
	s_mul_hi_u32 s1, s0, s1
	v_bfe_u32 v8, v0, 5, 5
	s_add_co_i32 s0, s0, s1
	v_mul_i32_i24_e32 v25, s19, v4
	v_mul_hi_u32 v47, v41, s0
	v_and_b32_e32 v2, 12, v26
	v_lshlrev_b32_e32 v4, 2, v4
	v_mul_i32_i24_e32 v40, s19, v42
	v_lshlrev_b32_e32 v51, 2, v8
	v_bfe_u32 v48, v0, 3, 7
	s_wait_alu 0xfffd
	v_cndmask_b32_e64 v24, 0, 2, vcc_lo
	v_add3_u32 v39, v4, v2, 0x8e40
	v_xor_b32_e32 v4, 64, v42
	v_mul_lo_u32 v50, v47, s16
	v_lshl_or_b32 v2, v42, 4, v38
	s_lshl_b32 s10, s19, 3
	v_add_nc_u32_e32 v55, 0x60, v6
	v_lshrrev_b32_e32 v42, 1, v4
	v_mad_i32_i24 v9, s19, v3, s10
	v_and_b32_e32 v1, 60, v1
	v_xor_b32_e32 v53, s7, v5
	v_sub_nc_u32_e32 v0, v41, v50
	v_and_b32_e32 v46, 60, v42
	v_lshlrev_b32_e32 v42, 2, v6
	v_add_nc_u32_e32 v41, 1, v47
	v_add_nc_u32_e32 v10, s10, v9
	v_cmp_le_u32_e32 vcc_lo, s16, v0
	v_lshl_or_b32 v45, v4, 4, v38
	v_add3_u32 v50, v51, v42, 0x8e40
	v_subrev_nc_u32_e32 v51, s16, v0
	v_add3_u32 v43, v2, v1, 0x8200
	s_wait_alu 0xfffd
	v_cndmask_b32_e32 v41, v47, v41, vcc_lo
	v_add_nc_u32_e32 v47, 64, v6
	v_lshl_or_b32 v1, v3, 7, v15
	v_cndmask_b32_e32 v0, v0, v51, vcc_lo
	v_ashrrev_i32_e32 v56, 31, v53
	v_add_nc_u32_e32 v54, 1, v41
	v_lshrrev_b32_e32 v51, 3, v47
	v_lshlrev_b32_e32 v47, 2, v47
	v_cmp_le_u32_e32 vcc_lo, s16, v0
	v_add3_u32 v45, v45, v46, 0x8200
	v_add_nc_u32_e32 v46, 0x8a40, v1
	v_add_nc_u32_e32 v1, 32, v6
	v_lshlrev_b32_e32 v72, 2, v47
	s_wait_alu 0xfffd
	v_dual_cndmask_b32 v0, v41, v54 :: v_dual_and_b32 v41, 60, v51
	v_dual_mov_b32 v47, 0 :: v_dual_add_nc_u32 v12, s10, v10
	v_lshrrev_b32_e32 v49, 3, v1
	s_delay_alu instid0(VALU_DEP_3) | instskip(NEXT) | instid1(VALU_DEP_4)
	v_xor_b32_e32 v0, v0, v56
	v_add3_u32 v54, v42, v41, 0x8e40
	v_lshlrev_b32_e32 v41, 2, v55
	s_ashr_i32 s5, s5, 5
	v_lshlrev_b32_e32 v71, 2, v1
	v_sub_nc_u32_e32 v0, v0, v56
	v_and_b32_e32 v1, 60, v49
	v_lshlrev_b32_e32 v73, 2, v41
	v_mov_b32_e32 v41, 0
	v_add_nc_u32_e32 v13, s10, v12
	v_lshrrev_b32_e32 v52, 3, v55
	s_wait_alu 0xfffe
	v_mul_lo_u32 v58, v0, s5
	v_mul_i32_i24_e32 v44, s19, v4
	v_and_b32_e32 v4, 28, v42
	v_add_nc_u32_e32 v14, s10, v13
	v_mul_i32_i24_e32 v19, s19, v3
	v_add_nc_u32_e32 v29, 0x30c0, v27
	v_add_nc_u32_e32 v2, 0x9050, v42
	v_lshlrev_b32_e32 v3, 4, v3
	v_add_nc_u32_e32 v16, s10, v14
	v_add3_u32 v53, v42, v1, 0x8e40
	v_and_b32_e32 v1, 60, v52
	s_movk_i32 s1, 0x104
	v_cmp_gt_u32_e64 s0, 4, v6
	v_add_nc_u32_e32 v17, s10, v16
	s_wait_alu 0xfffe
	v_mad_u32_u24 v60, v6, s1, 0x6180
	v_cmp_gt_i32_e64 s1, s4, v0
	v_add_nc_u32_e32 v30, 0x5140, v27
	v_add_nc_u32_e32 v31, 0x5960, v27
	;; [unrolled: 1-line block ×8, first 2 shown]
	v_add3_u32 v55, v42, v1, 0x8e40
	v_mul_u32_u24_e32 v56, 0x104, v6
	v_ashrrev_i32_e32 v61, 31, v58
	v_add_nc_u32_e32 v62, 0x800, v27
	v_add_nc_u32_e32 v22, s10, v20
	;; [unrolled: 1-line block ×12, first 2 shown]
	v_dual_mov_b32 v2, 0 :: v_dual_lshlrev_b32 v71, 2, v71
	s_mov_b32 s15, 0
	s_delay_alu instid0(VALU_DEP_2) | instskip(SKIP_2) | instid1(VALU_DEP_1)
	v_add_nc_u32_e32 v28, s10, v26
	s_wait_alu 0xfffe
	s_mov_b32 s14, s15
	v_add_nc_u32_e32 v32, s10, v28
	s_delay_alu instid0(VALU_DEP_1)
	v_add_nc_u32_e32 v37, s10, v32
	s_movk_i32 s10, 0x2080
	s_wait_alu 0xfffe
	v_mad_u32_u24 v57, 0x104, v6, s10
	s_movk_i32 s10, 0x4100
	s_wait_alu 0xfffe
	v_mad_u32_u24 v59, 0x104, v6, s10
	v_add_co_u32 v0, s10, s2, v4
	s_wait_alu 0xf1ff
	v_add_co_ci_u32_e64 v1, null, s3, 0, s10
	s_and_b32 s10, s0, s1
	s_branch .LBB215_5
.LBB215_4:                              ;   in Loop: Header=BB215_5 Depth=1
	s_add_co_i32 s14, s14, 1
	s_wait_alu 0xfffe
	s_cmp_eq_u32 s14, s19
	s_cbranch_scc1 .LBB215_21
.LBB215_5:                              ; =>This Loop Header: Depth=1
                                        ;     Child Loop BB215_11 Depth 2
                                        ;     Child Loop BB215_19 Depth 2
	s_mul_u64 s[16:17], s[14:15], 0xd2
	s_wait_alu 0xfffe
	s_add_nc_u64 s[16:17], s[12:13], s[16:17]
	s_wait_alu 0xfffe
	v_mad_co_u64_u32 v[3:4], null, 0xd2, v8, s[16:17]
	s_delay_alu instid0(VALU_DEP_1) | instskip(SKIP_3) | instid1(VALU_DEP_4)
	v_mad_co_u64_u32 v[74:75], null, 0xd2, v19, v[3:4]
	v_mad_co_u64_u32 v[76:77], null, 0xd2, v9, v[3:4]
	;; [unrolled: 1-line block ×4, first 2 shown]
	v_add_co_u32 v80, vcc_lo, v74, v15
	s_wait_alu 0xfffd
	v_add_co_ci_u32_e64 v81, null, 0, v75, vcc_lo
	v_add_co_u32 v74, vcc_lo, v74, v21
	s_wait_alu 0xfffd
	v_add_co_ci_u32_e64 v75, null, 0, v75, vcc_lo
	;; [unrolled: 3-line block ×4, first 2 shown]
	v_add_co_u32 v84, vcc_lo, v78, v15
	v_mad_co_u64_u32 v[93:94], null, 0xd2, v13, v[3:4]
	s_wait_alu 0xfffd
	v_add_co_ci_u32_e64 v85, null, 0, v79, vcc_lo
	v_add_co_u32 v78, vcc_lo, v78, v21
	s_wait_alu 0xfffd
	v_add_co_ci_u32_e64 v79, null, 0, v79, vcc_lo
	v_add_co_u32 v95, vcc_lo, v86, v15
	s_wait_alu 0xfffd
	v_add_co_ci_u32_e64 v96, null, 0, v87, vcc_lo
	v_add_co_u32 v97, vcc_lo, v86, v21
	s_wait_alu 0xfffd
	v_add_co_ci_u32_e64 v98, null, 0, v87, vcc_lo
	v_add_co_u32 v99, vcc_lo, v93, v15
	s_wait_alu 0xfffd
	v_add_co_ci_u32_e64 v100, null, 0, v94, vcc_lo
	s_clause 0x8
	global_load_b32 v91, v[80:81], off
	global_load_b32 v92, v[74:75], off offset:128
	global_load_b32 v89, v[82:83], off
	global_load_b32 v90, v[76:77], off offset:128
	;; [unrolled: 2-line block ×4, first 2 shown]
	global_load_b32 v88, v[99:100], off
	v_mad_co_u64_u32 v[74:75], null, 0xd2, v14, v[3:4]
	v_mad_co_u64_u32 v[78:79], null, 0xd2, v16, v[3:4]
	v_add_co_u32 v76, vcc_lo, v93, v21
	s_wait_alu 0xfffd
	v_add_co_ci_u32_e64 v77, null, 0, v94, vcc_lo
	s_delay_alu instid0(VALU_DEP_4)
	v_add_co_u32 v80, vcc_lo, v74, v15
	s_wait_alu 0xfffd
	v_add_co_ci_u32_e64 v81, null, 0, v75, vcc_lo
	v_add_co_u32 v74, vcc_lo, v74, v21
	s_wait_alu 0xfffd
	v_add_co_ci_u32_e64 v75, null, 0, v75, vcc_lo
	;; [unrolled: 3-line block ×4, first 2 shown]
	s_clause 0x4
	global_load_b32 v113, v[76:77], off offset:128
	global_load_b32 v114, v[80:81], off
	global_load_b32 v115, v[74:75], off offset:128
	global_load_b32 v77, v[82:83], off
	global_load_b32 v116, v[78:79], off offset:128
	v_mad_co_u64_u32 v[74:75], null, 0xd2, v17, v[3:4]
	v_mad_co_u64_u32 v[78:79], null, 0xd2, v18, v[3:4]
	;; [unrolled: 1-line block ×4, first 2 shown]
	s_delay_alu instid0(VALU_DEP_4)
	v_add_co_u32 v99, vcc_lo, v74, v15
	s_wait_alu 0xfffd
	v_add_co_ci_u32_e64 v100, null, 0, v75, vcc_lo
	v_add_co_u32 v74, vcc_lo, v74, v21
	s_wait_alu 0xfffd
	v_add_co_ci_u32_e64 v75, null, 0, v75, vcc_lo
	s_clause 0x1
	global_load_b32 v117, v[99:100], off
	global_load_b32 v118, v[74:75], off offset:128
	v_add_co_u32 v101, vcc_lo, v78, v15
	s_wait_alu 0xfffd
	v_add_co_ci_u32_e64 v102, null, 0, v79, vcc_lo
	v_add_co_u32 v78, vcc_lo, v78, v21
	v_mad_co_u64_u32 v[93:94], null, 0xd2, v23, v[3:4]
	s_wait_alu 0xfffd
	v_add_co_ci_u32_e64 v79, null, 0, v79, vcc_lo
	v_add_co_u32 v103, vcc_lo, v80, v15
	s_wait_alu 0xfffd
	v_add_co_ci_u32_e64 v104, null, 0, v81, vcc_lo
	v_add_co_u32 v80, vcc_lo, v80, v21
	v_mad_co_u64_u32 v[95:96], null, 0xd2, v26, v[3:4]
	s_wait_alu 0xfffd
	v_add_co_ci_u32_e64 v81, null, 0, v81, vcc_lo
	;; [unrolled: 7-line block ×3, first 2 shown]
	v_add_co_u32 v74, vcc_lo, v93, v15
	s_wait_alu 0xfffd
	v_add_co_ci_u32_e64 v75, null, 0, v94, vcc_lo
	v_add_co_u32 v99, vcc_lo, v93, v21
	s_wait_alu 0xfffd
	v_add_co_ci_u32_e64 v100, null, 0, v94, vcc_lo
	;; [unrolled: 3-line block ×6, first 2 shown]
	s_clause 0xb
	global_load_b32 v98, v[101:102], off
	global_load_b32 v101, v[78:79], off offset:128
	global_load_b32 v83, v[103:104], off
	global_load_b32 v93, v[80:81], off offset:128
	;; [unrolled: 2-line block ×6, first 2 shown]
	s_wait_loadcnt 0x1b
	v_and_b32_e32 v94, 0xf0f0f0f, v91
	v_lshrrev_b32_e32 v91, 4, v91
	s_wait_loadcnt 0x1a
	v_ashrrev_i32_e32 v92, v24, v92
	s_wait_loadcnt 0x19
	v_and_b32_e32 v95, 0xf0f0f0f, v89
	v_lshrrev_b32_e32 v89, 4, v89
	s_wait_loadcnt 0x18
	v_ashrrev_i32_e32 v90, v24, v90
	;; [unrolled: 5-line block ×4, first 2 shown]
	s_wait_loadcnt 0x13
	v_and_b32_e32 v99, 0xf0f0f0f, v88
	v_lshrrev_b32_e32 v88, 4, v88
	v_and_b32_e32 v91, 0xf0f0f0f, v91
	v_lshlrev_b32_e32 v107, 4, v92
	v_and_b32_e32 v89, 0xf0f0f0f, v89
	v_lshlrev_b32_e32 v108, 4, v90
	v_and_b32_e32 v86, 0xf0f0f0f, v86
	v_lshlrev_b32_e32 v109, 4, v87
	v_and_b32_e32 v84, 0xf0f0f0f, v84
	v_lshlrev_b32_e32 v110, 4, v85
	v_and_b32_e32 v88, 0xf0f0f0f, v88
	v_and_or_b32 v94, 0x30303030, v107, v94
	v_and_or_b32 v91, 0x30303030, v92, v91
	;; [unrolled: 1-line block ×6, first 2 shown]
	s_wait_loadcnt 0x12
	v_ashrrev_i32_e32 v100, v24, v113
	s_wait_loadcnt 0x11
	v_lshrrev_b32_e32 v103, 4, v114
	s_wait_loadcnt 0x10
	v_ashrrev_i32_e32 v104, v24, v115
	v_and_b32_e32 v102, 0xf0f0f0f, v114
	v_and_or_b32 v87, 0x30303030, v110, v97
	v_lshlrev_b32_e32 v111, 4, v100
	v_and_b32_e32 v103, 0xf0f0f0f, v103
	v_lshlrev_b32_e32 v112, 4, v104
	v_and_or_b32 v84, 0x30303030, v85, v84
	v_and_or_b32 v88, 0x30303030, v100, v88
	;; [unrolled: 1-line block ×3, first 2 shown]
	v_lshrrev_b32_e32 v97, 16, v94
	v_and_b32_e32 v99, 0x3f00, v94
	v_lshlrev_b16 v94, 8, v94
	v_lshrrev_b32_e32 v100, 16, v91
	v_and_or_b32 v95, 0x30303030, v112, v102
	v_and_or_b32 v96, 0x30303030, v104, v103
	v_and_b32_e32 v102, 0x3f00, v91
	v_lshlrev_b16 v91, 8, v91
	v_lshrrev_b32_e32 v103, 16, v92
	v_lshrrev_b32_e32 v107, 16, v89
	v_and_b32_e32 v104, 0x3f00, v92
	v_lshlrev_b16 v92, 8, v92
	v_lshrrev_b32_e32 v109, 16, v90
	v_lshrrev_b32_e32 v111, 16, v86
	s_wait_loadcnt 0xe
	v_ashrrev_i32_e32 v106, v24, v116
	v_and_b32_e32 v108, 0x3f00, v89
	v_lshlrev_b16 v89, 8, v89
	v_lshrrev_b32_e32 v114, 16, v87
	v_lshrrev_b32_e32 v116, 16, v84
	v_and_b32_e32 v110, 0x3f00, v90
	v_lshlrev_b16 v90, 8, v90
	v_lshrrev_b32_e32 v120, 16, v85
	v_lshrrev_b32_e32 v122, 16, v88
	v_add_nc_u16 v94, 0xe000, v94
	v_and_b32_e32 v128, 0x3f00, v97
	v_lshlrev_b16 v97, 8, v97
	v_and_b32_e32 v129, 0x3f00, v100
	v_lshlrev_b16 v100, 8, v100
	v_add_nc_u16 v91, 0xe000, v91
	v_and_b32_e32 v130, 0x3f00, v103
	v_lshlrev_b16 v103, 8, v103
	v_and_b32_e32 v131, 0x3f00, v107
	v_lshlrev_b16 v107, 8, v107
	v_and_b32_e32 v112, 0x3f00, v86
	v_lshlrev_b16 v86, 8, v86
	v_add_nc_u16 v92, 0xe000, v92
	v_and_b32_e32 v132, 0x3f00, v109
	v_lshlrev_b16 v109, 8, v109
	v_and_b32_e32 v133, 0x3f00, v111
	v_lshlrev_b16 v111, 8, v111
	v_and_b32_e32 v115, 0x3f00, v87
	v_lshlrev_b16 v87, 8, v87
	v_and_b32_e32 v119, 0x3f00, v84
	v_lshlrev_b16 v84, 8, v84
	v_add_nc_u16 v89, 0xe000, v89
	v_and_b32_e32 v134, 0x3f00, v114
	v_lshlrev_b16 v114, 8, v114
	;; [unrolled: 9-line block ×3, first 2 shown]
	v_and_b32_e32 v137, 0x3f00, v122
	v_lshlrev_b16 v122, 8, v122
	v_lshrrev_b16 v94, 8, v94
	v_add_nc_u16 v97, 0xe000, v97
	v_add_nc_u16 v100, 0xe000, v100
	v_lshrrev_b16 v91, 8, v91
	v_add_nc_u16 v103, 0xe000, v103
	v_add_nc_u16 v107, 0xe000, v107
	v_add_nc_u16 v86, 0xe000, v86
	v_lshrrev_b16 v92, 8, v92
	v_add_nc_u16 v109, 0xe000, v109
	v_add_nc_u16 v111, 0xe000, v111
	v_add_nc_u16 v87, 0xe000, v87
	v_add_nc_u16 v84, 0xe000, v84
	v_lshrrev_b16 v89, 8, v89
	v_add_nc_u16 v114, 0xe000, v114
	;; [unrolled: 5-line block ×3, first 2 shown]
	v_add_nc_u16 v122, 0xe000, v122
	v_or_b32_e32 v94, v99, v94
	v_lshrrev_b16 v97, 8, v97
	v_lshrrev_b16 v99, 8, v100
	v_or_b32_e32 v91, v102, v91
	v_lshrrev_b16 v100, 8, v103
	v_lshrrev_b16 v102, 8, v107
	v_lshrrev_b16 v86, 8, v86
	v_or_b32_e32 v92, v104, v92
	v_lshrrev_b16 v103, 8, v109
	v_lshrrev_b16 v104, 8, v111
	v_lshrrev_b16 v87, 8, v87
	v_lshrrev_b16 v84, 8, v84
	v_or_b32_e32 v89, v108, v89
	v_lshrrev_b16 v107, 8, v114
	;; [unrolled: 5-line block ×3, first 2 shown]
	v_lshrrev_b16 v110, 8, v122
	v_or_b32_e32 v97, v128, v97
	v_or_b32_e32 v99, v129, v99
	;; [unrolled: 1-line block ×11, first 2 shown]
	v_lshrrev_b32_e32 v126, 16, v96
	v_or_b32_e32 v85, v121, v85
	v_or_b32_e32 v88, v123, v88
	v_add_nc_u16 v94, 0xe000, v94
	v_add_nc_u16 v91, 0xe000, v91
	v_or_b32_e32 v109, v136, v109
	v_or_b32_e32 v110, v137, v110
	v_add_nc_u16 v97, 0xe000, v97
	v_add_nc_u16 v99, 0xe000, v99
	;; [unrolled: 1-line block ×14, first 2 shown]
	v_and_b32_e32 v139, 0x3f00, v126
	v_lshlrev_b16 v126, 8, v126
	v_add_nc_u16 v85, 0xe000, v85
	v_add_nc_u16 v88, 0xe000, v88
	v_and_b32_e32 v94, 0xffff, v94
	v_and_b32_e32 v91, 0xffff, v91
	v_add_nc_u16 v109, 0xe000, v109
	v_add_nc_u16 v110, 0xe000, v110
	v_lshlrev_b32_e32 v97, 16, v97
	v_lshlrev_b32_e32 v99, 16, v99
	v_and_b32_e32 v92, 0xffff, v92
	v_and_b32_e32 v89, 0xffff, v89
	v_lshlrev_b32_e32 v100, 16, v100
	v_lshlrev_b32_e32 v102, 16, v102
	v_and_b32_e32 v90, 0xffff, v90
	v_and_b32_e32 v86, 0xffff, v86
	v_lshlrev_b32_e32 v103, 16, v103
	v_lshlrev_b32_e32 v104, 16, v104
	v_and_b32_e32 v127, 0x3f00, v96
	v_lshlrev_b16 v96, 8, v96
	v_and_b32_e32 v87, 0xffff, v87
	v_and_b32_e32 v84, 0xffff, v84
	v_lshlrev_b32_e32 v107, 16, v107
	v_lshlrev_b32_e32 v108, 16, v108
	v_add_nc_u16 v126, 0xe000, v126
	v_and_b32_e32 v85, 0xffff, v85
	v_and_b32_e32 v88, 0xffff, v88
	v_lshlrev_b32_e32 v109, 16, v109
	v_lshlrev_b32_e32 v110, 16, v110
	v_or_b32_e32 v94, v94, v97
	v_or_b32_e32 v91, v91, v99
	v_or_b32_e32 v92, v92, v100
	v_or_b32_e32 v89, v89, v102
	v_or_b32_e32 v90, v90, v103
	v_or_b32_e32 v86, v86, v104
	v_add_nc_u16 v96, 0xe000, v96
	v_or_b32_e32 v87, v87, v107
	v_or_b32_e32 v84, v84, v108
	;; [unrolled: 1-line block ×4, first 2 shown]
	ds_store_2addr_b32 v27, v94, v91 offset1:16
	ds_store_2addr_b32 v62, v92, v89 offset0:8 offset1:24
	ds_store_2addr_b32 v63, v90, v86 offset0:16 offset1:32
	;; [unrolled: 1-line block ×3, first 2 shown]
	v_lshrrev_b16 v84, 8, v126
	v_lshrrev_b32_e32 v124, 16, v95
	v_lshrrev_b16 v96, 8, v96
	ds_store_2addr_b32 v65, v85, v88 offset0:32 offset1:48
	v_and_b32_e32 v105, 0xf0f0f0f, v77
	v_or_b32_e32 v87, v139, v84
	v_mad_co_u64_u32 v[84:85], null, 0xd2, v32, v[3:4]
	v_lshlrev_b32_e32 v113, 4, v106
	v_and_b32_e32 v125, 0x3f00, v95
	v_lshlrev_b16 v95, 8, v95
	v_and_b32_e32 v138, 0x3f00, v124
	v_lshlrev_b16 v124, 8, v124
	v_or_b32_e32 v86, v127, v96
	v_and_or_b32 v89, 0x30303030, v113, v105
	v_add_nc_u16 v95, 0xe000, v95
	v_add_nc_u16 v92, 0xe000, v87
	;; [unrolled: 1-line block ×4, first 2 shown]
	v_add_co_u32 v86, vcc_lo, v84, v15
	s_wait_alu 0xfffd
	v_add_co_ci_u32_e64 v87, null, 0, v85, vcc_lo
	v_add_co_u32 v84, vcc_lo, v84, v21
	s_wait_alu 0xfffd
	v_add_co_ci_u32_e64 v85, null, 0, v85, vcc_lo
	v_lshrrev_b16 v95, 8, v95
	v_lshrrev_b16 v111, 8, v124
	v_lshrrev_b32_e32 v77, 4, v77
	v_lshlrev_b16 v90, 8, v89
	s_clause 0x1
	global_load_b32 v96, v[86:87], off
	global_load_b32 v97, v[84:85], off offset:128
	v_or_b32_e32 v95, v125, v95
	v_or_b32_e32 v111, v138, v111
	v_and_b32_e32 v77, 0xf0f0f0f, v77
	v_add_nc_u16 v90, 0xe000, v90
	v_lshrrev_b32_e32 v94, 16, v89
	v_add_nc_u16 v95, 0xe000, v95
	v_add_nc_u16 v111, 0xe000, v111
	v_and_b32_e32 v89, 0x3f00, v89
	v_lshrrev_b16 v90, 8, v90
	v_and_or_b32 v77, 0x30303030, v106, v77
	v_and_b32_e32 v95, 0xffff, v95
	v_lshlrev_b32_e32 v111, 16, v111
	v_and_b32_e32 v84, 0xffff, v91
	v_lshlrev_b32_e32 v85, 16, v92
	v_or_b32_e32 v87, v89, v90
	v_lshlrev_b16 v89, 8, v77
	v_lshrrev_b32_e32 v91, 16, v77
	v_or_b32_e32 v88, v95, v111
	v_or_b32_e32 v84, v84, v85
	v_lshlrev_b16 v95, 8, v94
	v_add_nc_u16 v85, 0xe000, v89
	v_lshlrev_b16 v89, 8, v91
	v_and_b32_e32 v77, 0x3f00, v77
	ds_store_2addr_b32 v66, v88, v84 offset0:40 offset1:56
	v_mad_co_u64_u32 v[3:4], null, 0xd2, v37, v[3:4]
	v_lshrrev_b16 v85, 8, v85
	v_add_nc_u16 v84, 0xe000, v89
	v_add_nc_u16 v86, 0xe000, v95
	v_and_b32_e32 v90, 0x3f00, v94
	s_wait_loadcnt 0xe
	v_ashrrev_i32_e32 v88, v24, v118
	v_or_b32_e32 v77, v77, v85
	v_and_b32_e32 v85, 0x3f00, v91
	v_lshrrev_b16 v84, 8, v84
	v_lshrrev_b16 v86, 8, v86
	v_lshlrev_b32_e32 v91, 4, v88
	v_lshrrev_b32_e32 v92, 4, v117
	v_add_nc_u16 v77, 0xe000, v77
	v_or_b32_e32 v89, v85, v84
	v_add_co_u32 v84, vcc_lo, v3, v15
	s_wait_alu 0xfffd
	v_add_co_ci_u32_e64 v85, null, 0, v4, vcc_lo
	v_add_co_u32 v3, vcc_lo, v3, v21
	v_or_b32_e32 v86, v90, v86
	v_and_b32_e32 v90, 0xf0f0f0f, v117
	s_wait_alu 0xfffd
	v_add_co_ci_u32_e64 v4, null, 0, v4, vcc_lo
	v_add_nc_u16 v89, 0xe000, v89
	v_add_nc_u16 v87, 0xe000, v87
	v_and_or_b32 v90, 0x30303030, v91, v90
	s_clause 0x1
	global_load_b32 v91, v[84:85], off
	global_load_b32 v94, v[3:4], off offset:128
	v_and_b32_e32 v3, 0xf0f0f0f, v92
	v_add_nc_u16 v86, 0xe000, v86
	v_and_b32_e32 v4, 0xffff, v77
	v_lshlrev_b32_e32 v77, 16, v89
	v_lshrrev_b32_e32 v84, 16, v90
	v_and_or_b32 v3, 0x30303030, v88, v3
	v_and_b32_e32 v87, 0xffff, v87
	v_lshlrev_b32_e32 v86, 16, v86
	v_or_b32_e32 v4, v4, v77
	v_lshlrev_b16 v77, 8, v84
	v_lshrrev_b32_e32 v89, 16, v3
	v_lshlrev_b16 v85, 8, v90
	v_or_b32_e32 v86, v87, v86
	v_lshlrev_b16 v87, 8, v3
	v_and_b32_e32 v88, 0x3f00, v90
	v_add_nc_u16 v77, 0xe000, v77
	v_lshlrev_b16 v90, 8, v89
	v_add_nc_u16 v85, 0xe000, v85
	v_add_nc_u16 v87, 0xe000, v87
	v_and_b32_e32 v84, 0x3f00, v84
	v_lshrrev_b16 v77, 8, v77
	ds_store_2addr_b32 v29, v86, v4 offset1:16
	v_add_nc_u16 v4, 0xe000, v90
	v_lshrrev_b16 v85, 8, v85
	v_and_b32_e32 v3, 0x3f00, v3
	v_lshrrev_b16 v87, 8, v87
	v_or_b32_e32 v77, v84, v77
	v_and_b32_e32 v84, 0x3f00, v89
	v_lshrrev_b16 v4, 8, v4
	v_or_b32_e32 v85, v88, v85
	v_or_b32_e32 v3, v3, v87
	s_wait_loadcnt 0xe
	v_ashrrev_i32_e32 v88, v24, v101
	v_add_nc_u16 v77, 0xe000, v77
	v_or_b32_e32 v4, v84, v4
	v_add_nc_u16 v85, 0xe000, v85
	v_add_nc_u16 v3, 0xe000, v3
	v_and_b32_e32 v84, 0xf0f0f0f, v98
	v_lshlrev_b32_e32 v86, 4, v88
	v_add_nc_u16 v87, 0xe000, v4
	v_and_b32_e32 v89, 0xffff, v85
	v_and_b32_e32 v90, 0xffff, v3
	v_mad_co_u64_u32 v[3:4], null, 0xd2, v25, s[16:17]
	v_and_or_b32 v92, 0x30303030, v86, v84
	v_mad_co_u64_u32 v[84:85], null, 0xd2, v40, s[16:17]
	v_lshlrev_b32_e32 v95, 16, v87
	v_mad_co_u64_u32 v[86:87], null, 0xd2, v44, s[16:17]
	global_load_u16 v100, v[3:4], off offset:208
	v_lshrrev_b32_e32 v98, 4, v98
	v_lshlrev_b16 v99, 8, v92
	v_add_co_u32 v3, vcc_lo, v84, v38
	s_wait_alu 0xfffd
	v_add_co_ci_u32_e64 v4, null, 0, v85, vcc_lo
	v_add_co_u32 v84, vcc_lo, v86, v38
	s_wait_alu 0xfffd
	v_add_co_ci_u32_e64 v85, null, 0, v87, vcc_lo
	s_clause 0x1
	global_load_b32 v3, v[3:4], off offset:192
	global_load_b32 v4, v[84:85], off offset:192
	v_and_b32_e32 v86, 0xf0f0f0f, v98
	v_lshlrev_b32_e32 v77, 16, v77
	v_add_nc_u16 v98, 0xe000, v99
	v_lshrrev_b32_e32 v87, 16, v92
	v_and_b32_e32 v84, 0x3f00, v92
	v_and_or_b32 v85, 0x30303030, v88, v86
	v_or_b32_e32 v77, v89, v77
	v_lshrrev_b16 v86, 8, v98
	v_or_b32_e32 v88, v90, v95
	v_lshlrev_b16 v89, 8, v87
	v_lshrrev_b32_e32 v90, 16, v85
	v_and_b32_e32 v87, 0x3f00, v87
	v_or_b32_e32 v84, v84, v86
	v_lshlrev_b16 v86, 8, v85
	ds_store_2addr_b32 v67, v77, v88 offset0:8 offset1:24
	v_lshlrev_b16 v88, 8, v90
	v_add_nc_u16 v77, 0xe000, v89
	v_and_b32_e32 v85, 0x3f00, v85
	v_add_nc_u16 v86, 0xe000, v86
	v_and_b32_e32 v89, 0x3f00, v90
	v_add_nc_u16 v88, 0xe000, v88
	v_lshrrev_b16 v77, 8, v77
	s_wait_loadcnt 0xf
	v_ashrrev_i32_e32 v90, v24, v93
	v_lshrrev_b16 v86, 8, v86
	v_add_nc_u16 v84, 0xe000, v84
	v_lshrrev_b16 v88, 8, v88
	v_or_b32_e32 v77, v87, v77
	v_lshlrev_b32_e32 v87, 4, v90
	v_or_b32_e32 v85, v85, v86
	v_and_b32_e32 v86, 0xf0f0f0f, v83
	v_or_b32_e32 v88, v89, v88
	v_add_nc_u16 v77, 0xe000, v77
	v_lshrrev_b32_e32 v83, 4, v83
	v_add_nc_u16 v85, 0xe000, v85
	v_and_or_b32 v86, 0x30303030, v87, v86
	v_add_nc_u16 v87, 0xe000, v88
	v_and_b32_e32 v84, 0xffff, v84
	v_lshlrev_b32_e32 v77, 16, v77
	v_and_b32_e32 v85, 0xffff, v85
	v_lshlrev_b16 v88, 8, v86
	v_lshlrev_b32_e32 v87, 16, v87
	v_and_b32_e32 v83, 0xf0f0f0f, v83
	v_or_b32_e32 v77, v84, v77
	v_lshrrev_b32_e32 v84, 16, v86
	v_add_nc_u16 v88, 0xe000, v88
	v_or_b32_e32 v85, v85, v87
	v_and_or_b32 v83, 0x30303030, v90, v83
	v_and_b32_e32 v86, 0x3f00, v86
	v_lshlrev_b16 v87, 8, v84
	v_lshrrev_b16 v88, 8, v88
	ds_store_2addr_b32 v68, v77, v85 offset0:16 offset1:32
	v_lshrrev_b32_e32 v77, 16, v83
	v_lshlrev_b16 v85, 8, v83
	v_add_nc_u16 v87, 0xe000, v87
	v_or_b32_e32 v86, v86, v88
	v_and_b32_e32 v84, 0x3f00, v84
	v_lshlrev_b16 v88, 8, v77
	v_add_nc_u16 v85, 0xe000, v85
	v_lshrrev_b16 v87, 8, v87
	v_and_b32_e32 v83, 0x3f00, v83
	s_wait_loadcnt 0xd
	v_ashrrev_i32_e32 v82, v24, v82
	v_add_nc_u16 v88, 0xe000, v88
	v_lshrrev_b16 v85, 8, v85
	v_or_b32_e32 v84, v84, v87
	v_and_b32_e32 v77, 0x3f00, v77
	v_add_nc_u16 v86, 0xe000, v86
	v_lshrrev_b16 v87, 8, v88
	v_or_b32_e32 v83, v83, v85
	v_and_b32_e32 v85, 0xf0f0f0f, v81
	v_lshlrev_b32_e32 v88, 4, v82
	v_add_nc_u16 v84, 0xe000, v84
	v_or_b32_e32 v77, v77, v87
	v_lshrrev_b32_e32 v81, 4, v81
	v_and_b32_e32 v86, 0xffff, v86
	v_and_or_b32 v85, 0x30303030, v88, v85
	v_add_nc_u16 v83, 0xe000, v83
	v_lshlrev_b32_e32 v84, 16, v84
	v_add_nc_u16 v77, 0xe000, v77
	v_and_b32_e32 v81, 0xf0f0f0f, v81
	v_lshrrev_b32_e32 v87, 16, v85
	v_lshlrev_b16 v88, 8, v85
	v_and_b32_e32 v83, 0xffff, v83
	v_lshlrev_b32_e32 v77, 16, v77
	v_or_b32_e32 v84, v86, v84
	v_lshlrev_b16 v86, 8, v87
	v_add_nc_u16 v88, 0xe000, v88
	v_and_or_b32 v81, 0x30303030, v82, v81
	v_or_b32_e32 v77, v83, v77
	v_and_b32_e32 v82, 0x3f00, v85
	v_add_nc_u16 v83, 0xe000, v86
	v_lshrrev_b16 v85, 8, v88
	v_and_b32_e32 v86, 0x3f00, v87
	v_lshrrev_b32_e32 v87, 16, v81
	v_lshlrev_b16 v88, 8, v81
	v_lshrrev_b16 v83, 8, v83
	ds_store_2addr_b32 v69, v84, v77 offset0:24 offset1:40
	v_or_b32_e32 v77, v82, v85
	v_lshlrev_b16 v82, 8, v87
	v_add_nc_u16 v84, 0xe000, v88
	s_wait_loadcnt 0xb
	v_ashrrev_i32_e32 v80, v24, v80
	v_or_b32_e32 v83, v86, v83
	v_and_b32_e32 v81, 0x3f00, v81
	v_add_nc_u16 v82, 0xe000, v82
	v_lshrrev_b16 v84, 8, v84
	v_and_b32_e32 v85, 0x3f00, v87
	v_and_b32_e32 v86, 0xf0f0f0f, v79
	v_lshlrev_b32_e32 v87, 4, v80
	v_lshrrev_b16 v82, 8, v82
	v_or_b32_e32 v81, v81, v84
	v_lshrrev_b32_e32 v79, 4, v79
	v_add_nc_u16 v77, 0xe000, v77
	v_and_or_b32 v84, 0x30303030, v87, v86
	v_or_b32_e32 v82, v85, v82
	v_add_nc_u16 v83, 0xe000, v83
	v_add_nc_u16 v81, 0xe000, v81
	v_and_b32_e32 v79, 0xf0f0f0f, v79
	v_lshlrev_b16 v85, 8, v84
	v_add_nc_u16 v82, 0xe000, v82
	v_and_b32_e32 v77, 0xffff, v77
	v_lshlrev_b32_e32 v83, 16, v83
	v_and_b32_e32 v81, 0xffff, v81
	v_add_nc_u16 v85, 0xe000, v85
	v_lshrrev_b32_e32 v86, 16, v84
	v_lshlrev_b32_e32 v82, 16, v82
	v_and_b32_e32 v84, 0x3f00, v84
	v_and_or_b32 v79, 0x30303030, v80, v79
	v_lshrrev_b16 v85, 8, v85
	v_lshlrev_b16 v87, 8, v86
	v_or_b32_e32 v77, v77, v83
	v_or_b32_e32 v80, v81, v82
	v_and_b32_e32 v83, 0x3f00, v86
	v_or_b32_e32 v82, v84, v85
	v_lshrrev_b32_e32 v84, 16, v79
	v_add_nc_u16 v81, 0xe000, v87
	v_lshlrev_b16 v85, 8, v79
	ds_store_2addr_b32 v30, v77, v80 offset1:16
	v_add_nc_u16 v77, 0xe000, v82
	v_lshlrev_b16 v80, 8, v84
	v_lshrrev_b16 v81, 8, v81
	v_add_nc_u16 v82, 0xe000, v85
	s_wait_loadcnt 0x9
	v_ashrrev_i32_e32 v78, v24, v78
	v_and_b32_e32 v79, 0x3f00, v79
	v_add_nc_u16 v80, 0xe000, v80
	v_or_b32_e32 v81, v83, v81
	v_lshrrev_b16 v82, 8, v82
	v_and_b32_e32 v83, 0x3f00, v84
	v_and_b32_e32 v84, 0xf0f0f0f, v76
	v_lshlrev_b32_e32 v85, 4, v78
	v_lshrrev_b16 v80, 8, v80
	v_or_b32_e32 v79, v79, v82
	v_lshrrev_b32_e32 v76, 4, v76
	v_add_nc_u16 v81, 0xe000, v81
	v_and_or_b32 v82, 0x30303030, v85, v84
	v_or_b32_e32 v80, v83, v80
	v_add_nc_u16 v79, 0xe000, v79
	v_and_b32_e32 v76, 0xf0f0f0f, v76
	v_and_b32_e32 v77, 0xffff, v77
	v_lshlrev_b16 v83, 8, v82
	v_add_nc_u16 v80, 0xe000, v80
	v_lshrrev_b32_e32 v84, 16, v82
	v_lshlrev_b32_e32 v81, 16, v81
	v_and_b32_e32 v79, 0xffff, v79
	v_add_nc_u16 v83, 0xe000, v83
	v_lshlrev_b32_e32 v80, 16, v80
	v_lshlrev_b16 v85, 8, v84
	v_and_or_b32 v76, 0x30303030, v78, v76
	v_and_b32_e32 v82, 0x3f00, v82
	v_lshrrev_b16 v78, 8, v83
	v_or_b32_e32 v77, v77, v81
	v_add_nc_u16 v81, 0xe000, v85
	v_or_b32_e32 v79, v79, v80
	v_lshrrev_b32_e32 v80, 16, v76
	v_or_b32_e32 v78, v82, v78
	v_and_b32_e32 v82, 0x3f00, v84
	v_lshrrev_b16 v81, 8, v81
	v_lshlrev_b16 v83, 8, v76
	v_lshlrev_b16 v84, 8, v80
	s_wait_loadcnt 0x7
	v_ashrrev_i32_e32 v75, v24, v75
	v_and_b32_e32 v76, 0x3f00, v76
	v_or_b32_e32 v81, v82, v81
	v_add_nc_u16 v82, 0xe000, v83
	v_add_nc_u16 v83, 0xe000, v84
	v_and_b32_e32 v84, 0xf0f0f0f, v74
	v_lshlrev_b32_e32 v85, 4, v75
	v_add_nc_u16 v78, 0xe000, v78
	v_lshrrev_b16 v82, 8, v82
	v_and_b32_e32 v80, 0x3f00, v80
	v_lshrrev_b16 v83, 8, v83
	v_and_or_b32 v84, 0x30303030, v85, v84
	v_add_nc_u16 v81, 0xe000, v81
	v_or_b32_e32 v76, v76, v82
	v_and_b32_e32 v78, 0xffff, v78
	v_or_b32_e32 v80, v80, v83
	v_lshrrev_b32_e32 v82, 16, v84
	v_lshlrev_b32_e32 v81, 16, v81
	v_lshlrev_b16 v83, 8, v84
	v_add_nc_u16 v76, 0xe000, v76
	v_add_nc_u16 v80, 0xe000, v80
	v_lshlrev_b16 v85, 8, v82
	v_or_b32_e32 v78, v78, v81
	v_add_nc_u16 v81, 0xe000, v83
	v_lshrrev_b32_e32 v74, 4, v74
	v_and_b32_e32 v76, 0xffff, v76
	v_add_nc_u16 v83, 0xe000, v85
	v_lshlrev_b32_e32 v80, 16, v80
	v_and_b32_e32 v84, 0x3f00, v84
	v_lshrrev_b16 v81, 8, v81
	v_and_b32_e32 v82, 0x3f00, v82
	v_lshrrev_b16 v83, 8, v83
	v_and_b32_e32 v74, 0xf0f0f0f, v74
	v_or_b32_e32 v76, v76, v80
	ds_store_2addr_b32 v31, v77, v79 offset1:16
	v_or_b32_e32 v77, v84, v81
	v_or_b32_e32 v79, v82, v83
	v_and_or_b32 v74, 0x30303030, v75, v74
	s_wait_loadcnt 0x5
	v_ashrrev_i32_e32 v75, v24, v97
	ds_store_2addr_b32 v33, v78, v76 offset1:16
	v_add_nc_u16 v76, 0xe000, v77
	v_add_nc_u16 v77, 0xe000, v79
	v_lshlrev_b16 v78, 8, v74
	v_and_b32_e32 v79, 0xf0f0f0f, v96
	v_lshlrev_b32_e32 v80, 4, v75
	v_and_b32_e32 v76, 0xffff, v76
	v_lshrrev_b32_e32 v81, 16, v74
	v_add_nc_u16 v78, 0xe000, v78
	v_lshlrev_b32_e32 v77, 16, v77
	v_and_or_b32 v79, 0x30303030, v80, v79
	v_and_b32_e32 v74, 0x3f00, v74
	v_lshlrev_b16 v80, 8, v81
	v_lshrrev_b16 v78, 8, v78
	v_or_b32_e32 v76, v76, v77
	v_lshlrev_b16 v77, 8, v79
	v_lshrrev_b32_e32 v82, 4, v96
	v_add_nc_u16 v80, 0xe000, v80
	v_or_b32_e32 v74, v74, v78
	v_and_b32_e32 v78, 0x3f00, v81
	v_add_nc_u16 v77, 0xe000, v77
	v_and_b32_e32 v81, 0xf0f0f0f, v82
	v_lshrrev_b32_e32 v82, 16, v79
	v_lshrrev_b16 v80, 8, v80
	v_and_b32_e32 v79, 0x3f00, v79
	v_lshrrev_b16 v77, 8, v77
	v_and_or_b32 v75, 0x30303030, v75, v81
	v_lshlrev_b16 v81, 8, v82
	v_or_b32_e32 v78, v78, v80
	v_add_nc_u16 v74, 0xe000, v74
	v_or_b32_e32 v77, v79, v77
	v_lshlrev_b16 v79, 8, v75
	v_add_nc_u16 v80, 0xe000, v81
	v_and_b32_e32 v81, 0x3f00, v82
	v_and_b32_e32 v82, 0x3f00, v75
	v_lshrrev_b32_e32 v75, 16, v75
	v_add_nc_u16 v79, 0xe000, v79
	v_lshrrev_b16 v80, 8, v80
	v_add_nc_u16 v78, 0xe000, v78
	s_wait_loadcnt 0x4
	v_lshrrev_b32_e32 v83, 4, v91
	v_lshlrev_b16 v85, 8, v75
	v_lshrrev_b16 v79, 8, v79
	v_or_b32_e32 v80, v81, v80
	s_wait_loadcnt 0x3
	v_ashrrev_i32_e32 v81, v24, v94
	v_and_b32_e32 v83, 0xf0f0f0f, v83
	v_and_b32_e32 v75, 0x3f00, v75
	v_or_b32_e32 v79, v82, v79
	v_and_b32_e32 v82, 0xf0f0f0f, v91
	v_lshlrev_b32_e32 v84, 4, v81
	v_and_or_b32 v81, 0x30303030, v81, v83
	v_and_b32_e32 v74, 0xffff, v74
	v_add_nc_u16 v77, 0xe000, v77
	v_lshlrev_b32_e32 v78, 16, v78
	v_and_or_b32 v82, 0x30303030, v84, v82
	v_lshrrev_b32_e32 v86, 16, v81
	v_add_nc_u16 v84, 0xe000, v85
	v_lshlrev_b16 v88, 8, v81
	v_and_b32_e32 v81, 0x3f00, v81
	v_lshrrev_b32_e32 v83, 16, v82
	v_lshlrev_b16 v85, 8, v82
	v_lshlrev_b16 v89, 8, v86
	v_add_nc_u16 v88, 0xe000, v88
	v_lshrrev_b16 v84, 8, v84
	v_lshlrev_b16 v87, 8, v83
	v_add_nc_u16 v85, 0xe000, v85
	v_add_nc_u16 v89, 0xe000, v89
	v_and_b32_e32 v82, 0x3f00, v82
	v_and_b32_e32 v83, 0x3f00, v83
	v_add_nc_u16 v87, 0xe000, v87
	v_lshrrev_b16 v85, 8, v85
	v_lshrrev_b16 v88, 8, v88
	v_and_b32_e32 v86, 0x3f00, v86
	v_lshrrev_b16 v89, 8, v89
	v_lshrrev_b16 v87, 8, v87
	v_or_b32_e32 v75, v75, v84
	v_or_b32_e32 v82, v82, v85
	v_or_b32_e32 v81, v81, v88
	v_or_b32_e32 v84, v86, v89
	v_or_b32_e32 v83, v83, v87
	v_add_nc_u16 v80, 0xe000, v80
	v_add_nc_u16 v79, 0xe000, v79
	;; [unrolled: 1-line block ×7, first 2 shown]
	v_and_b32_e32 v77, 0xffff, v77
	v_lshlrev_b32_e32 v80, 16, v80
	v_and_b32_e32 v79, 0xffff, v79
	v_lshlrev_b32_e32 v75, 16, v75
	;; [unrolled: 2-line block ×4, first 2 shown]
	v_or_b32_e32 v74, v74, v78
	v_or_b32_e32 v77, v77, v80
	;; [unrolled: 1-line block ×5, first 2 shown]
	ds_store_2addr_b32 v34, v76, v74 offset1:16
	s_wait_loadcnt 0x2
	v_cvt_f32_f16_e32 v74, v100
	s_lshl_b32 s16, s14, 8
	ds_store_2addr_b32 v35, v77, v75 offset1:16
	s_wait_alu 0xfffe
	s_cmp_lt_i32 s16, s11
	ds_store_2addr_b32 v36, v78, v79 offset1:16
	ds_store_b32 v39, v74
	s_wait_loadcnt 0x1
	ds_store_b32 v43, v3
	s_wait_loadcnt 0x0
	ds_store_b32 v45, v4
	s_cbranch_scc0 .LBB215_4
; %bb.6:                                ;   in Loop: Header=BB215_5 Depth=1
	s_lshl_b32 s17, s14, 3
	s_wait_alu 0xfffe
	v_add_nc_u32_e32 v3, s17, v48
	s_delay_alu instid0(VALU_DEP_1)
	v_cmp_gt_i32_e32 vcc_lo, s5, v3
	s_and_b32 s21, s1, vcc_lo
	s_wait_alu 0xfffe
	s_and_saveexec_b32 s20, s21
	s_cbranch_execz .LBB215_8
; %bb.7:                                ;   in Loop: Header=BB215_5 Depth=1
	v_add_nc_u32_e32 v3, v58, v3
	s_delay_alu instid0(VALU_DEP_1)
	v_mad_co_i64_i32 v[3:4], null, v3, 36, v[0:1]
	global_load_b32 v3, v[3:4], off offset:4
	s_wait_loadcnt 0x0
	ds_store_b32 v46, v3
.LBB215_8:                              ;   in Loop: Header=BB215_5 Depth=1
	s_wait_alu 0xfffe
	s_or_b32 exec_lo, exec_lo, s20
	v_add_nc_u32_e32 v77, s17, v6
	s_delay_alu instid0(VALU_DEP_1)
	v_cmp_gt_i32_e32 vcc_lo, s5, v77
	s_and_b32 s21, s10, vcc_lo
	s_wait_alu 0xfffe
	s_and_saveexec_b32 s20, s21
	s_cbranch_execz .LBB215_10
; %bb.9:                                ;   in Loop: Header=BB215_5 Depth=1
	v_add_nc_u32_e32 v3, v58, v77
	s_delay_alu instid0(VALU_DEP_1)
	v_mad_co_i64_i32 v[3:4], null, v3, 36, s[2:3]
	global_load_b32 v3, v[3:4], off
	s_wait_loadcnt 0x0
	v_cvt_f32_f16_e32 v3, v3
	ds_store_b32 v70, v3
.LBB215_10:                             ;   in Loop: Header=BB215_5 Depth=1
	s_wait_alu 0xfffe
	s_or_b32 exec_lo, exec_lo, s20
	s_wait_dscnt 0x0
	s_barrier_signal -1
	s_barrier_wait -1
	global_inv scope:SCOPE_SE
	ds_load_b32 v78, v50
	ds_load_b32 v79, v53 offset:128
	ds_load_b32 v80, v54 offset:256
	;; [unrolled: 1-line block ×3, first 2 shown]
	s_mov_b32 s21, 0
	s_mov_b32 s20, -1
.LBB215_11:                             ;   Parent Loop BB215_5 Depth=1
                                        ; =>  This Inner Loop Header: Depth=2
	s_wait_alu 0xfffe
	s_lshl_b32 s22, s21, 3
	v_lshlrev_b32_e32 v3, 2, v49
	s_wait_alu 0xfffe
	v_add_nc_u32_e32 v76, s22, v60
	v_lshl_or_b32 v82, s21, 1, v11
	s_lshr_b32 s21, s21, 1
	v_add_nc_u32_e32 v107, s22, v56
	s_wait_alu 0xfffe
	s_add_co_i32 s21, s21, 0x8200
	ds_load_b128 v[83:86], v76 offset:34
	ds_load_b64 v[91:92], v76 offset:50
	s_wait_alu 0xfffe
	v_add3_u32 v4, s21, v3, v71
	v_lshlrev_b32_e32 v120, 2, v82
	v_add_nc_u32_e32 v123, s22, v57
	v_add_nc_u32_e32 v124, s22, v59
	v_lshrrev_b32_e32 v82, 1, v82
	s_and_b32 vcc_lo, exec_lo, s20
	s_mov_b32 s20, 0
	s_wait_dscnt 0x1
	v_ashrrev_i32_e32 v108, 24, v86
	v_bfe_i32 v109, v86, 16, 8
	v_ashrrev_i32_e32 v110, 24, v84
	v_bfe_i32 v111, v84, 0, 8
	v_bfe_i32 v112, v85, 8, 8
	;; [unrolled: 1-line block ×5, first 2 shown]
	v_perm_b32 v116, v86, v83, 0xc0c0402
	v_perm_b32 v117, v85, v83, 0xc0c0600
	v_perm_b32 v118, v86, v83, 0xc0c0503
	v_perm_b32 v119, v85, v83, 0xc0c0701
	ds_load_2addr_b32 v[74:75], v107 offset0:12 offset1:13
	ds_load_b32 v121, v4
	ds_load_2addr_b32 v[93:94], v107 offset0:14 offset1:15
	ds_load_b128 v[83:86], v120 offset:35440
	ds_load_b128 v[87:90], v120 offset:35424
	s_wait_dscnt 0x1
	v_perm_b32 v4, v74, v85, 0x6040501
	v_perm_b32 v95, v83, v93, 0x6040501
	;; [unrolled: 1-line block ×3, first 2 shown]
	v_bfe_i32 v129, v84, 16, 8
	v_ashrrev_i32_e32 v133, 24, v84
	v_bfe_i32 v134, v83, 8, 8
	v_dot4_i32_iu8 v4, v95, v4, 0 neg_lo:[1,1,0]
	v_perm_b32 v95, v75, v83, 0x6040503
	v_perm_b32 v75, v93, v75, 0x7060403
	v_bfe_i32 v135, v83, 0, 8
	v_perm_b32 v136, v86, v83, 0xc0c0503
	v_perm_b32 v137, v86, v84, 0xc0c0701
	v_dot4_i32_iu8 v74, v95, v74, v4 neg_lo:[1,1,0]
	v_lshlrev_b32_e32 v4, 2, v51
	v_perm_b32 v138, v86, v84, 0xc0c0600
	v_perm_b32 v139, v86, v83, 0xc0c0402
	v_bfe_i32 v128, v85, 8, 8
	v_ashrrev_i32_e32 v130, 24, v85
	v_add3_u32 v95, s21, v4, v72
	v_bfe_i32 v131, v85, 16, 8
	v_bfe_i32 v132, v85, 0, 8
	s_wait_dscnt 0x0
	v_bfe_i32 v143, v89, 8, 8
	v_bfe_i32 v144, v88, 16, 8
	ds_load_b32 v122, v95
	ds_load_2addr_b32 v[95:96], v123 offset0:12 offset1:13
	ds_load_2addr_b32 v[97:98], v123 offset0:14 offset1:15
	;; [unrolled: 1-line block ×3, first 2 shown]
	v_ashrrev_i32_e32 v145, 24, v89
	v_bfe_i32 v146, v89, 16, 8
	v_bfe_i32 v147, v89, 0, 8
	v_ashrrev_i32_e32 v148, 24, v88
	v_bfe_i32 v149, v87, 8, 8
	v_bfe_i32 v150, v87, 0, 8
	v_perm_b32 v151, v90, v88, 0xc0c0600
	v_perm_b32 v152, v90, v87, 0xc0c0402
	;; [unrolled: 1-line block ×4, first 2 shown]
	s_wait_dscnt 0x2
	v_perm_b32 v101, v95, v85, 0x6040501
	s_wait_dscnt 0x1
	v_perm_b32 v102, v83, v97, 0x6040501
	v_perm_b32 v95, v84, v95, 0x6040503
	;; [unrolled: 1-line block ×3, first 2 shown]
	s_delay_alu instid0(VALU_DEP_3) | instskip(SKIP_2) | instid1(VALU_DEP_2)
	v_dot4_i32_iu8 v101, v102, v101, 0 neg_lo:[1,1,0]
	v_perm_b32 v102, v96, v83, 0x6040503
	v_perm_b32 v96, v85, v84, 0x7060403
	v_dot4_i32_iu8 v95, v102, v95, v101 neg_lo:[1,1,0]
	ds_load_2addr_b32 v[101:102], v124 offset0:12 offset1:13
	ds_load_2addr_b32 v[103:104], v124 offset0:14 offset1:15
	;; [unrolled: 1-line block ×3, first 2 shown]
	v_dot4_i32_iu8 v74, v96, v75, v74 neg_lo:[1,1,0]
	v_dot4_i32_iu8 v75, v96, v93, v95 neg_lo:[1,1,0]
	s_wait_dscnt 0x2
	v_perm_b32 v125, v101, v85, 0x6040501
	s_wait_dscnt 0x1
	v_perm_b32 v126, v83, v103, 0x6040501
	v_perm_b32 v101, v84, v101, 0x6040503
	s_delay_alu instid0(VALU_DEP_2) | instskip(SKIP_2) | instid1(VALU_DEP_2)
	v_dot4_i32_iu8 v125, v126, v125, 0 neg_lo:[1,1,0]
	v_perm_b32 v126, v102, v83, 0x6040503
	v_perm_b32 v102, v103, v102, 0x7060403
	v_dot4_i32_iu8 v101, v126, v101, v125 neg_lo:[1,1,0]
	v_dot4_i32_iu8 v125, v86, v94, v74 neg_lo:[1,1,0]
	;; [unrolled: 1-line block ×3, first 2 shown]
	v_perm_b32 v98, v87, v99, 0x6040501
	s_delay_alu instid0(VALU_DEP_4) | instskip(SKIP_2) | instid1(VALU_DEP_2)
	v_dot4_i32_iu8 v93, v96, v102, v101 neg_lo:[1,1,0]
	s_wait_dscnt 0x0
	v_perm_b32 v102, v87, v105, 0x6040501
	v_dot4_i32_iu8 v127, v86, v104, v93 neg_lo:[1,1,0]
	ds_load_2addr_b32 v[74:75], v107 offset0:8 offset1:9
	ds_load_2addr_b32 v[83:84], v107 offset0:10 offset1:11
	;; [unrolled: 1-line block ×3, first 2 shown]
	s_wait_dscnt 0x2
	v_perm_b32 v85, v74, v89, 0x6040501
	s_wait_dscnt 0x1
	v_perm_b32 v86, v87, v83, 0x6040501
	v_perm_b32 v74, v88, v74, 0x6040503
	s_delay_alu instid0(VALU_DEP_2) | instskip(SKIP_2) | instid1(VALU_DEP_2)
	v_dot4_i32_iu8 v85, v86, v85, 0 neg_lo:[1,1,0]
	v_perm_b32 v86, v75, v87, 0x6040503
	v_perm_b32 v75, v83, v75, 0x7060403
	v_dot4_i32_iu8 v74, v86, v74, v85 neg_lo:[1,1,0]
	ds_load_2addr_b32 v[85:86], v123 offset0:8 offset1:9
	ds_load_2addr_b32 v[95:96], v123 offset0:6 offset1:7
	s_wait_dscnt 0x1
	v_perm_b32 v97, v85, v89, 0x6040501
	v_perm_b32 v85, v88, v85, 0x6040503
	s_delay_alu instid0(VALU_DEP_2) | instskip(SKIP_2) | instid1(VALU_DEP_2)
	v_dot4_i32_iu8 v97, v98, v97, 0 neg_lo:[1,1,0]
	v_perm_b32 v98, v86, v87, 0x6040503
	v_perm_b32 v86, v99, v86, 0x7060403
	v_dot4_i32_iu8 v85, v98, v85, v97 neg_lo:[1,1,0]
	ds_load_2addr_b32 v[97:98], v124 offset0:8 offset1:9
	s_wait_dscnt 0x0
	v_perm_b32 v101, v97, v89, 0x6040501
	v_perm_b32 v97, v88, v97, 0x6040503
	v_perm_b32 v83, v105, v98, 0x7060403
	s_delay_alu instid0(VALU_DEP_3) | instskip(SKIP_2) | instid1(VALU_DEP_2)
	v_dot4_i32_iu8 v101, v102, v101, 0 neg_lo:[1,1,0]
	v_perm_b32 v102, v98, v87, 0x6040503
	v_perm_b32 v98, v89, v88, 0x7060403
	v_dot4_i32_iu8 v97, v102, v97, v101 neg_lo:[1,1,0]
	s_delay_alu instid0(VALU_DEP_2) | instskip(SKIP_1) | instid1(VALU_DEP_3)
	v_dot4_i32_iu8 v74, v98, v75, v74 neg_lo:[1,1,0]
	v_dot4_i32_iu8 v75, v98, v86, v85 neg_lo:[1,1,0]
	;; [unrolled: 1-line block ×3, first 2 shown]
	s_delay_alu instid0(VALU_DEP_3) | instskip(NEXT) | instid1(VALU_DEP_3)
	v_dot4_i32_iu8 v140, v90, v84, v74 neg_lo:[1,1,0]
	v_dot4_i32_iu8 v141, v90, v100, v75 neg_lo:[1,1,0]
	ds_load_2addr_b32 v[74:75], v107 offset0:4 offset1:5
	v_dot4_i32_iu8 v142, v90, v106, v83 neg_lo:[1,1,0]
	ds_load_b128 v[83:86], v120 offset:35408
	ds_load_b128 v[87:90], v120 offset:35392
	s_wait_dscnt 0x2
	v_perm_b32 v97, v74, v93, 0x6050401
	s_wait_dscnt 0x1
	v_perm_b32 v120, v83, v85, 0x6050401
	v_perm_b32 v98, v75, v83, 0x6040503
	;; [unrolled: 1-line block ×4, first 2 shown]
	v_bfe_i32 v165, v83, 8, 8
	v_dot4_i32_iu8 v97, v97, v120, 0 neg_lo:[1,1,0]
	v_bfe_i32 v166, v83, 0, 8
	v_bfe_i32 v156, v86, 16, 8
	v_ashrrev_i32_e32 v157, 24, v86
	v_ashrrev_i32_e32 v158, 24, v84
	v_dot4_i32_iu8 v74, v74, v98, v97 neg_lo:[1,1,0]
	ds_load_2addr_b32 v[97:98], v123 offset0:4 offset1:5
	ds_load_2addr_b32 v[99:100], v123 offset0:2 offset1:3
	v_bfe_i32 v159, v84, 0, 8
	v_bfe_i32 v160, v84, 16, 8
	;; [unrolled: 1-line block ×4, first 2 shown]
	v_ashrrev_i32_e32 v163, 24, v85
	v_bfe_i32 v164, v85, 16, 8
	s_wait_dscnt 0x2
	v_bfe_i32 v168, v88, 0, 8
	v_bfe_i32 v169, v88, 16, 8
	v_ashrrev_i32_e32 v172, 24, v89
	v_bfe_i32 v173, v89, 16, 8
	v_bfe_i32 v174, v87, 8, 8
	;; [unrolled: 1-line block ×5, first 2 shown]
	s_wait_dscnt 0x1
	v_perm_b32 v101, v97, v95, 0x6050401
	v_perm_b32 v102, v98, v83, 0x6040503
	;; [unrolled: 1-line block ×5, first 2 shown]
	v_dot4_i32_iu8 v101, v101, v120, 0 neg_lo:[1,1,0]
	s_delay_alu instid0(VALU_DEP_2) | instskip(NEXT) | instid1(VALU_DEP_2)
	v_dot4_i32_iu8 v74, v98, v75, v74 neg_lo:[1,1,0]
	v_dot4_i32_iu8 v97, v97, v102, v101 neg_lo:[1,1,0]
	ds_load_2addr_b32 v[101:102], v124 offset0:6 offset1:7
	ds_load_2addr_b32 v[103:104], v124 offset0:4 offset1:5
	;; [unrolled: 1-line block ×3, first 2 shown]
	v_dot4_i32_iu8 v75, v98, v93, v97 neg_lo:[1,1,0]
	v_dot4_i32_iu8 v97, v94, v86, v74 neg_lo:[1,1,0]
	v_lshlrev_b32_e32 v74, 2, v48
	s_wait_dscnt 0x1
	v_perm_b32 v155, v103, v101, 0x6050401
	v_perm_b32 v103, v84, v103, 0x6040503
	;; [unrolled: 1-line block ×3, first 2 shown]
	s_delay_alu instid0(VALU_DEP_3) | instskip(SKIP_2) | instid1(VALU_DEP_2)
	v_dot4_i32_iu8 v120, v155, v120, 0 neg_lo:[1,1,0]
	v_perm_b32 v155, v104, v83, 0x6040503
	v_bfe_i32 v104, v83, 16, 8
	v_dot4_i32_iu8 v103, v103, v155, v120 neg_lo:[1,1,0]
	v_ashrrev_i32_e32 v120, 24, v83
	v_bfe_i32 v155, v85, 0, 8
	s_delay_alu instid0(VALU_DEP_3) | instskip(SKIP_3) | instid1(VALU_DEP_4)
	v_dot4_i32_iu8 v93, v98, v95, v103 neg_lo:[1,1,0]
	v_dot4_i32_iu8 v98, v96, v86, v75 neg_lo:[1,1,0]
	v_lshlrev_b32_e32 v75, 2, v42
	v_bfe_i32 v103, v85, 8, 8
	v_dot4_i32_iu8 v101, v102, v86, v93 neg_lo:[1,1,0]
	v_lshrrev_b16 v102, 8, v84
	s_delay_alu instid0(VALU_DEP_4)
	v_add3_u32 v83, s21, v74, v75
	ds_load_b32 v167, v83
	ds_load_2addr_b32 v[83:84], v107 offset0:2 offset1:3
	ds_load_2addr_b32 v[85:86], v107 offset1:1
	v_perm_b32 v107, v87, v89, 0x6050401
	v_bfe_i32 v102, v102, 0, 8
	s_wait_dscnt 0x0
	v_perm_b32 v93, v85, v83, 0x6050401
	v_perm_b32 v94, v86, v87, 0x6040503
	;; [unrolled: 1-line block ×4, first 2 shown]
	s_delay_alu instid0(VALU_DEP_4) | instskip(NEXT) | instid1(VALU_DEP_1)
	v_dot4_i32_iu8 v93, v93, v107, 0 neg_lo:[1,1,0]
	v_dot4_i32_iu8 v85, v85, v94, v93 neg_lo:[1,1,0]
	ds_load_2addr_b32 v[93:94], v123 offset1:1
	s_wait_dscnt 0x0
	v_perm_b32 v95, v93, v99, 0x6050401
	v_perm_b32 v96, v94, v87, 0x6040503
	;; [unrolled: 1-line block ×4, first 2 shown]
	v_bfe_i32 v99, v89, 8, 8
	v_dot4_i32_iu8 v95, v95, v107, 0 neg_lo:[1,1,0]
	s_delay_alu instid0(VALU_DEP_1)
	v_dot4_i32_iu8 v93, v93, v96, v95 neg_lo:[1,1,0]
	ds_load_2addr_b32 v[95:96], v124 offset1:1
	v_ashrrev_i32_e32 v124, 24, v88
	s_wait_dscnt 0x0
	v_perm_b32 v123, v95, v105, 0x6050401
	v_perm_b32 v94, v105, v96, 0x7060403
	;; [unrolled: 1-line block ×3, first 2 shown]
	v_ashrrev_i32_e32 v105, 24, v87
	s_delay_alu instid0(VALU_DEP_4) | instskip(SKIP_2) | instid1(VALU_DEP_2)
	v_dot4_i32_iu8 v107, v123, v107, 0 neg_lo:[1,1,0]
	v_perm_b32 v123, v96, v87, 0x6040503
	v_perm_b32 v96, v89, v88, 0x7060403
	v_dot4_i32_iu8 v95, v95, v123, v107 neg_lo:[1,1,0]
	s_delay_alu instid0(VALU_DEP_2)
	v_dot4_i32_iu8 v83, v96, v83, v85 neg_lo:[1,1,0]
	v_dot4_i32_iu8 v85, v96, v86, v93 neg_lo:[1,1,0]
	v_bfe_i32 v107, v90, 16, 8
	v_ashrrev_i32_e32 v123, 24, v90
	v_dot4_i32_iu8 v86, v96, v94, v95 neg_lo:[1,1,0]
	v_dot4_i32_iu8 v93, v84, v90, v83 neg_lo:[1,1,0]
	v_bfe_i32 v83, v92, 16, 8
	v_dot4_i32_iu8 v94, v100, v90, v85 neg_lo:[1,1,0]
	v_lshrrev_b16 v96, 8, v88
	v_dot4_i32_iu8 v95, v106, v90, v86 neg_lo:[1,1,0]
	v_bfe_i32 v100, v87, 16, 8
	v_mul_i32_i24_e32 v83, v83, v132
	ds_load_b32 v132, v76 offset:60
	ds_load_u16 v176, v76 offset:58
	v_bfe_i32 v106, v89, 0, 8
	v_bfe_i32 v96, v96, 0, 8
	s_wait_dscnt 0x1
	v_perm_b32 v84, v132, v91, 0xc0c0501
	s_delay_alu instid0(VALU_DEP_1) | instskip(SKIP_3) | instid1(VALU_DEP_2)
	v_dot4_i32_iu8 v136, v84, v136, v83 neg_lo:[1,1,0]
	s_wait_dscnt 0x0
	v_bfe_i32 v83, v176, 0, 8
	v_perm_b32 v84, v132, v91, 0xc0c0602
	v_mul_i32_i24_e32 v83, v83, v131
	s_delay_alu instid0(VALU_DEP_1) | instskip(SKIP_3) | instid1(VALU_DEP_3)
	v_dot4_i32_iu8 v131, v84, v138, v83 neg_lo:[1,1,0]
	v_bfe_i32 v83, v92, 8, 8
	v_perm_b32 v84, v132, v91, 0xc0c0400
	v_perm_b32 v91, v132, v91, 0xc0c0703
	v_mul_i32_i24_e32 v83, v83, v133
	s_delay_alu instid0(VALU_DEP_1) | instskip(SKIP_2) | instid1(VALU_DEP_1)
	v_dot4_i32_iu8 v133, v84, v139, v83 neg_lo:[1,1,0]
	v_mul_i32_i24_e32 v83, v109, v135
	v_ashrrev_i32_e32 v84, 24, v92
	v_mad_i32_i24 v109, v84, v128, v83
	v_mul_i32_i24_e32 v83, v113, v146
	s_delay_alu instid0(VALU_DEP_1) | instskip(SKIP_1) | instid1(VALU_DEP_1)
	v_dot4_i32_iu8 v113, v116, v151, v83 neg_lo:[1,1,0]
	v_mul_i32_i24_e32 v83, v115, v148
	v_dot4_i32_iu8 v115, v117, v152, v83 neg_lo:[1,1,0]
	v_mul_i32_i24_e32 v83, v112, v145
	s_delay_alu instid0(VALU_DEP_1) | instskip(SKIP_1) | instid1(VALU_DEP_1)
	v_dot4_i32_iu8 v112, v118, v153, v83 neg_lo:[1,1,0]
	v_mul_i32_i24_e32 v83, v114, v147
	v_dot4_i32_iu8 v114, v119, v154, v83 neg_lo:[1,1,0]
	ds_load_u16 v116, v76 offset:32
	ds_load_2addr_b32 v[83:84], v76 offset0:6 offset1:7
	s_wait_dscnt 0x1
	v_bfe_i32 v85, v116, 0, 8
	s_delay_alu instid0(VALU_DEP_1) | instskip(NEXT) | instid1(VALU_DEP_1)
	v_mul_i32_i24_e32 v85, v85, v150
	v_mad_i32_i24 v110, v110, v143, v85
	s_wait_dscnt 0x0
	v_bfe_i32 v85, v84, 0, 8
	s_delay_alu instid0(VALU_DEP_1) | instskip(SKIP_4) | instid1(VALU_DEP_1)
	v_mul_i32_i24_e32 v89, v85, v162
	ds_load_2addr_b32 v[85:86], v76 offset0:4 offset1:5
	ds_load_2addr_b32 v[87:88], v76 offset0:2 offset1:3
	s_wait_dscnt 0x1
	v_bfe_i32 v90, v86, 16, 8
	v_mad_i32_i24 v117, v90, v160, v89
	v_bfe_i32 v89, v83, 16, 8
	v_bfe_i32 v90, v86, 0, 8
	s_delay_alu instid0(VALU_DEP_2) | instskip(NEXT) | instid1(VALU_DEP_1)
	v_mul_i32_i24_e32 v89, v89, v164
	v_mad_i32_i24 v118, v90, v159, v89
	v_bfe_i32 v89, v84, 8, 8
	v_ashrrev_i32_e32 v90, 24, v86
	v_lshrrev_b16 v86, 8, v86
	s_delay_alu instid0(VALU_DEP_3) | instskip(NEXT) | instid1(VALU_DEP_2)
	v_mul_i32_i24_e32 v89, v89, v161
	v_bfe_i32 v86, v86, 0, 8
	s_delay_alu instid0(VALU_DEP_2) | instskip(SKIP_2) | instid1(VALU_DEP_4)
	v_mad_i32_i24 v119, v90, v158, v89
	v_bfe_i32 v89, v85, 8, 8
	v_bfe_i32 v90, v83, 8, 8
	v_mul_i32_i24_e32 v86, v86, v102
	v_ashrrev_i32_e32 v102, 24, v85
	s_delay_alu instid0(VALU_DEP_4) | instskip(NEXT) | instid1(VALU_DEP_2)
	v_mul_i32_i24_e32 v89, v89, v165
	v_mul_i32_i24_e32 v102, v102, v120
	s_delay_alu instid0(VALU_DEP_2) | instskip(SKIP_4) | instid1(VALU_DEP_4)
	v_mad_i32_i24 v103, v90, v103, v89
	v_bfe_i32 v89, v84, 16, 8
	v_bfe_i32 v90, v83, 0, 8
	v_ashrrev_i32_e32 v83, 24, v83
	v_ashrrev_i32_e32 v84, 24, v84
	v_mul_i32_i24_e32 v89, v89, v156
	s_delay_alu instid0(VALU_DEP_3) | instskip(NEXT) | instid1(VALU_DEP_3)
	v_mul_i32_i24_e32 v83, v83, v163
	v_mul_i32_i24_e32 v84, v84, v157
	s_delay_alu instid0(VALU_DEP_3)
	v_mad_i32_i24 v128, v90, v155, v89
	ds_load_2addr_b32 v[89:90], v76 offset1:1
	s_wait_dscnt 0x1
	v_bfe_i32 v76, v88, 0, 8
	v_add3_u32 v83, v86, v83, v119
	v_bfe_i32 v86, v85, 16, 8
	v_bfe_i32 v85, v85, 0, 8
	s_delay_alu instid0(VALU_DEP_4) | instskip(NEXT) | instid1(VALU_DEP_4)
	v_mul_i32_i24_e32 v135, v76, v171
	v_add3_u32 v83, v118, v117, v83
	s_delay_alu instid0(VALU_DEP_4) | instskip(NEXT) | instid1(VALU_DEP_4)
	v_mul_i32_i24_e32 v86, v86, v104
	v_mul_i32_i24_e32 v85, v85, v166
	v_lshlrev_b32_e32 v76, 2, v52
	s_delay_alu instid0(VALU_DEP_3) | instskip(NEXT) | instid1(VALU_DEP_3)
	v_add3_u32 v86, v86, v102, v128
	v_add3_u32 v83, v83, v85, v103
	v_add_nc_u32_e32 v102, v115, v113
	s_delay_alu instid0(VALU_DEP_4)
	v_add3_u32 v138, s21, v76, v73
	s_mov_b32 s21, 8
	s_wait_dscnt 0x0
	v_bfe_i32 v139, v90, 16, 8
	v_bfe_i32 v143, v90, 0, 8
	v_ashrrev_i32_e32 v145, 24, v90
	v_lshrrev_b16 v90, 8, v90
	v_bfe_i32 v85, v89, 0, 8
	v_mad_i32_i24 v135, v139, v169, v135
	v_bfe_i32 v139, v87, 16, 8
	ds_load_b32 v138, v138
	v_bfe_i32 v90, v90, 0, 8
	v_mul_i32_i24_e32 v85, v85, v175
	v_mul_i32_i24_e32 v139, v139, v173
	s_delay_alu instid0(VALU_DEP_3) | instskip(SKIP_1) | instid1(VALU_DEP_3)
	v_mul_i32_i24_e32 v90, v90, v96
	v_ashrrev_i32_e32 v96, 24, v89
	v_mad_i32_i24 v139, v143, v168, v139
	v_bfe_i32 v143, v88, 8, 8
	s_delay_alu instid0(VALU_DEP_3) | instskip(NEXT) | instid1(VALU_DEP_2)
	v_mul_i32_i24_e32 v96, v96, v105
	v_mul_i32_i24_e32 v143, v143, v170
	s_delay_alu instid0(VALU_DEP_1) | instskip(SKIP_2) | instid1(VALU_DEP_2)
	v_mad_i32_i24 v124, v145, v124, v143
	v_bfe_i32 v143, v89, 8, 8
	v_bfe_i32 v145, v87, 8, 8
	v_mul_i32_i24_e32 v143, v143, v174
	s_delay_alu instid0(VALU_DEP_1) | instskip(SKIP_1) | instid1(VALU_DEP_1)
	v_mad_i32_i24 v99, v145, v99, v143
	v_bfe_i32 v143, v88, 16, 8
	v_mul_i32_i24_e32 v107, v143, v107
	v_bfe_i32 v143, v87, 0, 8
	v_ashrrev_i32_e32 v87, 24, v87
	s_delay_alu instid0(VALU_DEP_2) | instskip(NEXT) | instid1(VALU_DEP_2)
	v_mad_i32_i24 v106, v143, v106, v107
	v_mul_i32_i24_e32 v87, v87, v172
	v_lshrrev_b16 v107, 8, v176
	s_delay_alu instid0(VALU_DEP_2) | instskip(SKIP_1) | instid1(VALU_DEP_3)
	v_add3_u32 v87, v90, v87, v124
	v_bfe_i32 v90, v89, 16, 8
	v_bfe_i32 v107, v107, 0, 8
	;; [unrolled: 1-line block ×3, first 2 shown]
	s_delay_alu instid0(VALU_DEP_4) | instskip(NEXT) | instid1(VALU_DEP_4)
	v_add3_u32 v87, v139, v135, v87
	v_mul_i32_i24_e32 v90, v90, v100
	s_delay_alu instid0(VALU_DEP_4) | instskip(SKIP_1) | instid1(VALU_DEP_4)
	v_mul_i32_i24_e32 v107, v107, v130
	v_add_nc_u32_e32 v100, v114, v112
	v_add3_u32 v85, v87, v85, v99
	s_delay_alu instid0(VALU_DEP_4) | instskip(SKIP_3) | instid1(VALU_DEP_3)
	v_add3_u32 v90, v90, v96, v106
	v_lshrrev_b16 v96, 8, v116
	v_dot4_i32_iu8 v91, v91, v137, v107 neg_lo:[1,1,0]
	v_bfe_i32 v87, v92, 0, 8
	v_bfe_i32 v96, v96, 0, 8
	s_delay_alu instid0(VALU_DEP_3) | instskip(NEXT) | instid1(VALU_DEP_3)
	v_add_nc_u32_e32 v91, v136, v91
	v_mul_i32_i24_e32 v87, v87, v129
	s_delay_alu instid0(VALU_DEP_3) | instskip(NEXT) | instid1(VALU_DEP_1)
	v_mul_i32_i24_e32 v96, v96, v149
	v_add3_u32 v96, v102, v100, v96
	v_mul_i32_i24_e32 v100, v108, v134
	v_add_nc_u32_e32 v102, v133, v131
	s_delay_alu instid0(VALU_DEP_1) | instskip(SKIP_1) | instid1(VALU_DEP_2)
	v_add3_u32 v91, v102, v91, v100
	v_mul_i32_i24_e32 v100, v111, v144
	v_add3_u32 v92, v91, v109, v87
	v_add3_u32 v91, v83, v86, v84
	v_ashrrev_i32_e32 v83, 24, v88
	v_bfe_i32 v84, v167, 16, 8
	v_ashrrev_i32_e32 v86, 24, v121
	v_ashrrev_i32_e32 v87, 24, v122
	v_bfe_i32 v88, v167, 0, 8
	v_mul_i32_i24_e32 v83, v83, v123
	v_mul_lo_u32 v84, v140, v84
	v_add3_u32 v96, v96, v110, v100
	s_delay_alu instid0(VALU_DEP_3)
	v_add3_u32 v99, v85, v90, v83
	v_ashrrev_i32_e32 v85, 24, v167
	v_bfe_i32 v90, v122, 0, 8
	ds_load_b64 v[82:83], v82 offset:36944
	v_mad_co_u64_u32 v[84:85], null, v125, v85, v[84:85]
	v_bfe_i32 v85, v121, 16, 8
	s_delay_alu instid0(VALU_DEP_1) | instskip(NEXT) | instid1(VALU_DEP_3)
	v_mul_lo_u32 v85, v141, v85
	v_cvt_f32_i32_e32 v84, v84
	s_delay_alu instid0(VALU_DEP_2) | instskip(SKIP_1) | instid1(VALU_DEP_1)
	v_mad_co_u64_u32 v[85:86], null, v126, v86, v[85:86]
	v_bfe_i32 v86, v122, 16, 8
	v_mul_lo_u32 v86, v142, v86
	s_delay_alu instid0(VALU_DEP_3) | instskip(NEXT) | instid1(VALU_DEP_2)
	v_cvt_f32_i32_e32 v85, v85
	v_mad_co_u64_u32 v[86:87], null, v127, v87, v[86:87]
	v_bfe_i32 v87, v167, 8, 8
	s_delay_alu instid0(VALU_DEP_1) | instskip(NEXT) | instid1(VALU_DEP_3)
	v_mul_lo_u32 v87, v97, v87
	v_cvt_f32_i32_e32 v86, v86
	s_delay_alu instid0(VALU_DEP_2) | instskip(SKIP_3) | instid1(VALU_DEP_2)
	v_mad_co_u64_u32 v[87:88], null, v93, v88, v[87:88]
	v_bfe_i32 v88, v121, 8, 8
	s_wait_dscnt 0x1
	v_ashrrev_i32_e32 v93, 24, v138
	v_mul_lo_u32 v88, v98, v88
	s_delay_alu instid0(VALU_DEP_4) | instskip(SKIP_1) | instid1(VALU_DEP_1)
	v_cvt_f32_i32_e32 v87, v87
	s_wait_dscnt 0x0
	v_fma_f32 v87, v82, v87, 0
	s_delay_alu instid0(VALU_DEP_3) | instskip(SKIP_1) | instid1(VALU_DEP_3)
	v_mad_co_u64_u32 v[88:89], null, v94, v89, v[88:89]
	v_bfe_i32 v89, v122, 8, 8
	v_fmac_f32_e32 v87, v83, v84
	s_delay_alu instid0(VALU_DEP_2) | instskip(NEXT) | instid1(VALU_DEP_4)
	v_mul_lo_u32 v89, v101, v89
	v_cvt_f32_i32_e32 v88, v88
	s_delay_alu instid0(VALU_DEP_3) | instskip(NEXT) | instid1(VALU_DEP_2)
	v_fmac_f32_e32 v7, v78, v87
	v_fma_f32 v88, v82, v88, 0
	s_delay_alu instid0(VALU_DEP_4) | instskip(SKIP_1) | instid1(VALU_DEP_3)
	v_mad_co_u64_u32 v[89:90], null, v95, v90, v[89:90]
	v_bfe_i32 v90, v138, 8, 8
	v_fmac_f32_e32 v88, v83, v85
	s_delay_alu instid0(VALU_DEP_2) | instskip(SKIP_2) | instid1(VALU_DEP_4)
	v_mul_lo_u32 v90, v91, v90
	v_bfe_i32 v91, v138, 0, 8
	v_cvt_f32_i32_e32 v89, v89
	v_fmac_f32_e32 v47, v79, v88
	s_delay_alu instid0(VALU_DEP_2) | instskip(NEXT) | instid1(VALU_DEP_4)
	v_fma_f32 v89, v82, v89, 0
	v_mad_co_u64_u32 v[90:91], null, v99, v91, v[90:91]
	v_bfe_i32 v91, v138, 16, 8
	s_delay_alu instid0(VALU_DEP_3) | instskip(NEXT) | instid1(VALU_DEP_2)
	v_fmac_f32_e32 v89, v83, v86
	v_mul_lo_u32 v91, v96, v91
	s_delay_alu instid0(VALU_DEP_4) | instskip(NEXT) | instid1(VALU_DEP_3)
	v_cvt_f32_i32_e32 v90, v90
	v_fmac_f32_e32 v41, v80, v89
	s_delay_alu instid0(VALU_DEP_2) | instskip(NEXT) | instid1(VALU_DEP_4)
	v_fma_f32 v82, v82, v90, 0
	v_mad_co_u64_u32 v[91:92], null, v92, v93, v[91:92]
	s_delay_alu instid0(VALU_DEP_1) | instskip(NEXT) | instid1(VALU_DEP_1)
	v_cvt_f32_i32_e32 v91, v91
	v_fmac_f32_e32 v82, v83, v91
	s_delay_alu instid0(VALU_DEP_1)
	v_fmac_f32_e32 v2, v81, v82
	s_wait_alu 0xfffe
	s_cbranch_vccnz .LBB215_11
; %bb.12:                               ;   in Loop: Header=BB215_5 Depth=1
	s_bitset1_b32 s16, 7
	s_wait_loadcnt 0x0
	s_wait_alu 0xfffe
	s_cmp_ge_i32 s16, s11
	s_barrier_signal -1
	s_barrier_wait -1
	global_inv scope:SCOPE_SE
	s_cbranch_scc1 .LBB215_4
; %bb.13:                               ;   in Loop: Header=BB215_5 Depth=1
	v_add_nc_u32_e32 v78, s17, v49
	s_delay_alu instid0(VALU_DEP_1)
	v_cmp_gt_i32_e32 vcc_lo, s5, v78
	s_and_b32 s17, s1, vcc_lo
	s_wait_alu 0xfffe
	s_and_saveexec_b32 s16, s17
	s_cbranch_execz .LBB215_15
; %bb.14:                               ;   in Loop: Header=BB215_5 Depth=1
	v_add_nc_u32_e32 v78, v58, v78
	s_delay_alu instid0(VALU_DEP_1)
	v_mad_co_i64_i32 v[78:79], null, v78, 36, v[0:1]
	global_load_b32 v78, v[78:79], off offset:4
	s_wait_loadcnt 0x0
	ds_store_b32 v46, v78
.LBB215_15:                             ;   in Loop: Header=BB215_5 Depth=1
	s_wait_alu 0xfffe
	s_or_b32 exec_lo, exec_lo, s16
	s_and_saveexec_b32 s16, s0
	s_cbranch_execz .LBB215_18
; %bb.16:                               ;   in Loop: Header=BB215_5 Depth=1
	v_or_b32_e32 v78, 4, v77
	s_delay_alu instid0(VALU_DEP_1)
	v_cmp_gt_i32_e32 vcc_lo, s5, v78
	s_and_b32 s17, s1, vcc_lo
	s_wait_alu 0xfffe
	s_and_b32 exec_lo, exec_lo, s17
	s_cbranch_execz .LBB215_18
; %bb.17:                               ;   in Loop: Header=BB215_5 Depth=1
	v_ashrrev_i32_e32 v78, 31, v77
	v_add_co_u32 v77, vcc_lo, v58, v77
	s_wait_alu 0xfffd
	s_delay_alu instid0(VALU_DEP_2) | instskip(NEXT) | instid1(VALU_DEP_2)
	v_add_co_ci_u32_e64 v79, null, v61, v78, vcc_lo
	v_mad_co_u64_u32 v[77:78], null, v77, 36, s[2:3]
	s_delay_alu instid0(VALU_DEP_1)
	v_mad_i32_i24 v78, v79, 36, v78
	global_load_b32 v77, v[77:78], off offset:144
	s_wait_loadcnt 0x0
	v_cvt_f32_f16_e32 v77, v77
	ds_store_b32 v70, v77
.LBB215_18:                             ;   in Loop: Header=BB215_5 Depth=1
	s_wait_alu 0xfffe
	s_or_b32 exec_lo, exec_lo, s16
	s_wait_loadcnt_dscnt 0x0
	s_barrier_signal -1
	s_barrier_wait -1
	global_inv scope:SCOPE_SE
	ds_load_b32 v77, v50
	ds_load_b32 v78, v53 offset:128
	ds_load_b32 v79, v54 offset:256
	;; [unrolled: 1-line block ×3, first 2 shown]
	s_mov_b32 s16, 16
.LBB215_19:                             ;   Parent Loop BB215_5 Depth=1
                                        ; =>  This Inner Loop Header: Depth=2
	s_wait_alu 0xfffe
	s_lshl_b32 s17, s16, 3
	s_lshl_b32 s20, s16, 1
	s_wait_alu 0xfffe
	v_add_nc_u32_e32 v107, s17, v60
	s_lshr_b32 s21, s16, 1
	v_and_or_b32 v108, s20, 16, v11
	s_wait_alu 0xfffe
	s_add_co_i32 s20, s21, 0x8200
	v_add_nc_u32_e32 v109, s17, v56
	ds_load_b128 v[81:84], v107 offset:34
	ds_load_b64 v[89:90], v107 offset:50
	s_wait_alu 0xfffe
	v_add3_u32 v85, s20, v3, v71
	v_lshlrev_b32_e32 v110, 2, v108
	v_add_nc_u32_e32 v125, s17, v57
	v_add_nc_u32_e32 v126, s17, v59
	s_add_co_i32 s17, s16, 8
	s_cmp_lt_u32 s16, 24
	s_wait_alu 0xfffe
	s_mov_b32 s16, s17
	s_wait_dscnt 0x1
	v_ashrrev_i32_e32 v111, 24, v84
	v_bfe_i32 v112, v84, 16, 8
	v_ashrrev_i32_e32 v113, 24, v82
	v_bfe_i32 v114, v82, 0, 8
	v_bfe_i32 v115, v83, 8, 8
	v_bfe_i32 v116, v83, 0, 8
	v_bfe_i32 v117, v82, 16, 8
	v_bfe_i32 v118, v82, 8, 8
	v_perm_b32 v119, v84, v81, 0xc0c0402
	v_perm_b32 v120, v83, v81, 0xc0c0600
	;; [unrolled: 1-line block ×4, first 2 shown]
	ds_load_2addr_b32 v[91:92], v109 offset0:12 offset1:13
	ds_load_b32 v123, v85
	ds_load_2addr_b32 v[93:94], v109 offset0:14 offset1:15
	ds_load_b128 v[81:84], v110 offset:35440
	ds_load_b128 v[85:88], v110 offset:35424
	s_wait_dscnt 0x1
	v_perm_b32 v95, v91, v83, 0x6040501
	v_perm_b32 v96, v81, v93, 0x6040501
	;; [unrolled: 1-line block ×3, first 2 shown]
	v_bfe_i32 v130, v83, 8, 8
	v_bfe_i32 v131, v82, 16, 8
	v_ashrrev_i32_e32 v132, 24, v83
	v_dot4_i32_iu8 v95, v96, v95, 0 neg_lo:[1,1,0]
	v_perm_b32 v96, v92, v81, 0x6040503
	v_perm_b32 v92, v93, v92, 0x7060403
	v_bfe_i32 v133, v83, 16, 8
	v_bfe_i32 v134, v83, 0, 8
	v_ashrrev_i32_e32 v135, 24, v82
	v_dot4_i32_iu8 v91, v96, v91, v95 neg_lo:[1,1,0]
	v_add3_u32 v95, s20, v4, v72
	v_bfe_i32 v136, v81, 8, 8
	v_bfe_i32 v137, v81, 0, 8
	v_perm_b32 v138, v84, v82, 0xc0c0600
	v_perm_b32 v139, v84, v81, 0xc0c0402
	ds_load_b32 v124, v95
	ds_load_2addr_b32 v[95:96], v125 offset0:12 offset1:13
	ds_load_2addr_b32 v[97:98], v125 offset0:14 offset1:15
	;; [unrolled: 1-line block ×3, first 2 shown]
	v_perm_b32 v140, v84, v82, 0xc0c0701
	v_perm_b32 v141, v84, v81, 0xc0c0503
	s_wait_dscnt 0x4
	v_bfe_i32 v145, v87, 8, 8
	v_bfe_i32 v146, v86, 16, 8
	v_ashrrev_i32_e32 v147, 24, v87
	v_bfe_i32 v148, v87, 16, 8
	v_bfe_i32 v149, v87, 0, 8
	v_ashrrev_i32_e32 v150, 24, v86
	v_bfe_i32 v151, v85, 8, 8
	v_bfe_i32 v152, v85, 0, 8
	v_perm_b32 v153, v88, v86, 0xc0c0600
	v_perm_b32 v154, v88, v85, 0xc0c0402
	;; [unrolled: 1-line block ×4, first 2 shown]
	s_wait_dscnt 0x2
	v_perm_b32 v101, v95, v83, 0x6040501
	s_wait_dscnt 0x1
	v_perm_b32 v102, v81, v97, 0x6040501
	v_perm_b32 v95, v82, v95, 0x6040503
	;; [unrolled: 1-line block ×3, first 2 shown]
	s_delay_alu instid0(VALU_DEP_3) | instskip(SKIP_2) | instid1(VALU_DEP_2)
	v_dot4_i32_iu8 v101, v102, v101, 0 neg_lo:[1,1,0]
	v_perm_b32 v102, v96, v81, 0x6040503
	v_perm_b32 v96, v83, v82, 0x7060403
	v_dot4_i32_iu8 v95, v102, v95, v101 neg_lo:[1,1,0]
	ds_load_2addr_b32 v[101:102], v126 offset0:12 offset1:13
	ds_load_2addr_b32 v[103:104], v126 offset0:14 offset1:15
	;; [unrolled: 1-line block ×3, first 2 shown]
	v_dot4_i32_iu8 v91, v96, v92, v91 neg_lo:[1,1,0]
	v_dot4_i32_iu8 v92, v96, v93, v95 neg_lo:[1,1,0]
	s_wait_dscnt 0x2
	v_perm_b32 v127, v101, v83, 0x6040501
	s_wait_dscnt 0x1
	v_perm_b32 v128, v81, v103, 0x6040501
	v_perm_b32 v101, v82, v101, 0x6040503
	s_delay_alu instid0(VALU_DEP_2) | instskip(SKIP_2) | instid1(VALU_DEP_2)
	v_dot4_i32_iu8 v127, v128, v127, 0 neg_lo:[1,1,0]
	v_perm_b32 v128, v102, v81, 0x6040503
	v_perm_b32 v102, v103, v102, 0x7060403
	v_dot4_i32_iu8 v101, v128, v101, v127 neg_lo:[1,1,0]
	v_dot4_i32_iu8 v127, v84, v94, v91 neg_lo:[1,1,0]
	;; [unrolled: 1-line block ×3, first 2 shown]
	v_perm_b32 v98, v85, v99, 0x6040501
	s_delay_alu instid0(VALU_DEP_4) | instskip(SKIP_2) | instid1(VALU_DEP_2)
	v_dot4_i32_iu8 v93, v96, v102, v101 neg_lo:[1,1,0]
	s_wait_dscnt 0x0
	v_perm_b32 v102, v85, v105, 0x6040501
	v_dot4_i32_iu8 v129, v84, v104, v93 neg_lo:[1,1,0]
	ds_load_2addr_b32 v[81:82], v109 offset0:8 offset1:9
	ds_load_2addr_b32 v[83:84], v109 offset0:10 offset1:11
	;; [unrolled: 1-line block ×3, first 2 shown]
	s_wait_dscnt 0x2
	v_perm_b32 v93, v81, v87, 0x6040501
	s_wait_dscnt 0x1
	v_perm_b32 v94, v85, v83, 0x6040501
	v_perm_b32 v81, v86, v81, 0x6040503
	s_delay_alu instid0(VALU_DEP_2) | instskip(SKIP_2) | instid1(VALU_DEP_2)
	v_dot4_i32_iu8 v93, v94, v93, 0 neg_lo:[1,1,0]
	v_perm_b32 v94, v82, v85, 0x6040503
	v_perm_b32 v82, v83, v82, 0x7060403
	v_dot4_i32_iu8 v81, v94, v81, v93 neg_lo:[1,1,0]
	ds_load_2addr_b32 v[93:94], v125 offset0:8 offset1:9
	ds_load_2addr_b32 v[95:96], v125 offset0:6 offset1:7
	s_wait_dscnt 0x1
	v_perm_b32 v97, v93, v87, 0x6040501
	v_perm_b32 v93, v86, v93, 0x6040503
	s_delay_alu instid0(VALU_DEP_2) | instskip(SKIP_2) | instid1(VALU_DEP_2)
	v_dot4_i32_iu8 v97, v98, v97, 0 neg_lo:[1,1,0]
	v_perm_b32 v98, v94, v85, 0x6040503
	v_perm_b32 v94, v99, v94, 0x7060403
	v_dot4_i32_iu8 v93, v98, v93, v97 neg_lo:[1,1,0]
	ds_load_2addr_b32 v[97:98], v126 offset0:8 offset1:9
	s_wait_dscnt 0x0
	v_perm_b32 v101, v97, v87, 0x6040501
	v_perm_b32 v97, v86, v97, 0x6040503
	;; [unrolled: 1-line block ×3, first 2 shown]
	s_delay_alu instid0(VALU_DEP_3) | instskip(SKIP_2) | instid1(VALU_DEP_2)
	v_dot4_i32_iu8 v101, v102, v101, 0 neg_lo:[1,1,0]
	v_perm_b32 v102, v98, v85, 0x6040503
	v_perm_b32 v98, v87, v86, 0x7060403
	v_dot4_i32_iu8 v97, v102, v97, v101 neg_lo:[1,1,0]
	s_delay_alu instid0(VALU_DEP_2)
	v_dot4_i32_iu8 v81, v98, v82, v81 neg_lo:[1,1,0]
	v_dot4_i32_iu8 v82, v98, v94, v93 neg_lo:[1,1,0]
	ds_load_2addr_b32 v[93:94], v109 offset0:4 offset1:5
	v_dot4_i32_iu8 v83, v98, v83, v97 neg_lo:[1,1,0]
	v_dot4_i32_iu8 v142, v88, v84, v81 neg_lo:[1,1,0]
	;; [unrolled: 1-line block ×3, first 2 shown]
	s_delay_alu instid0(VALU_DEP_3)
	v_dot4_i32_iu8 v144, v88, v106, v83 neg_lo:[1,1,0]
	ds_load_b128 v[81:84], v110 offset:35408
	ds_load_b128 v[85:88], v110 offset:35392
	s_wait_dscnt 0x2
	v_perm_b32 v97, v93, v91, 0x6050401
	v_perm_b32 v91, v91, v94, 0x7060403
	s_wait_dscnt 0x1
	v_perm_b32 v110, v81, v83, 0x6050401
	v_perm_b32 v98, v94, v81, 0x6040503
	;; [unrolled: 1-line block ×3, first 2 shown]
	v_bfe_i32 v165, v81, 8, 8
	v_bfe_i32 v166, v81, 0, 8
	v_dot4_i32_iu8 v97, v97, v110, 0 neg_lo:[1,1,0]
	v_ashrrev_i32_e32 v158, 24, v82
	v_bfe_i32 v159, v82, 0, 8
	v_bfe_i32 v160, v82, 16, 8
	;; [unrolled: 1-line block ×3, first 2 shown]
	v_dot4_i32_iu8 v93, v93, v98, v97 neg_lo:[1,1,0]
	ds_load_2addr_b32 v[97:98], v125 offset0:4 offset1:5
	ds_load_2addr_b32 v[99:100], v125 offset0:2 offset1:3
	v_bfe_i32 v162, v84, 0, 8
	v_ashrrev_i32_e32 v163, 24, v83
	v_bfe_i32 v164, v83, 16, 8
	s_wait_dscnt 0x2
	v_bfe_i32 v168, v86, 0, 8
	v_bfe_i32 v169, v86, 16, 8
	v_ashrrev_i32_e32 v172, 24, v87
	v_bfe_i32 v173, v87, 16, 8
	v_bfe_i32 v174, v85, 8, 8
	;; [unrolled: 1-line block ×5, first 2 shown]
	s_wait_dscnt 0x1
	v_perm_b32 v101, v97, v95, 0x6050401
	v_perm_b32 v102, v98, v81, 0x6040503
	;; [unrolled: 1-line block ×5, first 2 shown]
	v_dot4_i32_iu8 v101, v101, v110, 0 neg_lo:[1,1,0]
	s_delay_alu instid0(VALU_DEP_2) | instskip(NEXT) | instid1(VALU_DEP_2)
	v_dot4_i32_iu8 v91, v98, v91, v93 neg_lo:[1,1,0]
	v_dot4_i32_iu8 v97, v97, v102, v101 neg_lo:[1,1,0]
	ds_load_2addr_b32 v[101:102], v126 offset0:6 offset1:7
	ds_load_2addr_b32 v[103:104], v126 offset0:4 offset1:5
	;; [unrolled: 1-line block ×3, first 2 shown]
	v_dot4_i32_iu8 v93, v98, v94, v97 neg_lo:[1,1,0]
	s_delay_alu instid0(VALU_DEP_1)
	v_dot4_i32_iu8 v96, v96, v84, v93 neg_lo:[1,1,0]
	s_wait_dscnt 0x1
	v_perm_b32 v157, v103, v101, 0x6050401
	v_perm_b32 v103, v82, v103, 0x6040503
	;; [unrolled: 1-line block ×3, first 2 shown]
	v_bfe_i32 v101, v83, 8, 8
	s_delay_alu instid0(VALU_DEP_4) | instskip(SKIP_2) | instid1(VALU_DEP_2)
	v_dot4_i32_iu8 v110, v157, v110, 0 neg_lo:[1,1,0]
	v_perm_b32 v157, v104, v81, 0x6040503
	v_bfe_i32 v104, v83, 0, 8
	v_dot4_i32_iu8 v103, v103, v157, v110 neg_lo:[1,1,0]
	v_bfe_i32 v110, v84, 16, 8
	v_ashrrev_i32_e32 v157, 24, v84
	s_delay_alu instid0(VALU_DEP_3) | instskip(SKIP_3) | instid1(VALU_DEP_4)
	v_dot4_i32_iu8 v94, v98, v95, v103 neg_lo:[1,1,0]
	v_ashrrev_i32_e32 v103, 24, v81
	v_dot4_i32_iu8 v95, v92, v84, v91 neg_lo:[1,1,0]
	v_lshrrev_b16 v98, 8, v82
	v_dot4_i32_iu8 v97, v102, v84, v94 neg_lo:[1,1,0]
	v_bfe_i32 v102, v81, 16, 8
	v_add3_u32 v81, s20, v74, v75
	ds_load_b32 v167, v81
	ds_load_2addr_b32 v[81:82], v109 offset0:2 offset1:3
	ds_load_2addr_b32 v[83:84], v109 offset1:1
	v_perm_b32 v109, v85, v87, 0x6050401
	v_bfe_i32 v98, v98, 0, 8
	s_wait_dscnt 0x0
	v_perm_b32 v91, v83, v81, 0x6050401
	v_perm_b32 v92, v84, v85, 0x6040503
	;; [unrolled: 1-line block ×4, first 2 shown]
	s_delay_alu instid0(VALU_DEP_4) | instskip(NEXT) | instid1(VALU_DEP_1)
	v_dot4_i32_iu8 v91, v91, v109, 0 neg_lo:[1,1,0]
	v_dot4_i32_iu8 v83, v83, v92, v91 neg_lo:[1,1,0]
	ds_load_2addr_b32 v[91:92], v125 offset1:1
	s_wait_dscnt 0x0
	v_perm_b32 v93, v91, v99, 0x6050401
	v_perm_b32 v94, v92, v85, 0x6040503
	;; [unrolled: 1-line block ×4, first 2 shown]
	v_bfe_i32 v99, v87, 8, 8
	v_dot4_i32_iu8 v93, v93, v109, 0 neg_lo:[1,1,0]
	s_delay_alu instid0(VALU_DEP_1)
	v_dot4_i32_iu8 v91, v91, v94, v93 neg_lo:[1,1,0]
	ds_load_2addr_b32 v[93:94], v126 offset1:1
	v_ashrrev_i32_e32 v126, 24, v86
	s_wait_dscnt 0x0
	v_perm_b32 v125, v93, v105, 0x6050401
	v_perm_b32 v92, v105, v94, 0x7060403
	;; [unrolled: 1-line block ×3, first 2 shown]
	v_ashrrev_i32_e32 v105, 24, v85
	s_delay_alu instid0(VALU_DEP_4) | instskip(SKIP_2) | instid1(VALU_DEP_2)
	v_dot4_i32_iu8 v109, v125, v109, 0 neg_lo:[1,1,0]
	v_perm_b32 v125, v94, v85, 0x6040503
	v_perm_b32 v94, v87, v86, 0x7060403
	v_dot4_i32_iu8 v93, v93, v125, v109 neg_lo:[1,1,0]
	s_delay_alu instid0(VALU_DEP_2)
	v_dot4_i32_iu8 v81, v94, v81, v83 neg_lo:[1,1,0]
	v_dot4_i32_iu8 v83, v94, v84, v91 neg_lo:[1,1,0]
	v_bfe_i32 v109, v88, 16, 8
	v_ashrrev_i32_e32 v125, 24, v88
	v_dot4_i32_iu8 v84, v94, v92, v93 neg_lo:[1,1,0]
	v_dot4_i32_iu8 v91, v82, v88, v81 neg_lo:[1,1,0]
	ds_load_u16 v81, v107 offset:58
	ds_load_b32 v82, v107 offset:60
	v_dot4_i32_iu8 v92, v100, v88, v83 neg_lo:[1,1,0]
	v_lshrrev_b16 v94, 8, v86
	v_dot4_i32_iu8 v93, v106, v88, v84 neg_lo:[1,1,0]
	v_bfe_i32 v100, v85, 16, 8
	v_bfe_i32 v106, v87, 0, 8
	s_delay_alu instid0(VALU_DEP_4)
	v_bfe_i32 v94, v94, 0, 8
	s_wait_dscnt 0x1
	v_bfe_i32 v83, v81, 0, 8
	s_wait_dscnt 0x0
	v_perm_b32 v84, v82, v89, 0xc0c0602
	v_lshrrev_b16 v81, 8, v81
	s_delay_alu instid0(VALU_DEP_3) | instskip(NEXT) | instid1(VALU_DEP_2)
	v_mul_i32_i24_e32 v83, v83, v133
	v_bfe_i32 v81, v81, 0, 8
	s_delay_alu instid0(VALU_DEP_2) | instskip(SKIP_2) | instid1(VALU_DEP_4)
	v_dot4_i32_iu8 v133, v84, v138, v83 neg_lo:[1,1,0]
	v_bfe_i32 v83, v90, 8, 8
	v_perm_b32 v84, v82, v89, 0xc0c0400
	v_mul_i32_i24_e32 v81, v81, v132
	s_delay_alu instid0(VALU_DEP_3) | instskip(NEXT) | instid1(VALU_DEP_1)
	v_mul_i32_i24_e32 v83, v83, v135
	v_dot4_i32_iu8 v135, v84, v139, v83 neg_lo:[1,1,0]
	v_perm_b32 v83, v82, v89, 0xc0c0703
	v_perm_b32 v82, v82, v89, 0xc0c0501
	s_delay_alu instid0(VALU_DEP_2) | instskip(SKIP_1) | instid1(VALU_DEP_1)
	v_dot4_i32_iu8 v132, v83, v140, v81 neg_lo:[1,1,0]
	v_bfe_i32 v81, v90, 16, 8
	v_mul_i32_i24_e32 v81, v81, v134
	s_delay_alu instid0(VALU_DEP_1) | instskip(SKIP_3) | instid1(VALU_DEP_4)
	v_dot4_i32_iu8 v89, v82, v141, v81 neg_lo:[1,1,0]
	v_mul_i32_i24_e32 v81, v112, v137
	v_ashrrev_i32_e32 v82, 24, v90
	v_bfe_i32 v90, v90, 0, 8
	v_add_nc_u32_e32 v89, v89, v132
	s_delay_alu instid0(VALU_DEP_3) | instskip(SKIP_1) | instid1(VALU_DEP_4)
	v_mad_i32_i24 v112, v82, v130, v81
	v_mul_i32_i24_e32 v81, v116, v148
	v_mul_i32_i24_e32 v90, v90, v131
	s_delay_alu instid0(VALU_DEP_2) | instskip(SKIP_1) | instid1(VALU_DEP_1)
	v_dot4_i32_iu8 v116, v119, v153, v81 neg_lo:[1,1,0]
	v_mul_i32_i24_e32 v81, v118, v150
	v_dot4_i32_iu8 v118, v120, v154, v81 neg_lo:[1,1,0]
	v_mul_i32_i24_e32 v81, v115, v147
	s_delay_alu instid0(VALU_DEP_1) | instskip(SKIP_1) | instid1(VALU_DEP_1)
	v_dot4_i32_iu8 v115, v121, v155, v81 neg_lo:[1,1,0]
	v_mul_i32_i24_e32 v81, v117, v149
	v_dot4_i32_iu8 v117, v122, v156, v81 neg_lo:[1,1,0]
	ds_load_u16 v119, v107 offset:32
	ds_load_2addr_b32 v[81:82], v107 offset0:6 offset1:7
	s_wait_dscnt 0x1
	v_bfe_i32 v83, v119, 0, 8
	s_delay_alu instid0(VALU_DEP_1) | instskip(NEXT) | instid1(VALU_DEP_1)
	v_mul_i32_i24_e32 v83, v83, v152
	v_mad_i32_i24 v113, v113, v145, v83
	s_wait_dscnt 0x0
	v_bfe_i32 v83, v82, 0, 8
	s_delay_alu instid0(VALU_DEP_1) | instskip(SKIP_4) | instid1(VALU_DEP_1)
	v_mul_i32_i24_e32 v87, v83, v162
	ds_load_2addr_b32 v[83:84], v107 offset0:4 offset1:5
	ds_load_2addr_b32 v[85:86], v107 offset0:2 offset1:3
	s_wait_dscnt 0x1
	v_bfe_i32 v88, v84, 16, 8
	v_mad_i32_i24 v120, v88, v160, v87
	v_bfe_i32 v87, v81, 16, 8
	v_bfe_i32 v88, v84, 0, 8
	s_delay_alu instid0(VALU_DEP_2) | instskip(NEXT) | instid1(VALU_DEP_1)
	v_mul_i32_i24_e32 v87, v87, v164
	v_mad_i32_i24 v121, v88, v159, v87
	v_bfe_i32 v87, v82, 8, 8
	v_ashrrev_i32_e32 v88, 24, v84
	v_lshrrev_b16 v84, 8, v84
	s_delay_alu instid0(VALU_DEP_3) | instskip(NEXT) | instid1(VALU_DEP_2)
	v_mul_i32_i24_e32 v87, v87, v161
	v_bfe_i32 v84, v84, 0, 8
	s_delay_alu instid0(VALU_DEP_2) | instskip(SKIP_2) | instid1(VALU_DEP_4)
	v_mad_i32_i24 v122, v88, v158, v87
	v_bfe_i32 v87, v83, 8, 8
	v_bfe_i32 v88, v81, 8, 8
	v_mul_i32_i24_e32 v84, v84, v98
	v_ashrrev_i32_e32 v98, 24, v83
	s_delay_alu instid0(VALU_DEP_4) | instskip(NEXT) | instid1(VALU_DEP_2)
	v_mul_i32_i24_e32 v87, v87, v165
	v_mul_i32_i24_e32 v98, v98, v103
	s_delay_alu instid0(VALU_DEP_2) | instskip(SKIP_4) | instid1(VALU_DEP_4)
	v_mad_i32_i24 v101, v88, v101, v87
	v_bfe_i32 v87, v82, 16, 8
	v_bfe_i32 v88, v81, 0, 8
	v_ashrrev_i32_e32 v81, 24, v81
	v_ashrrev_i32_e32 v82, 24, v82
	v_mul_i32_i24_e32 v87, v87, v110
	v_add3_u32 v110, s20, v76, v73
	s_delay_alu instid0(VALU_DEP_4) | instskip(NEXT) | instid1(VALU_DEP_4)
	v_mul_i32_i24_e32 v81, v81, v163
	v_mul_i32_i24_e32 v82, v82, v157
	s_delay_alu instid0(VALU_DEP_4)
	v_mad_i32_i24 v104, v88, v104, v87
	ds_load_2addr_b32 v[87:88], v107 offset1:1
	s_wait_dscnt 0x1
	v_bfe_i32 v107, v86, 0, 8
	v_add3_u32 v81, v84, v81, v122
	v_bfe_i32 v84, v83, 16, 8
	v_bfe_i32 v83, v83, 0, 8
	ds_load_b32 v110, v110
	v_mul_i32_i24_e32 v107, v107, v171
	v_add3_u32 v81, v121, v120, v81
	v_mul_i32_i24_e32 v84, v84, v102
	v_mul_i32_i24_e32 v83, v83, v166
	s_delay_alu instid0(VALU_DEP_2) | instskip(SKIP_1) | instid1(VALU_DEP_3)
	v_add3_u32 v84, v84, v98, v104
	v_add_nc_u32_e32 v98, v135, v133
	v_add3_u32 v81, v81, v83, v101
	s_wait_dscnt 0x1
	v_bfe_i32 v130, v88, 16, 8
	v_bfe_i32 v134, v88, 0, 8
	v_ashrrev_i32_e32 v137, 24, v88
	v_lshrrev_b16 v88, 8, v88
	v_bfe_i32 v83, v87, 0, 8
	v_mad_i32_i24 v107, v130, v169, v107
	v_bfe_i32 v130, v85, 16, 8
	s_delay_alu instid0(VALU_DEP_4) | instskip(NEXT) | instid1(VALU_DEP_4)
	v_bfe_i32 v88, v88, 0, 8
	v_mul_i32_i24_e32 v83, v83, v175
	s_delay_alu instid0(VALU_DEP_3) | instskip(NEXT) | instid1(VALU_DEP_3)
	v_mul_i32_i24_e32 v130, v130, v173
	v_mul_i32_i24_e32 v88, v88, v94
	v_ashrrev_i32_e32 v94, 24, v87
	s_delay_alu instid0(VALU_DEP_3) | instskip(SKIP_1) | instid1(VALU_DEP_3)
	v_mad_i32_i24 v130, v134, v168, v130
	v_bfe_i32 v134, v86, 8, 8
	v_mul_i32_i24_e32 v94, v94, v105
	s_delay_alu instid0(VALU_DEP_2) | instskip(NEXT) | instid1(VALU_DEP_1)
	v_mul_i32_i24_e32 v134, v134, v170
	v_mad_i32_i24 v126, v137, v126, v134
	v_bfe_i32 v134, v87, 8, 8
	v_bfe_i32 v137, v85, 8, 8
	s_delay_alu instid0(VALU_DEP_2) | instskip(NEXT) | instid1(VALU_DEP_1)
	v_mul_i32_i24_e32 v134, v134, v174
	v_mad_i32_i24 v99, v137, v99, v134
	v_bfe_i32 v134, v86, 16, 8
	s_delay_alu instid0(VALU_DEP_1) | instskip(SKIP_2) | instid1(VALU_DEP_2)
	v_mul_i32_i24_e32 v109, v134, v109
	v_bfe_i32 v134, v85, 0, 8
	v_ashrrev_i32_e32 v85, 24, v85
	v_mad_i32_i24 v106, v134, v106, v109
	s_delay_alu instid0(VALU_DEP_2) | instskip(NEXT) | instid1(VALU_DEP_1)
	v_mul_i32_i24_e32 v85, v85, v172
	v_add3_u32 v85, v88, v85, v126
	v_bfe_i32 v88, v87, 16, 8
	v_bfe_i32 v87, v167, 0, 8
	s_delay_alu instid0(VALU_DEP_3) | instskip(NEXT) | instid1(VALU_DEP_3)
	v_add3_u32 v85, v130, v107, v85
	v_mul_i32_i24_e32 v88, v88, v100
	v_add_nc_u32_e32 v100, v118, v116
	s_delay_alu instid0(VALU_DEP_3) | instskip(NEXT) | instid1(VALU_DEP_3)
	v_add3_u32 v83, v85, v83, v99
	v_add3_u32 v88, v88, v94, v106
	v_mul_i32_i24_e32 v94, v111, v136
	v_ashrrev_i32_e32 v85, 24, v123
	s_delay_alu instid0(VALU_DEP_2) | instskip(SKIP_2) | instid1(VALU_DEP_2)
	v_add3_u32 v89, v98, v89, v94
	v_lshrrev_b16 v94, 8, v119
	v_add_nc_u32_e32 v98, v117, v115
	v_bfe_i32 v94, v94, 0, 8
	s_delay_alu instid0(VALU_DEP_1) | instskip(NEXT) | instid1(VALU_DEP_1)
	v_mul_i32_i24_e32 v94, v94, v151
	v_add3_u32 v94, v100, v98, v94
	v_add3_u32 v98, v89, v112, v90
	v_mul_i32_i24_e32 v89, v114, v146
	s_delay_alu instid0(VALU_DEP_1)
	v_add3_u32 v90, v94, v113, v89
	v_add3_u32 v94, v81, v84, v82
	v_ashrrev_i32_e32 v81, 24, v86
	v_ashrrev_i32_e32 v84, 24, v167
	;; [unrolled: 1-line block ×3, first 2 shown]
	v_bfe_i32 v89, v124, 0, 8
	s_delay_alu instid0(VALU_DEP_4) | instskip(NEXT) | instid1(VALU_DEP_1)
	v_mul_i32_i24_e32 v81, v81, v125
	v_add3_u32 v99, v83, v88, v81
	v_bfe_i32 v83, v167, 16, 8
	v_bfe_i32 v88, v123, 0, 8
	v_lshrrev_b32_e32 v81, 1, v108
	s_delay_alu instid0(VALU_DEP_3) | instskip(SKIP_3) | instid1(VALU_DEP_1)
	v_mul_lo_u32 v83, v142, v83
	ds_load_b64 v[81:82], v81 offset:36944
	v_mad_co_u64_u32 v[83:84], null, v127, v84, v[83:84]
	v_bfe_i32 v84, v123, 16, 8
	v_mul_lo_u32 v84, v143, v84
	s_delay_alu instid0(VALU_DEP_3) | instskip(NEXT) | instid1(VALU_DEP_2)
	v_cvt_f32_i32_e32 v83, v83
	v_mad_co_u64_u32 v[84:85], null, v128, v85, v[84:85]
	v_bfe_i32 v85, v124, 16, 8
	s_delay_alu instid0(VALU_DEP_1) | instskip(NEXT) | instid1(VALU_DEP_3)
	v_mul_lo_u32 v85, v144, v85
	v_cvt_f32_i32_e32 v84, v84
	s_delay_alu instid0(VALU_DEP_2) | instskip(SKIP_1) | instid1(VALU_DEP_1)
	v_mad_co_u64_u32 v[85:86], null, v129, v86, v[85:86]
	v_bfe_i32 v86, v167, 8, 8
	v_mul_lo_u32 v86, v95, v86
	s_wait_dscnt 0x1
	v_bfe_i32 v95, v110, 0, 8
	s_delay_alu instid0(VALU_DEP_4) | instskip(NEXT) | instid1(VALU_DEP_3)
	v_cvt_f32_i32_e32 v85, v85
	v_mad_co_u64_u32 v[86:87], null, v91, v87, v[86:87]
	v_bfe_i32 v87, v123, 8, 8
	v_bfe_i32 v91, v110, 8, 8
	s_delay_alu instid0(VALU_DEP_2) | instskip(NEXT) | instid1(VALU_DEP_4)
	v_mul_lo_u32 v87, v96, v87
	v_cvt_f32_i32_e32 v86, v86
	s_wait_dscnt 0x0
	s_delay_alu instid0(VALU_DEP_1) | instskip(NEXT) | instid1(VALU_DEP_3)
	v_fma_f32 v86, v81, v86, 0
	v_mad_co_u64_u32 v[87:88], null, v92, v88, v[87:88]
	v_bfe_i32 v88, v124, 8, 8
	v_bfe_i32 v92, v110, 16, 8
	s_delay_alu instid0(VALU_DEP_4) | instskip(NEXT) | instid1(VALU_DEP_3)
	v_fmac_f32_e32 v86, v82, v83
	v_mul_lo_u32 v88, v97, v88
	s_delay_alu instid0(VALU_DEP_3) | instskip(SKIP_1) | instid1(VALU_DEP_4)
	v_mul_lo_u32 v90, v90, v92
	v_cvt_f32_i32_e32 v87, v87
	v_fmac_f32_e32 v7, v77, v86
	s_delay_alu instid0(VALU_DEP_2) | instskip(SKIP_3) | instid1(VALU_DEP_4)
	v_fma_f32 v87, v81, v87, 0
	v_mad_co_u64_u32 v[88:89], null, v93, v89, v[88:89]
	v_mul_lo_u32 v89, v94, v91
	v_ashrrev_i32_e32 v93, 24, v110
	v_fmac_f32_e32 v87, v82, v84
	s_delay_alu instid0(VALU_DEP_4) | instskip(NEXT) | instid1(VALU_DEP_2)
	v_cvt_f32_i32_e32 v88, v88
	v_fmac_f32_e32 v47, v78, v87
	v_mad_co_u64_u32 v[91:92], null, v99, v95, v[89:90]
	s_delay_alu instid0(VALU_DEP_3) | instskip(NEXT) | instid1(VALU_DEP_2)
	v_fma_f32 v88, v81, v88, 0
	v_mad_co_u64_u32 v[89:90], null, v98, v93, v[90:91]
	v_cvt_f32_i32_e32 v90, v91
	s_delay_alu instid0(VALU_DEP_3) | instskip(NEXT) | instid1(VALU_DEP_2)
	v_fmac_f32_e32 v88, v82, v85
	v_fma_f32 v81, v81, v90, 0
	s_delay_alu instid0(VALU_DEP_4) | instskip(NEXT) | instid1(VALU_DEP_3)
	v_cvt_f32_i32_e32 v89, v89
	v_fmac_f32_e32 v41, v79, v88
	s_delay_alu instid0(VALU_DEP_2) | instskip(NEXT) | instid1(VALU_DEP_1)
	v_fmac_f32_e32 v81, v82, v89
	v_fmac_f32_e32 v2, v80, v81
	s_cbranch_scc1 .LBB215_19
; %bb.20:                               ;   in Loop: Header=BB215_5 Depth=1
	s_wait_loadcnt 0x0
	s_barrier_signal -1
	s_barrier_wait -1
	global_inv scope:SCOPE_SE
	s_branch .LBB215_4
.LBB215_21:
	s_mul_i32 s0, s7, s4
	s_wait_loadcnt 0x0
	s_wait_alu 0xfffe
	v_cmp_gt_i32_e32 vcc_lo, s0, v5
	s_and_saveexec_b32 s0, vcc_lo
	s_cbranch_execz .LBB215_30
; %bb.22:
	v_mul_lo_u32 v0, v5, s6
	v_add_nc_u32_e32 v1, s18, v6
	s_mov_b32 s0, exec_lo
	s_delay_alu instid0(VALU_DEP_1)
	v_cmpx_gt_u32_e64 s6, v1
	s_cbranch_execz .LBB215_24
; %bb.23:
	s_delay_alu instid0(VALU_DEP_3) | instskip(SKIP_1) | instid1(VALU_DEP_2)
	v_dual_mov_b32 v4, 0 :: v_dual_add_nc_u32 v3, v0, v1
	v_cvt_f16_f32_e32 v5, v7
	v_lshlrev_b64_e32 v[3:4], 1, v[3:4]
	s_delay_alu instid0(VALU_DEP_1) | instskip(SKIP_1) | instid1(VALU_DEP_2)
	v_add_co_u32 v3, vcc_lo, s8, v3
	s_wait_alu 0xfffd
	v_add_co_ci_u32_e64 v4, null, s9, v4, vcc_lo
	global_store_b16 v[3:4], v5, off
.LBB215_24:
	s_wait_alu 0xfffe
	s_or_b32 exec_lo, exec_lo, s0
	v_add_nc_u32_e32 v3, 32, v1
	s_mov_b32 s0, exec_lo
	s_delay_alu instid0(VALU_DEP_1)
	v_cmpx_gt_u32_e64 s6, v3
	s_cbranch_execz .LBB215_26
; %bb.25:
	v_dual_mov_b32 v4, 0 :: v_dual_add_nc_u32 v3, v0, v3
	v_cvt_f16_f32_e32 v5, v47
	s_delay_alu instid0(VALU_DEP_2) | instskip(NEXT) | instid1(VALU_DEP_1)
	v_lshlrev_b64_e32 v[3:4], 1, v[3:4]
	v_add_co_u32 v3, vcc_lo, s8, v3
	s_wait_alu 0xfffd
	s_delay_alu instid0(VALU_DEP_2)
	v_add_co_ci_u32_e64 v4, null, s9, v4, vcc_lo
	global_store_b16 v[3:4], v5, off
.LBB215_26:
	s_wait_alu 0xfffe
	s_or_b32 exec_lo, exec_lo, s0
	v_add_nc_u32_e32 v3, 64, v1
	s_mov_b32 s0, exec_lo
	s_delay_alu instid0(VALU_DEP_1)
	v_cmpx_gt_u32_e64 s6, v3
	s_cbranch_execz .LBB215_28
; %bb.27:
	v_dual_mov_b32 v4, 0 :: v_dual_add_nc_u32 v3, v0, v3
	v_cvt_f16_f32_e32 v5, v41
	s_delay_alu instid0(VALU_DEP_2) | instskip(NEXT) | instid1(VALU_DEP_1)
	v_lshlrev_b64_e32 v[3:4], 1, v[3:4]
	v_add_co_u32 v3, vcc_lo, s8, v3
	s_wait_alu 0xfffd
	s_delay_alu instid0(VALU_DEP_2)
	v_add_co_ci_u32_e64 v4, null, s9, v4, vcc_lo
	global_store_b16 v[3:4], v5, off
.LBB215_28:
	s_wait_alu 0xfffe
	s_or_b32 exec_lo, exec_lo, s0
	v_add_nc_u32_e32 v1, 0x60, v1
	s_delay_alu instid0(VALU_DEP_1)
	v_cmp_gt_u32_e32 vcc_lo, s6, v1
	s_and_b32 exec_lo, exec_lo, vcc_lo
	s_cbranch_execz .LBB215_30
; %bb.29:
	v_dual_mov_b32 v1, 0 :: v_dual_add_nc_u32 v0, v0, v1
	v_cvt_f16_f32_e32 v2, v2
	s_delay_alu instid0(VALU_DEP_2) | instskip(NEXT) | instid1(VALU_DEP_1)
	v_lshlrev_b64_e32 v[0:1], 1, v[0:1]
	v_add_co_u32 v0, vcc_lo, s8, v0
	s_wait_alu 0xfffd
	s_delay_alu instid0(VALU_DEP_2)
	v_add_co_ci_u32_e64 v1, null, s9, v1, vcc_lo
	global_store_b16 v[0:1], v2, off
.LBB215_30:
	s_nop 0
	s_sendmsg sendmsg(MSG_DEALLOC_VGPRS)
	s_endpgm
	.section	.rodata,"a",@progbits
	.p2align	6, 0x0
	.amdhsa_kernel _ZL8moe_q6_KIN3c104HalfELb0EEvPKvS3_PT_PKiS7_S7_iiiiiii
		.amdhsa_group_segment_fixed_size 37072
		.amdhsa_private_segment_fixed_size 0
		.amdhsa_kernarg_size 76
		.amdhsa_user_sgpr_count 2
		.amdhsa_user_sgpr_dispatch_ptr 0
		.amdhsa_user_sgpr_queue_ptr 0
		.amdhsa_user_sgpr_kernarg_segment_ptr 1
		.amdhsa_user_sgpr_dispatch_id 0
		.amdhsa_user_sgpr_private_segment_size 0
		.amdhsa_wavefront_size32 1
		.amdhsa_uses_dynamic_stack 0
		.amdhsa_enable_private_segment 0
		.amdhsa_system_sgpr_workgroup_id_x 1
		.amdhsa_system_sgpr_workgroup_id_y 1
		.amdhsa_system_sgpr_workgroup_id_z 0
		.amdhsa_system_sgpr_workgroup_info 0
		.amdhsa_system_vgpr_workitem_id 1
		.amdhsa_next_free_vgpr 217
		.amdhsa_next_free_sgpr 23
		.amdhsa_reserve_vcc 1
		.amdhsa_float_round_mode_32 0
		.amdhsa_float_round_mode_16_64 0
		.amdhsa_float_denorm_mode_32 3
		.amdhsa_float_denorm_mode_16_64 3
		.amdhsa_fp16_overflow 0
		.amdhsa_workgroup_processor_mode 1
		.amdhsa_memory_ordered 1
		.amdhsa_forward_progress 1
		.amdhsa_inst_pref_size 125
		.amdhsa_round_robin_scheduling 0
		.amdhsa_exception_fp_ieee_invalid_op 0
		.amdhsa_exception_fp_denorm_src 0
		.amdhsa_exception_fp_ieee_div_zero 0
		.amdhsa_exception_fp_ieee_overflow 0
		.amdhsa_exception_fp_ieee_underflow 0
		.amdhsa_exception_fp_ieee_inexact 0
		.amdhsa_exception_int_div_zero 0
	.end_amdhsa_kernel
	.section	.text._ZL8moe_q6_KIN3c104HalfELb0EEvPKvS3_PT_PKiS7_S7_iiiiiii,"axG",@progbits,_ZL8moe_q6_KIN3c104HalfELb0EEvPKvS3_PT_PKiS7_S7_iiiiiii,comdat
.Lfunc_end215:
	.size	_ZL8moe_q6_KIN3c104HalfELb0EEvPKvS3_PT_PKiS7_S7_iiiiiii, .Lfunc_end215-_ZL8moe_q6_KIN3c104HalfELb0EEvPKvS3_PT_PKiS7_S7_iiiiiii
                                        ; -- End function
	.set _ZL8moe_q6_KIN3c104HalfELb0EEvPKvS3_PT_PKiS7_S7_iiiiiii.num_vgpr, 177
	.set _ZL8moe_q6_KIN3c104HalfELb0EEvPKvS3_PT_PKiS7_S7_iiiiiii.num_agpr, 0
	.set _ZL8moe_q6_KIN3c104HalfELb0EEvPKvS3_PT_PKiS7_S7_iiiiiii.numbered_sgpr, 23
	.set _ZL8moe_q6_KIN3c104HalfELb0EEvPKvS3_PT_PKiS7_S7_iiiiiii.num_named_barrier, 0
	.set _ZL8moe_q6_KIN3c104HalfELb0EEvPKvS3_PT_PKiS7_S7_iiiiiii.private_seg_size, 0
	.set _ZL8moe_q6_KIN3c104HalfELb0EEvPKvS3_PT_PKiS7_S7_iiiiiii.uses_vcc, 1
	.set _ZL8moe_q6_KIN3c104HalfELb0EEvPKvS3_PT_PKiS7_S7_iiiiiii.uses_flat_scratch, 0
	.set _ZL8moe_q6_KIN3c104HalfELb0EEvPKvS3_PT_PKiS7_S7_iiiiiii.has_dyn_sized_stack, 0
	.set _ZL8moe_q6_KIN3c104HalfELb0EEvPKvS3_PT_PKiS7_S7_iiiiiii.has_recursion, 0
	.set _ZL8moe_q6_KIN3c104HalfELb0EEvPKvS3_PT_PKiS7_S7_iiiiiii.has_indirect_call, 0
	.section	.AMDGPU.csdata,"",@progbits
; Kernel info:
; codeLenInByte = 15940
; TotalNumSgprs: 25
; NumVgprs: 177
; ScratchSize: 0
; MemoryBound: 0
; FloatMode: 240
; IeeeMode: 1
; LDSByteSize: 37072 bytes/workgroup (compile time only)
; SGPRBlocks: 0
; VGPRBlocks: 27
; NumSGPRsForWavesPerEU: 25
; NumVGPRsForWavesPerEU: 217
; Occupancy: 6
; WaveLimiterHint : 1
; COMPUTE_PGM_RSRC2:SCRATCH_EN: 0
; COMPUTE_PGM_RSRC2:USER_SGPR: 2
; COMPUTE_PGM_RSRC2:TRAP_HANDLER: 0
; COMPUTE_PGM_RSRC2:TGID_X_EN: 1
; COMPUTE_PGM_RSRC2:TGID_Y_EN: 1
; COMPUTE_PGM_RSRC2:TGID_Z_EN: 0
; COMPUTE_PGM_RSRC2:TIDIG_COMP_CNT: 1
	.section	.text._ZL8moe_q6_KIN3c104HalfELb1EEvPKvS3_PT_PKiS7_S7_iiiiiii,"axG",@progbits,_ZL8moe_q6_KIN3c104HalfELb1EEvPKvS3_PT_PKiS7_S7_iiiiiii,comdat
	.globl	_ZL8moe_q6_KIN3c104HalfELb1EEvPKvS3_PT_PKiS7_S7_iiiiiii ; -- Begin function _ZL8moe_q6_KIN3c104HalfELb1EEvPKvS3_PT_PKiS7_S7_iiiiiii
	.p2align	8
	.type	_ZL8moe_q6_KIN3c104HalfELb1EEvPKvS3_PT_PKiS7_S7_iiiiiii,@function
_ZL8moe_q6_KIN3c104HalfELb1EEvPKvS3_PT_PKiS7_S7_iiiiiii: ; @_ZL8moe_q6_KIN3c104HalfELb1EEvPKvS3_PT_PKiS7_S7_iiiiiii
; %bb.0:
	s_load_b128 s[4:7], s[0:1], 0x18
	s_mov_b32 s2, ttmp7
	s_mov_b32 s3, 0
	s_delay_alu instid0(SALU_CYCLE_1)
	s_lshl_b64 s[2:3], s[2:3], 2
	s_wait_kmcnt 0x0
	s_add_nc_u64 s[2:3], s[6:7], s[2:3]
	s_load_b32 s14, s[2:3], 0x0
	s_wait_kmcnt 0x0
	s_cmp_gt_u32 s14, 0xff
	s_cbranch_scc1 .LBB216_30
; %bb.1:
	s_load_b64 s[2:3], s[0:1], 0x28
	s_wait_kmcnt 0x0
	s_load_b32 s3, s[2:3], 0x0
	s_lshl_b32 s2, ttmp7, 3
	s_wait_kmcnt 0x0
	s_cmp_gt_u32 s2, s3
	s_cbranch_scc1 .LBB216_30
; %bb.2:
	v_bfe_u32 v19, v0, 10, 10
	v_mov_b32_e32 v16, 0
	s_lshl_b32 s11, ttmp9, 7
	s_delay_alu instid0(VALU_DEP_2) | instskip(NEXT) | instid1(VALU_DEP_2)
	v_add_nc_u32_e32 v15, s2, v19
	v_dual_mov_b32 v48, v16 :: v_dual_and_b32 v23, 0x3ff, v0
	v_dual_mov_b32 v53, v16 :: v_dual_mov_b32 v24, v16
	s_delay_alu instid0(VALU_DEP_3) | instskip(NEXT) | instid1(VALU_DEP_1)
	v_lshlrev_b64_e32 v[1:2], 2, v[15:16]
	v_add_co_u32 v1, vcc_lo, s4, v1
	s_delay_alu instid0(VALU_DEP_1)
	v_add_co_ci_u32_e64 v2, null, s5, v2, vcc_lo
	global_load_b32 v22, v[1:2], off
	s_clause 0x2
	s_load_b128 s[4:7], s[0:1], 0x30
	s_load_b64 s[12:13], s[0:1], 0x10
	s_load_b96 s[8:10], s[0:1], 0x40
	s_wait_kmcnt 0x0
	s_cmp_lt_i32 s5, 0x100
	s_cbranch_scc1 .LBB216_21
; %bb.3:
	v_dual_mov_b32 v24, 0 :: v_dual_and_b32 v1, 31, v0
	s_load_b128 s[0:3], s[0:1], 0x0
	s_ashr_i32 s15, s5, 31
	s_mul_i32 s14, s14, s4
	s_delay_alu instid0(VALU_DEP_1)
	v_lshlrev_b32_e32 v3, 1, v1
	v_add_nc_u16 v4, v1, -16
	v_cmp_gt_u32_e32 vcc_lo, 16, v1
	s_lshr_b32 s4, s15, 24
	s_ashr_i32 s16, s8, 31
	v_add_nc_u32_e32 v5, 0xe0, v3
	v_lshrrev_b32_e32 v2, 1, v0
	s_wait_alu 0xfffd
	v_cndmask_b32_e32 v4, v4, v1, vcc_lo
	v_and_b32_e32 v6, 7, v0
	s_wait_alu 0xfffe
	s_add_co_i32 s4, s5, s4
	v_cndmask_b32_e32 v5, v5, v3, vcc_lo
	s_lshr_b32 s16, s16, 27
	s_wait_alu 0xfffe
	s_ashr_i32 s4, s4, 8
	s_add_co_i32 s8, s8, s16
	s_wait_alu 0xfffe
	s_mul_i32 s16, s4, s11
	v_and_b32_e32 v5, 0xfe, v5
	v_and_or_b32 v2, v2, 8, v6
	s_ashr_i32 s15, s14, 31
	s_ashr_i32 s17, s16, 31
	v_lshlrev_b32_e32 v26, 2, v1
	v_sub_nc_u32_e32 v1, v3, v5
	v_add_nc_u32_e32 v5, 8, v19
	s_mul_u64 s[16:17], s[16:17], 0xd2
	s_wait_kmcnt 0x0
	s_add_nc_u64 s[0:1], s[0:1], s[14:15]
	s_not_b32 s18, s11
	s_add_nc_u64 s[14:15], s[0:1], s[16:17]
	s_add_co_i32 s0, s6, s18
	v_lshlrev_b32_e32 v27, 2, v2
	v_and_b32_e32 v2, 15, v0
	v_cmp_lt_u16_e32 vcc_lo, 7, v4
	v_min_i32_e32 v4, s0, v5
	v_add_nc_u32_e32 v5, 16, v19
	v_add_nc_u32_e32 v6, 24, v19
	;; [unrolled: 1-line block ×3, first 2 shown]
	v_min_i32_e32 v3, s0, v19
	v_add_lshl_u32 v17, v1, v2, 2
	v_add_nc_u32_e32 v8, 40, v19
	v_add_nc_u32_e32 v9, 48, v19
	v_min_i32_e32 v5, s0, v5
	v_add_nc_u32_e32 v10, 56, v19
	v_lshlrev_b32_e32 v39, 5, v19
	v_min_i32_e32 v6, s0, v6
	v_add_nc_u32_e32 v11, 64, v19
	v_min_i32_e32 v7, s0, v7
	v_add_nc_u32_e32 v12, 0x48, v19
	v_mad_co_u64_u32 v[1:2], null, 0x104, v3, v[17:18]
	v_min_i32_e32 v8, s0, v8
	v_add_nc_u32_e32 v13, 0x50, v19
	v_mul_lo_u32 v29, v3, s4
	v_mad_co_u64_u32 v[2:3], null, 0x104, v4, v[17:18]
	v_min_i32_e32 v9, s0, v9
	v_mul_lo_u32 v30, v4, s4
	v_mad_co_u64_u32 v[3:4], null, 0x104, v5, v[17:18]
	v_min_i32_e32 v10, s0, v10
	v_add_nc_u32_e32 v16, v39, v23
	v_mul_lo_u32 v31, v5, s4
	v_mad_co_u64_u32 v[4:5], null, 0x104, v6, v[17:18]
	v_min_i32_e32 v11, s0, v11
	v_mul_lo_u32 v32, v6, s4
	v_mad_co_u64_u32 v[5:6], null, 0x104, v7, v[17:18]
	v_min_i32_e32 v12, s0, v12
	;; [unrolled: 3-line block ×3, first 2 shown]
	v_add_nc_u32_e32 v14, 0x58, v19
	v_mul_lo_u32 v34, v8, s4
	v_mad_co_u64_u32 v[7:8], null, 0x104, v9, v[17:18]
	v_mul_lo_u32 v35, v9, s4
	v_mad_co_u64_u32 v[8:9], null, 0x104, v10, v[17:18]
	v_and_b32_e32 v16, 0x7f, v16
	v_mul_lo_u32 v36, v10, s4
	v_mad_co_u64_u32 v[9:10], null, 0x104, v11, v[17:18]
	v_mul_lo_u32 v37, v11, s4
	v_mad_co_u64_u32 v[10:11], null, 0x104, v12, v[17:18]
	v_mul_lo_u32 v38, v12, s4
	v_min_i32_e32 v14, s0, v14
	v_add_nc_u32_e32 v15, 0x60, v19
	v_mad_co_u64_u32 v[11:12], null, 0x104, v13, v[17:18]
	v_add_nc_u32_e32 v18, 0x68, v19
	v_min_i32_e32 v21, s0, v16
	v_bfe_u32 v16, v0, 2, 8
	v_mul_lo_u32 v40, v13, s4
	v_min_i32_e32 v15, s0, v15
	v_mad_co_u64_u32 v[12:13], null, 0x104, v14, v[17:18]
	v_min_i32_e32 v18, s0, v18
	v_add_nc_u32_e32 v20, 0x70, v19
	v_ashrrev_i32_e32 v45, 31, v21
	s_abs_i32 s1, s10
	v_lshl_add_u32 v16, v19, 3, v16
	s_wait_alu 0xfffe
	s_cvt_f32_u32 s6, s1
	v_mul_lo_u32 v41, v14, s4
	v_mad_co_u64_u32 v[13:14], null, 0x104, v15, v[17:18]
	v_mul_lo_u32 v42, v15, s4
	v_mul_lo_u32 v43, v18, s4
	v_min_i32_e32 v20, s0, v20
	v_mad_co_u64_u32 v[14:15], null, 0x104, v18, v[17:18]
	v_add_nc_u32_e32 v18, 0x78, v19
	v_lshrrev_b32_e32 v45, 27, v45
	v_and_b32_e32 v46, 0x7f, v16
	v_rcp_iflag_f32_e32 v49, s6
	v_mul_lo_u32 v44, v20, s4
	v_mad_co_u64_u32 v[15:16], null, 0x104, v20, v[17:18]
	v_min_i32_e32 v16, s0, v18
	v_add_nc_u32_e32 v18, v21, v45
	v_min_i32_e32 v20, s0, v46
	v_xor_b32_e32 v46, 64, v46
	s_sub_co_i32 s6, 0, s1
	v_mul_lo_u32 v45, v16, s4
	v_ashrrev_i32_e32 v47, 5, v18
	v_ashrrev_i32_e32 v48, 31, v20
	v_min_i32_e32 v53, s0, v46
	v_readfirstlane_b32 s0, v49
	v_mul_lo_u32 v46, v21, s4
	v_lshlrev_b32_e32 v47, 2, v47
	v_lshlrev_b32_e32 v21, 2, v21
	v_mad_co_u64_u32 v[17:18], null, 0x104, v16, v[17:18]
	s_mul_f32 s0, s0, 0x4f7ffffe
	v_ashrrev_i32_e32 v18, 31, v53
	v_add3_u32 v47, v47, v21, 0x8e40
	s_wait_loadcnt 0x0
	v_sub_nc_u32_e32 v21, 0, v22
	s_wait_alu 0xfffe
	s_cvt_u32_f32 s0, s0
	v_lshrrev_b32_e32 v16, 29, v48
	v_lshlrev_b32_e32 v48, 2, v0
	v_lshrrev_b32_e32 v18, 29, v18
	s_wait_alu 0xfffe
	s_mul_i32 s6, s6, s0
	v_max_i32_e32 v21, v22, v21
	s_wait_alu 0xfffe
	s_mul_hi_u32 s6, s0, s6
	v_and_b32_e32 v49, 12, v48
	s_wait_alu 0xfffe
	s_add_co_i32 s0, s0, s6
	v_add_nc_u32_e32 v18, v53, v18
	s_wait_alu 0xfffe
	v_mul_hi_u32 v48, v21, s0
	v_bfe_u32 v25, v0, 5, 5
	v_lshlrev_b32_e32 v51, 2, v23
	v_lshlrev_b32_e32 v56, 4, v19
	v_ashrrev_i32_e32 v18, 3, v18
	s_wait_alu 0xfffd
	v_cndmask_b32_e64 v28, 0, 2, vcc_lo
	v_lshlrev_b32_e32 v59, 2, v25
	v_add_nc_u32_e32 v63, 0x60, v23
	v_mul_lo_u32 v58, v48, s1
	v_lshlrev_b32_e32 v18, 2, v18
	v_xor_b32_e32 v61, s10, v22
	v_add_nc_u32_e32 v16, v20, v16
	v_lshrrev_b32_e32 v60, 3, v63
	s_ashr_i32 s8, s8, 5
	v_add3_u32 v71, v18, v49, 0x8200
	v_lshl_or_b32 v18, v19, 7, v26
	v_sub_nc_u32_e32 v19, v21, v58
	v_add3_u32 v58, v59, v51, 0x8e40
	v_add_nc_u32_e32 v21, 1, v48
	v_ashrrev_i32_e32 v64, 31, v61
	v_add_nc_u32_e32 v55, 0x8a40, v18
	v_subrev_nc_u32_e32 v59, s1, v19
	v_cmp_le_u32_e32 vcc_lo, s1, v19
	v_add_nc_u32_e32 v18, 32, v23
	v_ashrrev_i32_e32 v16, 3, v16
	v_and_b32_e32 v69, 28, v51
	v_mul_lo_u32 v50, v20, s4
	s_wait_alu 0xfffd
	v_cndmask_b32_e32 v21, v48, v21, vcc_lo
	v_cndmask_b32_e32 v19, v19, v59, vcc_lo
	v_lshrrev_b32_e32 v57, 3, v18
	v_add_nc_u32_e32 v48, 64, v23
	v_lshlrev_b32_e32 v72, 2, v18
	v_add_nc_u32_e32 v62, 1, v21
	v_cmp_le_u32_e32 vcc_lo, s1, v19
	v_and_b32_e32 v18, 60, v57
	v_lshrrev_b32_e32 v59, 3, v48
	v_lshlrev_b32_e32 v16, 2, v16
	s_movk_i32 s1, 0x2080
	s_wait_alu 0xfffd
	v_cndmask_b32_e32 v19, v21, v62, vcc_lo
	v_add3_u32 v61, v51, v18, 0x8e40
	v_and_b32_e32 v21, 60, v59
	v_and_b32_e32 v18, 60, v60
	v_add3_u32 v16, v16, v49, 0x8200
	v_xor_b32_e32 v19, v19, v64
	v_lshlrev_b32_e32 v20, 4, v20
	v_add3_u32 v62, v51, v21, 0x8e40
	v_lshlrev_b32_e32 v21, 2, v63
	v_add3_u32 v63, v51, v18, 0x8e40
	v_sub_nc_u32_e32 v18, v19, v64
	v_mul_lo_u32 v52, v53, s4
	v_lshlrev_b32_e32 v53, 4, v53
	v_lshlrev_b32_e32 v48, 2, v48
	s_wait_alu 0xfffe
	v_mad_u32_u24 v65, 0x104, v23, s1
	v_mul_lo_u32 v66, v18, s8
	s_movk_i32 s1, 0x4100
	s_movk_i32 s6, 0x6180
	v_cmp_gt_u32_e64 s0, 4, v23
	s_wait_alu 0xfffe
	v_mad_u32_u24 v67, 0x104, v23, s1
	v_mad_u32_u24 v68, 0x104, v23, s6
	v_cmp_gt_i32_e64 s1, s7, v18
	v_add_co_u32 v18, s6, s2, v69
	v_add_nc_u32_e32 v54, 0x9050, v51
	v_bfe_u32 v0, v0, 3, 7
	v_mul_u32_u24_e32 v64, 0x104, v23
	s_wait_alu 0xf1ff
	v_add_co_ci_u32_e64 v19, null, s3, 0, s6
	v_ashrrev_i32_e32 v69, 31, v66
	v_add_nc_u32_e32 v70, v16, v20
	v_add_nc_u32_e32 v71, v71, v53
	v_lshlrev_b32_e32 v72, 2, v72
	v_lshlrev_b32_e32 v73, 2, v48
	v_dual_mov_b32 v53, 0 :: v_dual_lshlrev_b32 v74, 2, v21
	v_mov_b32_e32 v48, 0
	v_mov_b32_e32 v16, 0
	s_mov_b32 s17, 0
	s_and_b32 s6, s0, s1
	s_mov_b32 s16, s17
	s_branch .LBB216_5
.LBB216_4:                              ;   in Loop: Header=BB216_5 Depth=1
	s_add_co_i32 s16, s16, 1
	s_delay_alu instid0(SALU_CYCLE_1)
	s_cmp_eq_u32 s16, s4
	s_cbranch_scc1 .LBB216_21
.LBB216_5:                              ; =>This Loop Header: Depth=1
                                        ;     Child Loop BB216_11 Depth 2
                                        ;     Child Loop BB216_19 Depth 2
	s_mul_u64 s[18:19], s[16:17], 0xd2
	s_wait_alu 0xfffe
	s_add_nc_u64 s[18:19], s[14:15], s[18:19]
	s_wait_alu 0xfffe
	v_mad_co_u64_u32 v[20:21], null, 0xd2, v25, s[18:19]
	s_delay_alu instid0(VALU_DEP_1) | instskip(SKIP_3) | instid1(VALU_DEP_4)
	v_mad_co_i64_i32 v[75:76], null, 0xd2, v29, v[20:21]
	v_mad_co_i64_i32 v[77:78], null, 0xd2, v30, v[20:21]
	;; [unrolled: 1-line block ×4, first 2 shown]
	v_add_co_u32 v81, vcc_lo, v75, v26
	s_wait_alu 0xfffd
	v_add_co_ci_u32_e64 v82, null, 0, v76, vcc_lo
	v_add_co_u32 v75, vcc_lo, v75, v27
	s_wait_alu 0xfffd
	v_add_co_ci_u32_e64 v76, null, 0, v76, vcc_lo
	;; [unrolled: 3-line block ×4, first 2 shown]
	v_add_co_u32 v85, vcc_lo, v79, v26
	v_mad_co_i64_i32 v[94:95], null, 0xd2, v33, v[20:21]
	s_wait_alu 0xfffd
	v_add_co_ci_u32_e64 v86, null, 0, v80, vcc_lo
	v_add_co_u32 v79, vcc_lo, v79, v27
	s_wait_alu 0xfffd
	v_add_co_ci_u32_e64 v80, null, 0, v80, vcc_lo
	v_add_co_u32 v96, vcc_lo, v87, v26
	;; [unrolled: 3-line block ×4, first 2 shown]
	s_wait_alu 0xfffd
	v_add_co_ci_u32_e64 v101, null, 0, v95, vcc_lo
	s_clause 0x8
	global_load_b32 v92, v[81:82], off
	global_load_b32 v93, v[75:76], off offset:128
	global_load_b32 v90, v[83:84], off
	global_load_b32 v91, v[77:78], off offset:128
	;; [unrolled: 2-line block ×4, first 2 shown]
	global_load_b32 v89, v[100:101], off
	v_mad_co_i64_i32 v[75:76], null, 0xd2, v34, v[20:21]
	v_mad_co_i64_i32 v[79:80], null, 0xd2, v35, v[20:21]
	v_add_co_u32 v77, vcc_lo, v94, v27
	s_wait_alu 0xfffd
	v_add_co_ci_u32_e64 v78, null, 0, v95, vcc_lo
	s_delay_alu instid0(VALU_DEP_4)
	v_add_co_u32 v81, vcc_lo, v75, v26
	s_wait_alu 0xfffd
	v_add_co_ci_u32_e64 v82, null, 0, v76, vcc_lo
	v_add_co_u32 v75, vcc_lo, v75, v27
	s_wait_alu 0xfffd
	v_add_co_ci_u32_e64 v76, null, 0, v76, vcc_lo
	;; [unrolled: 3-line block ×4, first 2 shown]
	s_clause 0x4
	global_load_b32 v114, v[77:78], off offset:128
	global_load_b32 v115, v[81:82], off
	global_load_b32 v116, v[75:76], off offset:128
	global_load_b32 v78, v[83:84], off
	global_load_b32 v117, v[79:80], off offset:128
	v_mad_co_i64_i32 v[75:76], null, 0xd2, v36, v[20:21]
	v_mad_co_i64_i32 v[79:80], null, 0xd2, v37, v[20:21]
	;; [unrolled: 1-line block ×4, first 2 shown]
	s_delay_alu instid0(VALU_DEP_4)
	v_add_co_u32 v100, vcc_lo, v75, v26
	s_wait_alu 0xfffd
	v_add_co_ci_u32_e64 v101, null, 0, v76, vcc_lo
	v_add_co_u32 v75, vcc_lo, v75, v27
	s_wait_alu 0xfffd
	v_add_co_ci_u32_e64 v76, null, 0, v76, vcc_lo
	s_clause 0x1
	global_load_b32 v118, v[100:101], off
	global_load_b32 v119, v[75:76], off offset:128
	v_add_co_u32 v102, vcc_lo, v79, v26
	s_wait_alu 0xfffd
	v_add_co_ci_u32_e64 v103, null, 0, v80, vcc_lo
	v_add_co_u32 v79, vcc_lo, v79, v27
	v_mad_co_i64_i32 v[94:95], null, 0xd2, v41, v[20:21]
	s_wait_alu 0xfffd
	v_add_co_ci_u32_e64 v80, null, 0, v80, vcc_lo
	v_add_co_u32 v104, vcc_lo, v81, v26
	s_wait_alu 0xfffd
	v_add_co_ci_u32_e64 v105, null, 0, v82, vcc_lo
	v_add_co_u32 v81, vcc_lo, v81, v27
	v_mad_co_i64_i32 v[96:97], null, 0xd2, v42, v[20:21]
	s_wait_alu 0xfffd
	v_add_co_ci_u32_e64 v82, null, 0, v82, vcc_lo
	;; [unrolled: 7-line block ×3, first 2 shown]
	v_add_co_u32 v75, vcc_lo, v94, v26
	s_wait_alu 0xfffd
	v_add_co_ci_u32_e64 v76, null, 0, v95, vcc_lo
	v_add_co_u32 v100, vcc_lo, v94, v27
	s_wait_alu 0xfffd
	v_add_co_ci_u32_e64 v101, null, 0, v95, vcc_lo
	;; [unrolled: 3-line block ×6, first 2 shown]
	s_clause 0xb
	global_load_b32 v99, v[102:103], off
	global_load_b32 v102, v[79:80], off offset:128
	global_load_b32 v84, v[104:105], off
	global_load_b32 v94, v[81:82], off offset:128
	;; [unrolled: 2-line block ×6, first 2 shown]
	s_wait_loadcnt 0x1b
	v_and_b32_e32 v95, 0xf0f0f0f, v92
	v_lshrrev_b32_e32 v92, 4, v92
	s_wait_loadcnt 0x1a
	v_ashrrev_i32_e32 v93, v28, v93
	s_wait_loadcnt 0x19
	v_and_b32_e32 v96, 0xf0f0f0f, v90
	v_lshrrev_b32_e32 v90, 4, v90
	s_wait_loadcnt 0x18
	v_ashrrev_i32_e32 v91, v28, v91
	;; [unrolled: 5-line block ×4, first 2 shown]
	s_wait_loadcnt 0x13
	v_and_b32_e32 v100, 0xf0f0f0f, v89
	v_lshrrev_b32_e32 v89, 4, v89
	v_and_b32_e32 v92, 0xf0f0f0f, v92
	v_lshlrev_b32_e32 v108, 4, v93
	v_and_b32_e32 v90, 0xf0f0f0f, v90
	v_lshlrev_b32_e32 v109, 4, v91
	;; [unrolled: 2-line block ×4, first 2 shown]
	v_and_b32_e32 v89, 0xf0f0f0f, v89
	v_and_or_b32 v95, 0x30303030, v108, v95
	v_and_or_b32 v92, 0x30303030, v93, v92
	;; [unrolled: 1-line block ×6, first 2 shown]
	s_wait_loadcnt 0x12
	v_ashrrev_i32_e32 v101, v28, v114
	s_wait_loadcnt 0x11
	v_lshrrev_b32_e32 v104, 4, v115
	s_wait_loadcnt 0x10
	v_ashrrev_i32_e32 v105, v28, v116
	v_and_b32_e32 v103, 0xf0f0f0f, v115
	v_and_or_b32 v88, 0x30303030, v111, v98
	v_lshlrev_b32_e32 v112, 4, v101
	v_and_b32_e32 v104, 0xf0f0f0f, v104
	v_lshlrev_b32_e32 v113, 4, v105
	v_and_or_b32 v85, 0x30303030, v86, v85
	v_and_or_b32 v89, 0x30303030, v101, v89
	;; [unrolled: 1-line block ×3, first 2 shown]
	v_lshrrev_b32_e32 v98, 16, v95
	v_and_b32_e32 v100, 0x3f00, v95
	v_lshlrev_b16 v95, 8, v95
	v_lshrrev_b32_e32 v101, 16, v92
	v_and_or_b32 v96, 0x30303030, v113, v103
	v_and_or_b32 v97, 0x30303030, v105, v104
	v_and_b32_e32 v103, 0x3f00, v92
	v_lshlrev_b16 v92, 8, v92
	v_lshrrev_b32_e32 v104, 16, v93
	v_lshrrev_b32_e32 v108, 16, v90
	v_and_b32_e32 v105, 0x3f00, v93
	v_lshlrev_b16 v93, 8, v93
	v_lshrrev_b32_e32 v110, 16, v91
	v_lshrrev_b32_e32 v112, 16, v87
	s_wait_loadcnt 0xe
	v_ashrrev_i32_e32 v107, v28, v117
	v_and_b32_e32 v109, 0x3f00, v90
	v_lshlrev_b16 v90, 8, v90
	v_lshrrev_b32_e32 v115, 16, v88
	v_lshrrev_b32_e32 v117, 16, v85
	v_and_b32_e32 v111, 0x3f00, v91
	v_lshlrev_b16 v91, 8, v91
	v_lshrrev_b32_e32 v121, 16, v86
	v_lshrrev_b32_e32 v123, 16, v89
	v_add_nc_u16 v95, 0xe000, v95
	v_and_b32_e32 v129, 0x3f00, v98
	v_lshlrev_b16 v98, 8, v98
	v_and_b32_e32 v130, 0x3f00, v101
	v_lshlrev_b16 v101, 8, v101
	v_add_nc_u16 v92, 0xe000, v92
	v_and_b32_e32 v131, 0x3f00, v104
	v_lshlrev_b16 v104, 8, v104
	v_and_b32_e32 v132, 0x3f00, v108
	v_lshlrev_b16 v108, 8, v108
	v_and_b32_e32 v113, 0x3f00, v87
	v_lshlrev_b16 v87, 8, v87
	v_add_nc_u16 v93, 0xe000, v93
	v_and_b32_e32 v133, 0x3f00, v110
	v_lshlrev_b16 v110, 8, v110
	v_and_b32_e32 v134, 0x3f00, v112
	v_lshlrev_b16 v112, 8, v112
	v_and_b32_e32 v116, 0x3f00, v88
	v_lshlrev_b16 v88, 8, v88
	v_and_b32_e32 v120, 0x3f00, v85
	v_lshlrev_b16 v85, 8, v85
	v_add_nc_u16 v90, 0xe000, v90
	v_and_b32_e32 v135, 0x3f00, v115
	v_lshlrev_b16 v115, 8, v115
	v_and_b32_e32 v136, 0x3f00, v117
	v_lshlrev_b16 v117, 8, v117
	v_and_b32_e32 v122, 0x3f00, v86
	v_lshlrev_b16 v86, 8, v86
	v_and_b32_e32 v124, 0x3f00, v89
	v_lshlrev_b16 v89, 8, v89
	v_add_nc_u16 v91, 0xe000, v91
	v_and_b32_e32 v137, 0x3f00, v121
	v_lshlrev_b16 v121, 8, v121
	v_and_b32_e32 v138, 0x3f00, v123
	v_lshlrev_b16 v123, 8, v123
	v_lshrrev_b16 v95, 8, v95
	v_add_nc_u16 v98, 0xe000, v98
	v_add_nc_u16 v101, 0xe000, v101
	v_lshrrev_b16 v92, 8, v92
	v_add_nc_u16 v104, 0xe000, v104
	v_add_nc_u16 v108, 0xe000, v108
	v_add_nc_u16 v87, 0xe000, v87
	v_lshrrev_b16 v93, 8, v93
	v_add_nc_u16 v110, 0xe000, v110
	v_add_nc_u16 v112, 0xe000, v112
	v_add_nc_u16 v88, 0xe000, v88
	v_add_nc_u16 v85, 0xe000, v85
	v_lshrrev_b16 v90, 8, v90
	v_add_nc_u16 v115, 0xe000, v115
	;; [unrolled: 5-line block ×3, first 2 shown]
	v_add_nc_u16 v123, 0xe000, v123
	v_or_b32_e32 v95, v100, v95
	v_lshrrev_b16 v98, 8, v98
	v_lshrrev_b16 v100, 8, v101
	v_or_b32_e32 v92, v103, v92
	v_lshrrev_b16 v101, 8, v104
	v_lshrrev_b16 v103, 8, v108
	v_lshrrev_b16 v87, 8, v87
	v_or_b32_e32 v93, v105, v93
	v_lshrrev_b16 v104, 8, v110
	v_lshrrev_b16 v105, 8, v112
	v_lshrrev_b16 v88, 8, v88
	v_lshrrev_b16 v85, 8, v85
	v_or_b32_e32 v90, v109, v90
	v_lshrrev_b16 v108, 8, v115
	;; [unrolled: 5-line block ×3, first 2 shown]
	v_lshrrev_b16 v111, 8, v123
	v_or_b32_e32 v98, v129, v98
	v_or_b32_e32 v100, v130, v100
	;; [unrolled: 1-line block ×11, first 2 shown]
	v_lshrrev_b32_e32 v127, 16, v97
	v_or_b32_e32 v86, v122, v86
	v_or_b32_e32 v89, v124, v89
	v_add_nc_u16 v95, 0xe000, v95
	v_add_nc_u16 v92, 0xe000, v92
	v_or_b32_e32 v110, v137, v110
	v_or_b32_e32 v111, v138, v111
	v_add_nc_u16 v98, 0xe000, v98
	v_add_nc_u16 v100, 0xe000, v100
	;; [unrolled: 1-line block ×14, first 2 shown]
	v_and_b32_e32 v140, 0x3f00, v127
	v_lshlrev_b16 v127, 8, v127
	v_add_nc_u16 v86, 0xe000, v86
	v_add_nc_u16 v89, 0xe000, v89
	v_and_b32_e32 v95, 0xffff, v95
	v_and_b32_e32 v92, 0xffff, v92
	v_add_nc_u16 v110, 0xe000, v110
	v_add_nc_u16 v111, 0xe000, v111
	v_lshlrev_b32_e32 v98, 16, v98
	v_lshlrev_b32_e32 v100, 16, v100
	v_and_b32_e32 v93, 0xffff, v93
	v_and_b32_e32 v90, 0xffff, v90
	v_lshlrev_b32_e32 v101, 16, v101
	v_lshlrev_b32_e32 v103, 16, v103
	v_and_b32_e32 v91, 0xffff, v91
	v_and_b32_e32 v87, 0xffff, v87
	v_lshlrev_b32_e32 v104, 16, v104
	v_lshlrev_b32_e32 v105, 16, v105
	v_and_b32_e32 v128, 0x3f00, v97
	v_lshlrev_b16 v97, 8, v97
	v_and_b32_e32 v88, 0xffff, v88
	v_and_b32_e32 v85, 0xffff, v85
	v_lshlrev_b32_e32 v108, 16, v108
	v_lshlrev_b32_e32 v109, 16, v109
	v_add_nc_u16 v127, 0xe000, v127
	v_and_b32_e32 v86, 0xffff, v86
	v_and_b32_e32 v89, 0xffff, v89
	v_lshlrev_b32_e32 v110, 16, v110
	v_lshlrev_b32_e32 v111, 16, v111
	v_or_b32_e32 v95, v95, v98
	v_or_b32_e32 v92, v92, v100
	;; [unrolled: 1-line block ×6, first 2 shown]
	v_add_nc_u16 v97, 0xe000, v97
	v_or_b32_e32 v88, v88, v108
	v_or_b32_e32 v85, v85, v109
	;; [unrolled: 1-line block ×4, first 2 shown]
	ds_store_2addr_b32 v1, v95, v92 offset1:16
	ds_store_2addr_b32 v2, v93, v90 offset1:16
	;; [unrolled: 1-line block ×4, first 2 shown]
	v_lshrrev_b16 v85, 8, v127
	v_lshrrev_b32_e32 v125, 16, v96
	v_lshrrev_b16 v97, 8, v97
	ds_store_2addr_b32 v5, v86, v89 offset1:16
	v_and_b32_e32 v106, 0xf0f0f0f, v78
	v_or_b32_e32 v88, v140, v85
	v_mad_co_i64_i32 v[85:86], null, 0xd2, v44, v[20:21]
	v_lshlrev_b32_e32 v114, 4, v107
	v_and_b32_e32 v126, 0x3f00, v96
	v_lshlrev_b16 v96, 8, v96
	v_and_b32_e32 v139, 0x3f00, v125
	v_lshlrev_b16 v125, 8, v125
	v_or_b32_e32 v87, v128, v97
	v_and_or_b32 v90, 0x30303030, v114, v106
	v_add_nc_u16 v96, 0xe000, v96
	v_add_nc_u16 v93, 0xe000, v88
	;; [unrolled: 1-line block ×4, first 2 shown]
	v_add_co_u32 v87, vcc_lo, v85, v26
	s_wait_alu 0xfffd
	v_add_co_ci_u32_e64 v88, null, 0, v86, vcc_lo
	v_add_co_u32 v85, vcc_lo, v85, v27
	s_wait_alu 0xfffd
	v_add_co_ci_u32_e64 v86, null, 0, v86, vcc_lo
	v_lshrrev_b16 v96, 8, v96
	v_lshrrev_b16 v112, 8, v125
	v_lshrrev_b32_e32 v78, 4, v78
	v_lshlrev_b16 v91, 8, v90
	s_clause 0x1
	global_load_b32 v97, v[87:88], off
	global_load_b32 v98, v[85:86], off offset:128
	v_or_b32_e32 v96, v126, v96
	v_or_b32_e32 v112, v139, v112
	v_and_b32_e32 v78, 0xf0f0f0f, v78
	v_add_nc_u16 v91, 0xe000, v91
	v_lshrrev_b32_e32 v95, 16, v90
	v_add_nc_u16 v96, 0xe000, v96
	v_add_nc_u16 v112, 0xe000, v112
	v_and_b32_e32 v90, 0x3f00, v90
	v_lshrrev_b16 v91, 8, v91
	v_and_or_b32 v78, 0x30303030, v107, v78
	v_and_b32_e32 v96, 0xffff, v96
	v_lshlrev_b32_e32 v112, 16, v112
	v_and_b32_e32 v85, 0xffff, v92
	v_lshlrev_b32_e32 v86, 16, v93
	v_or_b32_e32 v88, v90, v91
	v_lshlrev_b16 v90, 8, v78
	v_lshrrev_b32_e32 v92, 16, v78
	v_or_b32_e32 v89, v96, v112
	v_or_b32_e32 v85, v85, v86
	v_lshlrev_b16 v96, 8, v95
	v_add_nc_u16 v86, 0xe000, v90
	v_lshlrev_b16 v90, 8, v92
	v_and_b32_e32 v78, 0x3f00, v78
	ds_store_2addr_b32 v6, v89, v85 offset1:16
	v_mad_co_i64_i32 v[20:21], null, 0xd2, v45, v[20:21]
	v_lshrrev_b16 v86, 8, v86
	v_add_nc_u16 v85, 0xe000, v90
	v_add_nc_u16 v87, 0xe000, v96
	v_and_b32_e32 v91, 0x3f00, v95
	s_wait_loadcnt 0xe
	v_ashrrev_i32_e32 v89, v28, v119
	v_or_b32_e32 v78, v78, v86
	v_and_b32_e32 v86, 0x3f00, v92
	v_lshrrev_b16 v85, 8, v85
	v_lshrrev_b16 v87, 8, v87
	v_lshlrev_b32_e32 v92, 4, v89
	v_lshrrev_b32_e32 v93, 4, v118
	v_add_nc_u16 v78, 0xe000, v78
	v_or_b32_e32 v90, v86, v85
	v_add_co_u32 v85, vcc_lo, v20, v26
	s_wait_alu 0xfffd
	v_add_co_ci_u32_e64 v86, null, 0, v21, vcc_lo
	v_add_co_u32 v20, vcc_lo, v20, v27
	v_or_b32_e32 v87, v91, v87
	v_and_b32_e32 v91, 0xf0f0f0f, v118
	s_wait_alu 0xfffd
	v_add_co_ci_u32_e64 v21, null, 0, v21, vcc_lo
	v_add_nc_u16 v90, 0xe000, v90
	v_add_nc_u16 v88, 0xe000, v88
	v_and_or_b32 v91, 0x30303030, v92, v91
	s_clause 0x1
	global_load_b32 v92, v[85:86], off
	global_load_b32 v95, v[20:21], off offset:128
	v_and_b32_e32 v20, 0xf0f0f0f, v93
	v_add_nc_u16 v87, 0xe000, v87
	v_and_b32_e32 v21, 0xffff, v78
	v_lshlrev_b32_e32 v78, 16, v90
	v_lshrrev_b32_e32 v85, 16, v91
	v_and_or_b32 v20, 0x30303030, v89, v20
	v_and_b32_e32 v88, 0xffff, v88
	v_lshlrev_b32_e32 v87, 16, v87
	v_or_b32_e32 v21, v21, v78
	v_lshlrev_b16 v78, 8, v85
	v_lshrrev_b32_e32 v90, 16, v20
	v_lshlrev_b16 v86, 8, v91
	v_or_b32_e32 v87, v88, v87
	v_lshlrev_b16 v88, 8, v20
	v_and_b32_e32 v89, 0x3f00, v91
	v_add_nc_u16 v78, 0xe000, v78
	v_lshlrev_b16 v91, 8, v90
	v_add_nc_u16 v86, 0xe000, v86
	v_add_nc_u16 v88, 0xe000, v88
	v_and_b32_e32 v85, 0x3f00, v85
	v_lshrrev_b16 v78, 8, v78
	ds_store_2addr_b32 v7, v87, v21 offset1:16
	v_add_nc_u16 v21, 0xe000, v91
	v_lshrrev_b16 v86, 8, v86
	v_and_b32_e32 v20, 0x3f00, v20
	v_lshrrev_b16 v88, 8, v88
	v_or_b32_e32 v78, v85, v78
	v_and_b32_e32 v85, 0x3f00, v90
	v_lshrrev_b16 v21, 8, v21
	v_or_b32_e32 v86, v89, v86
	v_or_b32_e32 v20, v20, v88
	s_wait_loadcnt 0xe
	v_ashrrev_i32_e32 v89, v28, v102
	v_add_nc_u16 v78, 0xe000, v78
	v_or_b32_e32 v21, v85, v21
	v_add_nc_u16 v86, 0xe000, v86
	v_add_nc_u16 v20, 0xe000, v20
	v_and_b32_e32 v85, 0xf0f0f0f, v99
	v_lshlrev_b32_e32 v87, 4, v89
	v_add_nc_u16 v88, 0xe000, v21
	v_and_b32_e32 v90, 0xffff, v86
	v_and_b32_e32 v91, 0xffff, v20
	v_mad_co_i64_i32 v[20:21], null, 0xd2, v46, s[18:19]
	v_and_or_b32 v93, 0x30303030, v87, v85
	v_mad_co_i64_i32 v[85:86], null, 0xd2, v50, s[18:19]
	v_lshlrev_b32_e32 v96, 16, v88
	v_mad_co_i64_i32 v[87:88], null, 0xd2, v52, s[18:19]
	global_load_u16 v101, v[20:21], off offset:208
	v_lshrrev_b32_e32 v99, 4, v99
	v_lshlrev_b16 v100, 8, v93
	v_add_co_u32 v20, vcc_lo, v85, v49
	s_wait_alu 0xfffd
	v_add_co_ci_u32_e64 v21, null, 0, v86, vcc_lo
	v_add_co_u32 v85, vcc_lo, v87, v49
	s_wait_alu 0xfffd
	v_add_co_ci_u32_e64 v86, null, 0, v88, vcc_lo
	s_clause 0x1
	global_load_b32 v20, v[20:21], off offset:192
	global_load_b32 v21, v[85:86], off offset:192
	v_and_b32_e32 v87, 0xf0f0f0f, v99
	v_lshlrev_b32_e32 v78, 16, v78
	v_add_nc_u16 v99, 0xe000, v100
	v_lshrrev_b32_e32 v88, 16, v93
	v_and_b32_e32 v85, 0x3f00, v93
	v_and_or_b32 v86, 0x30303030, v89, v87
	v_or_b32_e32 v78, v90, v78
	v_lshrrev_b16 v87, 8, v99
	v_or_b32_e32 v89, v91, v96
	v_lshlrev_b16 v90, 8, v88
	v_lshrrev_b32_e32 v91, 16, v86
	v_and_b32_e32 v88, 0x3f00, v88
	v_or_b32_e32 v85, v85, v87
	v_lshlrev_b16 v87, 8, v86
	ds_store_2addr_b32 v8, v78, v89 offset1:16
	v_lshlrev_b16 v89, 8, v91
	v_add_nc_u16 v78, 0xe000, v90
	v_and_b32_e32 v86, 0x3f00, v86
	v_add_nc_u16 v87, 0xe000, v87
	v_and_b32_e32 v90, 0x3f00, v91
	v_add_nc_u16 v89, 0xe000, v89
	v_lshrrev_b16 v78, 8, v78
	s_wait_loadcnt 0xf
	v_ashrrev_i32_e32 v91, v28, v94
	v_lshrrev_b16 v87, 8, v87
	v_add_nc_u16 v85, 0xe000, v85
	v_lshrrev_b16 v89, 8, v89
	v_or_b32_e32 v78, v88, v78
	v_lshlrev_b32_e32 v88, 4, v91
	v_or_b32_e32 v86, v86, v87
	v_and_b32_e32 v87, 0xf0f0f0f, v84
	v_or_b32_e32 v89, v90, v89
	v_add_nc_u16 v78, 0xe000, v78
	v_lshrrev_b32_e32 v84, 4, v84
	v_add_nc_u16 v86, 0xe000, v86
	v_and_or_b32 v87, 0x30303030, v88, v87
	v_add_nc_u16 v88, 0xe000, v89
	v_and_b32_e32 v85, 0xffff, v85
	v_lshlrev_b32_e32 v78, 16, v78
	v_and_b32_e32 v86, 0xffff, v86
	v_lshlrev_b16 v89, 8, v87
	v_lshlrev_b32_e32 v88, 16, v88
	v_and_b32_e32 v84, 0xf0f0f0f, v84
	v_or_b32_e32 v78, v85, v78
	v_lshrrev_b32_e32 v85, 16, v87
	v_add_nc_u16 v89, 0xe000, v89
	v_or_b32_e32 v86, v86, v88
	v_and_or_b32 v84, 0x30303030, v91, v84
	v_and_b32_e32 v87, 0x3f00, v87
	v_lshlrev_b16 v88, 8, v85
	v_lshrrev_b16 v89, 8, v89
	ds_store_2addr_b32 v9, v78, v86 offset1:16
	v_lshrrev_b32_e32 v78, 16, v84
	v_lshlrev_b16 v86, 8, v84
	v_add_nc_u16 v88, 0xe000, v88
	v_or_b32_e32 v87, v87, v89
	v_and_b32_e32 v85, 0x3f00, v85
	v_lshlrev_b16 v89, 8, v78
	v_add_nc_u16 v86, 0xe000, v86
	v_lshrrev_b16 v88, 8, v88
	v_and_b32_e32 v84, 0x3f00, v84
	s_wait_loadcnt 0xd
	v_ashrrev_i32_e32 v83, v28, v83
	v_add_nc_u16 v89, 0xe000, v89
	v_lshrrev_b16 v86, 8, v86
	v_or_b32_e32 v85, v85, v88
	v_and_b32_e32 v78, 0x3f00, v78
	v_add_nc_u16 v87, 0xe000, v87
	v_lshrrev_b16 v88, 8, v89
	v_or_b32_e32 v84, v84, v86
	v_and_b32_e32 v86, 0xf0f0f0f, v82
	v_lshlrev_b32_e32 v89, 4, v83
	v_add_nc_u16 v85, 0xe000, v85
	v_or_b32_e32 v78, v78, v88
	v_lshrrev_b32_e32 v82, 4, v82
	v_and_b32_e32 v87, 0xffff, v87
	v_and_or_b32 v86, 0x30303030, v89, v86
	v_add_nc_u16 v84, 0xe000, v84
	v_lshlrev_b32_e32 v85, 16, v85
	v_add_nc_u16 v78, 0xe000, v78
	v_and_b32_e32 v82, 0xf0f0f0f, v82
	v_lshrrev_b32_e32 v88, 16, v86
	v_lshlrev_b16 v89, 8, v86
	v_and_b32_e32 v84, 0xffff, v84
	v_lshlrev_b32_e32 v78, 16, v78
	v_or_b32_e32 v85, v87, v85
	v_lshlrev_b16 v87, 8, v88
	v_add_nc_u16 v89, 0xe000, v89
	v_and_or_b32 v82, 0x30303030, v83, v82
	v_or_b32_e32 v78, v84, v78
	v_and_b32_e32 v83, 0x3f00, v86
	v_add_nc_u16 v84, 0xe000, v87
	v_lshrrev_b16 v86, 8, v89
	v_and_b32_e32 v87, 0x3f00, v88
	v_lshrrev_b32_e32 v88, 16, v82
	v_lshlrev_b16 v89, 8, v82
	v_lshrrev_b16 v84, 8, v84
	ds_store_2addr_b32 v10, v85, v78 offset1:16
	v_or_b32_e32 v78, v83, v86
	v_lshlrev_b16 v83, 8, v88
	v_add_nc_u16 v85, 0xe000, v89
	s_wait_loadcnt 0xb
	v_ashrrev_i32_e32 v81, v28, v81
	v_or_b32_e32 v84, v87, v84
	v_and_b32_e32 v82, 0x3f00, v82
	v_add_nc_u16 v83, 0xe000, v83
	v_lshrrev_b16 v85, 8, v85
	v_and_b32_e32 v86, 0x3f00, v88
	v_and_b32_e32 v87, 0xf0f0f0f, v80
	v_lshlrev_b32_e32 v88, 4, v81
	v_lshrrev_b16 v83, 8, v83
	v_or_b32_e32 v82, v82, v85
	v_lshrrev_b32_e32 v80, 4, v80
	v_add_nc_u16 v78, 0xe000, v78
	v_and_or_b32 v85, 0x30303030, v88, v87
	v_or_b32_e32 v83, v86, v83
	v_add_nc_u16 v84, 0xe000, v84
	v_add_nc_u16 v82, 0xe000, v82
	v_and_b32_e32 v80, 0xf0f0f0f, v80
	v_lshlrev_b16 v86, 8, v85
	v_add_nc_u16 v83, 0xe000, v83
	v_and_b32_e32 v78, 0xffff, v78
	v_lshlrev_b32_e32 v84, 16, v84
	v_and_b32_e32 v82, 0xffff, v82
	v_add_nc_u16 v86, 0xe000, v86
	v_lshrrev_b32_e32 v87, 16, v85
	v_lshlrev_b32_e32 v83, 16, v83
	v_and_b32_e32 v85, 0x3f00, v85
	v_and_or_b32 v80, 0x30303030, v81, v80
	v_lshrrev_b16 v86, 8, v86
	v_lshlrev_b16 v88, 8, v87
	v_or_b32_e32 v78, v78, v84
	v_or_b32_e32 v81, v82, v83
	v_and_b32_e32 v84, 0x3f00, v87
	v_or_b32_e32 v83, v85, v86
	v_lshrrev_b32_e32 v85, 16, v80
	v_add_nc_u16 v82, 0xe000, v88
	v_lshlrev_b16 v86, 8, v80
	ds_store_2addr_b32 v11, v78, v81 offset1:16
	v_add_nc_u16 v78, 0xe000, v83
	v_lshlrev_b16 v81, 8, v85
	v_lshrrev_b16 v82, 8, v82
	v_add_nc_u16 v83, 0xe000, v86
	s_wait_loadcnt 0x9
	v_ashrrev_i32_e32 v79, v28, v79
	v_and_b32_e32 v80, 0x3f00, v80
	v_add_nc_u16 v81, 0xe000, v81
	v_or_b32_e32 v82, v84, v82
	v_lshrrev_b16 v83, 8, v83
	v_and_b32_e32 v84, 0x3f00, v85
	v_and_b32_e32 v85, 0xf0f0f0f, v77
	v_lshlrev_b32_e32 v86, 4, v79
	v_lshrrev_b16 v81, 8, v81
	v_or_b32_e32 v80, v80, v83
	v_lshrrev_b32_e32 v77, 4, v77
	v_add_nc_u16 v82, 0xe000, v82
	v_and_or_b32 v83, 0x30303030, v86, v85
	v_or_b32_e32 v81, v84, v81
	v_add_nc_u16 v80, 0xe000, v80
	v_and_b32_e32 v77, 0xf0f0f0f, v77
	v_and_b32_e32 v78, 0xffff, v78
	v_lshlrev_b16 v84, 8, v83
	v_add_nc_u16 v81, 0xe000, v81
	v_lshrrev_b32_e32 v85, 16, v83
	v_lshlrev_b32_e32 v82, 16, v82
	v_and_b32_e32 v80, 0xffff, v80
	v_add_nc_u16 v84, 0xe000, v84
	v_lshlrev_b32_e32 v81, 16, v81
	v_lshlrev_b16 v86, 8, v85
	v_and_or_b32 v77, 0x30303030, v79, v77
	v_and_b32_e32 v83, 0x3f00, v83
	v_lshrrev_b16 v79, 8, v84
	v_or_b32_e32 v78, v78, v82
	v_add_nc_u16 v82, 0xe000, v86
	v_or_b32_e32 v80, v80, v81
	v_lshrrev_b32_e32 v81, 16, v77
	v_or_b32_e32 v79, v83, v79
	v_and_b32_e32 v83, 0x3f00, v85
	v_lshrrev_b16 v82, 8, v82
	v_lshlrev_b16 v84, 8, v77
	v_lshlrev_b16 v85, 8, v81
	s_wait_loadcnt 0x7
	v_ashrrev_i32_e32 v76, v28, v76
	v_and_b32_e32 v77, 0x3f00, v77
	v_or_b32_e32 v82, v83, v82
	v_add_nc_u16 v83, 0xe000, v84
	v_add_nc_u16 v84, 0xe000, v85
	v_and_b32_e32 v85, 0xf0f0f0f, v75
	v_lshlrev_b32_e32 v86, 4, v76
	v_add_nc_u16 v79, 0xe000, v79
	v_lshrrev_b16 v83, 8, v83
	v_and_b32_e32 v81, 0x3f00, v81
	v_lshrrev_b16 v84, 8, v84
	v_and_or_b32 v85, 0x30303030, v86, v85
	v_add_nc_u16 v82, 0xe000, v82
	v_or_b32_e32 v77, v77, v83
	v_and_b32_e32 v79, 0xffff, v79
	v_or_b32_e32 v81, v81, v84
	v_lshrrev_b32_e32 v83, 16, v85
	v_lshlrev_b32_e32 v82, 16, v82
	v_lshlrev_b16 v84, 8, v85
	v_add_nc_u16 v77, 0xe000, v77
	v_add_nc_u16 v81, 0xe000, v81
	v_lshlrev_b16 v86, 8, v83
	v_or_b32_e32 v79, v79, v82
	v_add_nc_u16 v82, 0xe000, v84
	v_lshrrev_b32_e32 v75, 4, v75
	v_and_b32_e32 v77, 0xffff, v77
	v_add_nc_u16 v84, 0xe000, v86
	v_lshlrev_b32_e32 v81, 16, v81
	v_and_b32_e32 v85, 0x3f00, v85
	v_lshrrev_b16 v82, 8, v82
	v_and_b32_e32 v83, 0x3f00, v83
	v_lshrrev_b16 v84, 8, v84
	v_and_b32_e32 v75, 0xf0f0f0f, v75
	v_or_b32_e32 v77, v77, v81
	ds_store_2addr_b32 v12, v78, v80 offset1:16
	v_or_b32_e32 v78, v85, v82
	v_or_b32_e32 v80, v83, v84
	v_and_or_b32 v75, 0x30303030, v76, v75
	s_wait_loadcnt 0x5
	v_ashrrev_i32_e32 v76, v28, v98
	ds_store_2addr_b32 v13, v79, v77 offset1:16
	v_add_nc_u16 v77, 0xe000, v78
	v_add_nc_u16 v78, 0xe000, v80
	v_lshlrev_b16 v79, 8, v75
	v_and_b32_e32 v80, 0xf0f0f0f, v97
	v_lshlrev_b32_e32 v81, 4, v76
	v_and_b32_e32 v77, 0xffff, v77
	v_lshrrev_b32_e32 v82, 16, v75
	v_add_nc_u16 v79, 0xe000, v79
	v_lshlrev_b32_e32 v78, 16, v78
	v_and_or_b32 v80, 0x30303030, v81, v80
	v_and_b32_e32 v75, 0x3f00, v75
	v_lshlrev_b16 v81, 8, v82
	v_lshrrev_b16 v79, 8, v79
	v_or_b32_e32 v77, v77, v78
	v_lshlrev_b16 v78, 8, v80
	v_lshrrev_b32_e32 v83, 4, v97
	v_add_nc_u16 v81, 0xe000, v81
	v_or_b32_e32 v75, v75, v79
	v_and_b32_e32 v79, 0x3f00, v82
	v_add_nc_u16 v78, 0xe000, v78
	v_and_b32_e32 v82, 0xf0f0f0f, v83
	v_lshrrev_b32_e32 v83, 16, v80
	v_lshrrev_b16 v81, 8, v81
	v_and_b32_e32 v80, 0x3f00, v80
	v_lshrrev_b16 v78, 8, v78
	v_and_or_b32 v76, 0x30303030, v76, v82
	v_lshlrev_b16 v82, 8, v83
	v_or_b32_e32 v79, v79, v81
	v_add_nc_u16 v75, 0xe000, v75
	v_or_b32_e32 v78, v80, v78
	v_lshlrev_b16 v80, 8, v76
	v_add_nc_u16 v81, 0xe000, v82
	v_and_b32_e32 v82, 0x3f00, v83
	v_and_b32_e32 v83, 0x3f00, v76
	v_lshrrev_b32_e32 v76, 16, v76
	v_add_nc_u16 v80, 0xe000, v80
	v_lshrrev_b16 v81, 8, v81
	v_add_nc_u16 v79, 0xe000, v79
	s_wait_loadcnt 0x4
	v_lshrrev_b32_e32 v84, 4, v92
	v_lshlrev_b16 v86, 8, v76
	v_lshrrev_b16 v80, 8, v80
	v_or_b32_e32 v81, v82, v81
	s_wait_loadcnt 0x3
	v_ashrrev_i32_e32 v82, v28, v95
	v_and_b32_e32 v84, 0xf0f0f0f, v84
	v_and_b32_e32 v76, 0x3f00, v76
	v_or_b32_e32 v80, v83, v80
	v_and_b32_e32 v83, 0xf0f0f0f, v92
	v_lshlrev_b32_e32 v85, 4, v82
	v_and_or_b32 v82, 0x30303030, v82, v84
	v_and_b32_e32 v75, 0xffff, v75
	v_add_nc_u16 v78, 0xe000, v78
	v_lshlrev_b32_e32 v79, 16, v79
	v_and_or_b32 v83, 0x30303030, v85, v83
	v_lshrrev_b32_e32 v87, 16, v82
	v_add_nc_u16 v85, 0xe000, v86
	v_lshlrev_b16 v89, 8, v82
	v_and_b32_e32 v82, 0x3f00, v82
	v_lshrrev_b32_e32 v84, 16, v83
	v_lshlrev_b16 v86, 8, v83
	v_lshlrev_b16 v90, 8, v87
	v_add_nc_u16 v89, 0xe000, v89
	v_lshrrev_b16 v85, 8, v85
	v_lshlrev_b16 v88, 8, v84
	v_add_nc_u16 v86, 0xe000, v86
	v_add_nc_u16 v90, 0xe000, v90
	v_and_b32_e32 v83, 0x3f00, v83
	v_and_b32_e32 v84, 0x3f00, v84
	v_add_nc_u16 v88, 0xe000, v88
	v_lshrrev_b16 v86, 8, v86
	v_lshrrev_b16 v89, 8, v89
	v_and_b32_e32 v87, 0x3f00, v87
	v_lshrrev_b16 v90, 8, v90
	v_lshrrev_b16 v88, 8, v88
	v_or_b32_e32 v76, v76, v85
	v_or_b32_e32 v83, v83, v86
	;; [unrolled: 1-line block ×5, first 2 shown]
	v_add_nc_u16 v81, 0xe000, v81
	v_add_nc_u16 v80, 0xe000, v80
	;; [unrolled: 1-line block ×7, first 2 shown]
	v_and_b32_e32 v78, 0xffff, v78
	v_lshlrev_b32_e32 v81, 16, v81
	v_and_b32_e32 v80, 0xffff, v80
	v_lshlrev_b32_e32 v76, 16, v76
	;; [unrolled: 2-line block ×4, first 2 shown]
	v_or_b32_e32 v75, v75, v79
	v_or_b32_e32 v78, v78, v81
	;; [unrolled: 1-line block ×5, first 2 shown]
	ds_store_2addr_b32 v14, v77, v75 offset1:16
	s_wait_loadcnt 0x2
	v_cvt_f32_f16_e32 v75, v101
	s_lshl_b32 s18, s16, 8
	ds_store_2addr_b32 v15, v78, v76 offset1:16
	s_wait_alu 0xfffe
	s_cmp_lt_i32 s18, s5
	ds_store_2addr_b32 v17, v79, v80 offset1:16
	ds_store_b32 v47, v75
	s_wait_loadcnt 0x1
	ds_store_b32 v70, v20
	s_wait_loadcnt 0x0
	ds_store_b32 v71, v21
	s_cbranch_scc0 .LBB216_4
; %bb.6:                                ;   in Loop: Header=BB216_5 Depth=1
	s_lshl_b32 s19, s16, 3
	s_wait_alu 0xfffe
	v_add_nc_u32_e32 v20, s19, v0
	s_delay_alu instid0(VALU_DEP_1)
	v_cmp_gt_i32_e32 vcc_lo, s8, v20
	s_and_b32 s21, s1, vcc_lo
	s_wait_alu 0xfffe
	s_and_saveexec_b32 s20, s21
	s_cbranch_execz .LBB216_8
; %bb.7:                                ;   in Loop: Header=BB216_5 Depth=1
	v_add_nc_u32_e32 v20, v66, v20
	s_delay_alu instid0(VALU_DEP_1)
	v_mad_co_i64_i32 v[20:21], null, v20, 36, v[18:19]
	global_load_b32 v20, v[20:21], off offset:4
	s_wait_loadcnt 0x0
	ds_store_b32 v55, v20
.LBB216_8:                              ;   in Loop: Header=BB216_5 Depth=1
	s_wait_alu 0xfffe
	s_or_b32 exec_lo, exec_lo, s20
	v_add_nc_u32_e32 v78, s19, v23
	s_delay_alu instid0(VALU_DEP_1)
	v_cmp_gt_i32_e32 vcc_lo, s8, v78
	s_and_b32 s21, s6, vcc_lo
	s_wait_alu 0xfffe
	s_and_saveexec_b32 s20, s21
	s_cbranch_execz .LBB216_10
; %bb.9:                                ;   in Loop: Header=BB216_5 Depth=1
	v_add_nc_u32_e32 v20, v66, v78
	s_delay_alu instid0(VALU_DEP_1)
	v_mad_co_i64_i32 v[20:21], null, v20, 36, s[2:3]
	global_load_b32 v20, v[20:21], off
	v_add_nc_u32_e32 v21, v54, v56
	s_wait_loadcnt 0x0
	v_cvt_f32_f16_e32 v20, v20
	ds_store_b32 v21, v20
.LBB216_10:                             ;   in Loop: Header=BB216_5 Depth=1
	s_wait_alu 0xfffe
	s_or_b32 exec_lo, exec_lo, s20
	s_wait_dscnt 0x0
	s_barrier_signal -1
	s_barrier_wait -1
	global_inv scope:SCOPE_SE
	ds_load_b32 v79, v58
	ds_load_b32 v80, v61 offset:128
	ds_load_b32 v81, v62 offset:256
	;; [unrolled: 1-line block ×3, first 2 shown]
	s_mov_b32 s21, 0
	s_mov_b32 s20, -1
.LBB216_11:                             ;   Parent Loop BB216_5 Depth=1
                                        ; =>  This Inner Loop Header: Depth=2
	s_wait_alu 0xfffe
	s_lshl_b32 s22, s21, 3
	v_lshlrev_b32_e32 v20, 2, v57
	s_wait_alu 0xfffe
	v_add_nc_u32_e32 v77, s22, v68
	v_lshl_or_b32 v83, s21, 1, v39
	s_lshr_b32 s21, s21, 1
	v_add_nc_u32_e32 v108, s22, v64
	s_wait_alu 0xfffe
	s_add_co_i32 s21, s21, 0x8200
	ds_load_b128 v[84:87], v77 offset:34
	ds_load_b64 v[92:93], v77 offset:50
	s_wait_alu 0xfffe
	v_add3_u32 v21, s21, v20, v72
	v_lshlrev_b32_e32 v121, 2, v83
	v_add_nc_u32_e32 v124, s22, v65
	v_add_nc_u32_e32 v125, s22, v67
	v_lshrrev_b32_e32 v83, 1, v83
	s_and_b32 vcc_lo, exec_lo, s20
	s_mov_b32 s20, 0
	s_wait_dscnt 0x1
	v_ashrrev_i32_e32 v109, 24, v87
	v_bfe_i32 v110, v87, 16, 8
	v_ashrrev_i32_e32 v111, 24, v85
	v_bfe_i32 v112, v85, 0, 8
	v_bfe_i32 v113, v86, 8, 8
	v_bfe_i32 v114, v86, 0, 8
	v_bfe_i32 v115, v85, 16, 8
	v_bfe_i32 v116, v85, 8, 8
	v_perm_b32 v117, v87, v84, 0xc0c0402
	v_perm_b32 v118, v86, v84, 0xc0c0600
	;; [unrolled: 1-line block ×4, first 2 shown]
	ds_load_2addr_b32 v[75:76], v108 offset0:12 offset1:13
	ds_load_b32 v122, v21
	ds_load_2addr_b32 v[94:95], v108 offset0:14 offset1:15
	ds_load_b128 v[84:87], v121 offset:35440
	ds_load_b128 v[88:91], v121 offset:35424
	s_wait_dscnt 0x1
	v_perm_b32 v21, v75, v86, 0x6040501
	v_perm_b32 v96, v84, v94, 0x6040501
	v_perm_b32 v75, v85, v75, 0x6040503
	v_bfe_i32 v130, v85, 16, 8
	v_ashrrev_i32_e32 v134, 24, v85
	v_bfe_i32 v135, v84, 8, 8
	v_dot4_i32_iu8 v21, v96, v21, 0 neg_lo:[1,1,0]
	v_perm_b32 v96, v76, v84, 0x6040503
	v_perm_b32 v76, v94, v76, 0x7060403
	v_bfe_i32 v136, v84, 0, 8
	v_perm_b32 v137, v87, v84, 0xc0c0503
	v_perm_b32 v138, v87, v85, 0xc0c0701
	v_dot4_i32_iu8 v75, v96, v75, v21 neg_lo:[1,1,0]
	v_lshlrev_b32_e32 v21, 2, v59
	v_perm_b32 v139, v87, v85, 0xc0c0600
	v_perm_b32 v140, v87, v84, 0xc0c0402
	v_bfe_i32 v129, v86, 8, 8
	v_ashrrev_i32_e32 v131, 24, v86
	v_add3_u32 v96, s21, v21, v73
	v_bfe_i32 v132, v86, 16, 8
	v_bfe_i32 v133, v86, 0, 8
	s_wait_dscnt 0x0
	v_bfe_i32 v144, v90, 8, 8
	v_bfe_i32 v145, v89, 16, 8
	ds_load_b32 v123, v96
	ds_load_2addr_b32 v[96:97], v124 offset0:12 offset1:13
	ds_load_2addr_b32 v[98:99], v124 offset0:14 offset1:15
	;; [unrolled: 1-line block ×3, first 2 shown]
	v_ashrrev_i32_e32 v146, 24, v90
	v_bfe_i32 v147, v90, 16, 8
	v_bfe_i32 v148, v90, 0, 8
	v_ashrrev_i32_e32 v149, 24, v89
	v_bfe_i32 v150, v88, 8, 8
	v_bfe_i32 v151, v88, 0, 8
	v_perm_b32 v152, v91, v89, 0xc0c0600
	v_perm_b32 v153, v91, v88, 0xc0c0402
	;; [unrolled: 1-line block ×4, first 2 shown]
	s_wait_dscnt 0x2
	v_perm_b32 v102, v96, v86, 0x6040501
	s_wait_dscnt 0x1
	v_perm_b32 v103, v84, v98, 0x6040501
	v_perm_b32 v96, v85, v96, 0x6040503
	;; [unrolled: 1-line block ×3, first 2 shown]
	s_delay_alu instid0(VALU_DEP_3) | instskip(SKIP_2) | instid1(VALU_DEP_2)
	v_dot4_i32_iu8 v102, v103, v102, 0 neg_lo:[1,1,0]
	v_perm_b32 v103, v97, v84, 0x6040503
	v_perm_b32 v97, v86, v85, 0x7060403
	v_dot4_i32_iu8 v96, v103, v96, v102 neg_lo:[1,1,0]
	ds_load_2addr_b32 v[102:103], v125 offset0:12 offset1:13
	ds_load_2addr_b32 v[104:105], v125 offset0:14 offset1:15
	;; [unrolled: 1-line block ×3, first 2 shown]
	v_dot4_i32_iu8 v75, v97, v76, v75 neg_lo:[1,1,0]
	v_dot4_i32_iu8 v76, v97, v94, v96 neg_lo:[1,1,0]
	s_wait_dscnt 0x2
	v_perm_b32 v126, v102, v86, 0x6040501
	s_wait_dscnt 0x1
	v_perm_b32 v127, v84, v104, 0x6040501
	v_perm_b32 v102, v85, v102, 0x6040503
	s_delay_alu instid0(VALU_DEP_2) | instskip(SKIP_2) | instid1(VALU_DEP_2)
	v_dot4_i32_iu8 v126, v127, v126, 0 neg_lo:[1,1,0]
	v_perm_b32 v127, v103, v84, 0x6040503
	v_perm_b32 v103, v104, v103, 0x7060403
	v_dot4_i32_iu8 v102, v127, v102, v126 neg_lo:[1,1,0]
	v_dot4_i32_iu8 v126, v87, v95, v75 neg_lo:[1,1,0]
	;; [unrolled: 1-line block ×3, first 2 shown]
	v_perm_b32 v99, v88, v100, 0x6040501
	s_delay_alu instid0(VALU_DEP_4) | instskip(SKIP_2) | instid1(VALU_DEP_2)
	v_dot4_i32_iu8 v94, v97, v103, v102 neg_lo:[1,1,0]
	s_wait_dscnt 0x0
	v_perm_b32 v103, v88, v106, 0x6040501
	v_dot4_i32_iu8 v128, v87, v105, v94 neg_lo:[1,1,0]
	ds_load_2addr_b32 v[75:76], v108 offset0:8 offset1:9
	ds_load_2addr_b32 v[84:85], v108 offset0:10 offset1:11
	;; [unrolled: 1-line block ×3, first 2 shown]
	s_wait_dscnt 0x2
	v_perm_b32 v86, v75, v90, 0x6040501
	s_wait_dscnt 0x1
	v_perm_b32 v87, v88, v84, 0x6040501
	v_perm_b32 v75, v89, v75, 0x6040503
	s_delay_alu instid0(VALU_DEP_2) | instskip(SKIP_2) | instid1(VALU_DEP_2)
	v_dot4_i32_iu8 v86, v87, v86, 0 neg_lo:[1,1,0]
	v_perm_b32 v87, v76, v88, 0x6040503
	v_perm_b32 v76, v84, v76, 0x7060403
	v_dot4_i32_iu8 v75, v87, v75, v86 neg_lo:[1,1,0]
	ds_load_2addr_b32 v[86:87], v124 offset0:8 offset1:9
	ds_load_2addr_b32 v[96:97], v124 offset0:6 offset1:7
	s_wait_dscnt 0x1
	v_perm_b32 v98, v86, v90, 0x6040501
	v_perm_b32 v86, v89, v86, 0x6040503
	s_delay_alu instid0(VALU_DEP_2) | instskip(SKIP_2) | instid1(VALU_DEP_2)
	v_dot4_i32_iu8 v98, v99, v98, 0 neg_lo:[1,1,0]
	v_perm_b32 v99, v87, v88, 0x6040503
	v_perm_b32 v87, v100, v87, 0x7060403
	v_dot4_i32_iu8 v86, v99, v86, v98 neg_lo:[1,1,0]
	ds_load_2addr_b32 v[98:99], v125 offset0:8 offset1:9
	s_wait_dscnt 0x0
	v_perm_b32 v102, v98, v90, 0x6040501
	v_perm_b32 v98, v89, v98, 0x6040503
	;; [unrolled: 1-line block ×3, first 2 shown]
	s_delay_alu instid0(VALU_DEP_3) | instskip(SKIP_2) | instid1(VALU_DEP_2)
	v_dot4_i32_iu8 v102, v103, v102, 0 neg_lo:[1,1,0]
	v_perm_b32 v103, v99, v88, 0x6040503
	v_perm_b32 v99, v90, v89, 0x7060403
	v_dot4_i32_iu8 v98, v103, v98, v102 neg_lo:[1,1,0]
	s_delay_alu instid0(VALU_DEP_2) | instskip(SKIP_1) | instid1(VALU_DEP_3)
	v_dot4_i32_iu8 v75, v99, v76, v75 neg_lo:[1,1,0]
	v_dot4_i32_iu8 v76, v99, v87, v86 neg_lo:[1,1,0]
	;; [unrolled: 1-line block ×3, first 2 shown]
	s_delay_alu instid0(VALU_DEP_3) | instskip(NEXT) | instid1(VALU_DEP_3)
	v_dot4_i32_iu8 v141, v91, v85, v75 neg_lo:[1,1,0]
	v_dot4_i32_iu8 v142, v91, v101, v76 neg_lo:[1,1,0]
	ds_load_2addr_b32 v[75:76], v108 offset0:4 offset1:5
	v_dot4_i32_iu8 v143, v91, v107, v84 neg_lo:[1,1,0]
	ds_load_b128 v[84:87], v121 offset:35408
	ds_load_b128 v[88:91], v121 offset:35392
	s_wait_dscnt 0x2
	v_perm_b32 v98, v75, v94, 0x6050401
	s_wait_dscnt 0x1
	v_perm_b32 v121, v84, v86, 0x6050401
	v_perm_b32 v99, v76, v84, 0x6040503
	;; [unrolled: 1-line block ×4, first 2 shown]
	v_bfe_i32 v166, v84, 8, 8
	v_dot4_i32_iu8 v98, v98, v121, 0 neg_lo:[1,1,0]
	v_bfe_i32 v167, v84, 0, 8
	v_bfe_i32 v157, v87, 16, 8
	v_ashrrev_i32_e32 v158, 24, v87
	v_ashrrev_i32_e32 v159, 24, v85
	v_dot4_i32_iu8 v75, v75, v99, v98 neg_lo:[1,1,0]
	ds_load_2addr_b32 v[98:99], v124 offset0:4 offset1:5
	ds_load_2addr_b32 v[100:101], v124 offset0:2 offset1:3
	v_bfe_i32 v160, v85, 0, 8
	v_bfe_i32 v161, v85, 16, 8
	;; [unrolled: 1-line block ×4, first 2 shown]
	v_ashrrev_i32_e32 v164, 24, v86
	v_bfe_i32 v165, v86, 16, 8
	s_wait_dscnt 0x2
	v_bfe_i32 v169, v89, 0, 8
	v_bfe_i32 v170, v89, 16, 8
	v_ashrrev_i32_e32 v173, 24, v90
	v_bfe_i32 v174, v90, 16, 8
	v_bfe_i32 v175, v88, 8, 8
	;; [unrolled: 1-line block ×5, first 2 shown]
	s_wait_dscnt 0x1
	v_perm_b32 v102, v98, v96, 0x6050401
	v_perm_b32 v103, v99, v84, 0x6040503
	;; [unrolled: 1-line block ×5, first 2 shown]
	v_dot4_i32_iu8 v102, v102, v121, 0 neg_lo:[1,1,0]
	s_delay_alu instid0(VALU_DEP_2) | instskip(NEXT) | instid1(VALU_DEP_2)
	v_dot4_i32_iu8 v75, v99, v76, v75 neg_lo:[1,1,0]
	v_dot4_i32_iu8 v98, v98, v103, v102 neg_lo:[1,1,0]
	ds_load_2addr_b32 v[102:103], v125 offset0:6 offset1:7
	ds_load_2addr_b32 v[104:105], v125 offset0:4 offset1:5
	;; [unrolled: 1-line block ×3, first 2 shown]
	v_dot4_i32_iu8 v76, v99, v94, v98 neg_lo:[1,1,0]
	v_dot4_i32_iu8 v98, v95, v87, v75 neg_lo:[1,1,0]
	v_lshlrev_b32_e32 v75, 2, v0
	s_wait_dscnt 0x1
	v_perm_b32 v156, v104, v102, 0x6050401
	v_perm_b32 v104, v85, v104, 0x6040503
	;; [unrolled: 1-line block ×3, first 2 shown]
	s_delay_alu instid0(VALU_DEP_3) | instskip(SKIP_2) | instid1(VALU_DEP_2)
	v_dot4_i32_iu8 v121, v156, v121, 0 neg_lo:[1,1,0]
	v_perm_b32 v156, v105, v84, 0x6040503
	v_bfe_i32 v105, v84, 16, 8
	v_dot4_i32_iu8 v104, v104, v156, v121 neg_lo:[1,1,0]
	v_ashrrev_i32_e32 v121, 24, v84
	v_bfe_i32 v156, v86, 0, 8
	s_delay_alu instid0(VALU_DEP_3) | instskip(SKIP_3) | instid1(VALU_DEP_4)
	v_dot4_i32_iu8 v94, v99, v96, v104 neg_lo:[1,1,0]
	v_dot4_i32_iu8 v99, v97, v87, v76 neg_lo:[1,1,0]
	v_lshlrev_b32_e32 v76, 2, v51
	v_bfe_i32 v104, v86, 8, 8
	v_dot4_i32_iu8 v102, v103, v87, v94 neg_lo:[1,1,0]
	v_lshrrev_b16 v103, 8, v85
	s_delay_alu instid0(VALU_DEP_4)
	v_add3_u32 v84, s21, v75, v76
	ds_load_b32 v168, v84
	ds_load_2addr_b32 v[84:85], v108 offset0:2 offset1:3
	ds_load_2addr_b32 v[86:87], v108 offset1:1
	v_perm_b32 v108, v88, v90, 0x6050401
	v_bfe_i32 v103, v103, 0, 8
	s_wait_dscnt 0x0
	v_perm_b32 v94, v86, v84, 0x6050401
	v_perm_b32 v95, v87, v88, 0x6040503
	;; [unrolled: 1-line block ×4, first 2 shown]
	s_delay_alu instid0(VALU_DEP_4) | instskip(NEXT) | instid1(VALU_DEP_1)
	v_dot4_i32_iu8 v94, v94, v108, 0 neg_lo:[1,1,0]
	v_dot4_i32_iu8 v86, v86, v95, v94 neg_lo:[1,1,0]
	ds_load_2addr_b32 v[94:95], v124 offset1:1
	s_wait_dscnt 0x0
	v_perm_b32 v96, v94, v100, 0x6050401
	v_perm_b32 v97, v95, v88, 0x6040503
	;; [unrolled: 1-line block ×4, first 2 shown]
	v_bfe_i32 v100, v90, 8, 8
	v_dot4_i32_iu8 v96, v96, v108, 0 neg_lo:[1,1,0]
	s_delay_alu instid0(VALU_DEP_1)
	v_dot4_i32_iu8 v94, v94, v97, v96 neg_lo:[1,1,0]
	ds_load_2addr_b32 v[96:97], v125 offset1:1
	v_ashrrev_i32_e32 v125, 24, v89
	s_wait_dscnt 0x0
	v_perm_b32 v124, v96, v106, 0x6050401
	v_perm_b32 v95, v106, v97, 0x7060403
	;; [unrolled: 1-line block ×3, first 2 shown]
	v_ashrrev_i32_e32 v106, 24, v88
	s_delay_alu instid0(VALU_DEP_4) | instskip(SKIP_2) | instid1(VALU_DEP_2)
	v_dot4_i32_iu8 v108, v124, v108, 0 neg_lo:[1,1,0]
	v_perm_b32 v124, v97, v88, 0x6040503
	v_perm_b32 v97, v90, v89, 0x7060403
	v_dot4_i32_iu8 v96, v96, v124, v108 neg_lo:[1,1,0]
	s_delay_alu instid0(VALU_DEP_2)
	v_dot4_i32_iu8 v84, v97, v84, v86 neg_lo:[1,1,0]
	v_dot4_i32_iu8 v86, v97, v87, v94 neg_lo:[1,1,0]
	v_bfe_i32 v108, v91, 16, 8
	v_ashrrev_i32_e32 v124, 24, v91
	v_dot4_i32_iu8 v87, v97, v95, v96 neg_lo:[1,1,0]
	v_dot4_i32_iu8 v94, v85, v91, v84 neg_lo:[1,1,0]
	v_bfe_i32 v84, v93, 16, 8
	v_dot4_i32_iu8 v95, v101, v91, v86 neg_lo:[1,1,0]
	v_lshrrev_b16 v97, 8, v89
	v_dot4_i32_iu8 v96, v107, v91, v87 neg_lo:[1,1,0]
	v_bfe_i32 v101, v88, 16, 8
	v_mul_i32_i24_e32 v84, v84, v133
	ds_load_b32 v133, v77 offset:60
	ds_load_u16 v177, v77 offset:58
	v_bfe_i32 v107, v90, 0, 8
	v_bfe_i32 v97, v97, 0, 8
	s_wait_dscnt 0x1
	v_perm_b32 v85, v133, v92, 0xc0c0501
	s_delay_alu instid0(VALU_DEP_1) | instskip(SKIP_3) | instid1(VALU_DEP_2)
	v_dot4_i32_iu8 v137, v85, v137, v84 neg_lo:[1,1,0]
	s_wait_dscnt 0x0
	v_bfe_i32 v84, v177, 0, 8
	v_perm_b32 v85, v133, v92, 0xc0c0602
	v_mul_i32_i24_e32 v84, v84, v132
	s_delay_alu instid0(VALU_DEP_1) | instskip(SKIP_3) | instid1(VALU_DEP_3)
	v_dot4_i32_iu8 v132, v85, v139, v84 neg_lo:[1,1,0]
	v_bfe_i32 v84, v93, 8, 8
	v_perm_b32 v85, v133, v92, 0xc0c0400
	v_perm_b32 v92, v133, v92, 0xc0c0703
	v_mul_i32_i24_e32 v84, v84, v134
	s_delay_alu instid0(VALU_DEP_1) | instskip(SKIP_2) | instid1(VALU_DEP_1)
	v_dot4_i32_iu8 v134, v85, v140, v84 neg_lo:[1,1,0]
	v_mul_i32_i24_e32 v84, v110, v136
	v_ashrrev_i32_e32 v85, 24, v93
	v_mad_i32_i24 v110, v85, v129, v84
	v_mul_i32_i24_e32 v84, v114, v147
	s_delay_alu instid0(VALU_DEP_1) | instskip(SKIP_1) | instid1(VALU_DEP_1)
	v_dot4_i32_iu8 v114, v117, v152, v84 neg_lo:[1,1,0]
	v_mul_i32_i24_e32 v84, v116, v149
	v_dot4_i32_iu8 v116, v118, v153, v84 neg_lo:[1,1,0]
	v_mul_i32_i24_e32 v84, v113, v146
	s_delay_alu instid0(VALU_DEP_1) | instskip(SKIP_1) | instid1(VALU_DEP_1)
	v_dot4_i32_iu8 v113, v119, v154, v84 neg_lo:[1,1,0]
	v_mul_i32_i24_e32 v84, v115, v148
	v_dot4_i32_iu8 v115, v120, v155, v84 neg_lo:[1,1,0]
	ds_load_u16 v117, v77 offset:32
	ds_load_2addr_b32 v[84:85], v77 offset0:6 offset1:7
	s_wait_dscnt 0x1
	v_bfe_i32 v86, v117, 0, 8
	s_delay_alu instid0(VALU_DEP_1) | instskip(NEXT) | instid1(VALU_DEP_1)
	v_mul_i32_i24_e32 v86, v86, v151
	v_mad_i32_i24 v111, v111, v144, v86
	s_wait_dscnt 0x0
	v_bfe_i32 v86, v85, 0, 8
	s_delay_alu instid0(VALU_DEP_1) | instskip(SKIP_4) | instid1(VALU_DEP_1)
	v_mul_i32_i24_e32 v90, v86, v163
	ds_load_2addr_b32 v[86:87], v77 offset0:4 offset1:5
	ds_load_2addr_b32 v[88:89], v77 offset0:2 offset1:3
	s_wait_dscnt 0x1
	v_bfe_i32 v91, v87, 16, 8
	v_mad_i32_i24 v118, v91, v161, v90
	v_bfe_i32 v90, v84, 16, 8
	v_bfe_i32 v91, v87, 0, 8
	s_delay_alu instid0(VALU_DEP_2) | instskip(NEXT) | instid1(VALU_DEP_1)
	v_mul_i32_i24_e32 v90, v90, v165
	v_mad_i32_i24 v119, v91, v160, v90
	v_bfe_i32 v90, v85, 8, 8
	v_ashrrev_i32_e32 v91, 24, v87
	v_lshrrev_b16 v87, 8, v87
	s_delay_alu instid0(VALU_DEP_3) | instskip(NEXT) | instid1(VALU_DEP_2)
	v_mul_i32_i24_e32 v90, v90, v162
	v_bfe_i32 v87, v87, 0, 8
	s_delay_alu instid0(VALU_DEP_2) | instskip(SKIP_2) | instid1(VALU_DEP_4)
	v_mad_i32_i24 v120, v91, v159, v90
	v_bfe_i32 v90, v86, 8, 8
	v_bfe_i32 v91, v84, 8, 8
	v_mul_i32_i24_e32 v87, v87, v103
	v_ashrrev_i32_e32 v103, 24, v86
	s_delay_alu instid0(VALU_DEP_4) | instskip(NEXT) | instid1(VALU_DEP_2)
	v_mul_i32_i24_e32 v90, v90, v166
	v_mul_i32_i24_e32 v103, v103, v121
	s_delay_alu instid0(VALU_DEP_2) | instskip(SKIP_4) | instid1(VALU_DEP_4)
	v_mad_i32_i24 v104, v91, v104, v90
	v_bfe_i32 v90, v85, 16, 8
	v_bfe_i32 v91, v84, 0, 8
	v_ashrrev_i32_e32 v84, 24, v84
	v_ashrrev_i32_e32 v85, 24, v85
	v_mul_i32_i24_e32 v90, v90, v157
	s_delay_alu instid0(VALU_DEP_3) | instskip(NEXT) | instid1(VALU_DEP_3)
	v_mul_i32_i24_e32 v84, v84, v164
	v_mul_i32_i24_e32 v85, v85, v158
	s_delay_alu instid0(VALU_DEP_3)
	v_mad_i32_i24 v129, v91, v156, v90
	ds_load_2addr_b32 v[90:91], v77 offset1:1
	s_wait_dscnt 0x1
	v_bfe_i32 v77, v89, 0, 8
	v_add3_u32 v84, v87, v84, v120
	v_bfe_i32 v87, v86, 16, 8
	v_bfe_i32 v86, v86, 0, 8
	s_delay_alu instid0(VALU_DEP_4) | instskip(NEXT) | instid1(VALU_DEP_4)
	v_mul_i32_i24_e32 v136, v77, v172
	v_add3_u32 v84, v119, v118, v84
	s_delay_alu instid0(VALU_DEP_4) | instskip(NEXT) | instid1(VALU_DEP_4)
	v_mul_i32_i24_e32 v87, v87, v105
	v_mul_i32_i24_e32 v86, v86, v167
	v_lshlrev_b32_e32 v77, 2, v60
	s_delay_alu instid0(VALU_DEP_3) | instskip(NEXT) | instid1(VALU_DEP_3)
	v_add3_u32 v87, v87, v103, v129
	v_add3_u32 v84, v84, v86, v104
	v_add_nc_u32_e32 v103, v116, v114
	s_delay_alu instid0(VALU_DEP_4)
	v_add3_u32 v139, s21, v77, v74
	s_mov_b32 s21, 8
	s_wait_dscnt 0x0
	v_bfe_i32 v140, v91, 16, 8
	v_bfe_i32 v144, v91, 0, 8
	v_ashrrev_i32_e32 v146, 24, v91
	v_lshrrev_b16 v91, 8, v91
	v_bfe_i32 v86, v90, 0, 8
	v_mad_i32_i24 v136, v140, v170, v136
	v_bfe_i32 v140, v88, 16, 8
	ds_load_b32 v139, v139
	v_bfe_i32 v91, v91, 0, 8
	v_mul_i32_i24_e32 v86, v86, v176
	v_mul_i32_i24_e32 v140, v140, v174
	s_delay_alu instid0(VALU_DEP_3) | instskip(SKIP_1) | instid1(VALU_DEP_3)
	v_mul_i32_i24_e32 v91, v91, v97
	v_ashrrev_i32_e32 v97, 24, v90
	v_mad_i32_i24 v140, v144, v169, v140
	v_bfe_i32 v144, v89, 8, 8
	s_delay_alu instid0(VALU_DEP_3) | instskip(NEXT) | instid1(VALU_DEP_2)
	v_mul_i32_i24_e32 v97, v97, v106
	v_mul_i32_i24_e32 v144, v144, v171
	s_delay_alu instid0(VALU_DEP_1) | instskip(SKIP_2) | instid1(VALU_DEP_2)
	v_mad_i32_i24 v125, v146, v125, v144
	v_bfe_i32 v144, v90, 8, 8
	v_bfe_i32 v146, v88, 8, 8
	v_mul_i32_i24_e32 v144, v144, v175
	s_delay_alu instid0(VALU_DEP_1) | instskip(SKIP_1) | instid1(VALU_DEP_1)
	v_mad_i32_i24 v100, v146, v100, v144
	v_bfe_i32 v144, v89, 16, 8
	v_mul_i32_i24_e32 v108, v144, v108
	v_bfe_i32 v144, v88, 0, 8
	v_ashrrev_i32_e32 v88, 24, v88
	s_delay_alu instid0(VALU_DEP_2) | instskip(NEXT) | instid1(VALU_DEP_2)
	v_mad_i32_i24 v107, v144, v107, v108
	v_mul_i32_i24_e32 v88, v88, v173
	v_lshrrev_b16 v108, 8, v177
	s_delay_alu instid0(VALU_DEP_2) | instskip(SKIP_1) | instid1(VALU_DEP_3)
	v_add3_u32 v88, v91, v88, v125
	v_bfe_i32 v91, v90, 16, 8
	v_bfe_i32 v108, v108, 0, 8
	;; [unrolled: 1-line block ×3, first 2 shown]
	s_delay_alu instid0(VALU_DEP_4) | instskip(NEXT) | instid1(VALU_DEP_4)
	v_add3_u32 v88, v140, v136, v88
	v_mul_i32_i24_e32 v91, v91, v101
	s_delay_alu instid0(VALU_DEP_4) | instskip(SKIP_1) | instid1(VALU_DEP_4)
	v_mul_i32_i24_e32 v108, v108, v131
	v_add_nc_u32_e32 v101, v115, v113
	v_add3_u32 v86, v88, v86, v100
	s_delay_alu instid0(VALU_DEP_4) | instskip(SKIP_3) | instid1(VALU_DEP_3)
	v_add3_u32 v91, v91, v97, v107
	v_lshrrev_b16 v97, 8, v117
	v_dot4_i32_iu8 v92, v92, v138, v108 neg_lo:[1,1,0]
	v_bfe_i32 v88, v93, 0, 8
	v_bfe_i32 v97, v97, 0, 8
	s_delay_alu instid0(VALU_DEP_3) | instskip(NEXT) | instid1(VALU_DEP_3)
	v_add_nc_u32_e32 v92, v137, v92
	v_mul_i32_i24_e32 v88, v88, v130
	s_delay_alu instid0(VALU_DEP_3) | instskip(NEXT) | instid1(VALU_DEP_1)
	v_mul_i32_i24_e32 v97, v97, v150
	v_add3_u32 v97, v103, v101, v97
	v_mul_i32_i24_e32 v101, v109, v135
	v_add_nc_u32_e32 v103, v134, v132
	s_delay_alu instid0(VALU_DEP_1) | instskip(SKIP_1) | instid1(VALU_DEP_2)
	v_add3_u32 v92, v103, v92, v101
	v_mul_i32_i24_e32 v101, v112, v145
	v_add3_u32 v93, v92, v110, v88
	v_add3_u32 v92, v84, v87, v85
	v_ashrrev_i32_e32 v84, 24, v89
	v_bfe_i32 v85, v168, 16, 8
	v_ashrrev_i32_e32 v87, 24, v122
	v_ashrrev_i32_e32 v88, 24, v123
	v_bfe_i32 v89, v168, 0, 8
	v_mul_i32_i24_e32 v84, v84, v124
	v_mul_lo_u32 v85, v141, v85
	v_add3_u32 v97, v97, v111, v101
	s_delay_alu instid0(VALU_DEP_3)
	v_add3_u32 v100, v86, v91, v84
	v_ashrrev_i32_e32 v86, 24, v168
	v_bfe_i32 v91, v123, 0, 8
	ds_load_b64 v[83:84], v83 offset:36944
	v_mad_co_u64_u32 v[85:86], null, v126, v86, v[85:86]
	v_bfe_i32 v86, v122, 16, 8
	s_delay_alu instid0(VALU_DEP_1) | instskip(NEXT) | instid1(VALU_DEP_3)
	v_mul_lo_u32 v86, v142, v86
	v_cvt_f32_i32_e32 v85, v85
	s_delay_alu instid0(VALU_DEP_2) | instskip(SKIP_1) | instid1(VALU_DEP_1)
	v_mad_co_u64_u32 v[86:87], null, v127, v87, v[86:87]
	v_bfe_i32 v87, v123, 16, 8
	v_mul_lo_u32 v87, v143, v87
	s_delay_alu instid0(VALU_DEP_3) | instskip(NEXT) | instid1(VALU_DEP_2)
	v_cvt_f32_i32_e32 v86, v86
	v_mad_co_u64_u32 v[87:88], null, v128, v88, v[87:88]
	v_bfe_i32 v88, v168, 8, 8
	s_delay_alu instid0(VALU_DEP_1) | instskip(NEXT) | instid1(VALU_DEP_3)
	v_mul_lo_u32 v88, v98, v88
	v_cvt_f32_i32_e32 v87, v87
	s_delay_alu instid0(VALU_DEP_2) | instskip(SKIP_3) | instid1(VALU_DEP_2)
	v_mad_co_u64_u32 v[88:89], null, v94, v89, v[88:89]
	v_bfe_i32 v89, v122, 8, 8
	s_wait_dscnt 0x1
	v_ashrrev_i32_e32 v94, 24, v139
	v_mul_lo_u32 v89, v99, v89
	s_delay_alu instid0(VALU_DEP_4) | instskip(SKIP_1) | instid1(VALU_DEP_1)
	v_cvt_f32_i32_e32 v88, v88
	s_wait_dscnt 0x0
	v_fma_f32 v88, v83, v88, 0
	s_delay_alu instid0(VALU_DEP_3) | instskip(SKIP_1) | instid1(VALU_DEP_3)
	v_mad_co_u64_u32 v[89:90], null, v95, v90, v[89:90]
	v_bfe_i32 v90, v123, 8, 8
	v_fmac_f32_e32 v88, v84, v85
	s_delay_alu instid0(VALU_DEP_2) | instskip(NEXT) | instid1(VALU_DEP_4)
	v_mul_lo_u32 v90, v102, v90
	v_cvt_f32_i32_e32 v89, v89
	s_delay_alu instid0(VALU_DEP_3) | instskip(NEXT) | instid1(VALU_DEP_2)
	v_fmac_f32_e32 v24, v79, v88
	v_fma_f32 v89, v83, v89, 0
	s_delay_alu instid0(VALU_DEP_4) | instskip(SKIP_1) | instid1(VALU_DEP_3)
	v_mad_co_u64_u32 v[90:91], null, v96, v91, v[90:91]
	v_bfe_i32 v91, v139, 8, 8
	v_fmac_f32_e32 v89, v84, v86
	s_delay_alu instid0(VALU_DEP_2) | instskip(SKIP_2) | instid1(VALU_DEP_4)
	v_mul_lo_u32 v91, v92, v91
	v_bfe_i32 v92, v139, 0, 8
	v_cvt_f32_i32_e32 v90, v90
	v_fmac_f32_e32 v53, v80, v89
	s_delay_alu instid0(VALU_DEP_2) | instskip(NEXT) | instid1(VALU_DEP_4)
	v_fma_f32 v90, v83, v90, 0
	v_mad_co_u64_u32 v[91:92], null, v100, v92, v[91:92]
	v_bfe_i32 v92, v139, 16, 8
	s_delay_alu instid0(VALU_DEP_3) | instskip(NEXT) | instid1(VALU_DEP_2)
	v_fmac_f32_e32 v90, v84, v87
	v_mul_lo_u32 v92, v97, v92
	s_delay_alu instid0(VALU_DEP_4) | instskip(NEXT) | instid1(VALU_DEP_3)
	v_cvt_f32_i32_e32 v91, v91
	v_fmac_f32_e32 v48, v81, v90
	s_delay_alu instid0(VALU_DEP_2) | instskip(NEXT) | instid1(VALU_DEP_4)
	v_fma_f32 v83, v83, v91, 0
	v_mad_co_u64_u32 v[92:93], null, v93, v94, v[92:93]
	s_delay_alu instid0(VALU_DEP_1) | instskip(NEXT) | instid1(VALU_DEP_1)
	v_cvt_f32_i32_e32 v92, v92
	v_fmac_f32_e32 v83, v84, v92
	s_delay_alu instid0(VALU_DEP_1)
	v_fmac_f32_e32 v16, v82, v83
	s_wait_alu 0xfffe
	s_cbranch_vccnz .LBB216_11
; %bb.12:                               ;   in Loop: Header=BB216_5 Depth=1
	s_bitset1_b32 s18, 7
	s_wait_loadcnt 0x0
	s_wait_alu 0xfffe
	s_cmp_ge_i32 s18, s5
	s_barrier_signal -1
	s_barrier_wait -1
	global_inv scope:SCOPE_SE
	s_cbranch_scc1 .LBB216_4
; %bb.13:                               ;   in Loop: Header=BB216_5 Depth=1
	v_add_nc_u32_e32 v79, s19, v57
	s_delay_alu instid0(VALU_DEP_1)
	v_cmp_gt_i32_e32 vcc_lo, s8, v79
	s_and_b32 s19, s1, vcc_lo
	s_wait_alu 0xfffe
	s_and_saveexec_b32 s18, s19
	s_cbranch_execz .LBB216_15
; %bb.14:                               ;   in Loop: Header=BB216_5 Depth=1
	v_add_nc_u32_e32 v79, v66, v79
	s_delay_alu instid0(VALU_DEP_1)
	v_mad_co_i64_i32 v[79:80], null, v79, 36, v[18:19]
	global_load_b32 v79, v[79:80], off offset:4
	s_wait_loadcnt 0x0
	ds_store_b32 v55, v79
.LBB216_15:                             ;   in Loop: Header=BB216_5 Depth=1
	s_wait_alu 0xfffe
	s_or_b32 exec_lo, exec_lo, s18
	s_and_saveexec_b32 s18, s0
	s_cbranch_execz .LBB216_18
; %bb.16:                               ;   in Loop: Header=BB216_5 Depth=1
	v_or_b32_e32 v79, 4, v78
	s_delay_alu instid0(VALU_DEP_1)
	v_cmp_gt_i32_e32 vcc_lo, s8, v79
	s_and_b32 s19, s1, vcc_lo
	s_wait_alu 0xfffe
	s_and_b32 exec_lo, exec_lo, s19
	s_cbranch_execz .LBB216_18
; %bb.17:                               ;   in Loop: Header=BB216_5 Depth=1
	v_ashrrev_i32_e32 v79, 31, v78
	v_add_co_u32 v78, vcc_lo, v66, v78
	s_wait_alu 0xfffd
	s_delay_alu instid0(VALU_DEP_2) | instskip(NEXT) | instid1(VALU_DEP_2)
	v_add_co_ci_u32_e64 v80, null, v69, v79, vcc_lo
	v_mad_co_u64_u32 v[78:79], null, v78, 36, s[2:3]
	s_delay_alu instid0(VALU_DEP_1)
	v_mad_i32_i24 v79, v80, 36, v79
	global_load_b32 v78, v[78:79], off offset:144
	v_add_nc_u32_e32 v79, v54, v56
	s_wait_loadcnt 0x0
	v_cvt_f32_f16_e32 v78, v78
	ds_store_b32 v79, v78
.LBB216_18:                             ;   in Loop: Header=BB216_5 Depth=1
	s_wait_alu 0xfffe
	s_or_b32 exec_lo, exec_lo, s18
	s_wait_loadcnt_dscnt 0x0
	s_barrier_signal -1
	s_barrier_wait -1
	global_inv scope:SCOPE_SE
	ds_load_b32 v78, v58
	ds_load_b32 v79, v61 offset:128
	ds_load_b32 v80, v62 offset:256
	;; [unrolled: 1-line block ×3, first 2 shown]
	s_mov_b32 s18, 16
.LBB216_19:                             ;   Parent Loop BB216_5 Depth=1
                                        ; =>  This Inner Loop Header: Depth=2
	s_wait_alu 0xfffe
	s_lshl_b32 s19, s18, 3
	s_lshl_b32 s20, s18, 1
	s_wait_alu 0xfffe
	v_add_nc_u32_e32 v108, s19, v68
	s_lshr_b32 s21, s18, 1
	v_and_or_b32 v109, s20, 16, v39
	s_wait_alu 0xfffe
	s_add_co_i32 s20, s21, 0x8200
	v_add_nc_u32_e32 v110, s19, v64
	ds_load_b128 v[82:85], v108 offset:34
	ds_load_b64 v[90:91], v108 offset:50
	s_wait_alu 0xfffe
	v_add3_u32 v86, s20, v20, v72
	v_lshlrev_b32_e32 v111, 2, v109
	v_add_nc_u32_e32 v126, s19, v65
	v_add_nc_u32_e32 v127, s19, v67
	s_add_co_i32 s19, s18, 8
	s_cmp_lt_u32 s18, 24
	s_wait_alu 0xfffe
	s_mov_b32 s18, s19
	s_wait_dscnt 0x1
	v_ashrrev_i32_e32 v112, 24, v85
	v_bfe_i32 v113, v85, 16, 8
	v_ashrrev_i32_e32 v114, 24, v83
	v_bfe_i32 v115, v83, 0, 8
	v_bfe_i32 v116, v84, 8, 8
	;; [unrolled: 1-line block ×5, first 2 shown]
	v_perm_b32 v120, v85, v82, 0xc0c0402
	v_perm_b32 v121, v84, v82, 0xc0c0600
	;; [unrolled: 1-line block ×4, first 2 shown]
	ds_load_2addr_b32 v[92:93], v110 offset0:12 offset1:13
	ds_load_b32 v124, v86
	ds_load_2addr_b32 v[94:95], v110 offset0:14 offset1:15
	ds_load_b128 v[82:85], v111 offset:35440
	ds_load_b128 v[86:89], v111 offset:35424
	s_wait_dscnt 0x1
	v_perm_b32 v96, v92, v84, 0x6040501
	v_perm_b32 v97, v82, v94, 0x6040501
	;; [unrolled: 1-line block ×3, first 2 shown]
	v_bfe_i32 v131, v84, 8, 8
	v_bfe_i32 v132, v83, 16, 8
	v_ashrrev_i32_e32 v133, 24, v84
	v_dot4_i32_iu8 v96, v97, v96, 0 neg_lo:[1,1,0]
	v_perm_b32 v97, v93, v82, 0x6040503
	v_perm_b32 v93, v94, v93, 0x7060403
	v_bfe_i32 v134, v84, 16, 8
	v_bfe_i32 v135, v84, 0, 8
	v_ashrrev_i32_e32 v136, 24, v83
	v_dot4_i32_iu8 v92, v97, v92, v96 neg_lo:[1,1,0]
	v_add3_u32 v96, s20, v21, v73
	v_bfe_i32 v137, v82, 8, 8
	v_bfe_i32 v138, v82, 0, 8
	v_perm_b32 v139, v85, v83, 0xc0c0600
	v_perm_b32 v140, v85, v82, 0xc0c0402
	ds_load_b32 v125, v96
	ds_load_2addr_b32 v[96:97], v126 offset0:12 offset1:13
	ds_load_2addr_b32 v[98:99], v126 offset0:14 offset1:15
	;; [unrolled: 1-line block ×3, first 2 shown]
	v_perm_b32 v141, v85, v83, 0xc0c0701
	v_perm_b32 v142, v85, v82, 0xc0c0503
	s_wait_dscnt 0x4
	v_bfe_i32 v146, v88, 8, 8
	v_bfe_i32 v147, v87, 16, 8
	v_ashrrev_i32_e32 v148, 24, v88
	v_bfe_i32 v149, v88, 16, 8
	v_bfe_i32 v150, v88, 0, 8
	v_ashrrev_i32_e32 v151, 24, v87
	v_bfe_i32 v152, v86, 8, 8
	v_bfe_i32 v153, v86, 0, 8
	v_perm_b32 v154, v89, v87, 0xc0c0600
	v_perm_b32 v155, v89, v86, 0xc0c0402
	;; [unrolled: 1-line block ×4, first 2 shown]
	s_wait_dscnt 0x2
	v_perm_b32 v102, v96, v84, 0x6040501
	s_wait_dscnt 0x1
	v_perm_b32 v103, v82, v98, 0x6040501
	v_perm_b32 v96, v83, v96, 0x6040503
	;; [unrolled: 1-line block ×3, first 2 shown]
	s_delay_alu instid0(VALU_DEP_3) | instskip(SKIP_2) | instid1(VALU_DEP_2)
	v_dot4_i32_iu8 v102, v103, v102, 0 neg_lo:[1,1,0]
	v_perm_b32 v103, v97, v82, 0x6040503
	v_perm_b32 v97, v84, v83, 0x7060403
	v_dot4_i32_iu8 v96, v103, v96, v102 neg_lo:[1,1,0]
	ds_load_2addr_b32 v[102:103], v127 offset0:12 offset1:13
	ds_load_2addr_b32 v[104:105], v127 offset0:14 offset1:15
	;; [unrolled: 1-line block ×3, first 2 shown]
	v_dot4_i32_iu8 v92, v97, v93, v92 neg_lo:[1,1,0]
	v_dot4_i32_iu8 v93, v97, v94, v96 neg_lo:[1,1,0]
	s_wait_dscnt 0x2
	v_perm_b32 v128, v102, v84, 0x6040501
	s_wait_dscnt 0x1
	v_perm_b32 v129, v82, v104, 0x6040501
	v_perm_b32 v102, v83, v102, 0x6040503
	s_delay_alu instid0(VALU_DEP_2) | instskip(SKIP_2) | instid1(VALU_DEP_2)
	v_dot4_i32_iu8 v128, v129, v128, 0 neg_lo:[1,1,0]
	v_perm_b32 v129, v103, v82, 0x6040503
	v_perm_b32 v103, v104, v103, 0x7060403
	v_dot4_i32_iu8 v102, v129, v102, v128 neg_lo:[1,1,0]
	v_dot4_i32_iu8 v128, v85, v95, v92 neg_lo:[1,1,0]
	;; [unrolled: 1-line block ×3, first 2 shown]
	v_perm_b32 v99, v86, v100, 0x6040501
	s_delay_alu instid0(VALU_DEP_4) | instskip(SKIP_2) | instid1(VALU_DEP_2)
	v_dot4_i32_iu8 v94, v97, v103, v102 neg_lo:[1,1,0]
	s_wait_dscnt 0x0
	v_perm_b32 v103, v86, v106, 0x6040501
	v_dot4_i32_iu8 v130, v85, v105, v94 neg_lo:[1,1,0]
	ds_load_2addr_b32 v[82:83], v110 offset0:8 offset1:9
	ds_load_2addr_b32 v[84:85], v110 offset0:10 offset1:11
	;; [unrolled: 1-line block ×3, first 2 shown]
	s_wait_dscnt 0x2
	v_perm_b32 v94, v82, v88, 0x6040501
	s_wait_dscnt 0x1
	v_perm_b32 v95, v86, v84, 0x6040501
	v_perm_b32 v82, v87, v82, 0x6040503
	s_delay_alu instid0(VALU_DEP_2) | instskip(SKIP_2) | instid1(VALU_DEP_2)
	v_dot4_i32_iu8 v94, v95, v94, 0 neg_lo:[1,1,0]
	v_perm_b32 v95, v83, v86, 0x6040503
	v_perm_b32 v83, v84, v83, 0x7060403
	v_dot4_i32_iu8 v82, v95, v82, v94 neg_lo:[1,1,0]
	ds_load_2addr_b32 v[94:95], v126 offset0:8 offset1:9
	ds_load_2addr_b32 v[96:97], v126 offset0:6 offset1:7
	s_wait_dscnt 0x1
	v_perm_b32 v98, v94, v88, 0x6040501
	v_perm_b32 v94, v87, v94, 0x6040503
	s_delay_alu instid0(VALU_DEP_2) | instskip(SKIP_2) | instid1(VALU_DEP_2)
	v_dot4_i32_iu8 v98, v99, v98, 0 neg_lo:[1,1,0]
	v_perm_b32 v99, v95, v86, 0x6040503
	v_perm_b32 v95, v100, v95, 0x7060403
	v_dot4_i32_iu8 v94, v99, v94, v98 neg_lo:[1,1,0]
	ds_load_2addr_b32 v[98:99], v127 offset0:8 offset1:9
	s_wait_dscnt 0x0
	v_perm_b32 v102, v98, v88, 0x6040501
	v_perm_b32 v98, v87, v98, 0x6040503
	;; [unrolled: 1-line block ×3, first 2 shown]
	s_delay_alu instid0(VALU_DEP_3) | instskip(SKIP_2) | instid1(VALU_DEP_2)
	v_dot4_i32_iu8 v102, v103, v102, 0 neg_lo:[1,1,0]
	v_perm_b32 v103, v99, v86, 0x6040503
	v_perm_b32 v99, v88, v87, 0x7060403
	v_dot4_i32_iu8 v98, v103, v98, v102 neg_lo:[1,1,0]
	s_delay_alu instid0(VALU_DEP_2)
	v_dot4_i32_iu8 v82, v99, v83, v82 neg_lo:[1,1,0]
	v_dot4_i32_iu8 v83, v99, v95, v94 neg_lo:[1,1,0]
	ds_load_2addr_b32 v[94:95], v110 offset0:4 offset1:5
	v_dot4_i32_iu8 v84, v99, v84, v98 neg_lo:[1,1,0]
	v_dot4_i32_iu8 v143, v89, v85, v82 neg_lo:[1,1,0]
	;; [unrolled: 1-line block ×3, first 2 shown]
	s_delay_alu instid0(VALU_DEP_3)
	v_dot4_i32_iu8 v145, v89, v107, v84 neg_lo:[1,1,0]
	ds_load_b128 v[82:85], v111 offset:35408
	ds_load_b128 v[86:89], v111 offset:35392
	s_wait_dscnt 0x2
	v_perm_b32 v98, v94, v92, 0x6050401
	v_perm_b32 v92, v92, v95, 0x7060403
	s_wait_dscnt 0x1
	v_perm_b32 v111, v82, v84, 0x6050401
	v_perm_b32 v99, v95, v82, 0x6040503
	;; [unrolled: 1-line block ×3, first 2 shown]
	v_bfe_i32 v166, v82, 8, 8
	v_bfe_i32 v167, v82, 0, 8
	v_dot4_i32_iu8 v98, v98, v111, 0 neg_lo:[1,1,0]
	v_ashrrev_i32_e32 v159, 24, v83
	v_bfe_i32 v160, v83, 0, 8
	v_bfe_i32 v161, v83, 16, 8
	;; [unrolled: 1-line block ×3, first 2 shown]
	v_dot4_i32_iu8 v94, v94, v99, v98 neg_lo:[1,1,0]
	ds_load_2addr_b32 v[98:99], v126 offset0:4 offset1:5
	ds_load_2addr_b32 v[100:101], v126 offset0:2 offset1:3
	v_bfe_i32 v163, v85, 0, 8
	v_ashrrev_i32_e32 v164, 24, v84
	v_bfe_i32 v165, v84, 16, 8
	s_wait_dscnt 0x2
	v_bfe_i32 v169, v87, 0, 8
	v_bfe_i32 v170, v87, 16, 8
	v_ashrrev_i32_e32 v173, 24, v88
	v_bfe_i32 v174, v88, 16, 8
	v_bfe_i32 v175, v86, 8, 8
	;; [unrolled: 1-line block ×5, first 2 shown]
	s_wait_dscnt 0x1
	v_perm_b32 v102, v98, v96, 0x6050401
	v_perm_b32 v103, v99, v82, 0x6040503
	v_perm_b32 v98, v83, v98, 0x6040503
	v_perm_b32 v95, v96, v99, 0x7060403
	v_perm_b32 v99, v84, v83, 0x7060403
	v_dot4_i32_iu8 v102, v102, v111, 0 neg_lo:[1,1,0]
	s_delay_alu instid0(VALU_DEP_2) | instskip(NEXT) | instid1(VALU_DEP_2)
	v_dot4_i32_iu8 v92, v99, v92, v94 neg_lo:[1,1,0]
	v_dot4_i32_iu8 v98, v98, v103, v102 neg_lo:[1,1,0]
	ds_load_2addr_b32 v[102:103], v127 offset0:6 offset1:7
	ds_load_2addr_b32 v[104:105], v127 offset0:4 offset1:5
	;; [unrolled: 1-line block ×3, first 2 shown]
	v_dot4_i32_iu8 v94, v99, v95, v98 neg_lo:[1,1,0]
	s_delay_alu instid0(VALU_DEP_1)
	v_dot4_i32_iu8 v97, v97, v85, v94 neg_lo:[1,1,0]
	s_wait_dscnt 0x1
	v_perm_b32 v158, v104, v102, 0x6050401
	v_perm_b32 v104, v83, v104, 0x6040503
	;; [unrolled: 1-line block ×3, first 2 shown]
	v_bfe_i32 v102, v84, 8, 8
	s_delay_alu instid0(VALU_DEP_4) | instskip(SKIP_2) | instid1(VALU_DEP_2)
	v_dot4_i32_iu8 v111, v158, v111, 0 neg_lo:[1,1,0]
	v_perm_b32 v158, v105, v82, 0x6040503
	v_bfe_i32 v105, v84, 0, 8
	v_dot4_i32_iu8 v104, v104, v158, v111 neg_lo:[1,1,0]
	v_bfe_i32 v111, v85, 16, 8
	v_ashrrev_i32_e32 v158, 24, v85
	s_delay_alu instid0(VALU_DEP_3) | instskip(SKIP_3) | instid1(VALU_DEP_4)
	v_dot4_i32_iu8 v95, v99, v96, v104 neg_lo:[1,1,0]
	v_ashrrev_i32_e32 v104, 24, v82
	v_dot4_i32_iu8 v96, v93, v85, v92 neg_lo:[1,1,0]
	v_lshrrev_b16 v99, 8, v83
	v_dot4_i32_iu8 v98, v103, v85, v95 neg_lo:[1,1,0]
	v_bfe_i32 v103, v82, 16, 8
	v_add3_u32 v82, s20, v75, v76
	ds_load_b32 v168, v82
	ds_load_2addr_b32 v[82:83], v110 offset0:2 offset1:3
	ds_load_2addr_b32 v[84:85], v110 offset1:1
	v_perm_b32 v110, v86, v88, 0x6050401
	v_bfe_i32 v99, v99, 0, 8
	s_wait_dscnt 0x0
	v_perm_b32 v92, v84, v82, 0x6050401
	v_perm_b32 v93, v85, v86, 0x6040503
	;; [unrolled: 1-line block ×4, first 2 shown]
	s_delay_alu instid0(VALU_DEP_4) | instskip(NEXT) | instid1(VALU_DEP_1)
	v_dot4_i32_iu8 v92, v92, v110, 0 neg_lo:[1,1,0]
	v_dot4_i32_iu8 v84, v84, v93, v92 neg_lo:[1,1,0]
	ds_load_2addr_b32 v[92:93], v126 offset1:1
	s_wait_dscnt 0x0
	v_perm_b32 v94, v92, v100, 0x6050401
	v_perm_b32 v95, v93, v86, 0x6040503
	;; [unrolled: 1-line block ×4, first 2 shown]
	v_bfe_i32 v100, v88, 8, 8
	v_dot4_i32_iu8 v94, v94, v110, 0 neg_lo:[1,1,0]
	s_delay_alu instid0(VALU_DEP_1)
	v_dot4_i32_iu8 v92, v92, v95, v94 neg_lo:[1,1,0]
	ds_load_2addr_b32 v[94:95], v127 offset1:1
	v_ashrrev_i32_e32 v127, 24, v87
	s_wait_dscnt 0x0
	v_perm_b32 v126, v94, v106, 0x6050401
	v_perm_b32 v93, v106, v95, 0x7060403
	;; [unrolled: 1-line block ×3, first 2 shown]
	v_ashrrev_i32_e32 v106, 24, v86
	s_delay_alu instid0(VALU_DEP_4) | instskip(SKIP_2) | instid1(VALU_DEP_2)
	v_dot4_i32_iu8 v110, v126, v110, 0 neg_lo:[1,1,0]
	v_perm_b32 v126, v95, v86, 0x6040503
	v_perm_b32 v95, v88, v87, 0x7060403
	v_dot4_i32_iu8 v94, v94, v126, v110 neg_lo:[1,1,0]
	s_delay_alu instid0(VALU_DEP_2)
	v_dot4_i32_iu8 v82, v95, v82, v84 neg_lo:[1,1,0]
	v_dot4_i32_iu8 v84, v95, v85, v92 neg_lo:[1,1,0]
	v_bfe_i32 v110, v89, 16, 8
	v_ashrrev_i32_e32 v126, 24, v89
	v_dot4_i32_iu8 v85, v95, v93, v94 neg_lo:[1,1,0]
	v_dot4_i32_iu8 v92, v83, v89, v82 neg_lo:[1,1,0]
	ds_load_u16 v82, v108 offset:58
	ds_load_b32 v83, v108 offset:60
	v_dot4_i32_iu8 v93, v101, v89, v84 neg_lo:[1,1,0]
	v_lshrrev_b16 v95, 8, v87
	v_dot4_i32_iu8 v94, v107, v89, v85 neg_lo:[1,1,0]
	v_bfe_i32 v101, v86, 16, 8
	v_bfe_i32 v107, v88, 0, 8
	s_delay_alu instid0(VALU_DEP_4)
	v_bfe_i32 v95, v95, 0, 8
	s_wait_dscnt 0x1
	v_bfe_i32 v84, v82, 0, 8
	s_wait_dscnt 0x0
	v_perm_b32 v85, v83, v90, 0xc0c0602
	v_lshrrev_b16 v82, 8, v82
	s_delay_alu instid0(VALU_DEP_3) | instskip(NEXT) | instid1(VALU_DEP_2)
	v_mul_i32_i24_e32 v84, v84, v134
	v_bfe_i32 v82, v82, 0, 8
	s_delay_alu instid0(VALU_DEP_2) | instskip(SKIP_2) | instid1(VALU_DEP_4)
	v_dot4_i32_iu8 v134, v85, v139, v84 neg_lo:[1,1,0]
	v_bfe_i32 v84, v91, 8, 8
	v_perm_b32 v85, v83, v90, 0xc0c0400
	v_mul_i32_i24_e32 v82, v82, v133
	s_delay_alu instid0(VALU_DEP_3) | instskip(NEXT) | instid1(VALU_DEP_1)
	v_mul_i32_i24_e32 v84, v84, v136
	v_dot4_i32_iu8 v136, v85, v140, v84 neg_lo:[1,1,0]
	v_perm_b32 v84, v83, v90, 0xc0c0703
	v_perm_b32 v83, v83, v90, 0xc0c0501
	s_delay_alu instid0(VALU_DEP_2) | instskip(SKIP_1) | instid1(VALU_DEP_1)
	v_dot4_i32_iu8 v133, v84, v141, v82 neg_lo:[1,1,0]
	v_bfe_i32 v82, v91, 16, 8
	v_mul_i32_i24_e32 v82, v82, v135
	s_delay_alu instid0(VALU_DEP_1) | instskip(SKIP_3) | instid1(VALU_DEP_4)
	v_dot4_i32_iu8 v90, v83, v142, v82 neg_lo:[1,1,0]
	v_mul_i32_i24_e32 v82, v113, v138
	v_ashrrev_i32_e32 v83, 24, v91
	v_bfe_i32 v91, v91, 0, 8
	v_add_nc_u32_e32 v90, v90, v133
	s_delay_alu instid0(VALU_DEP_3) | instskip(SKIP_1) | instid1(VALU_DEP_4)
	v_mad_i32_i24 v113, v83, v131, v82
	v_mul_i32_i24_e32 v82, v117, v149
	v_mul_i32_i24_e32 v91, v91, v132
	s_delay_alu instid0(VALU_DEP_2) | instskip(SKIP_1) | instid1(VALU_DEP_1)
	v_dot4_i32_iu8 v117, v120, v154, v82 neg_lo:[1,1,0]
	v_mul_i32_i24_e32 v82, v119, v151
	v_dot4_i32_iu8 v119, v121, v155, v82 neg_lo:[1,1,0]
	v_mul_i32_i24_e32 v82, v116, v148
	s_delay_alu instid0(VALU_DEP_1) | instskip(SKIP_1) | instid1(VALU_DEP_1)
	v_dot4_i32_iu8 v116, v122, v156, v82 neg_lo:[1,1,0]
	v_mul_i32_i24_e32 v82, v118, v150
	v_dot4_i32_iu8 v118, v123, v157, v82 neg_lo:[1,1,0]
	ds_load_u16 v120, v108 offset:32
	ds_load_2addr_b32 v[82:83], v108 offset0:6 offset1:7
	s_wait_dscnt 0x1
	v_bfe_i32 v84, v120, 0, 8
	s_delay_alu instid0(VALU_DEP_1) | instskip(NEXT) | instid1(VALU_DEP_1)
	v_mul_i32_i24_e32 v84, v84, v153
	v_mad_i32_i24 v114, v114, v146, v84
	s_wait_dscnt 0x0
	v_bfe_i32 v84, v83, 0, 8
	s_delay_alu instid0(VALU_DEP_1) | instskip(SKIP_4) | instid1(VALU_DEP_1)
	v_mul_i32_i24_e32 v88, v84, v163
	ds_load_2addr_b32 v[84:85], v108 offset0:4 offset1:5
	ds_load_2addr_b32 v[86:87], v108 offset0:2 offset1:3
	s_wait_dscnt 0x1
	v_bfe_i32 v89, v85, 16, 8
	v_mad_i32_i24 v121, v89, v161, v88
	v_bfe_i32 v88, v82, 16, 8
	v_bfe_i32 v89, v85, 0, 8
	s_delay_alu instid0(VALU_DEP_2) | instskip(NEXT) | instid1(VALU_DEP_1)
	v_mul_i32_i24_e32 v88, v88, v165
	v_mad_i32_i24 v122, v89, v160, v88
	v_bfe_i32 v88, v83, 8, 8
	v_ashrrev_i32_e32 v89, 24, v85
	v_lshrrev_b16 v85, 8, v85
	s_delay_alu instid0(VALU_DEP_3) | instskip(NEXT) | instid1(VALU_DEP_2)
	v_mul_i32_i24_e32 v88, v88, v162
	v_bfe_i32 v85, v85, 0, 8
	s_delay_alu instid0(VALU_DEP_2) | instskip(SKIP_2) | instid1(VALU_DEP_4)
	v_mad_i32_i24 v123, v89, v159, v88
	v_bfe_i32 v88, v84, 8, 8
	v_bfe_i32 v89, v82, 8, 8
	v_mul_i32_i24_e32 v85, v85, v99
	v_ashrrev_i32_e32 v99, 24, v84
	s_delay_alu instid0(VALU_DEP_4) | instskip(NEXT) | instid1(VALU_DEP_2)
	v_mul_i32_i24_e32 v88, v88, v166
	v_mul_i32_i24_e32 v99, v99, v104
	s_delay_alu instid0(VALU_DEP_2) | instskip(SKIP_4) | instid1(VALU_DEP_4)
	v_mad_i32_i24 v102, v89, v102, v88
	v_bfe_i32 v88, v83, 16, 8
	v_bfe_i32 v89, v82, 0, 8
	v_ashrrev_i32_e32 v82, 24, v82
	v_ashrrev_i32_e32 v83, 24, v83
	v_mul_i32_i24_e32 v88, v88, v111
	v_add3_u32 v111, s20, v77, v74
	s_delay_alu instid0(VALU_DEP_4) | instskip(NEXT) | instid1(VALU_DEP_4)
	v_mul_i32_i24_e32 v82, v82, v164
	v_mul_i32_i24_e32 v83, v83, v158
	s_delay_alu instid0(VALU_DEP_4)
	v_mad_i32_i24 v105, v89, v105, v88
	ds_load_2addr_b32 v[88:89], v108 offset1:1
	s_wait_dscnt 0x1
	v_bfe_i32 v108, v87, 0, 8
	v_add3_u32 v82, v85, v82, v123
	v_bfe_i32 v85, v84, 16, 8
	v_bfe_i32 v84, v84, 0, 8
	ds_load_b32 v111, v111
	v_mul_i32_i24_e32 v108, v108, v172
	v_add3_u32 v82, v122, v121, v82
	v_mul_i32_i24_e32 v85, v85, v103
	v_mul_i32_i24_e32 v84, v84, v167
	s_delay_alu instid0(VALU_DEP_2) | instskip(SKIP_1) | instid1(VALU_DEP_3)
	v_add3_u32 v85, v85, v99, v105
	v_add_nc_u32_e32 v99, v136, v134
	v_add3_u32 v82, v82, v84, v102
	s_wait_dscnt 0x1
	v_bfe_i32 v131, v89, 16, 8
	v_bfe_i32 v135, v89, 0, 8
	v_ashrrev_i32_e32 v138, 24, v89
	v_lshrrev_b16 v89, 8, v89
	v_bfe_i32 v84, v88, 0, 8
	v_mad_i32_i24 v108, v131, v170, v108
	v_bfe_i32 v131, v86, 16, 8
	s_delay_alu instid0(VALU_DEP_4) | instskip(NEXT) | instid1(VALU_DEP_4)
	v_bfe_i32 v89, v89, 0, 8
	v_mul_i32_i24_e32 v84, v84, v176
	s_delay_alu instid0(VALU_DEP_3) | instskip(NEXT) | instid1(VALU_DEP_3)
	v_mul_i32_i24_e32 v131, v131, v174
	v_mul_i32_i24_e32 v89, v89, v95
	v_ashrrev_i32_e32 v95, 24, v88
	s_delay_alu instid0(VALU_DEP_3) | instskip(SKIP_1) | instid1(VALU_DEP_3)
	v_mad_i32_i24 v131, v135, v169, v131
	v_bfe_i32 v135, v87, 8, 8
	v_mul_i32_i24_e32 v95, v95, v106
	s_delay_alu instid0(VALU_DEP_2) | instskip(NEXT) | instid1(VALU_DEP_1)
	v_mul_i32_i24_e32 v135, v135, v171
	v_mad_i32_i24 v127, v138, v127, v135
	v_bfe_i32 v135, v88, 8, 8
	v_bfe_i32 v138, v86, 8, 8
	s_delay_alu instid0(VALU_DEP_2) | instskip(NEXT) | instid1(VALU_DEP_1)
	v_mul_i32_i24_e32 v135, v135, v175
	v_mad_i32_i24 v100, v138, v100, v135
	v_bfe_i32 v135, v87, 16, 8
	s_delay_alu instid0(VALU_DEP_1) | instskip(SKIP_2) | instid1(VALU_DEP_2)
	v_mul_i32_i24_e32 v110, v135, v110
	v_bfe_i32 v135, v86, 0, 8
	v_ashrrev_i32_e32 v86, 24, v86
	v_mad_i32_i24 v107, v135, v107, v110
	s_delay_alu instid0(VALU_DEP_2) | instskip(NEXT) | instid1(VALU_DEP_1)
	v_mul_i32_i24_e32 v86, v86, v173
	v_add3_u32 v86, v89, v86, v127
	v_bfe_i32 v89, v88, 16, 8
	v_bfe_i32 v88, v168, 0, 8
	s_delay_alu instid0(VALU_DEP_3) | instskip(NEXT) | instid1(VALU_DEP_3)
	v_add3_u32 v86, v131, v108, v86
	v_mul_i32_i24_e32 v89, v89, v101
	v_add_nc_u32_e32 v101, v119, v117
	s_delay_alu instid0(VALU_DEP_3) | instskip(NEXT) | instid1(VALU_DEP_3)
	v_add3_u32 v84, v86, v84, v100
	v_add3_u32 v89, v89, v95, v107
	v_mul_i32_i24_e32 v95, v112, v137
	v_ashrrev_i32_e32 v86, 24, v124
	s_delay_alu instid0(VALU_DEP_2) | instskip(SKIP_2) | instid1(VALU_DEP_2)
	v_add3_u32 v90, v99, v90, v95
	v_lshrrev_b16 v95, 8, v120
	v_add_nc_u32_e32 v99, v118, v116
	v_bfe_i32 v95, v95, 0, 8
	s_delay_alu instid0(VALU_DEP_1) | instskip(NEXT) | instid1(VALU_DEP_1)
	v_mul_i32_i24_e32 v95, v95, v152
	v_add3_u32 v95, v101, v99, v95
	v_add3_u32 v99, v90, v113, v91
	v_mul_i32_i24_e32 v90, v115, v147
	s_delay_alu instid0(VALU_DEP_1)
	v_add3_u32 v91, v95, v114, v90
	v_add3_u32 v95, v82, v85, v83
	v_ashrrev_i32_e32 v82, 24, v87
	v_ashrrev_i32_e32 v85, 24, v168
	;; [unrolled: 1-line block ×3, first 2 shown]
	v_bfe_i32 v90, v125, 0, 8
	s_delay_alu instid0(VALU_DEP_4) | instskip(NEXT) | instid1(VALU_DEP_1)
	v_mul_i32_i24_e32 v82, v82, v126
	v_add3_u32 v100, v84, v89, v82
	v_bfe_i32 v84, v168, 16, 8
	v_bfe_i32 v89, v124, 0, 8
	v_lshrrev_b32_e32 v82, 1, v109
	s_delay_alu instid0(VALU_DEP_3) | instskip(SKIP_3) | instid1(VALU_DEP_1)
	v_mul_lo_u32 v84, v143, v84
	ds_load_b64 v[82:83], v82 offset:36944
	v_mad_co_u64_u32 v[84:85], null, v128, v85, v[84:85]
	v_bfe_i32 v85, v124, 16, 8
	v_mul_lo_u32 v85, v144, v85
	s_delay_alu instid0(VALU_DEP_3) | instskip(NEXT) | instid1(VALU_DEP_2)
	v_cvt_f32_i32_e32 v84, v84
	v_mad_co_u64_u32 v[85:86], null, v129, v86, v[85:86]
	v_bfe_i32 v86, v125, 16, 8
	s_delay_alu instid0(VALU_DEP_1) | instskip(NEXT) | instid1(VALU_DEP_3)
	v_mul_lo_u32 v86, v145, v86
	v_cvt_f32_i32_e32 v85, v85
	s_delay_alu instid0(VALU_DEP_2) | instskip(SKIP_1) | instid1(VALU_DEP_1)
	v_mad_co_u64_u32 v[86:87], null, v130, v87, v[86:87]
	v_bfe_i32 v87, v168, 8, 8
	v_mul_lo_u32 v87, v96, v87
	s_wait_dscnt 0x1
	v_bfe_i32 v96, v111, 0, 8
	s_delay_alu instid0(VALU_DEP_4) | instskip(NEXT) | instid1(VALU_DEP_3)
	v_cvt_f32_i32_e32 v86, v86
	v_mad_co_u64_u32 v[87:88], null, v92, v88, v[87:88]
	v_bfe_i32 v88, v124, 8, 8
	v_bfe_i32 v92, v111, 8, 8
	s_delay_alu instid0(VALU_DEP_2) | instskip(NEXT) | instid1(VALU_DEP_4)
	v_mul_lo_u32 v88, v97, v88
	v_cvt_f32_i32_e32 v87, v87
	s_wait_dscnt 0x0
	s_delay_alu instid0(VALU_DEP_1) | instskip(NEXT) | instid1(VALU_DEP_3)
	v_fma_f32 v87, v82, v87, 0
	v_mad_co_u64_u32 v[88:89], null, v93, v89, v[88:89]
	v_bfe_i32 v89, v125, 8, 8
	v_bfe_i32 v93, v111, 16, 8
	s_delay_alu instid0(VALU_DEP_4) | instskip(NEXT) | instid1(VALU_DEP_3)
	v_fmac_f32_e32 v87, v83, v84
	v_mul_lo_u32 v89, v98, v89
	s_delay_alu instid0(VALU_DEP_3) | instskip(SKIP_1) | instid1(VALU_DEP_4)
	v_mul_lo_u32 v91, v91, v93
	v_cvt_f32_i32_e32 v88, v88
	v_fmac_f32_e32 v24, v78, v87
	s_delay_alu instid0(VALU_DEP_2) | instskip(SKIP_3) | instid1(VALU_DEP_4)
	v_fma_f32 v88, v82, v88, 0
	v_mad_co_u64_u32 v[89:90], null, v94, v90, v[89:90]
	v_mul_lo_u32 v90, v95, v92
	v_ashrrev_i32_e32 v94, 24, v111
	v_fmac_f32_e32 v88, v83, v85
	s_delay_alu instid0(VALU_DEP_4) | instskip(NEXT) | instid1(VALU_DEP_2)
	v_cvt_f32_i32_e32 v89, v89
	v_fmac_f32_e32 v53, v79, v88
	v_mad_co_u64_u32 v[92:93], null, v100, v96, v[90:91]
	s_delay_alu instid0(VALU_DEP_3) | instskip(NEXT) | instid1(VALU_DEP_2)
	v_fma_f32 v89, v82, v89, 0
	v_mad_co_u64_u32 v[90:91], null, v99, v94, v[91:92]
	v_cvt_f32_i32_e32 v91, v92
	s_delay_alu instid0(VALU_DEP_3) | instskip(NEXT) | instid1(VALU_DEP_2)
	v_fmac_f32_e32 v89, v83, v86
	v_fma_f32 v82, v82, v91, 0
	s_delay_alu instid0(VALU_DEP_4) | instskip(NEXT) | instid1(VALU_DEP_3)
	v_cvt_f32_i32_e32 v90, v90
	v_fmac_f32_e32 v48, v80, v89
	s_delay_alu instid0(VALU_DEP_2) | instskip(NEXT) | instid1(VALU_DEP_1)
	v_fmac_f32_e32 v82, v83, v90
	v_fmac_f32_e32 v16, v81, v82
	s_cbranch_scc1 .LBB216_19
; %bb.20:                               ;   in Loop: Header=BB216_5 Depth=1
	s_wait_loadcnt 0x0
	s_barrier_signal -1
	s_barrier_wait -1
	global_inv scope:SCOPE_SE
	s_branch .LBB216_4
.LBB216_21:
	s_mul_i32 s0, s10, s7
	s_wait_loadcnt 0x0
	s_wait_alu 0xfffe
	v_cmp_gt_i32_e32 vcc_lo, s0, v22
	s_and_saveexec_b32 s0, vcc_lo
	s_cbranch_execz .LBB216_30
; %bb.22:
	v_mul_lo_u32 v0, v22, s9
	v_add_nc_u32_e32 v1, s11, v23
	s_mov_b32 s0, exec_lo
	s_delay_alu instid0(VALU_DEP_1)
	v_cmpx_gt_u32_e64 s9, v1
	s_cbranch_execz .LBB216_24
; %bb.23:
	s_delay_alu instid0(VALU_DEP_3) | instskip(SKIP_1) | instid1(VALU_DEP_2)
	v_dual_mov_b32 v3, 0 :: v_dual_add_nc_u32 v2, v0, v1
	v_cvt_f16_f32_e32 v4, v24
	v_lshlrev_b64_e32 v[2:3], 1, v[2:3]
	s_delay_alu instid0(VALU_DEP_1) | instskip(SKIP_1) | instid1(VALU_DEP_2)
	v_add_co_u32 v2, vcc_lo, s12, v2
	s_wait_alu 0xfffd
	v_add_co_ci_u32_e64 v3, null, s13, v3, vcc_lo
	global_store_b16 v[2:3], v4, off
.LBB216_24:
	s_wait_alu 0xfffe
	s_or_b32 exec_lo, exec_lo, s0
	v_add_nc_u32_e32 v2, 32, v1
	s_mov_b32 s0, exec_lo
	s_delay_alu instid0(VALU_DEP_1)
	v_cmpx_gt_u32_e64 s9, v2
	s_cbranch_execz .LBB216_26
; %bb.25:
	v_dual_mov_b32 v3, 0 :: v_dual_add_nc_u32 v2, v0, v2
	v_cvt_f16_f32_e32 v4, v53
	s_delay_alu instid0(VALU_DEP_2) | instskip(NEXT) | instid1(VALU_DEP_1)
	v_lshlrev_b64_e32 v[2:3], 1, v[2:3]
	v_add_co_u32 v2, vcc_lo, s12, v2
	s_wait_alu 0xfffd
	s_delay_alu instid0(VALU_DEP_2)
	v_add_co_ci_u32_e64 v3, null, s13, v3, vcc_lo
	global_store_b16 v[2:3], v4, off
.LBB216_26:
	s_wait_alu 0xfffe
	s_or_b32 exec_lo, exec_lo, s0
	v_add_nc_u32_e32 v2, 64, v1
	s_mov_b32 s0, exec_lo
	s_delay_alu instid0(VALU_DEP_1)
	v_cmpx_gt_u32_e64 s9, v2
	s_cbranch_execz .LBB216_28
; %bb.27:
	v_dual_mov_b32 v3, 0 :: v_dual_add_nc_u32 v2, v0, v2
	v_cvt_f16_f32_e32 v4, v48
	s_delay_alu instid0(VALU_DEP_2) | instskip(NEXT) | instid1(VALU_DEP_1)
	v_lshlrev_b64_e32 v[2:3], 1, v[2:3]
	v_add_co_u32 v2, vcc_lo, s12, v2
	s_wait_alu 0xfffd
	s_delay_alu instid0(VALU_DEP_2)
	v_add_co_ci_u32_e64 v3, null, s13, v3, vcc_lo
	global_store_b16 v[2:3], v4, off
.LBB216_28:
	s_wait_alu 0xfffe
	s_or_b32 exec_lo, exec_lo, s0
	v_add_nc_u32_e32 v1, 0x60, v1
	s_delay_alu instid0(VALU_DEP_1)
	v_cmp_gt_u32_e32 vcc_lo, s9, v1
	s_and_b32 exec_lo, exec_lo, vcc_lo
	s_cbranch_execz .LBB216_30
; %bb.29:
	v_dual_mov_b32 v1, 0 :: v_dual_add_nc_u32 v0, v0, v1
	v_cvt_f16_f32_e32 v2, v16
	s_delay_alu instid0(VALU_DEP_2) | instskip(NEXT) | instid1(VALU_DEP_1)
	v_lshlrev_b64_e32 v[0:1], 1, v[0:1]
	v_add_co_u32 v0, vcc_lo, s12, v0
	s_wait_alu 0xfffd
	s_delay_alu instid0(VALU_DEP_2)
	v_add_co_ci_u32_e64 v1, null, s13, v1, vcc_lo
	global_store_b16 v[0:1], v2, off
.LBB216_30:
	s_nop 0
	s_sendmsg sendmsg(MSG_DEALLOC_VGPRS)
	s_endpgm
	.section	.rodata,"a",@progbits
	.p2align	6, 0x0
	.amdhsa_kernel _ZL8moe_q6_KIN3c104HalfELb1EEvPKvS3_PT_PKiS7_S7_iiiiiii
		.amdhsa_group_segment_fixed_size 37072
		.amdhsa_private_segment_fixed_size 0
		.amdhsa_kernarg_size 76
		.amdhsa_user_sgpr_count 2
		.amdhsa_user_sgpr_dispatch_ptr 0
		.amdhsa_user_sgpr_queue_ptr 0
		.amdhsa_user_sgpr_kernarg_segment_ptr 1
		.amdhsa_user_sgpr_dispatch_id 0
		.amdhsa_user_sgpr_private_segment_size 0
		.amdhsa_wavefront_size32 1
		.amdhsa_uses_dynamic_stack 0
		.amdhsa_enable_private_segment 0
		.amdhsa_system_sgpr_workgroup_id_x 1
		.amdhsa_system_sgpr_workgroup_id_y 1
		.amdhsa_system_sgpr_workgroup_id_z 0
		.amdhsa_system_sgpr_workgroup_info 0
		.amdhsa_system_vgpr_workitem_id 1
		.amdhsa_next_free_vgpr 217
		.amdhsa_next_free_sgpr 23
		.amdhsa_reserve_vcc 1
		.amdhsa_float_round_mode_32 0
		.amdhsa_float_round_mode_16_64 0
		.amdhsa_float_denorm_mode_32 3
		.amdhsa_float_denorm_mode_16_64 3
		.amdhsa_fp16_overflow 0
		.amdhsa_workgroup_processor_mode 1
		.amdhsa_memory_ordered 1
		.amdhsa_forward_progress 1
		.amdhsa_inst_pref_size 127
		.amdhsa_round_robin_scheduling 0
		.amdhsa_exception_fp_ieee_invalid_op 0
		.amdhsa_exception_fp_denorm_src 0
		.amdhsa_exception_fp_ieee_div_zero 0
		.amdhsa_exception_fp_ieee_overflow 0
		.amdhsa_exception_fp_ieee_underflow 0
		.amdhsa_exception_fp_ieee_inexact 0
		.amdhsa_exception_int_div_zero 0
	.end_amdhsa_kernel
	.section	.text._ZL8moe_q6_KIN3c104HalfELb1EEvPKvS3_PT_PKiS7_S7_iiiiiii,"axG",@progbits,_ZL8moe_q6_KIN3c104HalfELb1EEvPKvS3_PT_PKiS7_S7_iiiiiii,comdat
.Lfunc_end216:
	.size	_ZL8moe_q6_KIN3c104HalfELb1EEvPKvS3_PT_PKiS7_S7_iiiiiii, .Lfunc_end216-_ZL8moe_q6_KIN3c104HalfELb1EEvPKvS3_PT_PKiS7_S7_iiiiiii
                                        ; -- End function
	.set _ZL8moe_q6_KIN3c104HalfELb1EEvPKvS3_PT_PKiS7_S7_iiiiiii.num_vgpr, 178
	.set _ZL8moe_q6_KIN3c104HalfELb1EEvPKvS3_PT_PKiS7_S7_iiiiiii.num_agpr, 0
	.set _ZL8moe_q6_KIN3c104HalfELb1EEvPKvS3_PT_PKiS7_S7_iiiiiii.numbered_sgpr, 23
	.set _ZL8moe_q6_KIN3c104HalfELb1EEvPKvS3_PT_PKiS7_S7_iiiiiii.num_named_barrier, 0
	.set _ZL8moe_q6_KIN3c104HalfELb1EEvPKvS3_PT_PKiS7_S7_iiiiiii.private_seg_size, 0
	.set _ZL8moe_q6_KIN3c104HalfELb1EEvPKvS3_PT_PKiS7_S7_iiiiiii.uses_vcc, 1
	.set _ZL8moe_q6_KIN3c104HalfELb1EEvPKvS3_PT_PKiS7_S7_iiiiiii.uses_flat_scratch, 0
	.set _ZL8moe_q6_KIN3c104HalfELb1EEvPKvS3_PT_PKiS7_S7_iiiiiii.has_dyn_sized_stack, 0
	.set _ZL8moe_q6_KIN3c104HalfELb1EEvPKvS3_PT_PKiS7_S7_iiiiiii.has_recursion, 0
	.set _ZL8moe_q6_KIN3c104HalfELb1EEvPKvS3_PT_PKiS7_S7_iiiiiii.has_indirect_call, 0
	.section	.AMDGPU.csdata,"",@progbits
; Kernel info:
; codeLenInByte = 16252
; TotalNumSgprs: 25
; NumVgprs: 178
; ScratchSize: 0
; MemoryBound: 0
; FloatMode: 240
; IeeeMode: 1
; LDSByteSize: 37072 bytes/workgroup (compile time only)
; SGPRBlocks: 0
; VGPRBlocks: 27
; NumSGPRsForWavesPerEU: 25
; NumVGPRsForWavesPerEU: 217
; Occupancy: 6
; WaveLimiterHint : 1
; COMPUTE_PGM_RSRC2:SCRATCH_EN: 0
; COMPUTE_PGM_RSRC2:USER_SGPR: 2
; COMPUTE_PGM_RSRC2:TRAP_HANDLER: 0
; COMPUTE_PGM_RSRC2:TGID_X_EN: 1
; COMPUTE_PGM_RSRC2:TGID_Y_EN: 1
; COMPUTE_PGM_RSRC2:TGID_Z_EN: 0
; COMPUTE_PGM_RSRC2:TIDIG_COMP_CNT: 1
	.section	.text._ZL8moe_q4_0IN3c108BFloat16ELb0EEvPKvS3_PT_PKiS7_S7_iiiiiii,"axG",@progbits,_ZL8moe_q4_0IN3c108BFloat16ELb0EEvPKvS3_PT_PKiS7_S7_iiiiiii,comdat
	.globl	_ZL8moe_q4_0IN3c108BFloat16ELb0EEvPKvS3_PT_PKiS7_S7_iiiiiii ; -- Begin function _ZL8moe_q4_0IN3c108BFloat16ELb0EEvPKvS3_PT_PKiS7_S7_iiiiiii
	.p2align	8
	.type	_ZL8moe_q4_0IN3c108BFloat16ELb0EEvPKvS3_PT_PKiS7_S7_iiiiiii,@function
_ZL8moe_q4_0IN3c108BFloat16ELb0EEvPKvS3_PT_PKiS7_S7_iiiiiii: ; @_ZL8moe_q4_0IN3c108BFloat16ELb0EEvPKvS3_PT_PKiS7_S7_iiiiiii
; %bb.0:
	s_load_b128 s[4:7], s[0:1], 0x18
	s_mov_b32 s2, ttmp7
	s_mov_b32 s3, 0
	s_delay_alu instid0(SALU_CYCLE_1)
	s_lshl_b64 s[2:3], s[2:3], 2
	s_wait_kmcnt 0x0
	s_add_nc_u64 s[2:3], s[6:7], s[2:3]
	s_load_b32 s12, s[2:3], 0x0
	s_wait_kmcnt 0x0
	s_cmp_gt_u32 s12, 0xff
	s_cbranch_scc1 .LBB217_30
; %bb.1:
	s_load_b64 s[2:3], s[0:1], 0x28
	s_wait_kmcnt 0x0
	s_load_b32 s3, s[2:3], 0x0
	s_lshl_b32 s2, ttmp7, 3
	s_wait_kmcnt 0x0
	s_cmp_gt_u32 s2, s3
	s_cbranch_scc1 .LBB217_30
; %bb.2:
	v_bfe_u32 v3, v0, 10, 10
	v_mov_b32_e32 v2, 0
	s_lshl_b32 s18, ttmp9, 7
	s_delay_alu instid0(VALU_DEP_2) | instskip(NEXT) | instid1(VALU_DEP_2)
	v_add_nc_u32_e32 v1, s2, v3
	v_dual_mov_b32 v51, v2 :: v_dual_and_b32 v16, 0x3ff, v0
	v_dual_mov_b32 v46, v2 :: v_dual_mov_b32 v17, v2
	s_delay_alu instid0(VALU_DEP_3) | instskip(NEXT) | instid1(VALU_DEP_1)
	v_lshlrev_b64_e32 v[4:5], 2, v[1:2]
	v_add_co_u32 v4, vcc_lo, s4, v4
	s_delay_alu instid0(VALU_DEP_1)
	v_add_co_ci_u32_e64 v5, null, s5, v5, vcc_lo
	global_load_b32 v15, v[4:5], off
	s_clause 0x2
	s_load_b64 s[10:11], s[0:1], 0x30
	s_load_b64 s[8:9], s[0:1], 0x10
	s_load_b128 s[4:7], s[0:1], 0x3c
	s_wait_kmcnt 0x0
	s_cmp_lt_i32 s11, 32
	s_cbranch_scc1 .LBB217_21
; %bb.3:
	s_abs_i32 s16, s7
	s_wait_loadcnt 0x0
	v_sub_nc_u32_e32 v2, 0, v15
	s_cvt_f32_u32 s17, s16
	s_sub_co_i32 s20, 0, s16
	s_ashr_i32 s2, s11, 31
	s_mul_i32 s12, s12, s10
	v_rcp_iflag_f32_e32 v6, s17
	v_max_i32_e32 v2, v15, v2
	s_wait_alu 0xfffe
	s_lshr_b32 s13, s2, 27
	v_bfe_u32 v21, v0, 3, 7
	s_add_co_i32 s14, s11, s13
	s_load_b128 s[0:3], s[0:1], 0x0
	s_ashr_i32 s19, s14, 5
	v_dual_mov_b32 v17, 0 :: v_dual_and_b32 v20, 7, v0
	v_mul_lo_u32 v18, s19, v3
	v_readfirstlane_b32 s17, v6
	s_lshl_b32 s10, s19, 3
	v_lshl_add_u32 v4, v3, 2, v21
	v_mov_b32_e32 v51, 0
	v_xor_b32_e32 v46, s7, v15
	s_mul_f32 s17, s17, 0x4f7ffffe
	v_lshl_add_u32 v56, v3, 7, 0x5280
	v_add_nc_u32_e32 v22, s10, v18
	v_mul_lo_u32 v43, s19, v4
	s_wait_alu 0xfffe
	s_cvt_u32_f32 s17, s17
	v_and_b32_e32 v6, 0x1ffc, v4
	v_lshlrev_b32_e32 v7, 5, v4
	v_add_nc_u32_e32 v8, 32, v4
	s_wait_alu 0xfffe
	s_mul_i32 s20, s20, s17
	v_add_nc_u32_e32 v9, 64, v4
	s_mul_hi_u32 s20, s17, s20
	v_add_nc_u32_e32 v4, 0x60, v4
	s_add_co_i32 s17, s17, s20
	v_and_b32_e32 v11, 0x3ffc, v8
	s_wait_alu 0xfffe
	v_mul_hi_u32 v10, v2, s17
	v_and_b32_e32 v13, 0x3ffc, v9
	v_ashrrev_i32_e32 v46, 31, v46
	v_lshl_add_u32 v57, v3, 4, 0x5680
	s_ashr_i32 s13, s5, 31
	s_and_b32 s21, s14, 0xffffffe0
	s_lshr_b32 s15, s13, 27
	s_mul_i32 s14, s19, s18
	v_mul_lo_u32 v12, v10, s16
	s_ashr_i32 s13, s12, 31
	s_add_co_i32 s5, s5, s15
	s_ashr_i32 s15, s14, 31
	s_wait_alu 0xfffe
	s_ashr_i32 s5, s5, 5
	s_mul_u64 s[14:15], s[14:15], 18
	s_wait_kmcnt 0x0
	s_add_nc_u64 s[0:1], s[0:1], s[12:13]
	v_bfe_u32 v19, v0, 2, 8
	v_sub_nc_u32_e32 v2, v2, v12
	v_add_nc_u32_e32 v12, 1, v10
	s_add_nc_u64 s[12:13], s[0:1], s[14:15]
	v_add_nc_u32_e32 v49, s21, v43
	v_lshlrev_b32_e32 v8, 5, v8
	v_subrev_nc_u32_e32 v14, s16, v2
	v_cmp_le_u32_e32 vcc_lo, s16, v2
	v_lshlrev_b32_e32 v1, 2, v16
	v_add_nc_u32_e32 v23, s10, v22
	v_lshlrev_b32_e32 v9, 5, v9
	s_wait_alu 0xfffd
	v_dual_cndmask_b32 v10, v10, v12 :: v_dual_add_nc_u32 v53, s21, v49
	v_cndmask_b32_e32 v2, v2, v14, vcc_lo
	v_and_b32_e32 v12, 0x3ffc, v4
	v_and_b32_e32 v24, 12, v1
	v_mad_u32_u24 v25, 0x84, v3, v1
	v_add_nc_u32_e32 v14, 1, v10
	v_cmp_le_u32_e32 vcc_lo, s16, v2
	v_lshlrev_b32_e32 v5, 2, v20
	v_add_nc_u32_e32 v26, s10, v23
	v_and_b32_e32 v3, 28, v1
	s_wait_alu 0xfffd
	v_dual_cndmask_b32 v2, v10, v14 :: v_dual_add_nc_u32 v59, v57, v1
	v_add3_u32 v6, v6, v5, 0x4200
	v_add3_u32 v11, v11, v5, 0x4200
	;; [unrolled: 1-line block ×4, first 2 shown]
	v_and_b32_e32 v12, 31, v0
	v_xor_b32_e32 v2, v2, v46
	v_add_nc_u32_e32 v1, 32, v16
	v_add_nc_u32_e32 v10, 64, v16
	;; [unrolled: 1-line block ×3, first 2 shown]
	v_lshl_or_b32 v58, v12, 2, v56
	v_sub_nc_u32_e32 v2, v2, v46
	v_add_nc_u32_e32 v12, 0x60, v16
	v_and_b32_e32 v10, 0x1fc, v10
	v_and_b32_e32 v14, 0x1fc, v1
	;; [unrolled: 1-line block ×3, first 2 shown]
	v_cmp_gt_i32_e64 s0, s4, v2
	s_wait_alu 0xfffe
	v_mul_lo_u32 v62, v2, s5
	v_lshlrev_b32_e32 v2, 5, v16
	v_and_b32_e32 v12, 0x1fc, v12
	v_add_co_u32 v0, s1, s2, v3
	v_lshlrev_b32_e32 v4, 5, v4
	s_delay_alu instid0(VALU_DEP_4) | instskip(NEXT) | instid1(VALU_DEP_4)
	v_add_nc_u32_e32 v10, v2, v10
	v_add_nc_u32_e32 v3, v2, v12
	;; [unrolled: 1-line block ×4, first 2 shown]
	v_mov_b32_e32 v46, 0
	v_add_nc_u32_e32 v28, s10, v27
	v_cmp_gt_u32_e32 vcc_lo, 4, v16
	v_add_nc_u32_e32 v29, 0x14a0, v25
	v_add_nc_u32_e32 v30, 0x18c0, v25
	;; [unrolled: 1-line block ×15, first 2 shown]
	v_mul_u32_u24_e32 v60, 0x84, v16
	v_lshrrev_b32_e32 v61, 3, v1
	v_add_co_ci_u32_e64 v1, null, s3, 0, s1
	v_add_nc_u32_e32 v44, s10, v41
	v_ashrrev_i32_e32 v63, 31, v62
	v_add_nc_u32_e32 v64, 0x4e00, v3
	v_add_nc_u32_e32 v65, 0x4a00, v10
	;; [unrolled: 1-line block ×5, first 2 shown]
	v_mad_u32_u24 v68, 0x84, v16, 64
	v_add_nc_u32_e32 v69, 0x4e10, v3
	v_add_nc_u32_e32 v70, 0x4a10, v10
	;; [unrolled: 1-line block ×10, first 2 shown]
	v_mov_b32_e32 v2, 0
	s_mov_b32 s15, 0
	v_add_nc_u32_e32 v50, s10, v48
	s_mov_b32 s14, s15
	s_delay_alu instid0(VALU_DEP_1) | instskip(NEXT) | instid1(VALU_DEP_1)
	v_add_nc_u32_e32 v52, s10, v50
	v_add_nc_u32_e32 v54, s10, v52
	s_and_b32 s10, vcc_lo, s0
	s_branch .LBB217_5
.LBB217_4:                              ;   in Loop: Header=BB217_5 Depth=1
	s_add_co_i32 s14, s14, 8
	s_wait_alu 0xfffe
	s_cmp_ge_i32 s14, s19
	s_cbranch_scc1 .LBB217_21
.LBB217_5:                              ; =>This Loop Header: Depth=1
                                        ;     Child Loop BB217_11 Depth 2
                                        ;     Child Loop BB217_19 Depth 2
	s_mul_u64 s[16:17], s[14:15], 18
	s_wait_alu 0xfffe
	s_add_nc_u64 s[16:17], s[12:13], s[16:17]
	s_wait_alu 0xfffe
	v_mad_co_u64_u32 v[3:4], null, v19, 18, s[16:17]
	s_delay_alu instid0(VALU_DEP_1) | instskip(SKIP_3) | instid1(VALU_DEP_4)
	v_mad_co_u64_u32 v[5:6], null, v18, 18, v[3:4]
	v_mad_co_u64_u32 v[7:8], null, v22, 18, v[3:4]
	;; [unrolled: 1-line block ×4, first 2 shown]
	v_add_co_u32 v5, s1, v5, v24
	v_mad_co_u64_u32 v[13:14], null, v27, 18, v[3:4]
	s_wait_alu 0xf1ff
	v_add_co_ci_u32_e64 v6, null, 0, v6, s1
	v_add_co_u32 v7, s1, v7, v24
	v_mad_co_u64_u32 v[77:78], null, v28, 18, v[3:4]
	s_wait_alu 0xf1ff
	v_add_co_ci_u32_e64 v8, null, 0, v8, s1
	;; [unrolled: 4-line block ×4, first 2 shown]
	v_add_co_u32 v13, s1, v13, v24
	s_wait_alu 0xf1ff
	v_add_co_ci_u32_e64 v14, null, 0, v14, s1
	v_add_co_u32 v77, s1, v77, v24
	s_wait_alu 0xf1ff
	v_add_co_ci_u32_e64 v78, null, 0, v78, s1
	;; [unrolled: 3-line block ×3, first 2 shown]
	v_add_co_u32 v81, s1, v81, v24
	v_mad_co_u64_u32 v[83:84], null, v41, 18, v[3:4]
	s_wait_alu 0xf1ff
	v_add_co_ci_u32_e64 v82, null, 0, v82, s1
	s_clause 0x7
	global_load_b32 v89, v[5:6], off offset:2
	global_load_b32 v90, v[7:8], off offset:2
	;; [unrolled: 1-line block ×8, first 2 shown]
	v_mad_co_u64_u32 v[5:6], null, v44, 18, v[3:4]
	v_mad_co_u64_u32 v[9:10], null, v45, 18, v[3:4]
	v_mad_co_u64_u32 v[79:80], null, v20, 18, s[16:17]
	v_mad_co_u64_u32 v[11:12], null, v47, 18, v[3:4]
	v_add_co_u32 v7, s1, v83, v24
	v_mad_co_u64_u32 v[13:14], null, v48, 18, v[3:4]
	s_wait_alu 0xf1ff
	v_add_co_ci_u32_e64 v8, null, 0, v84, s1
	v_add_co_u32 v5, s1, v5, v24
	v_mad_co_u64_u32 v[77:78], null, v50, 18, v[3:4]
	s_wait_alu 0xf1ff
	v_add_co_ci_u32_e64 v6, null, 0, v6, s1
	v_add_co_u32 v9, s1, v9, v24
	v_mad_co_u64_u32 v[81:82], null, v43, 18, v[79:80]
	v_mad_co_u64_u32 v[87:88], null, v52, 18, v[3:4]
	;; [unrolled: 1-line block ×3, first 2 shown]
	s_wait_alu 0xf1ff
	v_add_co_ci_u32_e64 v10, null, 0, v10, s1
	v_add_co_u32 v11, s1, v11, v24
	v_mad_co_u64_u32 v[85:86], null, v53, 18, v[79:80]
	v_mad_co_u64_u32 v[3:4], null, v54, 18, v[3:4]
	;; [unrolled: 1-line block ×3, first 2 shown]
	s_wait_alu 0xf1ff
	v_add_co_ci_u32_e64 v12, null, 0, v12, s1
	v_add_co_u32 v13, s1, v13, v24
	s_wait_alu 0xf1ff
	v_add_co_ci_u32_e64 v14, null, 0, v14, s1
	v_add_co_u32 v77, s1, v77, v24
	s_wait_alu 0xf1ff
	v_add_co_ci_u32_e64 v78, null, 0, v78, s1
	s_clause 0x3
	global_load_u16 v81, v[81:82], off
	global_load_u16 v82, v[83:84], off
	;; [unrolled: 1-line block ×4, first 2 shown]
	v_add_co_u32 v79, s1, v87, v24
	s_wait_alu 0xf1ff
	v_add_co_ci_u32_e64 v80, null, 0, v88, s1
	v_add_co_u32 v3, s1, v3, v24
	s_wait_alu 0xf1ff
	v_add_co_ci_u32_e64 v4, null, 0, v4, s1
	s_clause 0x7
	global_load_b32 v7, v[7:8], off offset:2
	global_load_b32 v5, v[5:6], off offset:2
	;; [unrolled: 1-line block ×8, first 2 shown]
	s_lshl_b32 s16, s14, 5
	v_add_nc_u32_e32 v4, 0x420, v25
	v_add_nc_u32_e32 v12, 0x840, v25
	;; [unrolled: 1-line block ×3, first 2 shown]
	s_wait_alu 0xfffe
	s_cmp_lt_i32 s16, s11
	v_add_nc_u32_e32 v14, 0x1080, v25
	s_wait_loadcnt 0xb
	v_cvt_f32_f16_e32 v77, v81
	s_wait_loadcnt 0xa
	v_cvt_f32_f16_e32 v78, v82
	;; [unrolled: 2-line block ×4, first 2 shown]
	ds_store_b32 v25, v89
	ds_store_b32 v4, v90
	;; [unrolled: 1-line block ×8, first 2 shown]
	s_wait_loadcnt 0x7
	ds_store_b32 v32, v7
	s_wait_loadcnt 0x6
	ds_store_b32 v34, v5
	;; [unrolled: 2-line block ×8, first 2 shown]
	ds_store_b32 v73, v77
	ds_store_b32 v74, v78
	;; [unrolled: 1-line block ×4, first 2 shown]
	s_cbranch_scc0 .LBB217_4
; %bb.6:                                ;   in Loop: Header=BB217_5 Depth=1
	v_add_nc_u32_e32 v3, s14, v21
	s_delay_alu instid0(VALU_DEP_1)
	v_cmp_gt_i32_e64 s1, s5, v3
	s_and_b32 s17, s0, s1
	s_wait_alu 0xfffe
	s_and_saveexec_b32 s1, s17
	s_cbranch_execz .LBB217_8
; %bb.7:                                ;   in Loop: Header=BB217_5 Depth=1
	v_add_nc_u32_e32 v3, v62, v3
	s_delay_alu instid0(VALU_DEP_1)
	v_mad_co_i64_i32 v[3:4], null, v3, 36, v[0:1]
	global_load_b32 v3, v[3:4], off offset:4
	s_wait_loadcnt 0x0
	ds_store_b32 v58, v3
.LBB217_8:                              ;   in Loop: Header=BB217_5 Depth=1
	s_wait_alu 0xfffe
	s_or_b32 exec_lo, exec_lo, s1
	v_add_nc_u32_e32 v77, s14, v16
	s_delay_alu instid0(VALU_DEP_1)
	v_cmp_gt_i32_e64 s1, s5, v77
	s_and_b32 s17, s10, s1
	s_wait_alu 0xfffe
	s_and_saveexec_b32 s1, s17
	s_cbranch_execz .LBB217_10
; %bb.9:                                ;   in Loop: Header=BB217_5 Depth=1
	v_add_nc_u32_e32 v3, v62, v77
	s_delay_alu instid0(VALU_DEP_1)
	v_mad_co_i64_i32 v[3:4], null, v3, 36, s[2:3]
	global_load_b32 v3, v[3:4], off
	s_wait_loadcnt 0x0
	ds_store_b32 v59, v3
.LBB217_10:                             ;   in Loop: Header=BB217_5 Depth=1
	s_wait_alu 0xfffe
	s_or_b32 exec_lo, exec_lo, s1
	v_dual_mov_b32 v78, v56 :: v_dual_mov_b32 v79, v57
	v_dual_mov_b32 v80, v67 :: v_dual_mov_b32 v81, v66
	;; [unrolled: 1-line block ×3, first 2 shown]
	v_mov_b32_e32 v84, v60
	s_mov_b32 s1, -4
	s_wait_dscnt 0x0
	s_barrier_signal -1
	s_barrier_wait -1
	global_inv scope:SCOPE_SE
.LBB217_11:                             ;   Parent Loop BB217_5 Depth=1
                                        ; =>  This Inner Loop Header: Depth=2
	v_add_nc_u32_e32 v86, 0x1080, v84
	v_add_nc_u32_e32 v87, 0x1088, v84
	;; [unrolled: 1-line block ×5, first 2 shown]
	ds_load_2addr_b32 v[3:4], v78 offset0:4 offset1:7
	ds_load_2addr_b32 v[11:12], v84 offset1:1
	ds_load_2addr_b32 v[5:6], v78 offset1:3
	ds_load_2addr_b32 v[9:10], v78 offset0:1 offset1:2
	ds_load_2addr_b32 v[7:8], v78 offset0:5 offset1:6
	;; [unrolled: 1-line block ×3, first 2 shown]
	v_add_nc_u32_e32 v90, 0x3180, v84
	ds_load_b32 v85, v83
	ds_load_2addr_b32 v[91:92], v86 offset1:1
	ds_load_2addr_b32 v[86:87], v87 offset1:1
	;; [unrolled: 1-line block ×6, first 2 shown]
	v_add_nc_u32_e32 v84, 16, v84
	v_add_nc_u32_e32 v83, 4, v83
	;; [unrolled: 1-line block ×3, first 2 shown]
	s_wait_alu 0xfffe
	s_add_co_i32 s1, s1, 4
	s_wait_alu 0xfffe
	s_cmp_lt_u32 s1, 12
	s_wait_dscnt 0xc
	v_lshrrev_b16 v90, 8, v3
	v_ashrrev_i32_e32 v130, 24, v3
	v_bfe_i32 v131, v3, 16, 8
	v_bfe_i32 v3, v3, 0, 8
	s_wait_dscnt 0xb
	v_and_b32_e32 v100, 15, v11
	s_wait_dscnt 0xa
	v_lshrrev_b16 v127, 8, v5
	s_wait_dscnt 0x1
	v_bfe_u32 v200, v95, 4, 4
	v_ashrrev_i32_e32 v128, 24, v5
	v_bfe_i32 v129, v5, 16, 8
	v_bfe_i32 v5, v5, 0, 8
	v_and_b32_e32 v151, 15, v91
	v_and_b32_e32 v179, 15, v93
	v_mul_i32_i24_e32 v200, v200, v3
	v_and_b32_e32 v201, 15, v95
	v_mul_i32_i24_e32 v100, v5, v100
	v_mul_i32_i24_e32 v151, v5, v151
	v_bfe_u32 v102, v11, 16, 4
	v_bfe_u32 v153, v91, 16, 4
	v_mad_i32_i24 v200, v201, v5, v200
	v_mul_i32_i24_e32 v5, v5, v179
	v_bfe_u32 v179, v95, 20, 4
	v_bfe_u32 v181, v93, 16, 4
	;; [unrolled: 1-line block ×3, first 2 shown]
	v_mul_i32_i24_e32 v102, v129, v102
	v_mul_i32_i24_e32 v153, v129, v153
	;; [unrolled: 1-line block ×3, first 2 shown]
	v_bfe_u32 v101, v11, 8, 4
	v_bfe_u32 v103, v11, 24, 4
	;; [unrolled: 1-line block ×4, first 2 shown]
	v_mad_i32_i24 v179, v201, v129, v179
	v_mul_i32_i24_e32 v129, v129, v181
	v_lshrrev_b32_e32 v181, 28, v95
	v_bfe_u32 v180, v93, 8, 4
	v_bfe_u32 v182, v93, 24, 4
	v_bfe_i32 v127, v127, 0, 8
	v_bfe_u32 v201, v95, 24, 4
	v_mul_i32_i24_e32 v181, v181, v130
	v_bfe_u32 v104, v11, 4, 4
	v_bfe_u32 v105, v11, 12, 4
	;; [unrolled: 1-line block ×6, first 2 shown]
	v_mul_i32_i24_e32 v103, v128, v103
	v_mad_i32_i24 v100, v127, v101, v100
	v_mad_i32_i24 v151, v127, v152, v151
	v_mul_i32_i24_e32 v154, v128, v154
	v_mad_i32_i24 v181, v201, v128, v181
	v_mul_i32_i24_e32 v128, v128, v182
	v_mad_i32_i24 v5, v127, v180, v5
	v_bfe_i32 v90, v90, 0, 8
	v_bfe_u32 v99, v11, 20, 4
	v_lshrrev_b32_e32 v11, 28, v11
	v_bfe_u32 v150, v91, 20, 4
	v_lshrrev_b32_e32 v91, 28, v91
	v_bfe_u32 v178, v93, 20, 4
	v_lshrrev_b32_e32 v93, 28, v93
	v_add3_u32 v100, v100, v102, v103
	v_add3_u32 v151, v151, v153, v154
	v_mul_i32_i24_e32 v104, v3, v104
	v_add3_u32 v5, v5, v129, v128
	v_mul_i32_i24_e32 v105, v90, v105
	v_mul_i32_i24_e32 v155, v3, v155
	;; [unrolled: 1-line block ×5, first 2 shown]
	v_and_b32_e32 v107, 15, v12
	v_bfe_u32 v108, v12, 8, 4
	v_ashrrev_i32_e32 v132, 24, v9
	v_bfe_i32 v133, v9, 16, 8
	v_bfe_i32 v134, v9, 8, 8
	;; [unrolled: 1-line block ×3, first 2 shown]
	v_and_b32_e32 v158, 15, v92
	v_bfe_u32 v159, v92, 8, 4
	v_and_b32_e32 v186, 15, v94
	v_bfe_u32 v187, v94, 8, 4
	v_add3_u32 v100, v100, v105, v104
	v_mul_i32_i24_e32 v99, v131, v99
	v_mul_i32_i24_e32 v150, v131, v150
	;; [unrolled: 1-line block ×6, first 2 shown]
	v_add3_u32 v151, v151, v156, v155
	v_add3_u32 v3, v5, v184, v3
	v_bfe_u32 v109, v12, 16, 4
	v_bfe_u32 v110, v12, 24, 4
	;; [unrolled: 1-line block ×7, first 2 shown]
	v_mul_i32_i24_e32 v107, v9, v107
	v_mul_i32_i24_e32 v130, v9, v158
	;; [unrolled: 1-line block ×6, first 2 shown]
	v_add3_u32 v11, v100, v99, v11
	v_add3_u32 v91, v151, v150, v91
	;; [unrolled: 1-line block ×3, first 2 shown]
	v_bfe_u32 v111, v12, 4, 4
	v_bfe_u32 v112, v12, 12, 4
	v_ashrrev_i32_e32 v135, 24, v7
	v_bfe_i32 v136, v7, 16, 8
	v_bfe_i32 v137, v7, 8, 8
	v_bfe_i32 v7, v7, 0, 8
	v_bfe_u32 v162, v92, 4, 4
	v_bfe_u32 v163, v92, 12, 4
	;; [unrolled: 1-line block ×5, first 2 shown]
	v_mul_i32_i24_e32 v109, v133, v109
	v_mul_i32_i24_e32 v160, v133, v160
	;; [unrolled: 1-line block ×7, first 2 shown]
	v_add3_u32 v11, v11, v108, v107
	v_add3_u32 v91, v91, v159, v130
	;; [unrolled: 1-line block ×3, first 2 shown]
	v_bfe_u32 v106, v12, 20, 4
	v_lshrrev_b32_e32 v12, 28, v12
	v_bfe_u32 v157, v92, 20, 4
	v_lshrrev_b32_e32 v92, 28, v92
	;; [unrolled: 2-line block ×3, first 2 shown]
	v_and_b32_e32 v129, 0xf0f0f0f, v96
	v_lshrrev_b32_e32 v104, 4, v96
	v_lshrrev_b32_e32 v105, 28, v96
	v_and_b32_e32 v201, 15, v96
	v_bfe_u32 v202, v96, 20, 4
	v_bfe_u32 v96, v96, 4, 4
	v_mul_i32_i24_e32 v128, v132, v128
	v_mul_i32_i24_e32 v111, v7, v111
	;; [unrolled: 1-line block ×7, first 2 shown]
	v_add3_u32 v11, v11, v109, v110
	v_add3_u32 v91, v91, v160, v161
	;; [unrolled: 1-line block ×3, first 2 shown]
	v_and_b32_e32 v114, 15, v13
	v_bfe_u32 v115, v13, 8, 4
	v_ashrrev_i32_e32 v138, 24, v10
	v_bfe_i32 v139, v10, 16, 8
	v_bfe_i32 v140, v10, 8, 8
	v_bfe_i32 v10, v10, 0, 8
	v_and_b32_e32 v165, 15, v86
	v_bfe_u32 v166, v86, 8, 4
	v_and_b32_e32 v193, 15, v88
	v_bfe_u32 v194, v88, 8, 4
	v_and_b32_e32 v182, 0xf0f0f0f, v95
	v_lshrrev_b32_e32 v95, 4, v95
	v_mul_i32_i24_e32 v9, v9, v201
	v_mul_i32_i24_e32 v7, v7, v96
	;; [unrolled: 1-line block ×8, first 2 shown]
	v_add3_u32 v11, v11, v111, v112
	v_add3_u32 v91, v91, v132, v163
	;; [unrolled: 1-line block ×3, first 2 shown]
	v_bfe_u32 v116, v13, 16, 4
	v_bfe_u32 v117, v13, 24, 4
	;; [unrolled: 1-line block ×6, first 2 shown]
	v_mul_i32_i24_e32 v105, v135, v105
	v_mul_i32_i24_e32 v114, v10, v114
	v_mul_i32_i24_e32 v135, v10, v165
	v_mul_i32_i24_e32 v165, v10, v193
	v_mul_i32_i24_e32 v115, v140, v115
	v_lshrrev_b16 v95, 8, v95
	v_mul_i32_i24_e32 v166, v140, v166
	v_mul_i32_i24_e32 v194, v140, v194
	v_add3_u32 v7, v200, v9, v7
	v_add3_u32 v9, v11, v96, v12
	;; [unrolled: 1-line block ×4, first 2 shown]
	v_bfe_u32 v118, v13, 4, 4
	v_bfe_u32 v119, v13, 12, 4
	v_ashrrev_i32_e32 v141, 24, v8
	v_bfe_i32 v142, v8, 16, 8
	v_bfe_i32 v143, v8, 8, 8
	;; [unrolled: 1-line block ×3, first 2 shown]
	v_bfe_u32 v169, v86, 4, 4
	v_bfe_u32 v170, v86, 12, 4
	v_bfe_u32 v197, v88, 4, 4
	v_bfe_u32 v198, v88, 12, 4
	s_wait_dscnt 0x0
	v_bfe_u32 v203, v97, 24, 4
	v_and_b32_e32 v204, 0xf0f0f0f, v97
	v_lshrrev_b32_e32 v205, 4, v97
	v_lshrrev_b32_e32 v206, 28, v97
	v_bfe_u32 v207, v97, 16, 4
	v_and_b32_e32 v208, 15, v97
	v_bfe_u32 v209, v97, 20, 4
	v_bfe_u32 v97, v97, 4, 4
	v_mul_i32_i24_e32 v116, v139, v116
	v_mul_i32_i24_e32 v167, v139, v167
	v_mul_i32_i24_e32 v183, v139, v195
	v_mul_i32_i24_e32 v117, v138, v117
	v_mul_i32_i24_e32 v168, v138, v168
	v_mul_i32_i24_e32 v185, v138, v196
	v_lshrrev_b16 v182, 8, v182
	v_lshrrev_b16 v129, 8, v129
	v_lshrrev_b16 v104, 8, v104
	v_and_b32_e32 v95, 15, v95
	v_add3_u32 v9, v9, v115, v114
	v_add3_u32 v11, v11, v166, v135
	;; [unrolled: 1-line block ×3, first 2 shown]
	v_bfe_u32 v113, v13, 20, 4
	v_lshrrev_b32_e32 v13, 28, v13
	v_bfe_i32 v148, v4, 16, 8
	v_bfe_u32 v164, v86, 20, 4
	v_lshrrev_b32_e32 v86, 28, v86
	v_bfe_u32 v192, v88, 20, 4
	v_lshrrev_b32_e32 v88, 28, v88
	v_bfe_u32 v199, v89, 20, 4
	v_and_b32_e32 v211, 0xf0f0f0f, v98
	v_lshrrev_b32_e32 v212, 4, v98
	v_mul_i32_i24_e32 v10, v10, v208
	v_mul_i32_i24_e32 v118, v8, v118
	;; [unrolled: 1-line block ×6, first 2 shown]
	v_lshrrev_b16 v195, 8, v204
	v_lshrrev_b16 v196, 8, v205
	v_mul_i32_i24_e32 v170, v143, v170
	v_mul_i32_i24_e32 v197, v143, v198
	v_and_b32_e32 v182, 0xffff, v182
	v_and_b32_e32 v104, 15, v104
	v_and_b32_e32 v129, 0xffff, v129
	v_and_b32_e32 v5, 0xffff, v95
	v_add3_u32 v9, v9, v116, v117
	v_add3_u32 v11, v11, v167, v168
	;; [unrolled: 1-line block ×3, first 2 shown]
	v_and_b32_e32 v121, 15, v14
	v_bfe_u32 v122, v14, 8, 4
	v_ashrrev_i32_e32 v144, 24, v6
	v_bfe_i32 v145, v6, 16, 8
	v_bfe_i32 v146, v6, 8, 8
	;; [unrolled: 1-line block ×3, first 2 shown]
	v_and_b32_e32 v172, 15, v87
	v_bfe_u32 v173, v87, 8, 4
	v_and_b32_e32 v101, 15, v89
	v_bfe_u32 v102, v89, 8, 4
	v_mul_i32_i24_e32 v97, v142, v113
	v_mul_i32_i24_e32 v113, v142, v164
	;; [unrolled: 1-line block ×6, first 2 shown]
	ds_load_b32 v188, v79
	ds_load_b32 v189, v80
	;; [unrolled: 1-line block ×3, first 2 shown]
	v_mul_i32_i24_e32 v190, v148, v199
	v_lshrrev_b16 v198, 8, v211
	v_lshrrev_b16 v199, 8, v212
	v_and_b32_e32 v196, 15, v196
	v_and_b32_e32 v195, 0xffff, v195
	v_mul_i32_i24_e32 v127, v182, v127
	v_mul_i32_i24_e32 v95, v134, v129
	v_and_b32_e32 v93, 0xffff, v104
	v_mul_i32_i24_e32 v5, v5, v90
	v_add3_u32 v7, v7, v10, v8
	v_add3_u32 v8, v9, v118, v119
	;; [unrolled: 1-line block ×4, first 2 shown]
	v_bfe_u32 v120, v14, 20, 4
	v_bfe_u32 v123, v14, 16, 4
	;; [unrolled: 1-line block ×5, first 2 shown]
	v_lshrrev_b32_e32 v14, 28, v14
	v_ashrrev_i32_e32 v147, 24, v4
	v_bfe_u32 v171, v87, 20, 4
	v_bfe_u32 v174, v87, 16, 4
	;; [unrolled: 1-line block ×5, first 2 shown]
	v_lshrrev_b32_e32 v87, 28, v87
	v_bfe_u32 v103, v89, 16, 4
	v_bfe_u32 v152, v89, 24, 4
	;; [unrolled: 1-line block ×4, first 2 shown]
	v_lshrrev_b32_e32 v89, 28, v89
	v_bfe_u32 v210, v98, 24, 4
	v_lshrrev_b32_e32 v213, 28, v98
	v_mul_i32_i24_e32 v136, v136, v202
	v_mul_i32_i24_e32 v138, v138, v203
	;; [unrolled: 1-line block ×9, first 2 shown]
	v_and_b32_e32 v199, 15, v199
	v_and_b32_e32 v198, 0xffff, v198
	v_mul_i32_i24_e32 v99, v140, v195
	v_and_b32_e32 v100, 0xffff, v196
	v_add3_u32 v105, v181, v128, v105
	v_mul_i32_i24_e32 v12, v137, v93
	v_add3_u32 v5, v127, v5, v95
	v_add3_u32 v8, v8, v97, v13
	;; [unrolled: 1-line block ×4, first 2 shown]
	v_bfe_i32 v149, v4, 8, 8
	v_bfe_i32 v4, v4, 0, 8
	v_bfe_u32 v214, v98, 16, 4
	v_and_b32_e32 v215, 15, v98
	v_bfe_u32 v216, v98, 20, 4
	v_bfe_u32 v98, v98, 4, 4
	v_mul_i32_i24_e32 v139, v139, v207
	v_mul_i32_i24_e32 v142, v142, v209
	;; [unrolled: 1-line block ×14, first 2 shown]
	v_and_b32_e32 v107, 0xffff, v199
	v_add3_u32 v108, v179, v133, v136
	v_mul_i32_i24_e32 v90, v143, v100
	v_add3_u32 v92, v105, v138, v141
	v_add3_u32 v5, v5, v12, v99
	;; [unrolled: 1-line block ×5, first 2 shown]
	v_mul_i32_i24_e32 v6, v6, v215
	v_mul_i32_i24_e32 v145, v145, v214
	;; [unrolled: 1-line block ×13, first 2 shown]
	v_add3_u32 v10, v108, v139, v142
	v_add3_u32 v11, v92, v144, v147
	;; [unrolled: 1-line block ×6, first 2 shown]
	ds_load_b32 v98, v81
	s_wait_dscnt 0x3
	v_lshrrev_b32_e32 v193, 16, v188
	v_add3_u32 v10, v10, v145, v148
	v_add3_u32 v4, v7, v6, v4
	;; [unrolled: 1-line block ×6, first 2 shown]
	v_cvt_f32_f16_e64 v8, v193
	v_add3_u32 v4, v4, v10, v5
	v_add3_u32 v5, v6, v120, v14
	;; [unrolled: 1-line block ×4, first 2 shown]
	v_mul_f32_e32 v7, 0xc1000000, v8
	v_cvt_f32_i32_e32 v4, v4
	v_cvt_f32_i32_e32 v5, v5
	;; [unrolled: 1-line block ×4, first 2 shown]
	v_add_nc_u32_e32 v82, 4, v82
	v_fma_mix_f32 v4, v188, v4, v7 op_sel_hi:[1,0,0]
	v_fma_mix_f32 v5, v188, v5, v7 op_sel_hi:[1,0,0]
	;; [unrolled: 1-line block ×4, first 2 shown]
	v_add_nc_u32_e32 v81, 4, v81
	v_add_nc_u32_e32 v80, 4, v80
	v_dual_fmac_f32 v2, v85, v4 :: v_dual_add_nc_u32 v79, 4, v79
	s_wait_dscnt 0x2
	v_fmac_f32_e32 v17, v189, v5
	s_wait_dscnt 0x0
	v_dual_fmac_f32 v51, v98, v6 :: v_dual_fmac_f32 v46, v192, v3
	s_cbranch_scc1 .LBB217_11
; %bb.12:                               ;   in Loop: Header=BB217_5 Depth=1
	s_bitset1_b32 s16, 7
	s_wait_loadcnt 0x0
	s_wait_alu 0xfffe
	s_cmp_ge_i32 s16, s11
	s_barrier_signal -1
	s_barrier_wait -1
	global_inv scope:SCOPE_SE
	s_cbranch_scc1 .LBB217_4
; %bb.13:                               ;   in Loop: Header=BB217_5 Depth=1
	v_add_nc_u32_e32 v3, s14, v61
	s_delay_alu instid0(VALU_DEP_1)
	v_cmp_gt_i32_e64 s1, s5, v3
	s_and_b32 s16, s0, s1
	s_wait_alu 0xfffe
	s_and_saveexec_b32 s1, s16
	s_cbranch_execz .LBB217_15
; %bb.14:                               ;   in Loop: Header=BB217_5 Depth=1
	v_add_nc_u32_e32 v3, v62, v3
	s_delay_alu instid0(VALU_DEP_1)
	v_mad_co_i64_i32 v[3:4], null, v3, 36, v[0:1]
	global_load_b32 v3, v[3:4], off offset:4
	s_wait_loadcnt 0x0
	ds_store_b32 v58, v3
.LBB217_15:                             ;   in Loop: Header=BB217_5 Depth=1
	s_wait_alu 0xfffe
	s_or_b32 exec_lo, exec_lo, s1
	s_and_saveexec_b32 s16, vcc_lo
	s_cbranch_execz .LBB217_18
; %bb.16:                               ;   in Loop: Header=BB217_5 Depth=1
	v_or_b32_e32 v3, 4, v77
	s_delay_alu instid0(VALU_DEP_1)
	v_cmp_gt_i32_e64 s1, s5, v3
	s_and_b32 s1, s0, s1
	s_wait_alu 0xfffe
	s_and_b32 exec_lo, exec_lo, s1
	s_cbranch_execz .LBB217_18
; %bb.17:                               ;   in Loop: Header=BB217_5 Depth=1
	v_ashrrev_i32_e32 v3, 31, v77
	v_add_co_u32 v4, s1, v62, v77
	s_wait_alu 0xf1ff
	s_delay_alu instid0(VALU_DEP_2) | instskip(NEXT) | instid1(VALU_DEP_2)
	v_add_co_ci_u32_e64 v5, null, v63, v3, s1
	v_mad_co_u64_u32 v[3:4], null, v4, 36, s[2:3]
	s_delay_alu instid0(VALU_DEP_1)
	v_mad_i32_i24 v4, v5, 36, v4
	global_load_b32 v3, v[3:4], off offset:144
	s_wait_loadcnt 0x0
	ds_store_b32 v59, v3
.LBB217_18:                             ;   in Loop: Header=BB217_5 Depth=1
	s_wait_alu 0xfffe
	s_or_b32 exec_lo, exec_lo, s16
	v_dual_mov_b32 v3, v57 :: v_dual_mov_b32 v4, v56
	v_dual_mov_b32 v5, v72 :: v_dual_mov_b32 v6, v71
	v_dual_mov_b32 v7, v70 :: v_dual_mov_b32 v8, v69
	v_mov_b32_e32 v9, v68
	s_mov_b32 s1, 12
	s_wait_loadcnt_dscnt 0x0
	s_barrier_signal -1
	s_barrier_wait -1
	global_inv scope:SCOPE_SE
.LBB217_19:                             ;   Parent Loop BB217_5 Depth=1
                                        ; =>  This Inner Loop Header: Depth=2
	ds_load_2addr_b32 v[77:78], v4 offset1:3
	ds_load_2addr_b32 v[79:80], v4 offset0:4 offset1:7
	ds_load_2addr_b32 v[81:82], v4 offset0:1 offset1:2
	ds_load_b32 v10, v3
	ds_load_2addr_b32 v[83:84], v9 offset1:1
	ds_load_2addr_b32 v[85:86], v9 offset0:2 offset1:3
	ds_load_2addr_b32 v[87:88], v4 offset0:5 offset1:6
	ds_load_b32 v11, v5
	ds_load_b32 v12, v6
	;; [unrolled: 1-line block ×4, first 2 shown]
	v_add_nc_u32_e32 v89, 0x1080, v9
	v_add_nc_u32_e32 v91, 0x1088, v9
	;; [unrolled: 1-line block ×6, first 2 shown]
	ds_load_2addr_b32 v[89:90], v89 offset1:1
	ds_load_2addr_b32 v[91:92], v91 offset1:1
	;; [unrolled: 1-line block ×6, first 2 shown]
	v_add_nc_u32_e32 v9, 16, v9
	v_add_nc_u32_e32 v5, 4, v5
	;; [unrolled: 1-line block ×4, first 2 shown]
	s_wait_alu 0xfffe
	s_add_co_i32 s1, s1, 4
	s_wait_alu 0xfffe
	s_cmp_lt_u32 s1, 28
	s_wait_dscnt 0x10
	v_lshrrev_b16 v131, 8, v77
	v_ashrrev_i32_e32 v132, 24, v77
	v_bfe_i32 v133, v77, 16, 8
	s_wait_dscnt 0xc
	v_and_b32_e32 v104, 15, v83
	v_bfe_i32 v77, v77, 0, 8
	v_bfe_u32 v105, v83, 8, 4
	v_bfe_u32 v106, v83, 16, 4
	;; [unrolled: 1-line block ×3, first 2 shown]
	s_wait_dscnt 0x5
	v_and_b32_e32 v155, 15, v89
	v_bfe_u32 v157, v89, 16, 4
	v_bfe_u32 v158, v89, 24, 4
	s_wait_dscnt 0x3
	v_and_b32_e32 v183, 15, v93
	v_bfe_i32 v131, v131, 0, 8
	v_mul_i32_i24_e32 v104, v77, v104
	v_lshrrev_b16 v101, 8, v79
	v_bfe_u32 v108, v83, 4, 4
	v_ashrrev_i32_e32 v134, 24, v79
	v_bfe_i32 v135, v79, 16, 8
	v_bfe_i32 v79, v79, 0, 8
	v_bfe_u32 v156, v89, 8, 4
	v_bfe_u32 v159, v89, 4, 4
	;; [unrolled: 1-line block ×6, first 2 shown]
	s_wait_dscnt 0x1
	v_bfe_u32 v210, v97, 24, 4
	v_and_b32_e32 v211, 0xf0f0f0f, v97
	v_lshrrev_b32_e32 v212, 4, v97
	v_lshrrev_b32_e32 v213, 28, v97
	v_mul_i32_i24_e32 v106, v133, v106
	v_mul_i32_i24_e32 v107, v132, v107
	v_bfe_u32 v214, v97, 16, 4
	v_and_b32_e32 v215, 15, v97
	v_bfe_u32 v216, v97, 20, 4
	v_bfe_u32 v97, v97, 4, 4
	v_mad_i32_i24 v104, v131, v105, v104
	v_mul_i32_i24_e32 v105, v77, v155
	v_mul_i32_i24_e32 v155, v133, v157
	;; [unrolled: 1-line block ×4, first 2 shown]
	v_bfe_u32 v109, v83, 12, 4
	v_bfe_u32 v160, v89, 12, 4
	;; [unrolled: 1-line block ×3, first 2 shown]
	v_bfe_i32 v101, v101, 0, 8
	v_mul_i32_i24_e32 v108, v79, v108
	v_mul_i32_i24_e32 v183, v133, v185
	;; [unrolled: 1-line block ×7, first 2 shown]
	v_add3_u32 v104, v104, v106, v107
	v_mad_i32_i24 v105, v131, v156, v105
	v_mad_i32_i24 v106, v131, v184, v158
	v_bfe_u32 v103, v83, 20, 4
	v_lshrrev_b32_e32 v83, 28, v83
	v_bfe_u32 v154, v89, 20, 4
	v_lshrrev_b32_e32 v89, 28, v89
	;; [unrolled: 2-line block ×3, first 2 shown]
	v_mul_i32_i24_e32 v109, v101, v109
	v_mul_i32_i24_e32 v160, v101, v160
	;; [unrolled: 1-line block ×3, first 2 shown]
	v_mad_i32_i24 v77, v215, v77, v79
	v_mad_i32_i24 v79, v214, v133, v97
	v_add3_u32 v97, v105, v155, v157
	v_add3_u32 v105, v106, v183, v185
	v_and_b32_e32 v111, 15, v84
	v_bfe_u32 v112, v84, 8, 4
	v_ashrrev_i32_e32 v136, 24, v81
	v_bfe_i32 v137, v81, 16, 8
	v_bfe_i32 v138, v81, 8, 8
	;; [unrolled: 1-line block ×3, first 2 shown]
	v_and_b32_e32 v162, 15, v90
	v_bfe_u32 v163, v90, 8, 4
	v_and_b32_e32 v190, 15, v94
	v_bfe_u32 v191, v94, 8, 4
	v_mul_i32_i24_e32 v103, v135, v103
	v_mul_i32_i24_e32 v83, v134, v83
	;; [unrolled: 1-line block ×6, first 2 shown]
	v_add3_u32 v104, v104, v109, v108
	v_add3_u32 v97, v97, v160, v159
	;; [unrolled: 1-line block ×3, first 2 shown]
	v_bfe_u32 v113, v84, 16, 4
	v_bfe_u32 v114, v84, 24, 4
	;; [unrolled: 1-line block ×6, first 2 shown]
	v_mul_i32_i24_e32 v111, v81, v111
	v_mul_i32_i24_e32 v112, v138, v112
	;; [unrolled: 1-line block ×6, first 2 shown]
	v_add3_u32 v83, v104, v103, v83
	v_add3_u32 v89, v97, v154, v89
	;; [unrolled: 1-line block ×3, first 2 shown]
	v_bfe_u32 v115, v84, 4, 4
	v_bfe_u32 v116, v84, 12, 4
	v_ashrrev_i32_e32 v139, 24, v87
	v_bfe_i32 v140, v87, 16, 8
	v_bfe_i32 v141, v87, 8, 8
	;; [unrolled: 1-line block ×3, first 2 shown]
	v_bfe_u32 v166, v90, 4, 4
	v_bfe_u32 v167, v90, 12, 4
	v_bfe_u32 v194, v94, 4, 4
	v_bfe_u32 v195, v94, 12, 4
	v_mul_i32_i24_e32 v113, v137, v113
	v_mul_i32_i24_e32 v114, v136, v114
	;; [unrolled: 1-line block ×6, first 2 shown]
	v_add3_u32 v83, v83, v112, v111
	v_add3_u32 v89, v89, v163, v162
	;; [unrolled: 1-line block ×3, first 2 shown]
	v_bfe_u32 v110, v84, 20, 4
	v_lshrrev_b32_e32 v84, 28, v84
	v_bfe_u32 v161, v90, 20, 4
	v_lshrrev_b32_e32 v90, 28, v90
	;; [unrolled: 2-line block ×3, first 2 shown]
	v_bfe_u32 v217, v98, 24, 4
	v_and_b32_e32 v218, 0xf0f0f0f, v98
	v_lshrrev_b32_e32 v219, 4, v98
	v_lshrrev_b32_e32 v220, 28, v98
	v_bfe_u32 v221, v98, 16, 4
	v_and_b32_e32 v222, 15, v98
	v_mul_i32_i24_e32 v115, v87, v115
	v_mul_i32_i24_e32 v116, v141, v116
	v_bfe_u32 v223, v98, 20, 4
	v_bfe_u32 v98, v98, 4, 4
	v_mul_i32_i24_e32 v166, v87, v166
	v_mul_i32_i24_e32 v167, v141, v167
	;; [unrolled: 1-line block ×4, first 2 shown]
	v_add3_u32 v83, v83, v113, v114
	v_add3_u32 v89, v89, v164, v165
	;; [unrolled: 1-line block ×3, first 2 shown]
	v_and_b32_e32 v118, 15, v85
	v_bfe_u32 v119, v85, 8, 4
	v_ashrrev_i32_e32 v142, 24, v82
	v_bfe_i32 v143, v82, 16, 8
	v_bfe_i32 v144, v82, 8, 8
	;; [unrolled: 1-line block ×3, first 2 shown]
	v_and_b32_e32 v169, 15, v91
	v_bfe_u32 v170, v91, 8, 4
	v_and_b32_e32 v197, 15, v95
	v_bfe_u32 v198, v95, 8, 4
	v_mul_i32_i24_e32 v110, v140, v110
	v_mul_i32_i24_e32 v84, v139, v84
	;; [unrolled: 1-line block ×8, first 2 shown]
	v_add3_u32 v83, v83, v115, v116
	v_add3_u32 v89, v89, v166, v167
	;; [unrolled: 1-line block ×3, first 2 shown]
	v_bfe_u32 v120, v85, 16, 4
	v_bfe_u32 v121, v85, 24, 4
	;; [unrolled: 1-line block ×4, first 2 shown]
	v_ashrrev_i32_e32 v151, 24, v80
	v_bfe_i32 v152, v80, 16, 8
	v_bfe_i32 v153, v80, 8, 8
	;; [unrolled: 1-line block ×3, first 2 shown]
	v_bfe_u32 v171, v91, 16, 4
	v_bfe_u32 v172, v91, 24, 4
	;; [unrolled: 1-line block ×8, first 2 shown]
	v_mul_i32_i24_e32 v118, v82, v118
	v_mul_i32_i24_e32 v119, v144, v119
	s_wait_dscnt 0x0
	v_bfe_u32 v231, v100, 24, 4
	v_and_b32_e32 v232, 0xf0f0f0f, v100
	v_lshrrev_b32_e32 v233, 4, v100
	v_lshrrev_b32_e32 v234, 28, v100
	v_bfe_u32 v235, v100, 16, 4
	v_and_b32_e32 v236, 15, v100
	v_bfe_u32 v237, v100, 20, 4
	v_bfe_u32 v100, v100, 4, 4
	v_lshrrev_b16 v212, 8, v212
	v_mul_i32_i24_e32 v169, v82, v169
	v_mul_i32_i24_e32 v170, v144, v170
	;; [unrolled: 1-line block ×4, first 2 shown]
	v_add3_u32 v77, v77, v81, v87
	v_add3_u32 v81, v83, v110, v84
	;; [unrolled: 1-line block ×4, first 2 shown]
	v_bfe_u32 v122, v85, 4, 4
	v_bfe_u32 v123, v85, 12, 4
	v_ashrrev_i32_e32 v145, 24, v88
	v_bfe_i32 v146, v88, 16, 8
	v_bfe_i32 v147, v88, 8, 8
	;; [unrolled: 1-line block ×3, first 2 shown]
	v_bfe_u32 v173, v91, 4, 4
	v_bfe_u32 v174, v91, 12, 4
	v_bfe_u32 v201, v95, 4, 4
	v_bfe_u32 v202, v95, 12, 4
	v_bfe_u32 v224, v99, 24, 4
	v_and_b32_e32 v225, 0xf0f0f0f, v99
	v_lshrrev_b32_e32 v226, 4, v99
	v_lshrrev_b32_e32 v227, 28, v99
	v_mul_i32_i24_e32 v120, v143, v120
	v_mul_i32_i24_e32 v121, v142, v121
	v_bfe_u32 v228, v99, 16, 4
	v_and_b32_e32 v229, 15, v99
	v_bfe_u32 v230, v99, 20, 4
	v_bfe_u32 v99, v99, 4, 4
	v_mul_i32_i24_e32 v129, v80, v129
	v_mul_i32_i24_e32 v124, v152, v124
	v_lshrrev_b16 v211, 8, v211
	v_lshrrev_b16 v135, 8, v218
	;; [unrolled: 1-line block ×3, first 2 shown]
	v_mul_i32_i24_e32 v171, v143, v171
	v_mul_i32_i24_e32 v172, v142, v172
	;; [unrolled: 1-line block ×10, first 2 shown]
	v_and_b32_e32 v152, 15, v212
	v_add3_u32 v81, v81, v119, v118
	v_add3_u32 v83, v83, v170, v169
	;; [unrolled: 1-line block ×3, first 2 shown]
	v_bfe_u32 v117, v85, 20, 4
	v_lshrrev_b32_e32 v85, 28, v85
	v_bfe_u32 v168, v91, 20, 4
	v_lshrrev_b32_e32 v91, 28, v91
	v_bfe_u32 v196, v95, 20, 4
	v_lshrrev_b32_e32 v95, 28, v95
	v_mul_i32_i24_e32 v122, v88, v122
	v_mul_i32_i24_e32 v123, v147, v123
	;; [unrolled: 1-line block ×4, first 2 shown]
	v_lshrrev_b16 v140, 8, v225
	v_lshrrev_b16 v213, 8, v226
	v_mul_i32_i24_e32 v82, v82, v229
	v_mul_i32_i24_e32 v173, v88, v173
	;; [unrolled: 1-line block ×6, first 2 shown]
	v_and_b32_e32 v107, 0xffff, v211
	v_and_b32_e32 v156, 15, v188
	;; [unrolled: 1-line block ×4, first 2 shown]
	v_add3_u32 v81, v81, v120, v121
	v_add3_u32 v83, v83, v171, v172
	;; [unrolled: 1-line block ×3, first 2 shown]
	v_and_b32_e32 v125, 15, v86
	v_bfe_u32 v126, v86, 8, 4
	v_ashrrev_i32_e32 v148, 24, v78
	v_bfe_i32 v149, v78, 16, 8
	v_bfe_i32 v150, v78, 8, 8
	;; [unrolled: 1-line block ×3, first 2 shown]
	v_and_b32_e32 v176, 15, v92
	v_bfe_u32 v177, v92, 8, 4
	v_and_b32_e32 v204, 15, v96
	v_bfe_u32 v205, v96, 8, 4
	v_mul_i32_i24_e32 v117, v146, v117
	v_mul_i32_i24_e32 v85, v145, v85
	;; [unrolled: 1-line block ×9, first 2 shown]
	v_lshrrev_b16 v146, 8, v232
	v_lshrrev_b16 v216, 8, v233
	v_and_b32_e32 v158, 15, v213
	v_and_b32_e32 v140, 0xffff, v140
	v_mad_i32_i24 v106, v210, v132, v134
	v_mul_i32_i24_e32 v107, v107, v131
	v_mul_i32_i24_e32 v109, v138, v135
	v_and_b32_e32 v97, 0xffff, v156
	v_mul_i32_i24_e32 v87, v108, v101
	v_add3_u32 v77, v77, v82, v88
	v_add3_u32 v81, v81, v122, v123
	;; [unrolled: 1-line block ×4, first 2 shown]
	v_bfe_u32 v127, v86, 16, 4
	v_bfe_u32 v128, v86, 24, 4
	v_bfe_u32 v130, v86, 12, 4
	v_lshrrev_b32_e32 v86, 28, v86
	v_bfe_u32 v178, v92, 16, 4
	v_bfe_u32 v179, v92, 24, 4
	v_bfe_u32 v181, v92, 12, 4
	v_lshrrev_b32_e32 v92, 28, v92
	;; [unrolled: 4-line block ×3, first 2 shown]
	v_mul_i32_i24_e32 v125, v78, v125
	v_mul_i32_i24_e32 v126, v150, v126
	;; [unrolled: 1-line block ×9, first 2 shown]
	v_and_b32_e32 v184, 15, v216
	v_and_b32_e32 v146, 0xffff, v146
	v_mul_i32_i24_e32 v103, v144, v140
	v_and_b32_e32 v104, 0xffff, v158
	v_add3_u32 v106, v106, v136, v139
	v_mul_i32_i24_e32 v89, v141, v97
	v_add3_u32 v84, v107, v87, v109
	v_add3_u32 v81, v81, v117, v85
	v_add3_u32 v82, v82, v168, v91
	v_add3_u32 v83, v83, v196, v95
	v_mul_i32_i24_e32 v127, v149, v127
	v_mul_i32_i24_e32 v128, v148, v128
	;; [unrolled: 1-line block ×13, first 2 shown]
	v_and_b32_e32 v111, 0xffff, v184
	v_add3_u32 v79, v79, v137, v98
	v_mul_i32_i24_e32 v90, v147, v104
	v_add3_u32 v94, v106, v142, v145
	v_add3_u32 v84, v84, v89, v103
	;; [unrolled: 1-line block ×5, first 2 shown]
	v_mul_i32_i24_e32 v130, v153, v130
	v_mul_i32_i24_e32 v78, v78, v236
	;; [unrolled: 1-line block ×6, first 2 shown]
	v_add3_u32 v79, v79, v143, v99
	v_add3_u32 v85, v94, v148, v151
	;; [unrolled: 1-line block ×6, first 2 shown]
	v_lshrrev_b32_e32 v102, 16, v10
	v_add3_u32 v79, v79, v149, v100
	v_add3_u32 v77, v77, v78, v80
	;; [unrolled: 1-line block ×6, first 2 shown]
	v_cvt_f32_f16_e32 v83, v102
	v_add3_u32 v77, v77, v79, v78
	v_add3_u32 v78, v80, v124, v86
	v_add3_u32 v79, v81, v175, v92
	v_add3_u32 v80, v82, v203, v96
	v_dual_mul_f32 v81, 0xc1000000, v83 :: v_dual_add_nc_u32 v8, 4, v8
	v_cvt_f32_i32_e32 v77, v77
	v_cvt_f32_i32_e32 v78, v78
	;; [unrolled: 1-line block ×4, first 2 shown]
	s_delay_alu instid0(VALU_DEP_4) | instskip(NEXT) | instid1(VALU_DEP_4)
	v_fma_mix_f32 v77, v10, v77, v81 op_sel_hi:[1,0,0]
	v_fma_mix_f32 v78, v10, v78, v81 op_sel_hi:[1,0,0]
	s_delay_alu instid0(VALU_DEP_4) | instskip(NEXT) | instid1(VALU_DEP_4)
	v_fma_mix_f32 v79, v10, v79, v81 op_sel_hi:[1,0,0]
	v_fma_mix_f32 v10, v10, v80, v81 op_sel_hi:[1,0,0]
	s_delay_alu instid0(VALU_DEP_4) | instskip(NEXT) | instid1(VALU_DEP_3)
	v_dual_fmac_f32 v2, v14, v77 :: v_dual_add_nc_u32 v7, 4, v7
	v_dual_fmac_f32 v51, v12, v79 :: v_dual_add_nc_u32 v6, 4, v6
	v_fmac_f32_e32 v17, v11, v78
	s_delay_alu instid0(VALU_DEP_4)
	v_fmac_f32_e32 v46, v13, v10
	s_cbranch_scc1 .LBB217_19
; %bb.20:                               ;   in Loop: Header=BB217_5 Depth=1
	s_wait_loadcnt 0x0
	s_barrier_signal -1
	s_barrier_wait -1
	global_inv scope:SCOPE_SE
	s_branch .LBB217_4
.LBB217_21:
	s_mul_i32 s0, s7, s4
	s_wait_loadcnt 0x0
	s_wait_alu 0xfffe
	v_cmp_gt_i32_e32 vcc_lo, s0, v15
	s_and_saveexec_b32 s0, vcc_lo
	s_cbranch_execz .LBB217_30
; %bb.22:
	v_mul_lo_u32 v0, v15, s6
	v_add_nc_u32_e32 v1, s18, v16
	s_mov_b32 s0, exec_lo
	s_delay_alu instid0(VALU_DEP_1)
	v_cmpx_gt_u32_e64 s6, v1
	s_cbranch_execz .LBB217_24
; %bb.23:
	v_bfe_u32 v4, v17, 16, 1
	s_delay_alu instid0(VALU_DEP_4) | instskip(SKIP_1) | instid1(VALU_DEP_3)
	v_add_nc_u32_e32 v3, v0, v1
	v_cmp_o_f32_e32 vcc_lo, v17, v17
	v_add3_u32 v5, v17, v4, 0x7fff
	v_mov_b32_e32 v4, 0
	s_delay_alu instid0(VALU_DEP_2) | instskip(NEXT) | instid1(VALU_DEP_2)
	v_lshrrev_b32_e32 v5, 16, v5
	v_lshlrev_b64_e32 v[3:4], 1, v[3:4]
	s_wait_alu 0xfffd
	s_delay_alu instid0(VALU_DEP_2) | instskip(NEXT) | instid1(VALU_DEP_2)
	v_cndmask_b32_e32 v5, 0x7fc0, v5, vcc_lo
	v_add_co_u32 v3, vcc_lo, s8, v3
	s_wait_alu 0xfffd
	s_delay_alu instid0(VALU_DEP_3)
	v_add_co_ci_u32_e64 v4, null, s9, v4, vcc_lo
	global_store_b16 v[3:4], v5, off
.LBB217_24:
	s_wait_alu 0xfffe
	s_or_b32 exec_lo, exec_lo, s0
	v_add_nc_u32_e32 v3, 32, v1
	s_mov_b32 s0, exec_lo
	s_delay_alu instid0(VALU_DEP_1)
	v_cmpx_gt_u32_e64 s6, v3
	s_cbranch_execz .LBB217_26
; %bb.25:
	v_bfe_u32 v4, v51, 16, 1
	v_add_nc_u32_e32 v3, v0, v3
	v_cmp_o_f32_e32 vcc_lo, v51, v51
	s_delay_alu instid0(VALU_DEP_3) | instskip(SKIP_1) | instid1(VALU_DEP_2)
	v_add3_u32 v5, v51, v4, 0x7fff
	v_mov_b32_e32 v4, 0
	v_lshrrev_b32_e32 v5, 16, v5
	s_delay_alu instid0(VALU_DEP_2) | instskip(SKIP_1) | instid1(VALU_DEP_2)
	v_lshlrev_b64_e32 v[3:4], 1, v[3:4]
	s_wait_alu 0xfffd
	v_cndmask_b32_e32 v5, 0x7fc0, v5, vcc_lo
	s_delay_alu instid0(VALU_DEP_2) | instskip(SKIP_1) | instid1(VALU_DEP_3)
	v_add_co_u32 v3, vcc_lo, s8, v3
	s_wait_alu 0xfffd
	v_add_co_ci_u32_e64 v4, null, s9, v4, vcc_lo
	global_store_b16 v[3:4], v5, off
.LBB217_26:
	s_wait_alu 0xfffe
	s_or_b32 exec_lo, exec_lo, s0
	v_add_nc_u32_e32 v3, 64, v1
	s_mov_b32 s0, exec_lo
	s_delay_alu instid0(VALU_DEP_1)
	v_cmpx_gt_u32_e64 s6, v3
	s_cbranch_execz .LBB217_28
; %bb.27:
	v_bfe_u32 v4, v46, 16, 1
	v_add_nc_u32_e32 v3, v0, v3
	v_cmp_o_f32_e32 vcc_lo, v46, v46
	s_delay_alu instid0(VALU_DEP_3) | instskip(SKIP_1) | instid1(VALU_DEP_2)
	v_add3_u32 v5, v46, v4, 0x7fff
	v_mov_b32_e32 v4, 0
	v_lshrrev_b32_e32 v5, 16, v5
	s_delay_alu instid0(VALU_DEP_2) | instskip(SKIP_1) | instid1(VALU_DEP_2)
	v_lshlrev_b64_e32 v[3:4], 1, v[3:4]
	s_wait_alu 0xfffd
	v_cndmask_b32_e32 v5, 0x7fc0, v5, vcc_lo
	s_delay_alu instid0(VALU_DEP_2) | instskip(SKIP_1) | instid1(VALU_DEP_3)
	v_add_co_u32 v3, vcc_lo, s8, v3
	s_wait_alu 0xfffd
	v_add_co_ci_u32_e64 v4, null, s9, v4, vcc_lo
	global_store_b16 v[3:4], v5, off
.LBB217_28:
	s_wait_alu 0xfffe
	s_or_b32 exec_lo, exec_lo, s0
	v_add_nc_u32_e32 v1, 0x60, v1
	s_delay_alu instid0(VALU_DEP_1)
	v_cmp_gt_u32_e32 vcc_lo, s6, v1
	s_and_b32 exec_lo, exec_lo, vcc_lo
	s_cbranch_execz .LBB217_30
; %bb.29:
	v_bfe_u32 v3, v2, 16, 1
	v_dual_mov_b32 v1, 0 :: v_dual_add_nc_u32 v0, v0, v1
	v_cmp_o_f32_e32 vcc_lo, v2, v2
	s_delay_alu instid0(VALU_DEP_3) | instskip(NEXT) | instid1(VALU_DEP_3)
	v_add3_u32 v3, v2, v3, 0x7fff
	v_lshlrev_b64_e32 v[0:1], 1, v[0:1]
	s_delay_alu instid0(VALU_DEP_2) | instskip(SKIP_1) | instid1(VALU_DEP_1)
	v_lshrrev_b32_e32 v3, 16, v3
	s_wait_alu 0xfffd
	v_cndmask_b32_e32 v2, 0x7fc0, v3, vcc_lo
	s_delay_alu instid0(VALU_DEP_3)
	v_add_co_u32 v0, vcc_lo, s8, v0
	s_wait_alu 0xfffd
	v_add_co_ci_u32_e64 v1, null, s9, v1, vcc_lo
	global_store_b16 v[0:1], v2, off
.LBB217_30:
	s_nop 0
	s_sendmsg sendmsg(MSG_DEALLOC_VGPRS)
	s_endpgm
	.section	.rodata,"a",@progbits
	.p2align	6, 0x0
	.amdhsa_kernel _ZL8moe_q4_0IN3c108BFloat16ELb0EEvPKvS3_PT_PKiS7_S7_iiiiiii
		.amdhsa_group_segment_fixed_size 22272
		.amdhsa_private_segment_fixed_size 0
		.amdhsa_kernarg_size 76
		.amdhsa_user_sgpr_count 2
		.amdhsa_user_sgpr_dispatch_ptr 0
		.amdhsa_user_sgpr_queue_ptr 0
		.amdhsa_user_sgpr_kernarg_segment_ptr 1
		.amdhsa_user_sgpr_dispatch_id 0
		.amdhsa_user_sgpr_private_segment_size 0
		.amdhsa_wavefront_size32 1
		.amdhsa_uses_dynamic_stack 0
		.amdhsa_enable_private_segment 0
		.amdhsa_system_sgpr_workgroup_id_x 1
		.amdhsa_system_sgpr_workgroup_id_y 1
		.amdhsa_system_sgpr_workgroup_id_z 0
		.amdhsa_system_sgpr_workgroup_info 0
		.amdhsa_system_vgpr_workitem_id 1
		.amdhsa_next_free_vgpr 238
		.amdhsa_next_free_sgpr 22
		.amdhsa_reserve_vcc 1
		.amdhsa_float_round_mode_32 0
		.amdhsa_float_round_mode_16_64 0
		.amdhsa_float_denorm_mode_32 3
		.amdhsa_float_denorm_mode_16_64 3
		.amdhsa_fp16_overflow 0
		.amdhsa_workgroup_processor_mode 1
		.amdhsa_memory_ordered 1
		.amdhsa_forward_progress 1
		.amdhsa_inst_pref_size 67
		.amdhsa_round_robin_scheduling 0
		.amdhsa_exception_fp_ieee_invalid_op 0
		.amdhsa_exception_fp_denorm_src 0
		.amdhsa_exception_fp_ieee_div_zero 0
		.amdhsa_exception_fp_ieee_overflow 0
		.amdhsa_exception_fp_ieee_underflow 0
		.amdhsa_exception_fp_ieee_inexact 0
		.amdhsa_exception_int_div_zero 0
	.end_amdhsa_kernel
	.section	.text._ZL8moe_q4_0IN3c108BFloat16ELb0EEvPKvS3_PT_PKiS7_S7_iiiiiii,"axG",@progbits,_ZL8moe_q4_0IN3c108BFloat16ELb0EEvPKvS3_PT_PKiS7_S7_iiiiiii,comdat
.Lfunc_end217:
	.size	_ZL8moe_q4_0IN3c108BFloat16ELb0EEvPKvS3_PT_PKiS7_S7_iiiiiii, .Lfunc_end217-_ZL8moe_q4_0IN3c108BFloat16ELb0EEvPKvS3_PT_PKiS7_S7_iiiiiii
                                        ; -- End function
	.set _ZL8moe_q4_0IN3c108BFloat16ELb0EEvPKvS3_PT_PKiS7_S7_iiiiiii.num_vgpr, 238
	.set _ZL8moe_q4_0IN3c108BFloat16ELb0EEvPKvS3_PT_PKiS7_S7_iiiiiii.num_agpr, 0
	.set _ZL8moe_q4_0IN3c108BFloat16ELb0EEvPKvS3_PT_PKiS7_S7_iiiiiii.numbered_sgpr, 22
	.set _ZL8moe_q4_0IN3c108BFloat16ELb0EEvPKvS3_PT_PKiS7_S7_iiiiiii.num_named_barrier, 0
	.set _ZL8moe_q4_0IN3c108BFloat16ELb0EEvPKvS3_PT_PKiS7_S7_iiiiiii.private_seg_size, 0
	.set _ZL8moe_q4_0IN3c108BFloat16ELb0EEvPKvS3_PT_PKiS7_S7_iiiiiii.uses_vcc, 1
	.set _ZL8moe_q4_0IN3c108BFloat16ELb0EEvPKvS3_PT_PKiS7_S7_iiiiiii.uses_flat_scratch, 0
	.set _ZL8moe_q4_0IN3c108BFloat16ELb0EEvPKvS3_PT_PKiS7_S7_iiiiiii.has_dyn_sized_stack, 0
	.set _ZL8moe_q4_0IN3c108BFloat16ELb0EEvPKvS3_PT_PKiS7_S7_iiiiiii.has_recursion, 0
	.set _ZL8moe_q4_0IN3c108BFloat16ELb0EEvPKvS3_PT_PKiS7_S7_iiiiiii.has_indirect_call, 0
	.section	.AMDGPU.csdata,"",@progbits
; Kernel info:
; codeLenInByte = 8484
; TotalNumSgprs: 24
; NumVgprs: 238
; ScratchSize: 0
; MemoryBound: 0
; FloatMode: 240
; IeeeMode: 1
; LDSByteSize: 22272 bytes/workgroup (compile time only)
; SGPRBlocks: 0
; VGPRBlocks: 29
; NumSGPRsForWavesPerEU: 24
; NumVGPRsForWavesPerEU: 238
; Occupancy: 6
; WaveLimiterHint : 1
; COMPUTE_PGM_RSRC2:SCRATCH_EN: 0
; COMPUTE_PGM_RSRC2:USER_SGPR: 2
; COMPUTE_PGM_RSRC2:TRAP_HANDLER: 0
; COMPUTE_PGM_RSRC2:TGID_X_EN: 1
; COMPUTE_PGM_RSRC2:TGID_Y_EN: 1
; COMPUTE_PGM_RSRC2:TGID_Z_EN: 0
; COMPUTE_PGM_RSRC2:TIDIG_COMP_CNT: 1
	.section	.text._ZL8moe_q4_0IN3c108BFloat16ELb1EEvPKvS3_PT_PKiS7_S7_iiiiiii,"axG",@progbits,_ZL8moe_q4_0IN3c108BFloat16ELb1EEvPKvS3_PT_PKiS7_S7_iiiiiii,comdat
	.globl	_ZL8moe_q4_0IN3c108BFloat16ELb1EEvPKvS3_PT_PKiS7_S7_iiiiiii ; -- Begin function _ZL8moe_q4_0IN3c108BFloat16ELb1EEvPKvS3_PT_PKiS7_S7_iiiiiii
	.p2align	8
	.type	_ZL8moe_q4_0IN3c108BFloat16ELb1EEvPKvS3_PT_PKiS7_S7_iiiiiii,@function
_ZL8moe_q4_0IN3c108BFloat16ELb1EEvPKvS3_PT_PKiS7_S7_iiiiiii: ; @_ZL8moe_q4_0IN3c108BFloat16ELb1EEvPKvS3_PT_PKiS7_S7_iiiiiii
; %bb.0:
	s_load_b128 s[4:7], s[0:1], 0x18
	s_mov_b32 s2, ttmp7
	s_mov_b32 s3, 0
	s_delay_alu instid0(SALU_CYCLE_1)
	s_lshl_b64 s[2:3], s[2:3], 2
	s_wait_kmcnt 0x0
	s_add_nc_u64 s[2:3], s[6:7], s[2:3]
	s_load_b32 s14, s[2:3], 0x0
	s_wait_kmcnt 0x0
	s_cmp_gt_u32 s14, 0xff
	s_cbranch_scc1 .LBB218_30
; %bb.1:
	s_load_b64 s[2:3], s[0:1], 0x28
	s_wait_kmcnt 0x0
	s_load_b32 s3, s[2:3], 0x0
	s_lshl_b32 s2, ttmp7, 3
	s_wait_kmcnt 0x0
	s_cmp_gt_u32 s2, s3
	s_cbranch_scc1 .LBB218_30
; %bb.2:
	v_bfe_u32 v19, v0, 10, 10
	v_mov_b32_e32 v14, 0
	s_lshl_b32 s11, ttmp9, 7
	s_delay_alu instid0(VALU_DEP_2) | instskip(NEXT) | instid1(VALU_DEP_2)
	v_add_nc_u32_e32 v13, s2, v19
	v_dual_mov_b32 v56, v14 :: v_dual_and_b32 v33, 0x3ff, v0
	v_dual_mov_b32 v59, v14 :: v_dual_mov_b32 v34, v14
	s_delay_alu instid0(VALU_DEP_3) | instskip(NEXT) | instid1(VALU_DEP_1)
	v_lshlrev_b64_e32 v[1:2], 2, v[13:14]
	v_add_co_u32 v1, vcc_lo, s4, v1
	s_delay_alu instid0(VALU_DEP_1)
	v_add_co_ci_u32_e64 v2, null, s5, v2, vcc_lo
	global_load_b32 v32, v[1:2], off
	s_clause 0x2
	s_load_b128 s[4:7], s[0:1], 0x30
	s_load_b64 s[12:13], s[0:1], 0x10
	s_load_b96 s[8:10], s[0:1], 0x40
	s_wait_kmcnt 0x0
	s_cmp_lt_i32 s5, 32
	s_cbranch_scc1 .LBB218_21
; %bb.3:
	s_load_b128 s[0:3], s[0:1], 0x0
	s_ashr_i32 s15, s5, 31
	s_mul_i32 s14, s14, s4
	s_lshr_b32 s4, s15, 27
	s_ashr_i32 s15, s14, 31
	s_wait_alu 0xfffe
	s_add_co_i32 s4, s5, s4
	s_ashr_i32 s16, s8, 31
	s_wait_alu 0xfffe
	s_ashr_i32 s4, s4, 5
	s_not_b32 s17, s11
	s_wait_alu 0xfffe
	s_mul_i32 s18, s4, s11
	s_lshr_b32 s20, s16, 27
	s_ashr_i32 s19, s18, 31
	s_wait_loadcnt 0x0
	v_sub_nc_u32_e32 v26, 0, v32
	s_mul_u64 s[18:19], s[18:19], 18
	s_add_co_i32 s16, s6, s17
	s_add_co_i32 s6, s8, s20
	v_dual_mov_b32 v34, 0 :: v_dual_add_nc_u32 v1, 8, v19
	v_max_i32_e32 v26, v32, v26
	v_add_nc_u32_e32 v6, 24, v19
	s_wait_kmcnt 0x0
	s_add_nc_u64 s[0:1], s[0:1], s[14:15]
	v_dual_mov_b32 v59, 0 :: v_dual_lshlrev_b32 v20, 2, v33
	s_add_nc_u64 s[14:15], s[0:1], s[18:19]
	s_abs_i32 s0, s10
	v_min_i32_e32 v2, s16, v19
	s_cvt_f32_u32 s1, s0
	s_sub_co_i32 s8, 0, s0
	v_add_nc_u32_e32 v8, 40, v19
	v_min_i32_e32 v4, s16, v1
	v_rcp_iflag_f32_e32 v24, s1
	v_add_nc_u32_e32 v10, 56, v19
	v_min_i32_e32 v6, s16, v6
	v_dual_mov_b32 v56, 0 :: v_dual_add_nc_u32 v11, 64, v19
	v_add_nc_u32_e32 v12, 0x48, v19
	v_mul_lo_u32 v37, v2, s4
	v_mad_co_u64_u32 v[1:2], null, 0x84, v2, v[20:21]
	v_min_i32_e32 v8, s16, v8
	s_delay_alu instid0(TRANS32_DEP_1)
	v_readfirstlane_b32 s1, v24
	v_add_nc_u32_e32 v13, 0x50, v19
	v_add_nc_u32_e32 v14, 0x58, v19
	v_mul_lo_u32 v38, v4, s4
	v_min_i32_e32 v10, s16, v10
	s_mul_f32 s1, s1, 0x4f7ffffe
	v_min_i32_e32 v11, s16, v11
	v_mul_lo_u32 v40, v6, s4
	v_min_i32_e32 v12, s16, v12
	s_wait_alu 0xfffe
	s_cvt_u32_f32 s1, s1
	v_min_i32_e32 v13, s16, v13
	v_mul_lo_u32 v42, v8, s4
	v_min_i32_e32 v14, s16, v14
	s_wait_alu 0xfffe
	s_mul_i32 s8, s8, s1
	v_add_nc_u32_e32 v15, 0x60, v19
	s_mul_hi_u32 s8, s1, s8
	v_bfe_u32 v49, v0, 3, 7
	s_add_co_i32 s1, s1, s8
	v_mul_lo_u32 v44, v10, s4
	s_wait_alu 0xfffe
	v_mul_hi_u32 v28, v26, s1
	v_mul_lo_u32 v45, v11, s4
	v_mul_lo_u32 v46, v12, s4
	;; [unrolled: 1-line block ×3, first 2 shown]
	v_min_i32_e32 v15, s16, v15
	v_add_nc_u32_e32 v17, 0x70, v19
	v_add_nc_u32_e32 v16, 0x68, v19
	v_mul_lo_u32 v48, v14, s4
	v_mul_lo_u32 v29, v28, s0
	;; [unrolled: 1-line block ×3, first 2 shown]
	v_and_b32_e32 v54, 7, v0
	v_min_i32_e32 v16, s16, v16
	v_lshl_add_u32 v61, v19, 7, 0x5280
	v_lshl_add_u32 v62, v19, 4, 0x5680
	v_and_b32_e32 v36, 12, v20
	v_lshlrev_b32_e32 v24, 2, v54
	v_sub_nc_u32_e32 v26, v26, v29
	v_add_nc_u32_e32 v29, 1, v28
	v_mul_lo_u32 v51, v16, s4
	v_add_nc_u32_e32 v64, v62, v20
	s_ashr_i32 s6, s6, 5
	v_cmp_le_u32_e32 vcc_lo, s0, v26
	v_add_nc_u32_e32 v3, 16, v19
	v_add_nc_u32_e32 v7, 32, v19
	v_bfe_u32 v35, v0, 2, 8
	v_mul_u32_u24_e32 v65, 0x84, v33
	s_wait_alu 0xfffd
	v_dual_cndmask_b32 v28, v28, v29 :: v_dual_add_nc_u32 v9, 48, v19
	v_min_i32_e32 v5, s16, v3
	v_min_i32_e32 v7, s16, v7
	v_mad_co_u64_u32 v[2:3], null, 0x84, v4, v[20:21]
	s_delay_alu instid0(VALU_DEP_4) | instskip(NEXT) | instid1(VALU_DEP_4)
	v_min_i32_e32 v9, s16, v9
	v_mad_co_u64_u32 v[3:4], null, 0x84, v5, v[20:21]
	v_mul_lo_u32 v39, v5, s4
	v_mad_co_u64_u32 v[4:5], null, 0x84, v6, v[20:21]
	v_mad_co_u64_u32 v[5:6], null, 0x84, v7, v[20:21]
	v_mul_lo_u32 v41, v7, s4
	v_mad_co_u64_u32 v[6:7], null, 0x84, v8, v[20:21]
	v_mad_co_u64_u32 v[7:8], null, 0x84, v9, v[20:21]
	v_mul_lo_u32 v43, v9, s4
	v_mad_co_u64_u32 v[8:9], null, 0x84, v10, v[20:21]
	v_mad_co_u64_u32 v[9:10], null, 0x84, v11, v[20:21]
	v_mad_co_u64_u32 v[10:11], null, 0x84, v12, v[20:21]
	;; [unrolled: 1-line block ×4, first 2 shown]
	v_lshl_add_u32 v21, v19, 2, v49
	v_xor_b32_e32 v29, s10, v32
	v_mad_u32_u24 v72, 0x84, v33, 64
	s_mov_b32 s17, 0
	s_delay_alu instid0(VALU_DEP_3) | instskip(SKIP_4) | instid1(VALU_DEP_4)
	v_mad_co_u64_u32 v[13:14], null, 0x84, v15, v[20:21]
	v_min_i32_e32 v14, s16, v17
	v_add_nc_u32_e32 v17, 0x78, v19
	v_min_i32_e32 v22, s16, v21
	v_mad_co_u64_u32 v[15:16], null, 0x84, v16, v[20:21]
	v_mul_lo_u32 v52, v14, s4
	s_delay_alu instid0(VALU_DEP_4) | instskip(NEXT) | instid1(VALU_DEP_4)
	v_min_i32_e32 v23, s16, v17
	v_ashrrev_i32_e32 v18, 31, v22
	v_mad_co_u64_u32 v[16:17], null, 0x84, v14, v[20:21]
	v_ashrrev_i32_e32 v29, 31, v29
	s_delay_alu instid0(VALU_DEP_4) | instskip(NEXT) | instid1(VALU_DEP_4)
	v_mul_lo_u32 v53, v23, s4
	v_lshrrev_b32_e32 v14, 30, v18
	v_mad_co_u64_u32 v[17:18], null, 0x84, v23, v[20:21]
	v_add_nc_u32_e32 v18, 32, v21
	v_add_nc_u32_e32 v23, 64, v21
	v_add_nc_u32_e32 v21, 0x60, v21
	v_add_nc_u32_e32 v14, v22, v14
	v_and_b32_e32 v19, 28, v20
	v_min_i32_e32 v18, s16, v18
	v_min_i32_e32 v23, s16, v23
	;; [unrolled: 1-line block ×3, first 2 shown]
	v_and_b32_e32 v14, -4, v14
	v_mul_lo_u32 v55, v22, s4
	v_ashrrev_i32_e32 v25, 31, v18
	v_ashrrev_i32_e32 v27, 31, v23
	;; [unrolled: 1-line block ×3, first 2 shown]
	v_mul_lo_u32 v57, v18, s4
	v_lshlrev_b32_e32 v31, 5, v18
	v_lshrrev_b32_e32 v25, 30, v25
	v_lshrrev_b32_e32 v27, 30, v27
	v_add3_u32 v14, v14, v24, 0x4200
	v_lshlrev_b32_e32 v22, 5, v22
	v_mul_lo_u32 v58, v23, s4
	v_add_nc_u32_e32 v25, v18, v25
	v_lshrrev_b32_e32 v18, 30, v30
	v_subrev_nc_u32_e32 v30, s0, v26
	v_add_nc_u32_e32 v27, v23, v27
	v_lshlrev_b32_e32 v23, 5, v23
	v_and_b32_e32 v25, -4, v25
	v_add_nc_u32_e32 v18, v21, v18
	v_cndmask_b32_e32 v26, v26, v30, vcc_lo
	v_add_nc_u32_e32 v30, 1, v28
	v_and_b32_e32 v27, -4, v27
	v_add3_u32 v25, v25, v24, 0x4200
	v_and_b32_e32 v18, -4, v18
	v_cmp_le_u32_e32 vcc_lo, s0, v26
	v_mul_lo_u32 v60, v21, s4
	v_add3_u32 v27, v27, v24, 0x4200
	v_lshlrev_b32_e32 v21, 5, v21
	v_add3_u32 v24, v18, v24, 0x4200
	s_wait_alu 0xfffd
	v_cndmask_b32_e32 v26, v28, v30, vcc_lo
	v_and_b32_e32 v18, 31, v0
	v_add_nc_u32_e32 v28, 0x60, v33
	v_and_b32_e32 v0, 0xfc, v0
	v_cmp_gt_u32_e32 vcc_lo, 4, v33
	v_xor_b32_e32 v26, v26, v29
	v_lshl_or_b32 v63, v18, 2, v61
	v_add_nc_u32_e32 v18, 32, v33
	v_and_b32_e32 v28, 0x1fc, v28
	v_add_nc_u32_e32 v77, v14, v22
	v_sub_nc_u32_e32 v20, v26, v29
	v_add_nc_u32_e32 v26, 64, v33
	v_and_b32_e32 v29, 0x1fc, v18
	v_lshrrev_b32_e32 v66, 3, v18
	v_add_co_u32 v18, s1, s2, v19
	v_cmp_gt_i32_e64 s0, s7, v20
	v_mul_lo_u32 v67, v20, s6
	v_lshlrev_b32_e32 v20, 5, v33
	v_and_b32_e32 v26, 0x1fc, v26
	s_wait_alu 0xf1ff
	v_add_co_ci_u32_e64 v19, null, s3, 0, s1
	v_add_nc_u32_e32 v78, v25, v31
	v_add_nc_u32_e32 v28, v20, v28
	;; [unrolled: 1-line block ×5, first 2 shown]
	v_ashrrev_i32_e32 v0, 31, v67
	v_add_nc_u32_e32 v68, 0x4e00, v28
	v_add_nc_u32_e32 v69, 0x4a00, v26
	;; [unrolled: 1-line block ×10, first 2 shown]
	v_mov_b32_e32 v14, 0
	s_and_b32 s8, vcc_lo, s0
	s_wait_alu 0xfffe
	s_mov_b32 s16, s17
	s_branch .LBB218_5
.LBB218_4:                              ;   in Loop: Header=BB218_5 Depth=1
	s_add_co_i32 s16, s16, 8
	s_wait_alu 0xfffe
	s_cmp_ge_i32 s16, s4
	s_cbranch_scc1 .LBB218_21
.LBB218_5:                              ; =>This Loop Header: Depth=1
                                        ;     Child Loop BB218_11 Depth 2
                                        ;     Child Loop BB218_19 Depth 2
	s_wait_alu 0xfffe
	s_mul_u64 s[18:19], s[16:17], 18
	s_wait_alu 0xfffe
	s_add_nc_u64 s[18:19], s[14:15], s[18:19]
	s_wait_alu 0xfffe
	v_mad_co_u64_u32 v[20:21], null, v35, 18, s[18:19]
	s_delay_alu instid0(VALU_DEP_1) | instskip(SKIP_3) | instid1(VALU_DEP_4)
	v_mad_co_i64_i32 v[22:23], null, v37, 18, v[20:21]
	v_mad_co_i64_i32 v[24:25], null, v38, 18, v[20:21]
	v_mad_co_i64_i32 v[26:27], null, v39, 18, v[20:21]
	v_mad_co_i64_i32 v[28:29], null, v40, 18, v[20:21]
	v_add_co_u32 v22, s1, v22, v36
	v_mad_co_i64_i32 v[30:31], null, v41, 18, v[20:21]
	s_wait_alu 0xf1ff
	v_add_co_ci_u32_e64 v23, null, 0, v23, s1
	v_add_co_u32 v24, s1, v24, v36
	v_mad_co_i64_i32 v[81:82], null, v42, 18, v[20:21]
	s_wait_alu 0xf1ff
	v_add_co_ci_u32_e64 v25, null, 0, v25, s1
	;; [unrolled: 4-line block ×4, first 2 shown]
	v_add_co_u32 v30, s1, v30, v36
	s_wait_alu 0xf1ff
	v_add_co_ci_u32_e64 v31, null, 0, v31, s1
	v_add_co_u32 v81, s1, v81, v36
	s_wait_alu 0xf1ff
	v_add_co_ci_u32_e64 v82, null, 0, v82, s1
	;; [unrolled: 3-line block ×3, first 2 shown]
	v_add_co_u32 v85, s1, v85, v36
	v_mad_co_i64_i32 v[87:88], null, v45, 18, v[20:21]
	s_wait_alu 0xf1ff
	v_add_co_ci_u32_e64 v86, null, 0, v86, s1
	s_clause 0x7
	global_load_b32 v93, v[22:23], off offset:2
	global_load_b32 v94, v[24:25], off offset:2
	global_load_b32 v95, v[26:27], off offset:2
	global_load_b32 v96, v[28:29], off offset:2
	global_load_b32 v97, v[30:31], off offset:2
	global_load_b32 v98, v[81:82], off offset:2
	global_load_b32 v99, v[83:84], off offset:2
	global_load_b32 v100, v[85:86], off offset:2
	v_mad_co_i64_i32 v[22:23], null, v46, 18, v[20:21]
	v_mad_co_u64_u32 v[81:82], null, v54, 18, s[18:19]
	v_mad_co_i64_i32 v[26:27], null, v47, 18, v[20:21]
	v_mad_co_i64_i32 v[28:29], null, v48, 18, v[20:21]
	v_add_co_u32 v24, s1, v87, v36
	v_mad_co_i64_i32 v[30:31], null, v50, 18, v[20:21]
	s_wait_alu 0xf1ff
	v_add_co_ci_u32_e64 v25, null, 0, v88, s1
	v_add_co_u32 v22, s1, v22, v36
	v_mad_co_i64_i32 v[83:84], null, v51, 18, v[20:21]
	v_mad_co_i64_i32 v[85:86], null, v55, 18, v[81:82]
	;; [unrolled: 1-line block ×3, first 2 shown]
	s_wait_alu 0xf1ff
	v_add_co_ci_u32_e64 v23, null, 0, v23, s1
	v_add_co_u32 v26, s1, v26, v36
	v_mad_co_i64_i32 v[89:90], null, v58, 18, v[81:82]
	v_mad_co_i64_i32 v[91:92], null, v52, 18, v[20:21]
	v_mad_co_i64_i32 v[81:82], null, v60, 18, v[81:82]
	s_wait_alu 0xf1ff
	v_add_co_ci_u32_e64 v27, null, 0, v27, s1
	v_add_co_u32 v28, s1, v28, v36
	v_mad_co_i64_i32 v[20:21], null, v53, 18, v[20:21]
	s_wait_alu 0xf1ff
	v_add_co_ci_u32_e64 v29, null, 0, v29, s1
	v_add_co_u32 v30, s1, v30, v36
	s_wait_alu 0xf1ff
	v_add_co_ci_u32_e64 v31, null, 0, v31, s1
	s_clause 0x3
	global_load_u16 v85, v[85:86], off
	global_load_u16 v86, v[87:88], off
	;; [unrolled: 1-line block ×4, first 2 shown]
	v_add_co_u32 v81, s1, v83, v36
	s_wait_alu 0xf1ff
	v_add_co_ci_u32_e64 v82, null, 0, v84, s1
	v_add_co_u32 v83, s1, v91, v36
	s_wait_alu 0xf1ff
	v_add_co_ci_u32_e64 v84, null, 0, v92, s1
	;; [unrolled: 3-line block ×3, first 2 shown]
	s_clause 0x7
	global_load_b32 v24, v[24:25], off offset:2
	global_load_b32 v22, v[22:23], off offset:2
	;; [unrolled: 1-line block ×8, first 2 shown]
	s_lshl_b32 s18, s16, 5
	s_wait_alu 0xfffe
	s_cmp_lt_i32 s18, s5
	s_wait_loadcnt 0xb
	v_cvt_f32_f16_e32 v21, v85
	s_wait_loadcnt 0xa
	v_cvt_f32_f16_e32 v29, v86
	;; [unrolled: 2-line block ×4, first 2 shown]
	ds_store_b32 v1, v93
	ds_store_b32 v77, v21
	;; [unrolled: 1-line block ×11, first 2 shown]
	s_wait_loadcnt 0x7
	ds_store_b32 v9, v24
	s_wait_loadcnt 0x6
	ds_store_b32 v10, v22
	;; [unrolled: 2-line block ×8, first 2 shown]
	ds_store_b32 v80, v31
	s_cbranch_scc0 .LBB218_4
; %bb.6:                                ;   in Loop: Header=BB218_5 Depth=1
	v_add_nc_u32_e32 v20, s16, v49
	s_delay_alu instid0(VALU_DEP_1)
	v_cmp_gt_i32_e64 s1, s6, v20
	s_and_b32 s19, s0, s1
	s_wait_alu 0xfffe
	s_and_saveexec_b32 s1, s19
	s_cbranch_execz .LBB218_8
; %bb.7:                                ;   in Loop: Header=BB218_5 Depth=1
	v_add_nc_u32_e32 v20, v67, v20
	s_delay_alu instid0(VALU_DEP_1)
	v_mad_co_i64_i32 v[20:21], null, v20, 36, v[18:19]
	global_load_b32 v20, v[20:21], off offset:4
	s_wait_loadcnt 0x0
	ds_store_b32 v63, v20
.LBB218_8:                              ;   in Loop: Header=BB218_5 Depth=1
	s_wait_alu 0xfffe
	s_or_b32 exec_lo, exec_lo, s1
	v_add_nc_u32_e32 v81, s16, v33
	s_delay_alu instid0(VALU_DEP_1)
	v_cmp_gt_i32_e64 s1, s6, v81
	s_and_b32 s19, s8, s1
	s_wait_alu 0xfffe
	s_and_saveexec_b32 s1, s19
	s_cbranch_execz .LBB218_10
; %bb.9:                                ;   in Loop: Header=BB218_5 Depth=1
	v_add_nc_u32_e32 v20, v67, v81
	s_delay_alu instid0(VALU_DEP_1)
	v_mad_co_i64_i32 v[20:21], null, v20, 36, s[2:3]
	global_load_b32 v20, v[20:21], off
	s_wait_loadcnt 0x0
	ds_store_b32 v64, v20
.LBB218_10:                             ;   in Loop: Header=BB218_5 Depth=1
	s_wait_alu 0xfffe
	s_or_b32 exec_lo, exec_lo, s1
	v_dual_mov_b32 v82, v61 :: v_dual_mov_b32 v83, v62
	v_dual_mov_b32 v84, v71 :: v_dual_mov_b32 v85, v70
	;; [unrolled: 1-line block ×3, first 2 shown]
	v_mov_b32_e32 v88, v65
	s_mov_b32 s1, -4
	s_wait_dscnt 0x0
	s_barrier_signal -1
	s_barrier_wait -1
	global_inv scope:SCOPE_SE
.LBB218_11:                             ;   Parent Loop BB218_5 Depth=1
                                        ; =>  This Inner Loop Header: Depth=2
	ds_load_2addr_b32 v[20:21], v82 offset0:4 offset1:7
	ds_load_2addr_b32 v[28:29], v88 offset1:1
	ds_load_2addr_b32 v[22:23], v82 offset1:3
	ds_load_2addr_b32 v[26:27], v82 offset0:1 offset1:2
	ds_load_2addr_b32 v[24:25], v82 offset0:5 offset1:6
	;; [unrolled: 1-line block ×3, first 2 shown]
	ds_load_b32 v89, v87
	ds_load_b32 v103, v83
	ds_load_b32 v104, v84
	ds_load_b32 v105, v85
	ds_load_b32 v106, v86
	v_add_nc_u32_e32 v90, 0x1080, v88
	v_add_nc_u32_e32 v91, 0x1088, v88
	;; [unrolled: 1-line block ×6, first 2 shown]
	ds_load_2addr_b32 v[95:96], v90 offset1:1
	ds_load_2addr_b32 v[90:91], v91 offset1:1
	;; [unrolled: 1-line block ×6, first 2 shown]
	v_add_nc_u32_e32 v88, 16, v88
	v_add_nc_u32_e32 v86, 4, v86
	;; [unrolled: 1-line block ×5, first 2 shown]
	s_wait_alu 0xfffe
	s_add_co_i32 s1, s1, 4
	s_wait_dscnt 0x10
	v_lshrrev_b16 v94, 8, v20
	s_wait_dscnt 0xf
	v_and_b32_e32 v108, 15, v28
	s_wait_dscnt 0xe
	v_lshrrev_b16 v135, 8, v22
	v_ashrrev_i32_e32 v136, 24, v22
	v_bfe_i32 v137, v22, 16, 8
	v_bfe_i32 v22, v22, 0, 8
	v_bfe_u32 v109, v28, 8, 4
	v_bfe_u32 v110, v28, 16, 4
	;; [unrolled: 1-line block ×3, first 2 shown]
	v_ashrrev_i32_e32 v138, 24, v20
	v_bfe_i32 v139, v20, 16, 8
	v_bfe_i32 v20, v20, 0, 8
	s_wait_dscnt 0x5
	v_and_b32_e32 v160, 15, v95
	v_bfe_u32 v162, v95, 16, 4
	v_bfe_u32 v163, v95, 24, 4
	s_wait_dscnt 0x3
	v_and_b32_e32 v188, 15, v97
	v_bfe_i32 v135, v135, 0, 8
	v_mul_i32_i24_e32 v108, v22, v108
	s_wait_dscnt 0x1
	v_bfe_u32 v215, v99, 4, 4
	v_bfe_u32 v217, v99, 20, 4
	v_lshrrev_b32_e32 v219, 28, v99
	v_bfe_u32 v161, v95, 8, 4
	v_bfe_u32 v189, v97, 8, 4
	;; [unrolled: 1-line block ×4, first 2 shown]
	v_mul_i32_i24_e32 v110, v137, v110
	v_mul_i32_i24_e32 v111, v136, v111
	v_bfe_u32 v220, v99, 24, 4
	v_mad_i32_i24 v108, v135, v109, v108
	v_mul_i32_i24_e32 v109, v22, v160
	v_mul_i32_i24_e32 v160, v137, v162
	v_mul_i32_i24_e32 v162, v136, v163
	v_mul_i32_i24_e32 v163, v215, v20
	v_mul_i32_i24_e32 v188, v22, v188
	v_mul_i32_i24_e32 v215, v217, v139
	v_mul_i32_i24_e32 v217, v219, v138
	v_bfe_u32 v112, v28, 4, 4
	v_bfe_u32 v113, v28, 12, 4
	;; [unrolled: 1-line block ×6, first 2 shown]
	v_bfe_i32 v94, v94, 0, 8
	v_mul_i32_i24_e32 v190, v137, v190
	v_mul_i32_i24_e32 v191, v136, v191
	v_add3_u32 v108, v108, v110, v111
	v_mad_i32_i24 v109, v135, v161, v109
	v_mad_i32_i24 v111, v220, v136, v217
	;; [unrolled: 1-line block ×3, first 2 shown]
	v_bfe_u32 v107, v28, 20, 4
	v_lshrrev_b32_e32 v28, 28, v28
	v_bfe_u32 v159, v95, 20, 4
	v_lshrrev_b32_e32 v95, 28, v95
	;; [unrolled: 2-line block ×3, first 2 shown]
	v_mul_i32_i24_e32 v112, v20, v112
	v_mul_i32_i24_e32 v113, v94, v113
	;; [unrolled: 1-line block ×6, first 2 shown]
	v_add3_u32 v109, v109, v160, v162
	v_add3_u32 v136, v136, v190, v191
	v_and_b32_e32 v115, 15, v29
	v_bfe_u32 v116, v29, 8, 4
	v_ashrrev_i32_e32 v140, 24, v26
	v_bfe_i32 v141, v26, 16, 8
	v_bfe_i32 v142, v26, 8, 8
	;; [unrolled: 1-line block ×3, first 2 shown]
	v_and_b32_e32 v167, 15, v96
	v_bfe_u32 v168, v96, 8, 4
	v_and_b32_e32 v195, 15, v98
	v_bfe_u32 v196, v98, 8, 4
	v_mul_i32_i24_e32 v107, v139, v107
	v_mul_i32_i24_e32 v28, v138, v28
	;; [unrolled: 1-line block ×6, first 2 shown]
	v_add3_u32 v108, v108, v113, v112
	v_add3_u32 v109, v109, v165, v164
	;; [unrolled: 1-line block ×3, first 2 shown]
	v_bfe_u32 v117, v29, 16, 4
	v_bfe_u32 v118, v29, 24, 4
	;; [unrolled: 1-line block ×6, first 2 shown]
	v_mul_i32_i24_e32 v115, v26, v115
	v_mul_i32_i24_e32 v116, v142, v116
	;; [unrolled: 1-line block ×6, first 2 shown]
	v_add3_u32 v28, v108, v107, v28
	v_add3_u32 v95, v109, v159, v95
	;; [unrolled: 1-line block ×3, first 2 shown]
	v_bfe_u32 v119, v29, 4, 4
	v_bfe_u32 v120, v29, 12, 4
	v_ashrrev_i32_e32 v143, 24, v24
	v_bfe_i32 v144, v24, 16, 8
	v_bfe_i32 v145, v24, 8, 8
	;; [unrolled: 1-line block ×3, first 2 shown]
	v_bfe_u32 v171, v96, 4, 4
	v_bfe_u32 v172, v96, 12, 4
	;; [unrolled: 1-line block ×4, first 2 shown]
	v_mul_i32_i24_e32 v117, v141, v117
	v_mul_i32_i24_e32 v118, v140, v118
	;; [unrolled: 1-line block ×6, first 2 shown]
	v_add3_u32 v28, v28, v116, v115
	v_add3_u32 v95, v95, v168, v138
	;; [unrolled: 1-line block ×3, first 2 shown]
	v_bfe_u32 v114, v29, 20, 4
	v_lshrrev_b32_e32 v29, 28, v29
	v_bfe_u32 v166, v96, 20, 4
	v_lshrrev_b32_e32 v96, 28, v96
	;; [unrolled: 2-line block ×3, first 2 shown]
	v_and_b32_e32 v216, 15, v99
	v_bfe_u32 v222, v100, 24, 4
	v_and_b32_e32 v223, 0xf0f0f0f, v100
	v_lshrrev_b32_e32 v224, 4, v100
	v_lshrrev_b32_e32 v225, 28, v100
	v_bfe_u32 v226, v100, 16, 4
	v_and_b32_e32 v227, 15, v100
	v_bfe_u32 v228, v100, 20, 4
	v_bfe_u32 v100, v100, 4, 4
	v_mul_i32_i24_e32 v119, v24, v119
	v_mul_i32_i24_e32 v120, v145, v120
	;; [unrolled: 1-line block ×6, first 2 shown]
	v_add3_u32 v28, v28, v117, v118
	v_add3_u32 v95, v95, v169, v170
	;; [unrolled: 1-line block ×3, first 2 shown]
	v_and_b32_e32 v122, 15, v30
	v_bfe_u32 v123, v30, 8, 4
	v_ashrrev_i32_e32 v146, 24, v27
	v_bfe_i32 v147, v27, 16, 8
	v_bfe_i32 v148, v27, 8, 8
	;; [unrolled: 1-line block ×3, first 2 shown]
	v_and_b32_e32 v174, 15, v90
	v_bfe_u32 v175, v90, 8, 4
	v_and_b32_e32 v202, 15, v92
	v_bfe_u32 v203, v92, 8, 4
	v_bfe_u32 v218, v99, 16, 4
	v_and_b32_e32 v221, 0xf0f0f0f, v99
	v_lshrrev_b32_e32 v99, 4, v99
	v_mul_i32_i24_e32 v114, v144, v114
	v_mul_i32_i24_e32 v29, v143, v29
	;; [unrolled: 1-line block ×8, first 2 shown]
	v_mad_i32_i24 v22, v216, v22, v163
	v_add3_u32 v28, v28, v119, v120
	v_add3_u32 v95, v95, v171, v172
	;; [unrolled: 1-line block ×3, first 2 shown]
	v_bfe_u32 v124, v30, 16, 4
	v_bfe_u32 v125, v30, 24, 4
	;; [unrolled: 1-line block ×4, first 2 shown]
	v_ashrrev_i32_e32 v149, 24, v25
	v_bfe_i32 v150, v25, 16, 8
	v_bfe_i32 v151, v25, 8, 8
	v_bfe_i32 v25, v25, 0, 8
	v_ashrrev_i32_e32 v152, 24, v23
	v_bfe_i32 v153, v23, 16, 8
	v_bfe_i32 v154, v23, 8, 8
	v_bfe_i32 v23, v23, 0, 8
	v_ashrrev_i32_e32 v155, 24, v21
	v_bfe_i32 v156, v21, 16, 8
	v_bfe_i32 v157, v21, 8, 8
	v_bfe_i32 v21, v21, 0, 8
	v_bfe_u32 v173, v90, 20, 4
	v_bfe_u32 v176, v90, 16, 4
	;; [unrolled: 1-line block ×11, first 2 shown]
	v_and_b32_e32 v209, 15, v93
	v_bfe_u32 v213, v93, 4, 4
	s_wait_dscnt 0x0
	v_bfe_u32 v229, v101, 24, 4
	v_and_b32_e32 v230, 0xf0f0f0f, v101
	v_lshrrev_b32_e32 v231, 4, v101
	v_lshrrev_b32_e32 v232, 28, v101
	v_bfe_u32 v233, v101, 16, 4
	v_and_b32_e32 v234, 15, v101
	v_bfe_u32 v235, v101, 20, 4
	v_bfe_u32 v101, v101, 4, 4
	;; [unrolled: 1-line block ×3, first 2 shown]
	v_and_b32_e32 v237, 0xf0f0f0f, v102
	v_lshrrev_b32_e32 v238, 4, v102
	v_lshrrev_b32_e32 v239, 28, v102
	v_bfe_u32 v240, v102, 16, 4
	v_and_b32_e32 v241, 15, v102
	v_bfe_u32 v242, v102, 20, 4
	v_bfe_u32 v102, v102, 4, 4
	v_mul_i32_i24_e32 v122, v27, v122
	v_mul_i32_i24_e32 v123, v148, v123
	;; [unrolled: 1-line block ×4, first 2 shown]
	v_lshrrev_b16 v99, 8, v99
	v_mul_i32_i24_e32 v175, v148, v175
	v_mul_i32_i24_e32 v203, v148, v203
	v_add3_u32 v22, v22, v26, v24
	v_add3_u32 v24, v28, v114, v29
	;; [unrolled: 1-line block ×4, first 2 shown]
	v_bfe_u32 v127, v30, 12, 4
	v_bfe_u32 v179, v90, 12, 4
	;; [unrolled: 1-line block ×5, first 2 shown]
	v_mul_i32_i24_e32 v124, v147, v124
	v_mul_i32_i24_e32 v125, v146, v125
	;; [unrolled: 1-line block ×19, first 2 shown]
	v_lshrrev_b16 v206, 8, v221
	v_lshrrev_b16 v208, 8, v223
	;; [unrolled: 1-line block ×3, first 2 shown]
	v_and_b32_e32 v99, 15, v99
	v_add3_u32 v24, v24, v123, v122
	v_add3_u32 v26, v26, v175, v174
	;; [unrolled: 1-line block ×3, first 2 shown]
	v_bfe_u32 v121, v30, 20, 4
	v_lshrrev_b32_e32 v30, 28, v30
	v_lshrrev_b32_e32 v90, 28, v90
	;; [unrolled: 1-line block ×3, first 2 shown]
	v_mul_i32_i24_e32 v127, v151, v127
	v_mul_i32_i24_e32 v27, v27, v234
	;; [unrolled: 1-line block ×4, first 2 shown]
	v_lshrrev_b16 v211, 8, v230
	v_lshrrev_b16 v212, 8, v231
	v_mul_i32_i24_e32 v179, v151, v179
	v_mul_i32_i24_e32 v207, v151, v207
	v_mad_i32_i24 v110, v218, v137, v215
	v_and_b32_e32 v137, 0xffff, v206
	v_and_b32_e32 v161, 15, v209
	v_and_b32_e32 v163, 0xffff, v208
	v_and_b32_e32 v99, 0xffff, v99
	v_add3_u32 v24, v24, v124, v125
	v_add3_u32 v26, v26, v176, v177
	;; [unrolled: 1-line block ×3, first 2 shown]
	v_and_b32_e32 v129, 15, v31
	v_bfe_u32 v130, v31, 8, 4
	v_and_b32_e32 v181, 15, v91
	v_bfe_u32 v182, v91, 8, 4
	v_bfe_u32 v210, v93, 8, 4
	v_mul_i32_i24_e32 v121, v150, v121
	v_mul_i32_i24_e32 v30, v149, v30
	;; [unrolled: 1-line block ×6, first 2 shown]
	v_lshrrev_b16 v213, 8, v237
	v_lshrrev_b16 v219, 8, v238
	v_and_b32_e32 v188, 15, v212
	v_and_b32_e32 v189, 0xffff, v211
	v_mul_i32_i24_e32 v112, v137, v135
	v_mul_i32_i24_e32 v113, v142, v163
	v_and_b32_e32 v97, 0xffff, v161
	v_mul_i32_i24_e32 v28, v99, v94
	v_add3_u32 v22, v22, v27, v25
	v_add3_u32 v24, v24, v126, v127
	;; [unrolled: 1-line block ×4, first 2 shown]
	v_bfe_u32 v128, v31, 20, 4
	v_bfe_u32 v131, v31, 16, 4
	;; [unrolled: 1-line block ×4, first 2 shown]
	v_lshrrev_b32_e32 v31, 28, v31
	v_bfe_u32 v183, v91, 16, 4
	v_bfe_u32 v184, v91, 24, 4
	;; [unrolled: 1-line block ×3, first 2 shown]
	v_lshrrev_b32_e32 v91, 28, v91
	v_bfe_u32 v214, v93, 12, 4
	v_lshrrev_b32_e32 v93, 28, v93
	v_mul_i32_i24_e32 v129, v23, v129
	v_mul_i32_i24_e32 v130, v154, v130
	;; [unrolled: 1-line block ×9, first 2 shown]
	v_and_b32_e32 v206, 15, v219
	v_and_b32_e32 v160, 0xffff, v213
	v_mul_i32_i24_e32 v107, v148, v189
	v_and_b32_e32 v108, 0xffff, v188
	v_add3_u32 v111, v111, v140, v143
	v_mul_i32_i24_e32 v29, v145, v97
	v_add3_u32 v27, v112, v28, v113
	v_add3_u32 v24, v24, v121, v30
	;; [unrolled: 1-line block ×4, first 2 shown]
	v_mul_i32_i24_e32 v131, v153, v131
	v_mul_i32_i24_e32 v132, v152, v132
	;; [unrolled: 1-line block ×12, first 2 shown]
	v_and_b32_e32 v115, 0xffff, v206
	v_add3_u32 v110, v110, v141, v144
	v_mul_i32_i24_e32 v94, v151, v108
	v_add3_u32 v96, v111, v146, v149
	v_add3_u32 v27, v27, v29, v107
	;; [unrolled: 1-line block ×5, first 2 shown]
	v_mul_i32_i24_e32 v128, v156, v128
	v_mul_i32_i24_e32 v134, v157, v134
	;; [unrolled: 1-line block ×8, first 2 shown]
	v_add3_u32 v26, v110, v147, v150
	v_add3_u32 v28, v96, v152, v155
	;; [unrolled: 1-line block ×6, first 2 shown]
	v_lshrrev_b32_e32 v158, 16, v103
	v_add3_u32 v26, v26, v153, v156
	v_add3_u32 v21, v22, v23, v21
	;; [unrolled: 1-line block ×6, first 2 shown]
	v_cvt_f32_f16_e64 v25, v158
	v_add3_u32 v21, v21, v26, v22
	v_add3_u32 v22, v23, v128, v31
	;; [unrolled: 1-line block ×4, first 2 shown]
	v_dual_mul_f32 v24, 0xc1000000, v25 :: v_dual_add_nc_u32 v87, 4, v87
	v_cvt_f32_i32_e32 v21, v21
	v_cvt_f32_i32_e32 v22, v22
	;; [unrolled: 1-line block ×4, first 2 shown]
	s_wait_alu 0xfffe
	s_cmp_lt_u32 s1, 12
	v_fma_mix_f32 v21, v103, v21, v24 op_sel_hi:[1,0,0]
	v_fma_mix_f32 v22, v103, v22, v24 op_sel_hi:[1,0,0]
	;; [unrolled: 1-line block ×4, first 2 shown]
	v_add_nc_u32_e32 v85, 4, v85
	v_fmac_f32_e32 v14, v89, v21
	s_delay_alu instid0(VALU_DEP_4) | instskip(NEXT) | instid1(VALU_DEP_4)
	v_dual_fmac_f32 v34, v104, v22 :: v_dual_fmac_f32 v59, v105, v23
	v_fmac_f32_e32 v56, v106, v20
	s_cbranch_scc1 .LBB218_11
; %bb.12:                               ;   in Loop: Header=BB218_5 Depth=1
	s_bitset1_b32 s18, 7
	s_wait_loadcnt 0x0
	s_wait_alu 0xfffe
	s_cmp_ge_i32 s18, s5
	s_barrier_signal -1
	s_barrier_wait -1
	global_inv scope:SCOPE_SE
	s_cbranch_scc1 .LBB218_4
; %bb.13:                               ;   in Loop: Header=BB218_5 Depth=1
	v_add_nc_u32_e32 v20, s16, v66
	s_delay_alu instid0(VALU_DEP_1)
	v_cmp_gt_i32_e64 s1, s6, v20
	s_and_b32 s18, s0, s1
	s_wait_alu 0xfffe
	s_and_saveexec_b32 s1, s18
	s_cbranch_execz .LBB218_15
; %bb.14:                               ;   in Loop: Header=BB218_5 Depth=1
	v_add_nc_u32_e32 v20, v67, v20
	s_delay_alu instid0(VALU_DEP_1)
	v_mad_co_i64_i32 v[20:21], null, v20, 36, v[18:19]
	global_load_b32 v20, v[20:21], off offset:4
	s_wait_loadcnt 0x0
	ds_store_b32 v63, v20
.LBB218_15:                             ;   in Loop: Header=BB218_5 Depth=1
	s_wait_alu 0xfffe
	s_or_b32 exec_lo, exec_lo, s1
	s_and_saveexec_b32 s18, vcc_lo
	s_cbranch_execz .LBB218_18
; %bb.16:                               ;   in Loop: Header=BB218_5 Depth=1
	v_or_b32_e32 v20, 4, v81
	s_delay_alu instid0(VALU_DEP_1)
	v_cmp_gt_i32_e64 s1, s6, v20
	s_and_b32 s1, s0, s1
	s_wait_alu 0xfffe
	s_and_b32 exec_lo, exec_lo, s1
	s_cbranch_execz .LBB218_18
; %bb.17:                               ;   in Loop: Header=BB218_5 Depth=1
	v_ashrrev_i32_e32 v20, 31, v81
	v_add_co_u32 v21, s1, v67, v81
	s_wait_alu 0xf1ff
	s_delay_alu instid0(VALU_DEP_2) | instskip(NEXT) | instid1(VALU_DEP_2)
	v_add_co_ci_u32_e64 v22, null, v0, v20, s1
	v_mad_co_u64_u32 v[20:21], null, v21, 36, s[2:3]
	s_delay_alu instid0(VALU_DEP_1)
	v_mad_i32_i24 v21, v22, 36, v21
	global_load_b32 v20, v[20:21], off offset:144
	s_wait_loadcnt 0x0
	ds_store_b32 v64, v20
.LBB218_18:                             ;   in Loop: Header=BB218_5 Depth=1
	s_wait_alu 0xfffe
	s_or_b32 exec_lo, exec_lo, s18
	v_dual_mov_b32 v20, v62 :: v_dual_mov_b32 v21, v61
	v_dual_mov_b32 v22, v76 :: v_dual_mov_b32 v23, v75
	;; [unrolled: 1-line block ×3, first 2 shown]
	v_mov_b32_e32 v26, v72
	s_mov_b32 s1, 12
	s_wait_loadcnt_dscnt 0x0
	s_barrier_signal -1
	s_barrier_wait -1
	global_inv scope:SCOPE_SE
.LBB218_19:                             ;   Parent Loop BB218_5 Depth=1
                                        ; =>  This Inner Loop Header: Depth=2
	ds_load_2addr_b32 v[81:82], v21 offset1:3
	ds_load_2addr_b32 v[83:84], v21 offset0:4 offset1:7
	ds_load_2addr_b32 v[85:86], v21 offset0:1 offset1:2
	ds_load_b32 v27, v20
	ds_load_2addr_b32 v[87:88], v26 offset1:1
	ds_load_2addr_b32 v[89:90], v26 offset0:2 offset1:3
	ds_load_2addr_b32 v[91:92], v21 offset0:5 offset1:6
	ds_load_b32 v28, v22
	ds_load_b32 v29, v23
	;; [unrolled: 1-line block ×4, first 2 shown]
	v_add_nc_u32_e32 v93, 0x1080, v26
	v_add_nc_u32_e32 v95, 0x1088, v26
	;; [unrolled: 1-line block ×6, first 2 shown]
	ds_load_2addr_b32 v[93:94], v93 offset1:1
	ds_load_2addr_b32 v[95:96], v95 offset1:1
	;; [unrolled: 1-line block ×6, first 2 shown]
	v_add_nc_u32_e32 v23, 4, v23
	v_add_nc_u32_e32 v22, 4, v22
	;; [unrolled: 1-line block ×4, first 2 shown]
	s_wait_alu 0xfffe
	s_add_co_i32 s1, s1, 4
	s_wait_alu 0xfffe
	s_cmp_lt_u32 s1, 28
	s_wait_dscnt 0x10
	v_lshrrev_b16 v135, 8, v81
	v_ashrrev_i32_e32 v136, 24, v81
	v_bfe_i32 v137, v81, 16, 8
	s_wait_dscnt 0xc
	v_and_b32_e32 v108, 15, v87
	v_bfe_i32 v81, v81, 0, 8
	v_bfe_u32 v109, v87, 8, 4
	v_bfe_u32 v110, v87, 16, 4
	v_bfe_u32 v111, v87, 24, 4
	s_wait_dscnt 0x5
	v_and_b32_e32 v159, 15, v93
	v_bfe_u32 v161, v93, 16, 4
	v_bfe_u32 v162, v93, 24, 4
	s_wait_dscnt 0x3
	v_and_b32_e32 v187, 15, v97
	v_bfe_i32 v135, v135, 0, 8
	v_mul_i32_i24_e32 v108, v81, v108
	v_lshrrev_b16 v105, 8, v83
	v_bfe_u32 v112, v87, 4, 4
	v_ashrrev_i32_e32 v138, 24, v83
	v_bfe_i32 v139, v83, 16, 8
	v_bfe_i32 v83, v83, 0, 8
	v_bfe_u32 v160, v93, 8, 4
	v_bfe_u32 v163, v93, 4, 4
	;; [unrolled: 1-line block ×6, first 2 shown]
	s_wait_dscnt 0x1
	v_bfe_u32 v214, v101, 24, 4
	v_and_b32_e32 v215, 0xf0f0f0f, v101
	v_lshrrev_b32_e32 v216, 4, v101
	v_lshrrev_b32_e32 v217, 28, v101
	v_mul_i32_i24_e32 v110, v137, v110
	v_mul_i32_i24_e32 v111, v136, v111
	v_bfe_u32 v218, v101, 16, 4
	v_and_b32_e32 v219, 15, v101
	v_bfe_u32 v220, v101, 20, 4
	v_bfe_u32 v101, v101, 4, 4
	v_mad_i32_i24 v108, v135, v109, v108
	v_mul_i32_i24_e32 v109, v81, v159
	v_mul_i32_i24_e32 v159, v137, v161
	;; [unrolled: 1-line block ×4, first 2 shown]
	v_bfe_u32 v113, v87, 12, 4
	v_bfe_u32 v164, v93, 12, 4
	;; [unrolled: 1-line block ×3, first 2 shown]
	v_bfe_i32 v105, v105, 0, 8
	v_mul_i32_i24_e32 v112, v83, v112
	v_mul_i32_i24_e32 v187, v137, v189
	;; [unrolled: 1-line block ×7, first 2 shown]
	v_add3_u32 v108, v108, v110, v111
	v_mad_i32_i24 v109, v135, v160, v109
	v_mad_i32_i24 v110, v135, v188, v162
	v_bfe_u32 v107, v87, 20, 4
	v_lshrrev_b32_e32 v87, 28, v87
	v_bfe_u32 v158, v93, 20, 4
	v_lshrrev_b32_e32 v93, 28, v93
	;; [unrolled: 2-line block ×3, first 2 shown]
	v_mul_i32_i24_e32 v113, v105, v113
	v_mul_i32_i24_e32 v164, v105, v164
	;; [unrolled: 1-line block ×3, first 2 shown]
	v_mad_i32_i24 v81, v219, v81, v83
	v_mad_i32_i24 v83, v218, v137, v101
	v_add3_u32 v101, v109, v159, v161
	v_add3_u32 v109, v110, v187, v189
	v_and_b32_e32 v115, 15, v88
	v_bfe_u32 v116, v88, 8, 4
	v_ashrrev_i32_e32 v140, 24, v85
	v_bfe_i32 v141, v85, 16, 8
	v_bfe_i32 v142, v85, 8, 8
	;; [unrolled: 1-line block ×3, first 2 shown]
	v_and_b32_e32 v166, 15, v94
	v_bfe_u32 v167, v94, 8, 4
	v_and_b32_e32 v194, 15, v98
	v_bfe_u32 v195, v98, 8, 4
	v_mul_i32_i24_e32 v107, v139, v107
	v_mul_i32_i24_e32 v87, v138, v87
	;; [unrolled: 1-line block ×6, first 2 shown]
	v_add3_u32 v108, v108, v113, v112
	v_add3_u32 v101, v101, v164, v163
	;; [unrolled: 1-line block ×3, first 2 shown]
	v_bfe_u32 v117, v88, 16, 4
	v_bfe_u32 v118, v88, 24, 4
	;; [unrolled: 1-line block ×6, first 2 shown]
	v_mul_i32_i24_e32 v115, v85, v115
	v_mul_i32_i24_e32 v116, v142, v116
	v_mul_i32_i24_e32 v166, v85, v166
	v_mul_i32_i24_e32 v167, v142, v167
	v_mul_i32_i24_e32 v194, v85, v194
	v_mul_i32_i24_e32 v195, v142, v195
	v_add3_u32 v87, v108, v107, v87
	v_add3_u32 v93, v101, v158, v93
	;; [unrolled: 1-line block ×3, first 2 shown]
	v_bfe_u32 v119, v88, 4, 4
	v_bfe_u32 v120, v88, 12, 4
	v_ashrrev_i32_e32 v143, 24, v91
	v_bfe_i32 v144, v91, 16, 8
	v_bfe_i32 v145, v91, 8, 8
	v_bfe_i32 v91, v91, 0, 8
	v_bfe_u32 v170, v94, 4, 4
	v_bfe_u32 v171, v94, 12, 4
	;; [unrolled: 1-line block ×4, first 2 shown]
	v_mul_i32_i24_e32 v117, v141, v117
	v_mul_i32_i24_e32 v118, v140, v118
	;; [unrolled: 1-line block ×6, first 2 shown]
	v_add3_u32 v87, v87, v116, v115
	v_add3_u32 v93, v93, v167, v166
	;; [unrolled: 1-line block ×3, first 2 shown]
	v_bfe_u32 v114, v88, 20, 4
	v_lshrrev_b32_e32 v88, 28, v88
	v_bfe_u32 v165, v94, 20, 4
	v_lshrrev_b32_e32 v94, 28, v94
	;; [unrolled: 2-line block ×3, first 2 shown]
	v_bfe_u32 v221, v102, 24, 4
	v_and_b32_e32 v222, 0xf0f0f0f, v102
	v_lshrrev_b32_e32 v223, 4, v102
	v_lshrrev_b32_e32 v224, 28, v102
	v_bfe_u32 v225, v102, 16, 4
	v_and_b32_e32 v226, 15, v102
	v_mul_i32_i24_e32 v119, v91, v119
	v_mul_i32_i24_e32 v120, v145, v120
	v_bfe_u32 v227, v102, 20, 4
	v_bfe_u32 v102, v102, 4, 4
	v_mul_i32_i24_e32 v170, v91, v170
	v_mul_i32_i24_e32 v171, v145, v171
	;; [unrolled: 1-line block ×4, first 2 shown]
	v_add3_u32 v87, v87, v117, v118
	v_add3_u32 v93, v93, v168, v169
	;; [unrolled: 1-line block ×3, first 2 shown]
	v_and_b32_e32 v122, 15, v89
	v_bfe_u32 v123, v89, 8, 4
	v_ashrrev_i32_e32 v146, 24, v86
	v_bfe_i32 v147, v86, 16, 8
	v_bfe_i32 v148, v86, 8, 8
	;; [unrolled: 1-line block ×3, first 2 shown]
	v_and_b32_e32 v173, 15, v95
	v_bfe_u32 v174, v95, 8, 4
	v_and_b32_e32 v201, 15, v99
	v_bfe_u32 v202, v99, 8, 4
	v_mul_i32_i24_e32 v114, v144, v114
	v_mul_i32_i24_e32 v88, v143, v88
	;; [unrolled: 1-line block ×8, first 2 shown]
	v_add3_u32 v87, v87, v119, v120
	v_add3_u32 v93, v93, v170, v171
	;; [unrolled: 1-line block ×3, first 2 shown]
	v_bfe_u32 v124, v89, 16, 4
	v_bfe_u32 v125, v89, 24, 4
	v_bfe_u32 v128, v90, 20, 4
	v_bfe_u32 v133, v90, 4, 4
	v_ashrrev_i32_e32 v155, 24, v84
	v_bfe_i32 v156, v84, 16, 8
	v_bfe_i32 v157, v84, 8, 8
	;; [unrolled: 1-line block ×3, first 2 shown]
	v_bfe_u32 v175, v95, 16, 4
	v_bfe_u32 v176, v95, 24, 4
	v_bfe_u32 v179, v96, 20, 4
	v_bfe_u32 v184, v96, 4, 4
	v_bfe_u32 v203, v99, 16, 4
	v_bfe_u32 v204, v99, 24, 4
	v_bfe_u32 v207, v100, 20, 4
	v_bfe_u32 v212, v100, 4, 4
	v_mul_i32_i24_e32 v122, v86, v122
	v_mul_i32_i24_e32 v123, v148, v123
	s_wait_dscnt 0x0
	v_bfe_u32 v235, v104, 24, 4
	v_and_b32_e32 v236, 0xf0f0f0f, v104
	v_lshrrev_b32_e32 v237, 4, v104
	v_lshrrev_b32_e32 v238, 28, v104
	v_bfe_u32 v239, v104, 16, 4
	v_and_b32_e32 v240, 15, v104
	v_bfe_u32 v241, v104, 20, 4
	v_bfe_u32 v104, v104, 4, 4
	v_lshrrev_b16 v216, 8, v216
	v_mul_i32_i24_e32 v173, v86, v173
	v_mul_i32_i24_e32 v174, v148, v174
	;; [unrolled: 1-line block ×4, first 2 shown]
	v_add3_u32 v81, v81, v85, v91
	v_add3_u32 v85, v87, v114, v88
	;; [unrolled: 1-line block ×4, first 2 shown]
	v_bfe_u32 v126, v89, 4, 4
	v_bfe_u32 v127, v89, 12, 4
	v_ashrrev_i32_e32 v149, 24, v92
	v_bfe_i32 v150, v92, 16, 8
	v_bfe_i32 v151, v92, 8, 8
	;; [unrolled: 1-line block ×3, first 2 shown]
	v_bfe_u32 v177, v95, 4, 4
	v_bfe_u32 v178, v95, 12, 4
	;; [unrolled: 1-line block ×5, first 2 shown]
	v_and_b32_e32 v229, 0xf0f0f0f, v103
	v_lshrrev_b32_e32 v230, 4, v103
	v_lshrrev_b32_e32 v231, 28, v103
	v_mul_i32_i24_e32 v124, v147, v124
	v_mul_i32_i24_e32 v125, v146, v125
	v_bfe_u32 v232, v103, 16, 4
	v_and_b32_e32 v233, 15, v103
	v_bfe_u32 v234, v103, 20, 4
	v_bfe_u32 v103, v103, 4, 4
	v_mul_i32_i24_e32 v133, v84, v133
	v_mul_i32_i24_e32 v128, v156, v128
	v_lshrrev_b16 v215, 8, v215
	v_lshrrev_b16 v139, 8, v222
	;; [unrolled: 1-line block ×3, first 2 shown]
	v_mul_i32_i24_e32 v175, v147, v175
	v_mul_i32_i24_e32 v176, v146, v176
	;; [unrolled: 1-line block ×10, first 2 shown]
	v_and_b32_e32 v156, 15, v216
	v_add3_u32 v85, v85, v123, v122
	v_add3_u32 v87, v87, v174, v173
	;; [unrolled: 1-line block ×3, first 2 shown]
	v_bfe_u32 v121, v89, 20, 4
	v_lshrrev_b32_e32 v89, 28, v89
	v_bfe_u32 v172, v95, 20, 4
	v_lshrrev_b32_e32 v95, 28, v95
	;; [unrolled: 2-line block ×3, first 2 shown]
	v_mul_i32_i24_e32 v126, v92, v126
	v_mul_i32_i24_e32 v127, v151, v127
	;; [unrolled: 1-line block ×4, first 2 shown]
	v_lshrrev_b16 v144, 8, v229
	v_lshrrev_b16 v217, 8, v230
	v_mul_i32_i24_e32 v86, v86, v233
	v_mul_i32_i24_e32 v177, v92, v177
	;; [unrolled: 1-line block ×6, first 2 shown]
	v_and_b32_e32 v111, 0xffff, v215
	v_and_b32_e32 v160, 15, v192
	;; [unrolled: 1-line block ×4, first 2 shown]
	v_add3_u32 v85, v85, v124, v125
	v_add3_u32 v87, v87, v175, v176
	v_add3_u32 v88, v88, v203, v204
	v_and_b32_e32 v129, 15, v90
	v_bfe_u32 v130, v90, 8, 4
	v_ashrrev_i32_e32 v152, 24, v82
	v_bfe_i32 v153, v82, 16, 8
	v_bfe_i32 v154, v82, 8, 8
	;; [unrolled: 1-line block ×3, first 2 shown]
	v_and_b32_e32 v180, 15, v96
	v_bfe_u32 v181, v96, 8, 4
	v_and_b32_e32 v208, 15, v100
	v_bfe_u32 v209, v100, 8, 4
	v_mul_i32_i24_e32 v121, v150, v121
	v_mul_i32_i24_e32 v89, v149, v89
	;; [unrolled: 1-line block ×9, first 2 shown]
	v_lshrrev_b16 v150, 8, v236
	v_lshrrev_b16 v220, 8, v237
	v_and_b32_e32 v162, 15, v217
	v_and_b32_e32 v144, 0xffff, v144
	v_mad_i32_i24 v110, v214, v136, v138
	v_mul_i32_i24_e32 v111, v111, v135
	v_mul_i32_i24_e32 v113, v142, v139
	v_and_b32_e32 v101, 0xffff, v160
	v_mul_i32_i24_e32 v91, v112, v105
	v_add3_u32 v81, v81, v86, v92
	v_add3_u32 v85, v85, v126, v127
	;; [unrolled: 1-line block ×4, first 2 shown]
	v_bfe_u32 v131, v90, 16, 4
	v_bfe_u32 v132, v90, 24, 4
	v_bfe_u32 v134, v90, 12, 4
	v_lshrrev_b32_e32 v90, 28, v90
	v_bfe_u32 v182, v96, 16, 4
	v_bfe_u32 v183, v96, 24, 4
	v_bfe_u32 v185, v96, 12, 4
	v_lshrrev_b32_e32 v96, 28, v96
	;; [unrolled: 4-line block ×3, first 2 shown]
	v_mul_i32_i24_e32 v129, v82, v129
	v_mul_i32_i24_e32 v130, v154, v130
	v_mul_i32_i24_e32 v141, v141, v225
	v_mul_i32_i24_e32 v146, v146, v228
	v_mul_i32_i24_e32 v149, v149, v231
	v_mul_i32_i24_e32 v180, v82, v180
	v_mul_i32_i24_e32 v181, v154, v181
	v_mul_i32_i24_e32 v208, v82, v208
	v_mul_i32_i24_e32 v209, v154, v209
	v_and_b32_e32 v188, 15, v220
	v_and_b32_e32 v150, 0xffff, v150
	v_mul_i32_i24_e32 v107, v148, v144
	v_and_b32_e32 v108, 0xffff, v162
	v_add3_u32 v110, v110, v140, v143
	v_mul_i32_i24_e32 v93, v145, v101
	v_add3_u32 v88, v111, v91, v113
	v_add3_u32 v85, v85, v121, v89
	;; [unrolled: 1-line block ×4, first 2 shown]
	v_mul_i32_i24_e32 v131, v153, v131
	v_mul_i32_i24_e32 v132, v152, v132
	;; [unrolled: 1-line block ×13, first 2 shown]
	v_and_b32_e32 v115, 0xffff, v188
	v_add3_u32 v83, v83, v141, v102
	v_mul_i32_i24_e32 v94, v151, v108
	v_add3_u32 v98, v110, v146, v149
	v_add3_u32 v88, v88, v93, v107
	;; [unrolled: 1-line block ×5, first 2 shown]
	v_mul_i32_i24_e32 v134, v157, v134
	v_mul_i32_i24_e32 v82, v82, v240
	;; [unrolled: 1-line block ×6, first 2 shown]
	v_add3_u32 v83, v83, v147, v103
	v_add3_u32 v89, v98, v152, v155
	v_add3_u32 v88, v88, v94, v109
	v_add3_u32 v85, v85, v131, v132
	v_add3_u32 v86, v86, v182, v183
	v_add3_u32 v87, v87, v210, v211
	v_lshrrev_b32_e32 v106, 16, v27
	v_add3_u32 v83, v83, v153, v104
	v_add3_u32 v81, v81, v82, v84
	;; [unrolled: 1-line block ×6, first 2 shown]
	v_cvt_f32_f16_e32 v87, v106
	v_add3_u32 v81, v81, v83, v82
	v_add3_u32 v82, v84, v128, v90
	;; [unrolled: 1-line block ×4, first 2 shown]
	v_dual_mul_f32 v85, 0xc1000000, v87 :: v_dual_add_nc_u32 v26, 16, v26
	v_cvt_f32_i32_e32 v81, v81
	v_cvt_f32_i32_e32 v82, v82
	;; [unrolled: 1-line block ×4, first 2 shown]
	s_delay_alu instid0(VALU_DEP_4) | instskip(NEXT) | instid1(VALU_DEP_4)
	v_fma_mix_f32 v81, v27, v81, v85 op_sel_hi:[1,0,0]
	v_fma_mix_f32 v82, v27, v82, v85 op_sel_hi:[1,0,0]
	s_delay_alu instid0(VALU_DEP_4) | instskip(NEXT) | instid1(VALU_DEP_4)
	v_fma_mix_f32 v83, v27, v83, v85 op_sel_hi:[1,0,0]
	v_fma_mix_f32 v27, v27, v84, v85 op_sel_hi:[1,0,0]
	v_add_nc_u32_e32 v25, 4, v25
	v_add_nc_u32_e32 v24, 4, v24
	v_fmac_f32_e32 v14, v31, v81
	v_dual_fmac_f32 v34, v28, v82 :: v_dual_fmac_f32 v59, v29, v83
	v_fmac_f32_e32 v56, v30, v27
	s_cbranch_scc1 .LBB218_19
; %bb.20:                               ;   in Loop: Header=BB218_5 Depth=1
	s_wait_loadcnt 0x0
	s_barrier_signal -1
	s_barrier_wait -1
	global_inv scope:SCOPE_SE
	s_branch .LBB218_4
.LBB218_21:
	s_mul_i32 s0, s10, s7
	s_wait_loadcnt 0x0
	s_wait_alu 0xfffe
	v_cmp_gt_i32_e32 vcc_lo, s0, v32
	s_and_saveexec_b32 s0, vcc_lo
	s_cbranch_execz .LBB218_30
; %bb.22:
	v_mul_lo_u32 v0, v32, s9
	v_add_nc_u32_e32 v1, s11, v33
	s_mov_b32 s0, exec_lo
	s_delay_alu instid0(VALU_DEP_1)
	v_cmpx_gt_u32_e64 s9, v1
	s_cbranch_execz .LBB218_24
; %bb.23:
	v_bfe_u32 v3, v34, 16, 1
	s_delay_alu instid0(VALU_DEP_4) | instskip(SKIP_1) | instid1(VALU_DEP_3)
	v_add_nc_u32_e32 v2, v0, v1
	v_cmp_o_f32_e32 vcc_lo, v34, v34
	v_add3_u32 v4, v34, v3, 0x7fff
	v_mov_b32_e32 v3, 0
	s_delay_alu instid0(VALU_DEP_2) | instskip(NEXT) | instid1(VALU_DEP_2)
	v_lshrrev_b32_e32 v4, 16, v4
	v_lshlrev_b64_e32 v[2:3], 1, v[2:3]
	s_wait_alu 0xfffd
	s_delay_alu instid0(VALU_DEP_2) | instskip(NEXT) | instid1(VALU_DEP_2)
	v_cndmask_b32_e32 v4, 0x7fc0, v4, vcc_lo
	v_add_co_u32 v2, vcc_lo, s12, v2
	s_wait_alu 0xfffd
	s_delay_alu instid0(VALU_DEP_3)
	v_add_co_ci_u32_e64 v3, null, s13, v3, vcc_lo
	global_store_b16 v[2:3], v4, off
.LBB218_24:
	s_wait_alu 0xfffe
	s_or_b32 exec_lo, exec_lo, s0
	v_add_nc_u32_e32 v2, 32, v1
	s_mov_b32 s0, exec_lo
	s_delay_alu instid0(VALU_DEP_1)
	v_cmpx_gt_u32_e64 s9, v2
	s_cbranch_execz .LBB218_26
; %bb.25:
	v_bfe_u32 v3, v59, 16, 1
	v_add_nc_u32_e32 v2, v0, v2
	v_cmp_o_f32_e32 vcc_lo, v59, v59
	s_delay_alu instid0(VALU_DEP_3) | instskip(SKIP_1) | instid1(VALU_DEP_2)
	v_add3_u32 v4, v59, v3, 0x7fff
	v_mov_b32_e32 v3, 0
	v_lshrrev_b32_e32 v4, 16, v4
	s_delay_alu instid0(VALU_DEP_2) | instskip(SKIP_1) | instid1(VALU_DEP_2)
	v_lshlrev_b64_e32 v[2:3], 1, v[2:3]
	s_wait_alu 0xfffd
	v_cndmask_b32_e32 v4, 0x7fc0, v4, vcc_lo
	s_delay_alu instid0(VALU_DEP_2) | instskip(SKIP_1) | instid1(VALU_DEP_3)
	v_add_co_u32 v2, vcc_lo, s12, v2
	s_wait_alu 0xfffd
	v_add_co_ci_u32_e64 v3, null, s13, v3, vcc_lo
	global_store_b16 v[2:3], v4, off
.LBB218_26:
	s_wait_alu 0xfffe
	s_or_b32 exec_lo, exec_lo, s0
	v_add_nc_u32_e32 v2, 64, v1
	s_mov_b32 s0, exec_lo
	s_delay_alu instid0(VALU_DEP_1)
	v_cmpx_gt_u32_e64 s9, v2
	s_cbranch_execz .LBB218_28
; %bb.27:
	v_bfe_u32 v3, v56, 16, 1
	v_add_nc_u32_e32 v2, v0, v2
	v_cmp_o_f32_e32 vcc_lo, v56, v56
	s_delay_alu instid0(VALU_DEP_3) | instskip(SKIP_1) | instid1(VALU_DEP_2)
	v_add3_u32 v4, v56, v3, 0x7fff
	v_mov_b32_e32 v3, 0
	v_lshrrev_b32_e32 v4, 16, v4
	s_delay_alu instid0(VALU_DEP_2) | instskip(SKIP_1) | instid1(VALU_DEP_2)
	v_lshlrev_b64_e32 v[2:3], 1, v[2:3]
	s_wait_alu 0xfffd
	v_cndmask_b32_e32 v4, 0x7fc0, v4, vcc_lo
	s_delay_alu instid0(VALU_DEP_2) | instskip(SKIP_1) | instid1(VALU_DEP_3)
	v_add_co_u32 v2, vcc_lo, s12, v2
	s_wait_alu 0xfffd
	v_add_co_ci_u32_e64 v3, null, s13, v3, vcc_lo
	global_store_b16 v[2:3], v4, off
.LBB218_28:
	s_wait_alu 0xfffe
	s_or_b32 exec_lo, exec_lo, s0
	v_add_nc_u32_e32 v1, 0x60, v1
	s_delay_alu instid0(VALU_DEP_1)
	v_cmp_gt_u32_e32 vcc_lo, s9, v1
	s_and_b32 exec_lo, exec_lo, vcc_lo
	s_cbranch_execz .LBB218_30
; %bb.29:
	v_bfe_u32 v2, v14, 16, 1
	v_dual_mov_b32 v1, 0 :: v_dual_add_nc_u32 v0, v0, v1
	v_cmp_o_f32_e32 vcc_lo, v14, v14
	s_delay_alu instid0(VALU_DEP_3) | instskip(NEXT) | instid1(VALU_DEP_3)
	v_add3_u32 v2, v14, v2, 0x7fff
	v_lshlrev_b64_e32 v[0:1], 1, v[0:1]
	s_delay_alu instid0(VALU_DEP_2) | instskip(SKIP_1) | instid1(VALU_DEP_1)
	v_lshrrev_b32_e32 v2, 16, v2
	s_wait_alu 0xfffd
	v_cndmask_b32_e32 v2, 0x7fc0, v2, vcc_lo
	s_delay_alu instid0(VALU_DEP_3)
	v_add_co_u32 v0, vcc_lo, s12, v0
	s_wait_alu 0xfffd
	v_add_co_ci_u32_e64 v1, null, s13, v1, vcc_lo
	global_store_b16 v[0:1], v2, off
.LBB218_30:
	s_nop 0
	s_sendmsg sendmsg(MSG_DEALLOC_VGPRS)
	s_endpgm
	.section	.rodata,"a",@progbits
	.p2align	6, 0x0
	.amdhsa_kernel _ZL8moe_q4_0IN3c108BFloat16ELb1EEvPKvS3_PT_PKiS7_S7_iiiiiii
		.amdhsa_group_segment_fixed_size 22272
		.amdhsa_private_segment_fixed_size 0
		.amdhsa_kernarg_size 76
		.amdhsa_user_sgpr_count 2
		.amdhsa_user_sgpr_dispatch_ptr 0
		.amdhsa_user_sgpr_queue_ptr 0
		.amdhsa_user_sgpr_kernarg_segment_ptr 1
		.amdhsa_user_sgpr_dispatch_id 0
		.amdhsa_user_sgpr_private_segment_size 0
		.amdhsa_wavefront_size32 1
		.amdhsa_uses_dynamic_stack 0
		.amdhsa_enable_private_segment 0
		.amdhsa_system_sgpr_workgroup_id_x 1
		.amdhsa_system_sgpr_workgroup_id_y 1
		.amdhsa_system_sgpr_workgroup_id_z 0
		.amdhsa_system_sgpr_workgroup_info 0
		.amdhsa_system_vgpr_workitem_id 1
		.amdhsa_next_free_vgpr 243
		.amdhsa_next_free_sgpr 21
		.amdhsa_reserve_vcc 1
		.amdhsa_float_round_mode_32 0
		.amdhsa_float_round_mode_16_64 0
		.amdhsa_float_denorm_mode_32 3
		.amdhsa_float_denorm_mode_16_64 3
		.amdhsa_fp16_overflow 0
		.amdhsa_workgroup_processor_mode 1
		.amdhsa_memory_ordered 1
		.amdhsa_forward_progress 1
		.amdhsa_inst_pref_size 69
		.amdhsa_round_robin_scheduling 0
		.amdhsa_exception_fp_ieee_invalid_op 0
		.amdhsa_exception_fp_denorm_src 0
		.amdhsa_exception_fp_ieee_div_zero 0
		.amdhsa_exception_fp_ieee_overflow 0
		.amdhsa_exception_fp_ieee_underflow 0
		.amdhsa_exception_fp_ieee_inexact 0
		.amdhsa_exception_int_div_zero 0
	.end_amdhsa_kernel
	.section	.text._ZL8moe_q4_0IN3c108BFloat16ELb1EEvPKvS3_PT_PKiS7_S7_iiiiiii,"axG",@progbits,_ZL8moe_q4_0IN3c108BFloat16ELb1EEvPKvS3_PT_PKiS7_S7_iiiiiii,comdat
.Lfunc_end218:
	.size	_ZL8moe_q4_0IN3c108BFloat16ELb1EEvPKvS3_PT_PKiS7_S7_iiiiiii, .Lfunc_end218-_ZL8moe_q4_0IN3c108BFloat16ELb1EEvPKvS3_PT_PKiS7_S7_iiiiiii
                                        ; -- End function
	.set _ZL8moe_q4_0IN3c108BFloat16ELb1EEvPKvS3_PT_PKiS7_S7_iiiiiii.num_vgpr, 243
	.set _ZL8moe_q4_0IN3c108BFloat16ELb1EEvPKvS3_PT_PKiS7_S7_iiiiiii.num_agpr, 0
	.set _ZL8moe_q4_0IN3c108BFloat16ELb1EEvPKvS3_PT_PKiS7_S7_iiiiiii.numbered_sgpr, 21
	.set _ZL8moe_q4_0IN3c108BFloat16ELb1EEvPKvS3_PT_PKiS7_S7_iiiiiii.num_named_barrier, 0
	.set _ZL8moe_q4_0IN3c108BFloat16ELb1EEvPKvS3_PT_PKiS7_S7_iiiiiii.private_seg_size, 0
	.set _ZL8moe_q4_0IN3c108BFloat16ELb1EEvPKvS3_PT_PKiS7_S7_iiiiiii.uses_vcc, 1
	.set _ZL8moe_q4_0IN3c108BFloat16ELb1EEvPKvS3_PT_PKiS7_S7_iiiiiii.uses_flat_scratch, 0
	.set _ZL8moe_q4_0IN3c108BFloat16ELb1EEvPKvS3_PT_PKiS7_S7_iiiiiii.has_dyn_sized_stack, 0
	.set _ZL8moe_q4_0IN3c108BFloat16ELb1EEvPKvS3_PT_PKiS7_S7_iiiiiii.has_recursion, 0
	.set _ZL8moe_q4_0IN3c108BFloat16ELb1EEvPKvS3_PT_PKiS7_S7_iiiiiii.has_indirect_call, 0
	.section	.AMDGPU.csdata,"",@progbits
; Kernel info:
; codeLenInByte = 8828
; TotalNumSgprs: 23
; NumVgprs: 243
; ScratchSize: 0
; MemoryBound: 0
; FloatMode: 240
; IeeeMode: 1
; LDSByteSize: 22272 bytes/workgroup (compile time only)
; SGPRBlocks: 0
; VGPRBlocks: 30
; NumSGPRsForWavesPerEU: 23
; NumVGPRsForWavesPerEU: 243
; Occupancy: 5
; WaveLimiterHint : 1
; COMPUTE_PGM_RSRC2:SCRATCH_EN: 0
; COMPUTE_PGM_RSRC2:USER_SGPR: 2
; COMPUTE_PGM_RSRC2:TRAP_HANDLER: 0
; COMPUTE_PGM_RSRC2:TGID_X_EN: 1
; COMPUTE_PGM_RSRC2:TGID_Y_EN: 1
; COMPUTE_PGM_RSRC2:TGID_Z_EN: 0
; COMPUTE_PGM_RSRC2:TIDIG_COMP_CNT: 1
	.section	.text._ZL8moe_q4_1IN3c108BFloat16ELb0EEvPKvS3_PT_PKiS7_S7_iiiiiii,"axG",@progbits,_ZL8moe_q4_1IN3c108BFloat16ELb0EEvPKvS3_PT_PKiS7_S7_iiiiiii,comdat
	.globl	_ZL8moe_q4_1IN3c108BFloat16ELb0EEvPKvS3_PT_PKiS7_S7_iiiiiii ; -- Begin function _ZL8moe_q4_1IN3c108BFloat16ELb0EEvPKvS3_PT_PKiS7_S7_iiiiiii
	.p2align	8
	.type	_ZL8moe_q4_1IN3c108BFloat16ELb0EEvPKvS3_PT_PKiS7_S7_iiiiiii,@function
_ZL8moe_q4_1IN3c108BFloat16ELb0EEvPKvS3_PT_PKiS7_S7_iiiiiii: ; @_ZL8moe_q4_1IN3c108BFloat16ELb0EEvPKvS3_PT_PKiS7_S7_iiiiiii
; %bb.0:
	s_load_b128 s[4:7], s[0:1], 0x18
	s_mov_b32 s2, ttmp7
	s_mov_b32 s3, 0
	s_delay_alu instid0(SALU_CYCLE_1)
	s_lshl_b64 s[2:3], s[2:3], 2
	s_wait_kmcnt 0x0
	s_add_nc_u64 s[2:3], s[6:7], s[2:3]
	s_load_b32 s12, s[2:3], 0x0
	s_wait_kmcnt 0x0
	s_cmp_gt_u32 s12, 0xff
	s_cbranch_scc1 .LBB219_30
; %bb.1:
	s_load_b64 s[2:3], s[0:1], 0x28
	s_wait_kmcnt 0x0
	s_load_b32 s3, s[2:3], 0x0
	s_lshl_b32 s2, ttmp7, 3
	s_wait_kmcnt 0x0
	s_cmp_gt_u32 s2, s3
	s_cbranch_scc1 .LBB219_30
; %bb.2:
	v_bfe_u32 v3, v0, 10, 10
	v_mov_b32_e32 v2, 0
	s_lshl_b32 s18, ttmp9, 7
	s_delay_alu instid0(VALU_DEP_2) | instskip(NEXT) | instid1(VALU_DEP_2)
	v_add_nc_u32_e32 v1, s2, v3
	v_dual_mov_b32 v47, v2 :: v_dual_and_b32 v16, 0x3ff, v0
	v_dual_mov_b32 v52, v2 :: v_dual_mov_b32 v17, v2
	s_delay_alu instid0(VALU_DEP_3) | instskip(NEXT) | instid1(VALU_DEP_1)
	v_lshlrev_b64_e32 v[4:5], 2, v[1:2]
	v_add_co_u32 v4, vcc_lo, s4, v4
	s_delay_alu instid0(VALU_DEP_1)
	v_add_co_ci_u32_e64 v5, null, s5, v5, vcc_lo
	global_load_b32 v15, v[4:5], off
	s_clause 0x2
	s_load_b64 s[10:11], s[0:1], 0x30
	s_load_b64 s[8:9], s[0:1], 0x10
	s_load_b128 s[4:7], s[0:1], 0x3c
	s_wait_kmcnt 0x0
	s_cmp_lt_i32 s11, 32
	s_cbranch_scc1 .LBB219_21
; %bb.3:
	s_abs_i32 s17, s7
	s_wait_loadcnt 0x0
	v_sub_nc_u32_e32 v2, 0, v15
	s_cvt_f32_u32 s19, s17
	s_sub_co_i32 s20, 0, s17
	v_bfe_u32 v21, v0, 3, 7
	s_ashr_i32 s13, s11, 31
	v_rcp_iflag_f32_e32 v6, s19
	v_max_i32_e32 v2, v15, v2
	s_lshr_b32 s13, s13, 27
	v_lshl_add_u32 v4, v3, 2, v21
	s_add_co_i32 s15, s11, s13
	s_load_b128 s[0:3], s[0:1], 0x0
	s_mul_i32 s12, s12, s10
	s_ashr_i32 s10, s15, 5
	v_dual_mov_b32 v17, 0 :: v_dual_and_b32 v20, 7, v0
	s_delay_alu instid0(TRANS32_DEP_1)
	v_readfirstlane_b32 s19, v6
	v_mul_lo_u32 v44, s10, v4
	v_and_b32_e32 v6, 0x1ffc, v4
	v_lshlrev_b32_e32 v7, 5, v4
	v_add_nc_u32_e32 v8, 32, v4
	s_mul_f32 s19, s19, 0x4f7ffffe
	v_add_nc_u32_e32 v9, 64, v4
	v_add_nc_u32_e32 v4, 0x60, v4
	v_xor_b32_e32 v47, s7, v15
	s_wait_alu 0xfffe
	s_cvt_u32_f32 s19, s19
	v_and_b32_e32 v11, 0x3ffc, v8
	v_and_b32_e32 v13, 0x3ffc, v9
	s_ashr_i32 s14, s5, 31
	s_wait_alu 0xfffe
	s_mul_i32 s20, s20, s19
	v_ashrrev_i32_e32 v47, 31, v47
	s_mul_hi_u32 s20, s19, s20
	v_lshl_add_u32 v57, v3, 7, 0x5280
	s_add_co_i32 s19, s19, s20
	v_lshl_add_u32 v58, v3, 4, 0x5680
	s_wait_alu 0xfffe
	v_mul_hi_u32 v10, v2, s19
	v_mul_lo_u32 v19, s10, v3
	s_lshr_b32 s14, s14, 27
	s_ashr_i32 s13, s12, 31
	s_add_co_i32 s5, s5, s14
	s_mul_i32 s14, s10, s18
	s_and_b32 s21, s15, 0xffffffe0
	s_ashr_i32 s15, s14, 31
	v_mul_lo_u32 v12, v10, s17
	s_lshl_b32 s16, s10, 3
	s_wait_alu 0xfffe
	s_ashr_i32 s5, s5, 5
	s_mul_u64 s[14:15], s[14:15], 20
	s_wait_kmcnt 0x0
	s_add_nc_u64 s[0:1], s[0:1], s[12:13]
	v_add_nc_u32_e32 v22, s16, v19
	s_add_nc_u64 s[12:13], s[0:1], s[14:15]
	v_bfe_u32 v18, v0, 2, 8
	v_sub_nc_u32_e32 v2, v2, v12
	v_add_nc_u32_e32 v12, 1, v10
	v_add_nc_u32_e32 v50, s21, v44
	v_lshlrev_b32_e32 v8, 5, v8
	v_lshlrev_b32_e32 v9, 5, v9
	v_subrev_nc_u32_e32 v14, s17, v2
	v_cmp_le_u32_e32 vcc_lo, s17, v2
	v_lshlrev_b32_e32 v1, 2, v16
	v_add_nc_u32_e32 v54, s21, v50
	v_mul_u32_u24_e32 v61, 0x84, v16
	v_mad_u32_u24 v69, 0x84, v16, 64
	s_wait_alu 0xfffd
	v_cndmask_b32_e32 v2, v2, v14, vcc_lo
	v_mad_u32_u24 v25, 0x84, v3, v1
	v_and_b32_e32 v24, 12, v1
	v_dual_cndmask_b32 v10, v10, v12 :: v_dual_and_b32 v3, 28, v1
	s_delay_alu instid0(VALU_DEP_4) | instskip(NEXT) | instid1(VALU_DEP_4)
	v_cmp_le_u32_e32 vcc_lo, s17, v2
	v_add_nc_u32_e32 v31, 0x18c0, v25
	v_and_b32_e32 v12, 0x3ffc, v4
	v_add_nc_u32_e32 v60, v58, v1
	v_add_nc_u32_e32 v14, 1, v10
	v_lshlrev_b32_e32 v5, 2, v20
	v_add_nc_u32_e32 v1, 32, v16
	v_lshlrev_b32_e32 v4, 5, v4
	v_add_nc_u32_e32 v28, 0x1080, v25
	s_wait_alu 0xfffd
	v_cndmask_b32_e32 v2, v10, v14, vcc_lo
	v_add3_u32 v6, v6, v5, 0x4200
	v_add3_u32 v11, v11, v5, 0x4200
	;; [unrolled: 1-line block ×4, first 2 shown]
	v_and_b32_e32 v12, 31, v0
	v_xor_b32_e32 v2, v2, v47
	v_add_nc_u32_e32 v10, 64, v16
	v_and_b32_e32 v14, 0x1fc, v1
	v_cmp_gt_u32_e32 vcc_lo, 4, v16
	v_lshl_or_b32 v59, v12, 2, v57
	v_sub_nc_u32_e32 v2, v2, v47
	v_add_nc_u32_e32 v12, 0x60, v16
	v_and_b32_e32 v10, 0x1fc, v10
	v_and_b32_e32 v47, 0xfc, v0
	v_add_co_u32 v0, s1, s2, v3
	v_cmp_gt_i32_e64 s0, s4, v2
	s_wait_alu 0xfffe
	v_mul_lo_u32 v63, v2, s5
	v_lshlrev_b32_e32 v2, 5, v16
	v_and_b32_e32 v12, 0x1fc, v12
	v_mov_b32_e32 v52, 0
	v_add_nc_u32_e32 v30, 0x14a0, v25
	v_add_nc_u32_e32 v32, 0x1ce0, v25
	;; [unrolled: 1-line block ×5, first 2 shown]
	v_dual_mov_b32 v47, 0 :: v_dual_add_nc_u32 v2, v2, v47
	v_add_nc_u32_e32 v23, s16, v22
	v_add_nc_u32_e32 v33, 0x2100, v25
	;; [unrolled: 1-line block ×3, first 2 shown]
	s_delay_alu instid0(VALU_DEP_4)
	v_add_nc_u32_e32 v68, 0x4200, v2
	v_add_nc_u32_e32 v73, 0x4210, v2
	;; [unrolled: 1-line block ×3, first 2 shown]
	v_mov_b32_e32 v2, 0
	v_add_nc_u32_e32 v36, 0x2940, v25
	v_add_nc_u32_e32 v37, 0x2d60, v25
	;; [unrolled: 1-line block ×9, first 2 shown]
	v_lshrrev_b32_e32 v62, 3, v1
	v_add_co_ci_u32_e64 v1, null, s3, 0, s1
	v_ashrrev_i32_e32 v64, 31, v63
	s_delay_alu instid0(VALU_DEP_4)
	v_add_nc_u32_e32 v34, s16, v29
	v_add_nc_u32_e32 v65, 0x4e00, v3
	;; [unrolled: 1-line block ×13, first 2 shown]
	s_mov_b32 s15, 0
	s_and_b32 s19, vcc_lo, s0
	v_add_nc_u32_e32 v45, s16, v42
	s_mov_b32 s14, s15
	s_delay_alu instid0(VALU_DEP_1) | instskip(NEXT) | instid1(VALU_DEP_1)
	v_add_nc_u32_e32 v46, s16, v45
	v_add_nc_u32_e32 v48, s16, v46
	s_delay_alu instid0(VALU_DEP_1) | instskip(NEXT) | instid1(VALU_DEP_1)
	v_add_nc_u32_e32 v49, s16, v48
	v_add_nc_u32_e32 v51, s16, v49
	;; [unrolled: 3-line block ×3, first 2 shown]
	s_branch .LBB219_5
.LBB219_4:                              ;   in Loop: Header=BB219_5 Depth=1
	s_add_co_i32 s14, s14, 8
	s_wait_alu 0xfffe
	s_cmp_ge_i32 s14, s10
	s_cbranch_scc1 .LBB219_21
.LBB219_5:                              ; =>This Loop Header: Depth=1
                                        ;     Child Loop BB219_11 Depth 2
                                        ;     Child Loop BB219_19 Depth 2
	s_mul_u64 s[16:17], s[14:15], 20
	s_wait_alu 0xfffe
	s_add_nc_u64 s[16:17], s[12:13], s[16:17]
	s_wait_alu 0xfffe
	v_mad_co_u64_u32 v[3:4], null, v18, 20, s[16:17]
	s_delay_alu instid0(VALU_DEP_1) | instskip(SKIP_3) | instid1(VALU_DEP_4)
	v_mad_co_u64_u32 v[5:6], null, v19, 20, v[3:4]
	v_mad_co_u64_u32 v[7:8], null, v22, 20, v[3:4]
	;; [unrolled: 1-line block ×4, first 2 shown]
	v_add_co_u32 v5, s1, v5, v24
	v_mad_co_u64_u32 v[13:14], null, v27, 20, v[3:4]
	s_wait_alu 0xf1ff
	v_add_co_ci_u32_e64 v6, null, 0, v6, s1
	v_add_co_u32 v7, s1, v7, v24
	v_mad_co_u64_u32 v[78:79], null, v29, 20, v[3:4]
	s_wait_alu 0xf1ff
	v_add_co_ci_u32_e64 v8, null, 0, v8, s1
	;; [unrolled: 4-line block ×4, first 2 shown]
	v_add_co_u32 v13, s1, v13, v24
	s_wait_alu 0xf1ff
	v_add_co_ci_u32_e64 v14, null, 0, v14, s1
	v_add_co_u32 v78, s1, v78, v24
	s_wait_alu 0xf1ff
	v_add_co_ci_u32_e64 v79, null, 0, v79, s1
	;; [unrolled: 3-line block ×3, first 2 shown]
	v_add_co_u32 v82, s1, v82, v24
	v_mad_co_u64_u32 v[84:85], null, v42, 20, v[3:4]
	s_wait_alu 0xf1ff
	v_add_co_ci_u32_e64 v83, null, 0, v83, s1
	s_clause 0x7
	global_load_b32 v90, v[5:6], off offset:4
	global_load_b32 v91, v[7:8], off offset:4
	global_load_b32 v92, v[9:10], off offset:4
	global_load_b32 v93, v[11:12], off offset:4
	global_load_b32 v94, v[13:14], off offset:4
	global_load_b32 v95, v[78:79], off offset:4
	global_load_b32 v96, v[80:81], off offset:4
	global_load_b32 v97, v[82:83], off offset:4
	v_mad_co_u64_u32 v[5:6], null, v45, 20, v[3:4]
	v_mad_co_u64_u32 v[9:10], null, v46, 20, v[3:4]
	v_mad_co_u64_u32 v[11:12], null, v48, 20, v[3:4]
	v_add_co_u32 v7, s1, v84, v24
	v_mad_co_u64_u32 v[13:14], null, v49, 20, v[3:4]
	s_wait_alu 0xf1ff
	v_add_co_ci_u32_e64 v8, null, 0, v85, s1
	v_add_co_u32 v5, s1, v5, v24
	v_mad_co_u64_u32 v[78:79], null, v51, 20, v[3:4]
	s_wait_alu 0xf1ff
	v_add_co_ci_u32_e64 v6, null, 0, v6, s1
	;; [unrolled: 4-line block ×5, first 2 shown]
	v_add_co_u32 v78, s1, v78, v24
	s_wait_alu 0xf1ff
	v_add_co_ci_u32_e64 v79, null, 0, v79, s1
	v_add_co_u32 v80, s1, v80, v24
	s_wait_alu 0xf1ff
	v_add_co_ci_u32_e64 v81, null, 0, v81, s1
	;; [unrolled: 3-line block ×3, first 2 shown]
	v_mad_co_u64_u32 v[84:85], null, v44, 20, v[82:83]
	v_mad_co_u64_u32 v[86:87], null, v50, 20, v[82:83]
	;; [unrolled: 1-line block ×4, first 2 shown]
	s_clause 0xb
	global_load_b32 v7, v[7:8], off offset:4
	global_load_b32 v5, v[5:6], off offset:4
	;; [unrolled: 1-line block ×8, first 2 shown]
	global_load_b32 v4, v[84:85], off
	global_load_b32 v12, v[86:87], off
	;; [unrolled: 1-line block ×4, first 2 shown]
	s_lshl_b32 s16, s14, 5
	v_add_nc_u32_e32 v78, 0x420, v25
	v_add_nc_u32_e32 v79, 0x840, v25
	v_add_nc_u32_e32 v80, 0xc60, v25
	s_wait_alu 0xfffe
	s_cmp_lt_i32 s16, s11
	s_wait_loadcnt 0x13
	ds_store_b32 v25, v90
	s_wait_loadcnt 0x12
	ds_store_b32 v78, v91
	;; [unrolled: 2-line block ×20, first 2 shown]
	s_cbranch_scc0 .LBB219_4
; %bb.6:                                ;   in Loop: Header=BB219_5 Depth=1
	v_add_nc_u32_e32 v3, s14, v21
	s_delay_alu instid0(VALU_DEP_1)
	v_cmp_gt_i32_e64 s1, s5, v3
	s_and_b32 s17, s0, s1
	s_wait_alu 0xfffe
	s_and_saveexec_b32 s1, s17
	s_cbranch_execz .LBB219_8
; %bb.7:                                ;   in Loop: Header=BB219_5 Depth=1
	v_add_nc_u32_e32 v3, v63, v3
	s_delay_alu instid0(VALU_DEP_1)
	v_mad_co_i64_i32 v[3:4], null, v3, 36, v[0:1]
	global_load_b32 v3, v[3:4], off offset:4
	s_wait_loadcnt 0x0
	ds_store_b32 v59, v3
.LBB219_8:                              ;   in Loop: Header=BB219_5 Depth=1
	s_wait_alu 0xfffe
	s_or_b32 exec_lo, exec_lo, s1
	v_add_nc_u32_e32 v78, s14, v16
	s_delay_alu instid0(VALU_DEP_1)
	v_cmp_gt_i32_e64 s1, s5, v78
	s_and_b32 s17, s19, s1
	s_wait_alu 0xfffe
	s_and_saveexec_b32 s1, s17
	s_cbranch_execz .LBB219_10
; %bb.9:                                ;   in Loop: Header=BB219_5 Depth=1
	v_add_nc_u32_e32 v3, v63, v78
	s_delay_alu instid0(VALU_DEP_1)
	v_mad_co_i64_i32 v[3:4], null, v3, 36, s[2:3]
	global_load_b32 v3, v[3:4], off
	s_wait_loadcnt 0x0
	ds_store_b32 v60, v3
.LBB219_10:                             ;   in Loop: Header=BB219_5 Depth=1
	s_wait_alu 0xfffe
	s_or_b32 exec_lo, exec_lo, s1
	v_dual_mov_b32 v79, v57 :: v_dual_mov_b32 v80, v58
	v_dual_mov_b32 v81, v68 :: v_dual_mov_b32 v82, v67
	;; [unrolled: 1-line block ×3, first 2 shown]
	v_mov_b32_e32 v85, v61
	s_mov_b32 s1, -4
	s_wait_dscnt 0x0
	s_barrier_signal -1
	s_barrier_wait -1
	global_inv scope:SCOPE_SE
.LBB219_11:                             ;   Parent Loop BB219_5 Depth=1
                                        ; =>  This Inner Loop Header: Depth=2
	v_add_nc_u32_e32 v87, 0x1080, v85
	v_add_nc_u32_e32 v88, 0x1088, v85
	;; [unrolled: 1-line block ×5, first 2 shown]
	ds_load_2addr_b32 v[3:4], v79 offset0:4 offset1:7
	ds_load_2addr_b32 v[11:12], v85 offset1:1
	ds_load_2addr_b32 v[5:6], v79 offset1:3
	ds_load_2addr_b32 v[9:10], v79 offset0:1 offset1:2
	ds_load_2addr_b32 v[7:8], v79 offset0:5 offset1:6
	;; [unrolled: 1-line block ×3, first 2 shown]
	v_add_nc_u32_e32 v91, 0x3180, v85
	ds_load_b32 v86, v84
	ds_load_2addr_b32 v[92:93], v87 offset1:1
	ds_load_2addr_b32 v[87:88], v88 offset1:1
	;; [unrolled: 1-line block ×6, first 2 shown]
	v_add_nc_u32_e32 v85, 16, v85
	v_add_nc_u32_e32 v84, 4, v84
	;; [unrolled: 1-line block ×3, first 2 shown]
	s_wait_alu 0xfffe
	s_add_co_i32 s1, s1, 4
	s_wait_alu 0xfffe
	s_cmp_lt_u32 s1, 12
	s_wait_dscnt 0xc
	v_lshrrev_b16 v91, 8, v3
	v_ashrrev_i32_e32 v131, 24, v3
	v_bfe_i32 v132, v3, 16, 8
	v_bfe_i32 v3, v3, 0, 8
	s_wait_dscnt 0xb
	v_and_b32_e32 v101, 15, v11
	s_wait_dscnt 0xa
	v_lshrrev_b16 v128, 8, v5
	s_wait_dscnt 0x1
	v_bfe_u32 v201, v96, 4, 4
	v_ashrrev_i32_e32 v129, 24, v5
	v_bfe_i32 v130, v5, 16, 8
	v_bfe_i32 v5, v5, 0, 8
	v_and_b32_e32 v152, 15, v92
	v_and_b32_e32 v180, 15, v94
	v_mul_i32_i24_e32 v201, v201, v3
	v_and_b32_e32 v202, 15, v96
	v_mul_i32_i24_e32 v101, v5, v101
	v_mul_i32_i24_e32 v152, v5, v152
	v_bfe_u32 v103, v11, 16, 4
	v_bfe_u32 v154, v92, 16, 4
	v_mad_i32_i24 v201, v202, v5, v201
	v_mul_i32_i24_e32 v5, v5, v180
	v_bfe_u32 v180, v96, 20, 4
	v_bfe_u32 v182, v94, 16, 4
	v_bfe_u32 v202, v96, 16, 4
	v_mul_i32_i24_e32 v103, v130, v103
	v_mul_i32_i24_e32 v154, v130, v154
	;; [unrolled: 1-line block ×3, first 2 shown]
	v_bfe_u32 v102, v11, 8, 4
	v_bfe_u32 v104, v11, 24, 4
	;; [unrolled: 1-line block ×4, first 2 shown]
	v_mad_i32_i24 v180, v202, v130, v180
	v_mul_i32_i24_e32 v130, v130, v182
	v_lshrrev_b32_e32 v182, 28, v96
	v_bfe_u32 v181, v94, 8, 4
	v_bfe_u32 v183, v94, 24, 4
	v_bfe_i32 v128, v128, 0, 8
	v_bfe_u32 v202, v96, 24, 4
	v_mul_i32_i24_e32 v182, v182, v131
	v_bfe_u32 v105, v11, 4, 4
	v_bfe_u32 v106, v11, 12, 4
	;; [unrolled: 1-line block ×6, first 2 shown]
	v_mul_i32_i24_e32 v104, v129, v104
	v_mad_i32_i24 v101, v128, v102, v101
	v_mad_i32_i24 v152, v128, v153, v152
	v_mul_i32_i24_e32 v155, v129, v155
	v_mad_i32_i24 v182, v202, v129, v182
	v_mul_i32_i24_e32 v129, v129, v183
	v_mad_i32_i24 v5, v128, v181, v5
	v_bfe_i32 v91, v91, 0, 8
	v_bfe_u32 v100, v11, 20, 4
	v_lshrrev_b32_e32 v11, 28, v11
	v_bfe_u32 v151, v92, 20, 4
	v_lshrrev_b32_e32 v92, 28, v92
	;; [unrolled: 2-line block ×3, first 2 shown]
	v_add3_u32 v101, v101, v103, v104
	v_add3_u32 v152, v152, v154, v155
	;; [unrolled: 1-line block ×3, first 2 shown]
	v_mul_i32_i24_e32 v105, v3, v105
	v_mul_i32_i24_e32 v156, v3, v156
	;; [unrolled: 1-line block ×6, first 2 shown]
	v_and_b32_e32 v108, 15, v12
	v_bfe_u32 v109, v12, 8, 4
	v_ashrrev_i32_e32 v133, 24, v9
	v_bfe_i32 v134, v9, 16, 8
	v_bfe_i32 v135, v9, 8, 8
	;; [unrolled: 1-line block ×3, first 2 shown]
	v_and_b32_e32 v159, 15, v93
	v_bfe_u32 v160, v93, 8, 4
	v_and_b32_e32 v187, 15, v95
	v_bfe_u32 v188, v95, 8, 4
	v_mul_i32_i24_e32 v100, v132, v100
	v_mul_i32_i24_e32 v151, v132, v151
	;; [unrolled: 1-line block ×6, first 2 shown]
	v_add3_u32 v101, v101, v106, v105
	v_add3_u32 v105, v152, v157, v156
	;; [unrolled: 1-line block ×3, first 2 shown]
	v_bfe_u32 v110, v12, 16, 4
	v_bfe_u32 v111, v12, 24, 4
	;; [unrolled: 1-line block ×6, first 2 shown]
	v_mul_i32_i24_e32 v108, v9, v108
	v_mul_i32_i24_e32 v131, v9, v159
	;; [unrolled: 1-line block ×6, first 2 shown]
	v_add3_u32 v11, v101, v100, v11
	v_add3_u32 v92, v105, v151, v92
	;; [unrolled: 1-line block ×3, first 2 shown]
	v_bfe_u32 v112, v12, 4, 4
	v_bfe_u32 v113, v12, 12, 4
	v_ashrrev_i32_e32 v136, 24, v7
	v_bfe_i32 v137, v7, 16, 8
	v_bfe_i32 v138, v7, 8, 8
	;; [unrolled: 1-line block ×3, first 2 shown]
	v_bfe_u32 v163, v93, 4, 4
	v_bfe_u32 v164, v93, 12, 4
	;; [unrolled: 1-line block ×5, first 2 shown]
	v_mul_i32_i24_e32 v110, v134, v110
	v_mul_i32_i24_e32 v161, v134, v161
	v_mul_i32_i24_e32 v179, v134, v189
	v_mul_i32_i24_e32 v111, v133, v111
	v_mul_i32_i24_e32 v162, v133, v162
	v_mul_i32_i24_e32 v184, v133, v190
	v_add3_u32 v11, v11, v109, v108
	v_add3_u32 v92, v92, v160, v131
	;; [unrolled: 1-line block ×3, first 2 shown]
	v_bfe_u32 v107, v12, 20, 4
	v_lshrrev_b32_e32 v12, 28, v12
	v_bfe_u32 v158, v93, 20, 4
	v_lshrrev_b32_e32 v93, 28, v93
	;; [unrolled: 2-line block ×3, first 2 shown]
	v_and_b32_e32 v130, 0xf0f0f0f, v97
	v_lshrrev_b32_e32 v181, 4, v97
	v_lshrrev_b32_e32 v202, 28, v97
	v_bfe_u32 v203, v97, 16, 4
	v_and_b32_e32 v204, 15, v97
	v_bfe_u32 v205, v97, 20, 4
	v_bfe_u32 v97, v97, 4, 4
	v_mul_i32_i24_e32 v129, v133, v129
	v_mul_i32_i24_e32 v112, v7, v112
	;; [unrolled: 1-line block ×7, first 2 shown]
	v_add3_u32 v11, v11, v110, v111
	v_add3_u32 v92, v92, v161, v162
	;; [unrolled: 1-line block ×3, first 2 shown]
	v_and_b32_e32 v115, 15, v13
	v_bfe_u32 v116, v13, 8, 4
	v_ashrrev_i32_e32 v139, 24, v10
	v_bfe_i32 v140, v10, 16, 8
	v_bfe_i32 v141, v10, 8, 8
	;; [unrolled: 1-line block ×3, first 2 shown]
	v_and_b32_e32 v166, 15, v87
	v_bfe_u32 v167, v87, 8, 4
	v_and_b32_e32 v194, 15, v89
	v_bfe_u32 v195, v89, 8, 4
	v_and_b32_e32 v183, 0xf0f0f0f, v96
	v_lshrrev_b32_e32 v96, 4, v96
	v_mul_i32_i24_e32 v9, v9, v204
	v_mul_i32_i24_e32 v7, v7, v97
	;; [unrolled: 1-line block ×8, first 2 shown]
	v_add3_u32 v11, v11, v112, v113
	v_add3_u32 v92, v92, v133, v164
	;; [unrolled: 1-line block ×3, first 2 shown]
	v_bfe_u32 v117, v13, 16, 4
	v_bfe_u32 v118, v13, 24, 4
	;; [unrolled: 1-line block ×6, first 2 shown]
	v_mul_i32_i24_e32 v115, v10, v115
	v_mul_i32_i24_e32 v166, v10, v166
	;; [unrolled: 1-line block ×4, first 2 shown]
	v_lshrrev_b16 v96, 8, v96
	v_mul_i32_i24_e32 v167, v141, v167
	v_mul_i32_i24_e32 v195, v141, v195
	v_add3_u32 v7, v201, v9, v7
	v_add3_u32 v9, v11, v97, v12
	;; [unrolled: 1-line block ×4, first 2 shown]
	v_bfe_u32 v119, v13, 4, 4
	v_bfe_u32 v120, v13, 12, 4
	v_ashrrev_i32_e32 v142, 24, v8
	v_bfe_i32 v143, v8, 16, 8
	v_bfe_i32 v144, v8, 8, 8
	;; [unrolled: 1-line block ×3, first 2 shown]
	v_bfe_u32 v170, v87, 4, 4
	v_bfe_u32 v171, v87, 12, 4
	;; [unrolled: 1-line block ×4, first 2 shown]
	s_wait_dscnt 0x0
	v_bfe_u32 v206, v98, 24, 4
	v_and_b32_e32 v207, 0xf0f0f0f, v98
	v_lshrrev_b32_e32 v208, 4, v98
	v_lshrrev_b32_e32 v209, 28, v98
	v_bfe_u32 v210, v98, 16, 4
	v_and_b32_e32 v211, 15, v98
	v_bfe_u32 v212, v98, 20, 4
	v_bfe_u32 v98, v98, 4, 4
	v_mul_i32_i24_e32 v117, v140, v117
	v_mul_i32_i24_e32 v168, v140, v168
	;; [unrolled: 1-line block ×6, first 2 shown]
	v_lshrrev_b16 v183, 8, v183
	v_lshrrev_b16 v130, 8, v130
	;; [unrolled: 1-line block ×3, first 2 shown]
	v_and_b32_e32 v96, 15, v96
	v_add3_u32 v9, v9, v116, v115
	v_add3_u32 v11, v11, v167, v166
	;; [unrolled: 1-line block ×3, first 2 shown]
	v_bfe_u32 v114, v13, 20, 4
	v_lshrrev_b32_e32 v13, 28, v13
	v_bfe_i32 v149, v4, 16, 8
	v_bfe_u32 v165, v87, 20, 4
	v_lshrrev_b32_e32 v87, 28, v87
	v_bfe_u32 v193, v89, 20, 4
	v_lshrrev_b32_e32 v89, 28, v89
	v_bfe_u32 v200, v90, 20, 4
	v_and_b32_e32 v214, 0xf0f0f0f, v99
	v_lshrrev_b32_e32 v215, 4, v99
	v_mul_i32_i24_e32 v10, v10, v211
	v_mul_i32_i24_e32 v119, v8, v119
	;; [unrolled: 1-line block ×5, first 2 shown]
	v_and_b32_e32 v183, 0xffff, v183
	v_mul_i32_i24_e32 v120, v144, v120
	v_lshrrev_b16 v196, 8, v207
	v_lshrrev_b16 v197, 8, v208
	v_mul_i32_i24_e32 v171, v144, v171
	v_mul_i32_i24_e32 v198, v144, v199
	v_and_b32_e32 v181, 15, v181
	v_and_b32_e32 v130, 0xffff, v130
	;; [unrolled: 1-line block ×3, first 2 shown]
	v_add3_u32 v9, v9, v117, v118
	v_add3_u32 v11, v11, v168, v169
	;; [unrolled: 1-line block ×3, first 2 shown]
	v_and_b32_e32 v122, 15, v14
	v_bfe_u32 v123, v14, 8, 4
	v_ashrrev_i32_e32 v145, 24, v6
	v_bfe_i32 v146, v6, 16, 8
	v_bfe_i32 v147, v6, 8, 8
	v_bfe_i32 v6, v6, 0, 8
	v_and_b32_e32 v173, 15, v88
	v_bfe_u32 v174, v88, 8, 4
	v_and_b32_e32 v102, 15, v90
	v_bfe_u32 v103, v90, 8, 4
	v_mul_i32_i24_e32 v136, v136, v202
	v_mul_i32_i24_e32 v98, v143, v114
	;; [unrolled: 1-line block ×9, first 2 shown]
	v_lshrrev_b16 v199, 8, v214
	v_lshrrev_b16 v200, 8, v215
	v_and_b32_e32 v197, 15, v197
	v_and_b32_e32 v196, 0xffff, v196
	v_mul_i32_i24_e32 v96, v135, v130
	v_and_b32_e32 v94, 0xffff, v181
	v_mul_i32_i24_e32 v5, v5, v91
	v_add3_u32 v7, v7, v10, v8
	v_add3_u32 v8, v9, v119, v120
	;; [unrolled: 1-line block ×4, first 2 shown]
	v_bfe_u32 v121, v14, 20, 4
	v_bfe_u32 v124, v14, 16, 4
	;; [unrolled: 1-line block ×5, first 2 shown]
	v_lshrrev_b32_e32 v14, 28, v14
	v_ashrrev_i32_e32 v148, 24, v4
	v_bfe_i32 v150, v4, 8, 8
	v_bfe_i32 v4, v4, 0, 8
	v_bfe_u32 v172, v88, 20, 4
	v_bfe_u32 v175, v88, 16, 4
	;; [unrolled: 1-line block ×5, first 2 shown]
	v_lshrrev_b32_e32 v88, 28, v88
	v_bfe_u32 v104, v90, 16, 4
	v_bfe_u32 v153, v90, 24, 4
	;; [unrolled: 1-line block ×4, first 2 shown]
	v_lshrrev_b32_e32 v90, 28, v90
	v_bfe_u32 v213, v99, 24, 4
	v_lshrrev_b32_e32 v216, 28, v99
	v_bfe_u32 v217, v99, 16, 4
	v_and_b32_e32 v218, 15, v99
	v_bfe_u32 v219, v99, 20, 4
	v_bfe_u32 v99, v99, 4, 4
	v_mul_i32_i24_e32 v134, v134, v203
	v_mul_i32_i24_e32 v137, v137, v205
	;; [unrolled: 1-line block ×10, first 2 shown]
	v_and_b32_e32 v200, 15, v200
	v_and_b32_e32 v199, 0xffff, v199
	v_mul_i32_i24_e32 v100, v141, v196
	v_and_b32_e32 v101, 0xffff, v197
	v_add3_u32 v108, v182, v129, v136
	v_mul_i32_i24_e32 v12, v138, v94
	v_add3_u32 v5, v128, v5, v96
	v_add3_u32 v8, v8, v98, v13
	;; [unrolled: 1-line block ×4, first 2 shown]
	v_mul_i32_i24_e32 v140, v140, v210
	v_mul_i32_i24_e32 v143, v143, v212
	;; [unrolled: 1-line block ×13, first 2 shown]
	ds_load_b32 v99, v80
	ds_load_b32 v193, v81
	;; [unrolled: 1-line block ×4, first 2 shown]
	v_mul_i32_i24_e32 v14, v148, v14
	v_mul_i32_i24_e32 v88, v148, v88
	;; [unrolled: 1-line block ×5, first 2 shown]
	v_and_b32_e32 v106, 0xffff, v200
	v_add3_u32 v109, v180, v134, v137
	v_mul_i32_i24_e32 v91, v144, v101
	v_add3_u32 v93, v108, v139, v142
	v_add3_u32 v5, v5, v12, v100
	;; [unrolled: 1-line block ×5, first 2 shown]
	v_mul_i32_i24_e32 v6, v6, v218
	v_mul_i32_i24_e32 v146, v146, v217
	;; [unrolled: 1-line block ×9, first 2 shown]
	v_add3_u32 v10, v109, v140, v143
	v_add3_u32 v11, v93, v145, v148
	;; [unrolled: 1-line block ×12, first 2 shown]
	s_wait_dscnt 0x2
	v_pk_mul_f16 v193, v99, v193
	v_add3_u32 v4, v4, v10, v5
	v_add3_u32 v5, v6, v121, v14
	;; [unrolled: 1-line block ×4, first 2 shown]
	s_wait_dscnt 0x1
	v_pk_mul_f16 v194, v99, v194
	s_wait_dscnt 0x0
	v_pk_mul_f16 v8, v99, v183
	v_pk_mul_f16 v7, v99, v86
	v_cvt_f32_i32_e32 v4, v4
	v_cvt_f32_i32_e32 v5, v5
	;; [unrolled: 1-line block ×4, first 2 shown]
	v_add_nc_u32_e32 v83, 4, v83
	v_fma_mix_f32 v4, v7, v4, v7 op_sel:[0,0,1] op_sel_hi:[1,0,1]
	v_fma_mix_f32 v5, v193, v5, v193 op_sel:[0,0,1] op_sel_hi:[1,0,1]
	;; [unrolled: 1-line block ×4, first 2 shown]
	v_add_nc_u32_e32 v82, 4, v82
	v_add_nc_u32_e32 v81, 4, v81
	;; [unrolled: 1-line block ×3, first 2 shown]
	v_dual_add_f32 v2, v2, v4 :: v_dual_add_f32 v17, v17, v5
	v_dual_add_f32 v52, v52, v6 :: v_dual_add_f32 v47, v47, v3
	s_cbranch_scc1 .LBB219_11
; %bb.12:                               ;   in Loop: Header=BB219_5 Depth=1
	s_bitset1_b32 s16, 7
	s_wait_loadcnt 0x0
	s_wait_alu 0xfffe
	s_cmp_ge_i32 s16, s11
	s_barrier_signal -1
	s_barrier_wait -1
	global_inv scope:SCOPE_SE
	s_cbranch_scc1 .LBB219_4
; %bb.13:                               ;   in Loop: Header=BB219_5 Depth=1
	v_add_nc_u32_e32 v3, s14, v62
	s_delay_alu instid0(VALU_DEP_1)
	v_cmp_gt_i32_e64 s1, s5, v3
	s_and_b32 s16, s0, s1
	s_wait_alu 0xfffe
	s_and_saveexec_b32 s1, s16
	s_cbranch_execz .LBB219_15
; %bb.14:                               ;   in Loop: Header=BB219_5 Depth=1
	v_add_nc_u32_e32 v3, v63, v3
	s_delay_alu instid0(VALU_DEP_1)
	v_mad_co_i64_i32 v[3:4], null, v3, 36, v[0:1]
	global_load_b32 v3, v[3:4], off offset:4
	s_wait_loadcnt 0x0
	ds_store_b32 v59, v3
.LBB219_15:                             ;   in Loop: Header=BB219_5 Depth=1
	s_wait_alu 0xfffe
	s_or_b32 exec_lo, exec_lo, s1
	s_and_saveexec_b32 s16, vcc_lo
	s_cbranch_execz .LBB219_18
; %bb.16:                               ;   in Loop: Header=BB219_5 Depth=1
	v_or_b32_e32 v3, 4, v78
	s_delay_alu instid0(VALU_DEP_1)
	v_cmp_gt_i32_e64 s1, s5, v3
	s_and_b32 s1, s0, s1
	s_wait_alu 0xfffe
	s_and_b32 exec_lo, exec_lo, s1
	s_cbranch_execz .LBB219_18
; %bb.17:                               ;   in Loop: Header=BB219_5 Depth=1
	v_ashrrev_i32_e32 v3, 31, v78
	v_add_co_u32 v4, s1, v63, v78
	s_wait_alu 0xf1ff
	s_delay_alu instid0(VALU_DEP_2) | instskip(NEXT) | instid1(VALU_DEP_2)
	v_add_co_ci_u32_e64 v5, null, v64, v3, s1
	v_mad_co_u64_u32 v[3:4], null, v4, 36, s[2:3]
	s_delay_alu instid0(VALU_DEP_1)
	v_mad_i32_i24 v4, v5, 36, v4
	global_load_b32 v3, v[3:4], off offset:144
	s_wait_loadcnt 0x0
	ds_store_b32 v60, v3
.LBB219_18:                             ;   in Loop: Header=BB219_5 Depth=1
	s_wait_alu 0xfffe
	s_or_b32 exec_lo, exec_lo, s16
	v_dual_mov_b32 v3, v58 :: v_dual_mov_b32 v4, v57
	v_dual_mov_b32 v5, v73 :: v_dual_mov_b32 v6, v72
	;; [unrolled: 1-line block ×3, first 2 shown]
	v_mov_b32_e32 v9, v69
	s_mov_b32 s1, 12
	s_wait_loadcnt_dscnt 0x0
	s_barrier_signal -1
	s_barrier_wait -1
	global_inv scope:SCOPE_SE
.LBB219_19:                             ;   Parent Loop BB219_5 Depth=1
                                        ; =>  This Inner Loop Header: Depth=2
	ds_load_2addr_b32 v[13:14], v4 offset1:3
	ds_load_2addr_b32 v[78:79], v4 offset0:4 offset1:7
	ds_load_2addr_b32 v[80:81], v4 offset0:1 offset1:2
	ds_load_b32 v10, v3
	ds_load_2addr_b32 v[82:83], v9 offset1:1
	ds_load_2addr_b32 v[84:85], v9 offset0:2 offset1:3
	v_add_nc_u32_e32 v88, 0x1080, v9
	v_add_nc_u32_e32 v90, 0x1088, v9
	;; [unrolled: 1-line block ×6, first 2 shown]
	ds_load_2addr_b32 v[86:87], v4 offset0:5 offset1:6
	ds_load_b32 v100, v5
	ds_load_b32 v101, v6
	;; [unrolled: 1-line block ×4, first 2 shown]
	ds_load_2addr_b32 v[88:89], v88 offset1:1
	ds_load_2addr_b32 v[90:91], v90 offset1:1
	;; [unrolled: 1-line block ×6, first 2 shown]
	v_add_nc_u32_e32 v8, 4, v8
	v_add_nc_u32_e32 v6, 4, v6
	v_add_nc_u32_e32 v5, 4, v5
	v_add_nc_u32_e32 v4, 32, v4
	v_add_nc_u32_e32 v3, 4, v3
	s_wait_alu 0xfffe
	s_add_co_i32 s1, s1, 4
	s_wait_dscnt 0x10
	v_lshrrev_b16 v131, 8, v13
	v_ashrrev_i32_e32 v132, 24, v13
	v_bfe_i32 v133, v13, 16, 8
	v_bfe_i32 v13, v13, 0, 8
	s_wait_dscnt 0xc
	v_and_b32_e32 v104, 15, v82
	v_bfe_u32 v105, v82, 8, 4
	v_bfe_u32 v106, v82, 16, 4
	;; [unrolled: 1-line block ×3, first 2 shown]
	s_wait_dscnt 0x5
	v_and_b32_e32 v155, 15, v88
	v_bfe_u32 v157, v88, 16, 4
	v_bfe_u32 v158, v88, 24, 4
	s_wait_dscnt 0x3
	v_and_b32_e32 v183, 15, v92
	v_bfe_i32 v131, v131, 0, 8
	v_mul_i32_i24_e32 v104, v13, v104
	v_lshrrev_b16 v102, 8, v78
	v_bfe_u32 v108, v82, 4, 4
	v_ashrrev_i32_e32 v134, 24, v78
	v_bfe_i32 v135, v78, 16, 8
	v_bfe_i32 v78, v78, 0, 8
	v_bfe_u32 v156, v88, 8, 4
	v_bfe_u32 v159, v88, 4, 4
	;; [unrolled: 1-line block ×6, first 2 shown]
	s_wait_dscnt 0x1
	v_bfe_u32 v210, v96, 24, 4
	v_and_b32_e32 v211, 0xf0f0f0f, v96
	v_lshrrev_b32_e32 v212, 4, v96
	v_lshrrev_b32_e32 v213, 28, v96
	v_mul_i32_i24_e32 v106, v133, v106
	v_mul_i32_i24_e32 v107, v132, v107
	v_bfe_u32 v214, v96, 16, 4
	v_and_b32_e32 v215, 15, v96
	v_bfe_u32 v216, v96, 20, 4
	v_bfe_u32 v96, v96, 4, 4
	v_mad_i32_i24 v104, v131, v105, v104
	v_mul_i32_i24_e32 v105, v13, v155
	v_mul_i32_i24_e32 v155, v133, v157
	;; [unrolled: 1-line block ×4, first 2 shown]
	v_bfe_u32 v109, v82, 12, 4
	v_bfe_u32 v160, v88, 12, 4
	v_bfe_u32 v188, v92, 12, 4
	v_bfe_i32 v102, v102, 0, 8
	v_mul_i32_i24_e32 v108, v78, v108
	v_mul_i32_i24_e32 v183, v133, v185
	;; [unrolled: 1-line block ×7, first 2 shown]
	v_add3_u32 v104, v104, v106, v107
	v_mad_i32_i24 v105, v131, v156, v105
	v_mad_i32_i24 v106, v131, v184, v158
	v_bfe_u32 v103, v82, 20, 4
	v_lshrrev_b32_e32 v82, 28, v82
	v_bfe_u32 v154, v88, 20, 4
	v_lshrrev_b32_e32 v88, 28, v88
	;; [unrolled: 2-line block ×3, first 2 shown]
	v_mul_i32_i24_e32 v109, v102, v109
	v_mul_i32_i24_e32 v160, v102, v160
	;; [unrolled: 1-line block ×3, first 2 shown]
	v_mad_i32_i24 v13, v215, v13, v78
	v_mad_i32_i24 v78, v214, v133, v96
	v_add3_u32 v96, v105, v155, v157
	v_add3_u32 v105, v106, v183, v185
	v_and_b32_e32 v111, 15, v83
	v_bfe_u32 v112, v83, 8, 4
	v_ashrrev_i32_e32 v136, 24, v80
	v_bfe_i32 v137, v80, 16, 8
	v_bfe_i32 v138, v80, 8, 8
	;; [unrolled: 1-line block ×3, first 2 shown]
	v_and_b32_e32 v162, 15, v89
	v_bfe_u32 v163, v89, 8, 4
	v_and_b32_e32 v190, 15, v93
	v_bfe_u32 v191, v93, 8, 4
	v_mul_i32_i24_e32 v103, v135, v103
	v_mul_i32_i24_e32 v82, v134, v82
	v_mul_i32_i24_e32 v154, v135, v154
	v_mul_i32_i24_e32 v88, v134, v88
	v_mul_i32_i24_e32 v182, v135, v182
	v_mul_i32_i24_e32 v92, v134, v92
	v_add3_u32 v104, v104, v109, v108
	v_add3_u32 v96, v96, v160, v159
	;; [unrolled: 1-line block ×3, first 2 shown]
	v_bfe_u32 v113, v83, 16, 4
	v_bfe_u32 v114, v83, 24, 4
	;; [unrolled: 1-line block ×6, first 2 shown]
	v_mul_i32_i24_e32 v111, v80, v111
	v_mul_i32_i24_e32 v112, v138, v112
	v_mul_i32_i24_e32 v162, v80, v162
	v_mul_i32_i24_e32 v163, v138, v163
	v_mul_i32_i24_e32 v190, v80, v190
	v_mul_i32_i24_e32 v191, v138, v191
	v_add3_u32 v82, v104, v103, v82
	v_add3_u32 v88, v96, v154, v88
	;; [unrolled: 1-line block ×3, first 2 shown]
	v_bfe_u32 v115, v83, 4, 4
	v_bfe_u32 v116, v83, 12, 4
	v_ashrrev_i32_e32 v139, 24, v86
	v_bfe_i32 v140, v86, 16, 8
	v_bfe_i32 v141, v86, 8, 8
	;; [unrolled: 1-line block ×3, first 2 shown]
	v_bfe_u32 v166, v89, 4, 4
	v_bfe_u32 v167, v89, 12, 4
	;; [unrolled: 1-line block ×4, first 2 shown]
	v_mul_i32_i24_e32 v113, v137, v113
	v_mul_i32_i24_e32 v114, v136, v114
	v_mul_i32_i24_e32 v164, v137, v164
	v_mul_i32_i24_e32 v165, v136, v165
	v_mul_i32_i24_e32 v192, v137, v192
	v_mul_i32_i24_e32 v193, v136, v193
	v_add3_u32 v82, v82, v112, v111
	v_add3_u32 v88, v88, v163, v162
	;; [unrolled: 1-line block ×3, first 2 shown]
	v_bfe_u32 v110, v83, 20, 4
	v_lshrrev_b32_e32 v83, 28, v83
	v_bfe_u32 v161, v89, 20, 4
	v_lshrrev_b32_e32 v89, 28, v89
	;; [unrolled: 2-line block ×3, first 2 shown]
	v_bfe_u32 v217, v97, 24, 4
	v_and_b32_e32 v218, 0xf0f0f0f, v97
	v_lshrrev_b32_e32 v219, 4, v97
	v_lshrrev_b32_e32 v220, 28, v97
	v_bfe_u32 v221, v97, 16, 4
	v_and_b32_e32 v222, 15, v97
	v_mul_i32_i24_e32 v115, v86, v115
	v_mul_i32_i24_e32 v116, v141, v116
	v_bfe_u32 v223, v97, 20, 4
	v_bfe_u32 v97, v97, 4, 4
	v_mul_i32_i24_e32 v166, v86, v166
	v_mul_i32_i24_e32 v167, v141, v167
	;; [unrolled: 1-line block ×4, first 2 shown]
	v_add3_u32 v82, v82, v113, v114
	v_add3_u32 v88, v88, v164, v165
	;; [unrolled: 1-line block ×3, first 2 shown]
	v_and_b32_e32 v118, 15, v84
	v_bfe_u32 v119, v84, 8, 4
	v_ashrrev_i32_e32 v142, 24, v81
	v_bfe_i32 v143, v81, 16, 8
	v_bfe_i32 v144, v81, 8, 8
	;; [unrolled: 1-line block ×3, first 2 shown]
	v_and_b32_e32 v169, 15, v90
	v_bfe_u32 v170, v90, 8, 4
	v_and_b32_e32 v197, 15, v94
	v_bfe_u32 v198, v94, 8, 4
	v_mul_i32_i24_e32 v110, v140, v110
	v_mul_i32_i24_e32 v83, v139, v83
	v_mul_i32_i24_e32 v80, v80, v222
	v_mul_i32_i24_e32 v161, v140, v161
	v_mul_i32_i24_e32 v89, v139, v89
	v_mul_i32_i24_e32 v189, v140, v189
	v_mul_i32_i24_e32 v93, v139, v93
	v_mul_i32_i24_e32 v86, v86, v97
	v_add3_u32 v82, v82, v115, v116
	v_add3_u32 v88, v88, v166, v167
	;; [unrolled: 1-line block ×3, first 2 shown]
	v_bfe_u32 v120, v84, 16, 4
	v_bfe_u32 v121, v84, 24, 4
	;; [unrolled: 1-line block ×4, first 2 shown]
	v_ashrrev_i32_e32 v151, 24, v79
	v_bfe_i32 v152, v79, 16, 8
	v_bfe_i32 v153, v79, 8, 8
	;; [unrolled: 1-line block ×3, first 2 shown]
	v_bfe_u32 v171, v90, 16, 4
	v_bfe_u32 v172, v90, 24, 4
	;; [unrolled: 1-line block ×8, first 2 shown]
	v_mul_i32_i24_e32 v118, v81, v118
	v_mul_i32_i24_e32 v119, v144, v119
	s_wait_dscnt 0x0
	v_bfe_u32 v231, v99, 24, 4
	v_and_b32_e32 v232, 0xf0f0f0f, v99
	v_lshrrev_b32_e32 v233, 4, v99
	v_lshrrev_b32_e32 v234, 28, v99
	v_bfe_u32 v235, v99, 16, 4
	v_and_b32_e32 v236, 15, v99
	v_bfe_u32 v237, v99, 20, 4
	v_bfe_u32 v99, v99, 4, 4
	v_lshrrev_b16 v212, 8, v212
	v_mul_i32_i24_e32 v169, v81, v169
	v_mul_i32_i24_e32 v170, v144, v170
	;; [unrolled: 1-line block ×4, first 2 shown]
	v_add3_u32 v13, v13, v80, v86
	v_add3_u32 v80, v82, v110, v83
	;; [unrolled: 1-line block ×4, first 2 shown]
	v_bfe_u32 v122, v84, 4, 4
	v_bfe_u32 v123, v84, 12, 4
	v_ashrrev_i32_e32 v145, 24, v87
	v_bfe_i32 v146, v87, 16, 8
	v_bfe_i32 v147, v87, 8, 8
	;; [unrolled: 1-line block ×3, first 2 shown]
	v_bfe_u32 v173, v90, 4, 4
	v_bfe_u32 v174, v90, 12, 4
	;; [unrolled: 1-line block ×5, first 2 shown]
	v_and_b32_e32 v225, 0xf0f0f0f, v98
	v_lshrrev_b32_e32 v226, 4, v98
	v_lshrrev_b32_e32 v227, 28, v98
	v_mul_i32_i24_e32 v120, v143, v120
	v_mul_i32_i24_e32 v121, v142, v121
	v_bfe_u32 v228, v98, 16, 4
	v_and_b32_e32 v229, 15, v98
	v_bfe_u32 v230, v98, 20, 4
	v_bfe_u32 v98, v98, 4, 4
	v_mul_i32_i24_e32 v129, v79, v129
	v_mul_i32_i24_e32 v124, v152, v124
	v_lshrrev_b16 v211, 8, v211
	v_lshrrev_b16 v135, 8, v218
	;; [unrolled: 1-line block ×3, first 2 shown]
	v_mul_i32_i24_e32 v171, v143, v171
	v_mul_i32_i24_e32 v172, v142, v172
	;; [unrolled: 1-line block ×10, first 2 shown]
	v_and_b32_e32 v152, 15, v212
	v_add3_u32 v80, v80, v119, v118
	v_add3_u32 v82, v82, v170, v169
	;; [unrolled: 1-line block ×3, first 2 shown]
	v_bfe_u32 v117, v84, 20, 4
	v_lshrrev_b32_e32 v84, 28, v84
	v_bfe_u32 v168, v90, 20, 4
	v_lshrrev_b32_e32 v90, 28, v90
	;; [unrolled: 2-line block ×3, first 2 shown]
	v_mul_i32_i24_e32 v122, v87, v122
	v_mul_i32_i24_e32 v123, v147, v123
	;; [unrolled: 1-line block ×4, first 2 shown]
	v_lshrrev_b16 v140, 8, v225
	v_lshrrev_b16 v213, 8, v226
	v_mul_i32_i24_e32 v81, v81, v229
	v_mul_i32_i24_e32 v173, v87, v173
	;; [unrolled: 1-line block ×6, first 2 shown]
	v_and_b32_e32 v107, 0xffff, v211
	v_and_b32_e32 v156, 15, v188
	;; [unrolled: 1-line block ×4, first 2 shown]
	v_add3_u32 v80, v80, v120, v121
	v_add3_u32 v82, v82, v171, v172
	;; [unrolled: 1-line block ×3, first 2 shown]
	v_and_b32_e32 v125, 15, v85
	v_bfe_u32 v126, v85, 8, 4
	v_ashrrev_i32_e32 v148, 24, v14
	v_bfe_i32 v149, v14, 16, 8
	v_bfe_i32 v150, v14, 8, 8
	;; [unrolled: 1-line block ×3, first 2 shown]
	v_and_b32_e32 v176, 15, v91
	v_bfe_u32 v177, v91, 8, 4
	v_and_b32_e32 v204, 15, v95
	v_bfe_u32 v205, v95, 8, 4
	v_mul_i32_i24_e32 v117, v146, v117
	v_mul_i32_i24_e32 v84, v145, v84
	;; [unrolled: 1-line block ×9, first 2 shown]
	v_lshrrev_b16 v146, 8, v232
	v_lshrrev_b16 v216, 8, v233
	v_and_b32_e32 v158, 15, v213
	v_and_b32_e32 v140, 0xffff, v140
	v_mad_i32_i24 v106, v210, v132, v134
	v_mul_i32_i24_e32 v107, v107, v131
	v_mul_i32_i24_e32 v109, v138, v135
	v_and_b32_e32 v96, 0xffff, v156
	v_mul_i32_i24_e32 v86, v108, v102
	v_add3_u32 v13, v13, v81, v87
	v_add3_u32 v80, v80, v122, v123
	;; [unrolled: 1-line block ×4, first 2 shown]
	v_bfe_u32 v127, v85, 16, 4
	v_bfe_u32 v128, v85, 24, 4
	v_bfe_u32 v130, v85, 12, 4
	v_lshrrev_b32_e32 v85, 28, v85
	v_bfe_u32 v178, v91, 16, 4
	v_bfe_u32 v179, v91, 24, 4
	v_bfe_u32 v181, v91, 12, 4
	v_lshrrev_b32_e32 v91, 28, v91
	;; [unrolled: 4-line block ×3, first 2 shown]
	v_mul_i32_i24_e32 v125, v14, v125
	v_mul_i32_i24_e32 v126, v150, v126
	;; [unrolled: 1-line block ×9, first 2 shown]
	v_and_b32_e32 v184, 15, v216
	v_and_b32_e32 v146, 0xffff, v146
	v_mul_i32_i24_e32 v103, v144, v140
	v_and_b32_e32 v104, 0xffff, v158
	v_add3_u32 v106, v106, v136, v139
	v_mul_i32_i24_e32 v88, v141, v96
	v_add3_u32 v83, v107, v86, v109
	v_add3_u32 v80, v80, v117, v84
	;; [unrolled: 1-line block ×4, first 2 shown]
	v_mul_i32_i24_e32 v127, v149, v127
	v_mul_i32_i24_e32 v128, v148, v128
	;; [unrolled: 1-line block ×13, first 2 shown]
	v_and_b32_e32 v111, 0xffff, v184
	v_add3_u32 v78, v78, v137, v97
	v_mul_i32_i24_e32 v89, v147, v104
	v_add3_u32 v93, v106, v142, v145
	v_add3_u32 v83, v83, v88, v103
	;; [unrolled: 1-line block ×5, first 2 shown]
	v_mul_i32_i24_e32 v130, v153, v130
	v_mul_i32_i24_e32 v14, v14, v236
	v_mul_i32_i24_e32 v149, v149, v235
	v_mul_i32_i24_e32 v181, v153, v181
	v_mul_i32_i24_e32 v209, v153, v209
	v_mul_i32_i24_e32 v92, v153, v111
	v_add3_u32 v78, v78, v143, v98
	v_add3_u32 v84, v93, v148, v151
	v_add3_u32 v83, v83, v89, v105
	v_add3_u32 v80, v80, v127, v128
	v_add3_u32 v81, v81, v178, v179
	v_add3_u32 v82, v82, v206, v207
	v_add3_u32 v78, v78, v149, v99
	v_add3_u32 v13, v13, v14, v79
	v_add3_u32 v14, v83, v92, v84
	v_add3_u32 v79, v80, v129, v130
	v_add3_u32 v80, v81, v180, v181
	v_add3_u32 v81, v82, v208, v209
	v_pk_mul_f16 v100, v10, v100
	v_add3_u32 v13, v13, v78, v14
	v_add3_u32 v14, v79, v124, v85
	;; [unrolled: 1-line block ×4, first 2 shown]
	v_pk_mul_f16 v101, v10, v101
	v_pk_mul_f16 v12, v10, v12
	;; [unrolled: 1-line block ×3, first 2 shown]
	v_cvt_f32_i32_e32 v11, v13
	v_cvt_f32_i32_e32 v13, v14
	;; [unrolled: 1-line block ×4, first 2 shown]
	s_wait_alu 0xfffe
	s_cmp_lt_u32 s1, 28
	v_fma_mix_f32 v10, v10, v11, v10 op_sel:[0,0,1] op_sel_hi:[1,0,1]
	v_fma_mix_f32 v11, v100, v13, v100 op_sel:[0,0,1] op_sel_hi:[1,0,1]
	;; [unrolled: 1-line block ×4, first 2 shown]
	s_delay_alu instid0(VALU_DEP_4) | instskip(NEXT) | instid1(VALU_DEP_3)
	v_dual_add_f32 v2, v2, v10 :: v_dual_add_nc_u32 v9, 16, v9
	v_dual_add_f32 v52, v52, v13 :: v_dual_add_nc_u32 v7, 4, v7
	v_add_f32_e32 v17, v17, v11
	s_delay_alu instid0(VALU_DEP_4)
	v_add_f32_e32 v47, v47, v12
	s_cbranch_scc1 .LBB219_19
; %bb.20:                               ;   in Loop: Header=BB219_5 Depth=1
	s_wait_loadcnt 0x0
	s_barrier_signal -1
	s_barrier_wait -1
	global_inv scope:SCOPE_SE
	s_branch .LBB219_4
.LBB219_21:
	s_mul_i32 s0, s7, s4
	s_wait_loadcnt 0x0
	s_wait_alu 0xfffe
	v_cmp_gt_i32_e32 vcc_lo, s0, v15
	s_and_saveexec_b32 s0, vcc_lo
	s_cbranch_execz .LBB219_30
; %bb.22:
	v_mul_lo_u32 v0, v15, s6
	v_add_nc_u32_e32 v1, s18, v16
	s_mov_b32 s0, exec_lo
	s_delay_alu instid0(VALU_DEP_1)
	v_cmpx_gt_u32_e64 s6, v1
	s_cbranch_execz .LBB219_24
; %bb.23:
	v_bfe_u32 v4, v17, 16, 1
	s_delay_alu instid0(VALU_DEP_4) | instskip(SKIP_1) | instid1(VALU_DEP_3)
	v_add_nc_u32_e32 v3, v0, v1
	v_cmp_o_f32_e32 vcc_lo, v17, v17
	v_add3_u32 v5, v17, v4, 0x7fff
	v_mov_b32_e32 v4, 0
	s_delay_alu instid0(VALU_DEP_2) | instskip(NEXT) | instid1(VALU_DEP_2)
	v_lshrrev_b32_e32 v5, 16, v5
	v_lshlrev_b64_e32 v[3:4], 1, v[3:4]
	s_wait_alu 0xfffd
	s_delay_alu instid0(VALU_DEP_2) | instskip(NEXT) | instid1(VALU_DEP_2)
	v_cndmask_b32_e32 v5, 0x7fc0, v5, vcc_lo
	v_add_co_u32 v3, vcc_lo, s8, v3
	s_wait_alu 0xfffd
	s_delay_alu instid0(VALU_DEP_3)
	v_add_co_ci_u32_e64 v4, null, s9, v4, vcc_lo
	global_store_b16 v[3:4], v5, off
.LBB219_24:
	s_wait_alu 0xfffe
	s_or_b32 exec_lo, exec_lo, s0
	v_add_nc_u32_e32 v3, 32, v1
	s_mov_b32 s0, exec_lo
	s_delay_alu instid0(VALU_DEP_1)
	v_cmpx_gt_u32_e64 s6, v3
	s_cbranch_execz .LBB219_26
; %bb.25:
	v_bfe_u32 v4, v52, 16, 1
	v_add_nc_u32_e32 v3, v0, v3
	v_cmp_o_f32_e32 vcc_lo, v52, v52
	s_delay_alu instid0(VALU_DEP_3) | instskip(SKIP_1) | instid1(VALU_DEP_2)
	v_add3_u32 v5, v52, v4, 0x7fff
	v_mov_b32_e32 v4, 0
	v_lshrrev_b32_e32 v5, 16, v5
	s_delay_alu instid0(VALU_DEP_2) | instskip(SKIP_1) | instid1(VALU_DEP_2)
	v_lshlrev_b64_e32 v[3:4], 1, v[3:4]
	s_wait_alu 0xfffd
	v_cndmask_b32_e32 v5, 0x7fc0, v5, vcc_lo
	s_delay_alu instid0(VALU_DEP_2) | instskip(SKIP_1) | instid1(VALU_DEP_3)
	v_add_co_u32 v3, vcc_lo, s8, v3
	s_wait_alu 0xfffd
	v_add_co_ci_u32_e64 v4, null, s9, v4, vcc_lo
	global_store_b16 v[3:4], v5, off
.LBB219_26:
	s_wait_alu 0xfffe
	s_or_b32 exec_lo, exec_lo, s0
	v_add_nc_u32_e32 v3, 64, v1
	s_mov_b32 s0, exec_lo
	s_delay_alu instid0(VALU_DEP_1)
	v_cmpx_gt_u32_e64 s6, v3
	s_cbranch_execz .LBB219_28
; %bb.27:
	v_bfe_u32 v4, v47, 16, 1
	v_add_nc_u32_e32 v3, v0, v3
	v_cmp_o_f32_e32 vcc_lo, v47, v47
	s_delay_alu instid0(VALU_DEP_3) | instskip(SKIP_1) | instid1(VALU_DEP_2)
	v_add3_u32 v5, v47, v4, 0x7fff
	v_mov_b32_e32 v4, 0
	v_lshrrev_b32_e32 v5, 16, v5
	s_delay_alu instid0(VALU_DEP_2) | instskip(SKIP_1) | instid1(VALU_DEP_2)
	v_lshlrev_b64_e32 v[3:4], 1, v[3:4]
	s_wait_alu 0xfffd
	v_cndmask_b32_e32 v5, 0x7fc0, v5, vcc_lo
	s_delay_alu instid0(VALU_DEP_2) | instskip(SKIP_1) | instid1(VALU_DEP_3)
	v_add_co_u32 v3, vcc_lo, s8, v3
	s_wait_alu 0xfffd
	v_add_co_ci_u32_e64 v4, null, s9, v4, vcc_lo
	global_store_b16 v[3:4], v5, off
.LBB219_28:
	s_wait_alu 0xfffe
	s_or_b32 exec_lo, exec_lo, s0
	v_add_nc_u32_e32 v1, 0x60, v1
	s_delay_alu instid0(VALU_DEP_1)
	v_cmp_gt_u32_e32 vcc_lo, s6, v1
	s_and_b32 exec_lo, exec_lo, vcc_lo
	s_cbranch_execz .LBB219_30
; %bb.29:
	v_bfe_u32 v3, v2, 16, 1
	v_dual_mov_b32 v1, 0 :: v_dual_add_nc_u32 v0, v0, v1
	v_cmp_o_f32_e32 vcc_lo, v2, v2
	s_delay_alu instid0(VALU_DEP_3) | instskip(NEXT) | instid1(VALU_DEP_3)
	v_add3_u32 v3, v2, v3, 0x7fff
	v_lshlrev_b64_e32 v[0:1], 1, v[0:1]
	s_delay_alu instid0(VALU_DEP_2) | instskip(SKIP_1) | instid1(VALU_DEP_1)
	v_lshrrev_b32_e32 v3, 16, v3
	s_wait_alu 0xfffd
	v_cndmask_b32_e32 v2, 0x7fc0, v3, vcc_lo
	s_delay_alu instid0(VALU_DEP_3)
	v_add_co_u32 v0, vcc_lo, s8, v0
	s_wait_alu 0xfffd
	v_add_co_ci_u32_e64 v1, null, s9, v1, vcc_lo
	global_store_b16 v[0:1], v2, off
.LBB219_30:
	s_nop 0
	s_sendmsg sendmsg(MSG_DEALLOC_VGPRS)
	s_endpgm
	.section	.rodata,"a",@progbits
	.p2align	6, 0x0
	.amdhsa_kernel _ZL8moe_q4_1IN3c108BFloat16ELb0EEvPKvS3_PT_PKiS7_S7_iiiiiii
		.amdhsa_group_segment_fixed_size 22272
		.amdhsa_private_segment_fixed_size 0
		.amdhsa_kernarg_size 76
		.amdhsa_user_sgpr_count 2
		.amdhsa_user_sgpr_dispatch_ptr 0
		.amdhsa_user_sgpr_queue_ptr 0
		.amdhsa_user_sgpr_kernarg_segment_ptr 1
		.amdhsa_user_sgpr_dispatch_id 0
		.amdhsa_user_sgpr_private_segment_size 0
		.amdhsa_wavefront_size32 1
		.amdhsa_uses_dynamic_stack 0
		.amdhsa_enable_private_segment 0
		.amdhsa_system_sgpr_workgroup_id_x 1
		.amdhsa_system_sgpr_workgroup_id_y 1
		.amdhsa_system_sgpr_workgroup_id_z 0
		.amdhsa_system_sgpr_workgroup_info 0
		.amdhsa_system_vgpr_workitem_id 1
		.amdhsa_next_free_vgpr 238
		.amdhsa_next_free_sgpr 22
		.amdhsa_reserve_vcc 1
		.amdhsa_float_round_mode_32 0
		.amdhsa_float_round_mode_16_64 0
		.amdhsa_float_denorm_mode_32 3
		.amdhsa_float_denorm_mode_16_64 3
		.amdhsa_fp16_overflow 0
		.amdhsa_workgroup_processor_mode 1
		.amdhsa_memory_ordered 1
		.amdhsa_forward_progress 1
		.amdhsa_inst_pref_size 67
		.amdhsa_round_robin_scheduling 0
		.amdhsa_exception_fp_ieee_invalid_op 0
		.amdhsa_exception_fp_denorm_src 0
		.amdhsa_exception_fp_ieee_div_zero 0
		.amdhsa_exception_fp_ieee_overflow 0
		.amdhsa_exception_fp_ieee_underflow 0
		.amdhsa_exception_fp_ieee_inexact 0
		.amdhsa_exception_int_div_zero 0
	.end_amdhsa_kernel
	.section	.text._ZL8moe_q4_1IN3c108BFloat16ELb0EEvPKvS3_PT_PKiS7_S7_iiiiiii,"axG",@progbits,_ZL8moe_q4_1IN3c108BFloat16ELb0EEvPKvS3_PT_PKiS7_S7_iiiiiii,comdat
.Lfunc_end219:
	.size	_ZL8moe_q4_1IN3c108BFloat16ELb0EEvPKvS3_PT_PKiS7_S7_iiiiiii, .Lfunc_end219-_ZL8moe_q4_1IN3c108BFloat16ELb0EEvPKvS3_PT_PKiS7_S7_iiiiiii
                                        ; -- End function
	.set _ZL8moe_q4_1IN3c108BFloat16ELb0EEvPKvS3_PT_PKiS7_S7_iiiiiii.num_vgpr, 238
	.set _ZL8moe_q4_1IN3c108BFloat16ELb0EEvPKvS3_PT_PKiS7_S7_iiiiiii.num_agpr, 0
	.set _ZL8moe_q4_1IN3c108BFloat16ELb0EEvPKvS3_PT_PKiS7_S7_iiiiiii.numbered_sgpr, 22
	.set _ZL8moe_q4_1IN3c108BFloat16ELb0EEvPKvS3_PT_PKiS7_S7_iiiiiii.num_named_barrier, 0
	.set _ZL8moe_q4_1IN3c108BFloat16ELb0EEvPKvS3_PT_PKiS7_S7_iiiiiii.private_seg_size, 0
	.set _ZL8moe_q4_1IN3c108BFloat16ELb0EEvPKvS3_PT_PKiS7_S7_iiiiiii.uses_vcc, 1
	.set _ZL8moe_q4_1IN3c108BFloat16ELb0EEvPKvS3_PT_PKiS7_S7_iiiiiii.uses_flat_scratch, 0
	.set _ZL8moe_q4_1IN3c108BFloat16ELb0EEvPKvS3_PT_PKiS7_S7_iiiiiii.has_dyn_sized_stack, 0
	.set _ZL8moe_q4_1IN3c108BFloat16ELb0EEvPKvS3_PT_PKiS7_S7_iiiiiii.has_recursion, 0
	.set _ZL8moe_q4_1IN3c108BFloat16ELb0EEvPKvS3_PT_PKiS7_S7_iiiiiii.has_indirect_call, 0
	.section	.AMDGPU.csdata,"",@progbits
; Kernel info:
; codeLenInByte = 8532
; TotalNumSgprs: 24
; NumVgprs: 238
; ScratchSize: 0
; MemoryBound: 0
; FloatMode: 240
; IeeeMode: 1
; LDSByteSize: 22272 bytes/workgroup (compile time only)
; SGPRBlocks: 0
; VGPRBlocks: 29
; NumSGPRsForWavesPerEU: 24
; NumVGPRsForWavesPerEU: 238
; Occupancy: 6
; WaveLimiterHint : 1
; COMPUTE_PGM_RSRC2:SCRATCH_EN: 0
; COMPUTE_PGM_RSRC2:USER_SGPR: 2
; COMPUTE_PGM_RSRC2:TRAP_HANDLER: 0
; COMPUTE_PGM_RSRC2:TGID_X_EN: 1
; COMPUTE_PGM_RSRC2:TGID_Y_EN: 1
; COMPUTE_PGM_RSRC2:TGID_Z_EN: 0
; COMPUTE_PGM_RSRC2:TIDIG_COMP_CNT: 1
	.section	.text._ZL8moe_q4_1IN3c108BFloat16ELb1EEvPKvS3_PT_PKiS7_S7_iiiiiii,"axG",@progbits,_ZL8moe_q4_1IN3c108BFloat16ELb1EEvPKvS3_PT_PKiS7_S7_iiiiiii,comdat
	.globl	_ZL8moe_q4_1IN3c108BFloat16ELb1EEvPKvS3_PT_PKiS7_S7_iiiiiii ; -- Begin function _ZL8moe_q4_1IN3c108BFloat16ELb1EEvPKvS3_PT_PKiS7_S7_iiiiiii
	.p2align	8
	.type	_ZL8moe_q4_1IN3c108BFloat16ELb1EEvPKvS3_PT_PKiS7_S7_iiiiiii,@function
_ZL8moe_q4_1IN3c108BFloat16ELb1EEvPKvS3_PT_PKiS7_S7_iiiiiii: ; @_ZL8moe_q4_1IN3c108BFloat16ELb1EEvPKvS3_PT_PKiS7_S7_iiiiiii
; %bb.0:
	s_load_b128 s[4:7], s[0:1], 0x18
	s_mov_b32 s2, ttmp7
	s_mov_b32 s3, 0
	s_delay_alu instid0(SALU_CYCLE_1)
	s_lshl_b64 s[2:3], s[2:3], 2
	s_wait_kmcnt 0x0
	s_add_nc_u64 s[2:3], s[6:7], s[2:3]
	s_load_b32 s14, s[2:3], 0x0
	s_wait_kmcnt 0x0
	s_cmp_gt_u32 s14, 0xff
	s_cbranch_scc1 .LBB220_30
; %bb.1:
	s_load_b64 s[2:3], s[0:1], 0x28
	s_wait_kmcnt 0x0
	s_load_b32 s3, s[2:3], 0x0
	s_lshl_b32 s2, ttmp7, 3
	s_wait_kmcnt 0x0
	s_cmp_gt_u32 s2, s3
	s_cbranch_scc1 .LBB220_30
; %bb.2:
	v_bfe_u32 v19, v0, 10, 10
	v_mov_b32_e32 v14, 0
	s_lshl_b32 s11, ttmp9, 7
	s_delay_alu instid0(VALU_DEP_2) | instskip(NEXT) | instid1(VALU_DEP_2)
	v_add_nc_u32_e32 v13, s2, v19
	v_dual_mov_b32 v34, v14 :: v_dual_and_b32 v33, 0x3ff, v0
	v_mov_b32_e32 v55, v14
	v_mov_b32_e32 v59, v14
	s_delay_alu instid0(VALU_DEP_4) | instskip(NEXT) | instid1(VALU_DEP_1)
	v_lshlrev_b64_e32 v[1:2], 2, v[13:14]
	v_add_co_u32 v1, vcc_lo, s4, v1
	s_delay_alu instid0(VALU_DEP_1)
	v_add_co_ci_u32_e64 v2, null, s5, v2, vcc_lo
	global_load_b32 v32, v[1:2], off
	s_clause 0x2
	s_load_b128 s[4:7], s[0:1], 0x30
	s_load_b64 s[12:13], s[0:1], 0x10
	s_load_b96 s[8:10], s[0:1], 0x40
	s_wait_kmcnt 0x0
	s_cmp_lt_i32 s5, 32
	s_cbranch_scc1 .LBB220_21
; %bb.3:
	s_load_b128 s[0:3], s[0:1], 0x0
	s_ashr_i32 s15, s5, 31
	s_mul_i32 s14, s14, s4
	s_lshr_b32 s4, s15, 27
	s_ashr_i32 s15, s14, 31
	s_wait_alu 0xfffe
	s_add_co_i32 s4, s5, s4
	s_ashr_i32 s16, s8, 31
	s_wait_alu 0xfffe
	s_ashr_i32 s4, s4, 5
	s_not_b32 s17, s11
	s_wait_alu 0xfffe
	s_mul_i32 s18, s4, s11
	s_lshr_b32 s20, s16, 27
	s_ashr_i32 s19, s18, 31
	s_wait_loadcnt 0x0
	v_sub_nc_u32_e32 v26, 0, v32
	s_mul_u64 s[18:19], s[18:19], 20
	s_add_co_i32 s16, s6, s17
	s_add_co_i32 s6, s8, s20
	v_dual_mov_b32 v34, 0 :: v_dual_add_nc_u32 v1, 8, v19
	v_max_i32_e32 v26, v32, v26
	v_add_nc_u32_e32 v6, 24, v19
	s_wait_kmcnt 0x0
	s_add_nc_u64 s[0:1], s[0:1], s[14:15]
	v_dual_mov_b32 v59, 0 :: v_dual_lshlrev_b32 v20, 2, v33
	s_add_nc_u64 s[14:15], s[0:1], s[18:19]
	s_abs_i32 s0, s10
	v_min_i32_e32 v2, s16, v19
	s_cvt_f32_u32 s1, s0
	s_sub_co_i32 s8, 0, s0
	v_add_nc_u32_e32 v8, 40, v19
	v_min_i32_e32 v4, s16, v1
	v_rcp_iflag_f32_e32 v23, s1
	v_add_nc_u32_e32 v10, 56, v19
	v_min_i32_e32 v6, s16, v6
	v_add_nc_u32_e32 v11, 64, v19
	v_add_nc_u32_e32 v12, 0x48, v19
	v_mul_lo_u32 v37, v2, s4
	v_mad_co_u64_u32 v[1:2], null, 0x84, v2, v[20:21]
	v_min_i32_e32 v8, s16, v8
	v_add_nc_u32_e32 v13, 0x50, v19
	s_delay_alu instid0(TRANS32_DEP_1)
	v_readfirstlane_b32 s1, v23
	v_add_nc_u32_e32 v14, 0x58, v19
	v_mul_lo_u32 v38, v4, s4
	v_min_i32_e32 v10, s16, v10
	v_min_i32_e32 v11, s16, v11
	s_mul_f32 s1, s1, 0x4f7ffffe
	v_mul_lo_u32 v40, v6, s4
	v_min_i32_e32 v12, s16, v12
	v_min_i32_e32 v13, s16, v13
	s_wait_alu 0xfffe
	s_cvt_u32_f32 s1, s1
	v_mul_lo_u32 v42, v8, s4
	v_min_i32_e32 v14, s16, v14
	v_bfe_u32 v49, v0, 3, 7
	s_wait_alu 0xfffe
	s_mul_i32 s8, s8, s1
	v_mul_lo_u32 v44, v10, s4
	s_mul_hi_u32 s8, s1, s8
	v_add_nc_u32_e32 v15, 0x60, v19
	s_add_co_i32 s1, s1, s8
	v_add_nc_u32_e32 v16, 0x68, v19
	s_wait_alu 0xfffe
	v_mul_hi_u32 v28, v26, s1
	v_mul_lo_u32 v45, v11, s4
	v_add_nc_u32_e32 v17, 0x70, v19
	v_mul_lo_u32 v46, v12, s4
	v_add_nc_u32_e32 v18, 0x78, v19
	v_mul_lo_u32 v47, v13, s4
	v_min_i32_e32 v15, s16, v15
	v_min_i32_e32 v16, s16, v16
	v_mul_lo_u32 v29, v28, s0
	v_min_i32_e32 v17, s16, v17
	v_min_i32_e32 v18, s16, v18
	v_mul_lo_u32 v48, v14, s4
	v_mul_lo_u32 v50, v15, s4
	v_mul_lo_u32 v51, v16, s4
	v_mul_lo_u32 v52, v17, s4
	v_mul_lo_u32 v53, v18, s4
	v_sub_nc_u32_e32 v26, v26, v29
	v_add_nc_u32_e32 v29, 1, v28
	v_and_b32_e32 v54, 7, v0
	v_lshl_add_u32 v61, v19, 7, 0x5280
	v_lshl_add_u32 v62, v19, 4, 0x5680
	v_cmp_le_u32_e32 vcc_lo, s0, v26
	v_add_nc_u32_e32 v3, 16, v19
	v_add_nc_u32_e32 v7, 32, v19
	v_and_b32_e32 v36, 12, v20
	v_add_nc_u32_e32 v64, v62, v20
	s_wait_alu 0xfffd
	v_dual_cndmask_b32 v28, v28, v29 :: v_dual_add_nc_u32 v9, 48, v19
	v_min_i32_e32 v5, s16, v3
	v_min_i32_e32 v7, s16, v7
	v_mad_co_u64_u32 v[2:3], null, 0x84, v4, v[20:21]
	s_delay_alu instid0(VALU_DEP_4) | instskip(NEXT) | instid1(VALU_DEP_4)
	v_min_i32_e32 v9, s16, v9
	v_mad_co_u64_u32 v[3:4], null, 0x84, v5, v[20:21]
	v_mul_lo_u32 v39, v5, s4
	v_mad_co_u64_u32 v[4:5], null, 0x84, v6, v[20:21]
	v_mad_co_u64_u32 v[5:6], null, 0x84, v7, v[20:21]
	v_mul_lo_u32 v41, v7, s4
	v_mad_co_u64_u32 v[6:7], null, 0x84, v8, v[20:21]
	;; [unrolled: 3-line block ×3, first 2 shown]
	v_mad_co_u64_u32 v[9:10], null, 0x84, v11, v[20:21]
	v_mad_co_u64_u32 v[10:11], null, 0x84, v12, v[20:21]
	;; [unrolled: 1-line block ×4, first 2 shown]
	v_lshl_add_u32 v21, v19, 2, v49
	v_xor_b32_e32 v29, s10, v32
	s_ashr_i32 s6, s6, 5
	v_bfe_u32 v35, v0, 2, 8
	s_mov_b32 s17, 0
	v_add_nc_u32_e32 v24, 32, v21
	v_mad_co_u64_u32 v[13:14], null, 0x84, v15, v[20:21]
	v_mad_co_u64_u32 v[15:16], null, 0x84, v16, v[20:21]
	;; [unrolled: 1-line block ×4, first 2 shown]
	v_min_i32_e32 v14, s16, v21
	v_min_i32_e32 v18, s16, v24
	v_add_nc_u32_e32 v23, 64, v21
	v_add_nc_u32_e32 v21, 0x60, v21
	v_lshlrev_b32_e32 v24, 2, v54
	v_ashrrev_i32_e32 v22, 31, v14
	v_ashrrev_i32_e32 v25, 31, v18
	v_min_i32_e32 v23, s16, v23
	v_min_i32_e32 v21, s16, v21
	v_mul_lo_u32 v57, v18, s4
	v_lshrrev_b32_e32 v22, 30, v22
	v_lshrrev_b32_e32 v25, 30, v25
	v_ashrrev_i32_e32 v27, 31, v23
	v_ashrrev_i32_e32 v30, 31, v21
	v_lshlrev_b32_e32 v31, 5, v18
	v_add_nc_u32_e32 v22, v14, v22
	v_add_nc_u32_e32 v25, v18, v25
	v_lshrrev_b32_e32 v27, 30, v27
	v_lshrrev_b32_e32 v18, 30, v30
	v_subrev_nc_u32_e32 v30, s0, v26
	v_and_b32_e32 v22, -4, v22
	v_and_b32_e32 v25, -4, v25
	v_add_nc_u32_e32 v27, v23, v27
	v_add_nc_u32_e32 v18, v21, v18
	v_cndmask_b32_e32 v26, v26, v30, vcc_lo
	v_add_nc_u32_e32 v30, 1, v28
	v_add3_u32 v22, v22, v24, 0x4200
	v_and_b32_e32 v27, -4, v27
	v_and_b32_e32 v18, -4, v18
	v_cmp_le_u32_e32 vcc_lo, s0, v26
	v_add3_u32 v25, v25, v24, 0x4200
	v_mul_lo_u32 v56, v14, s4
	v_add3_u32 v27, v27, v24, 0x4200
	v_add3_u32 v24, v18, v24, 0x4200
	v_ashrrev_i32_e32 v18, 31, v29
	s_wait_alu 0xfffd
	v_cndmask_b32_e32 v26, v28, v30, vcc_lo
	v_and_b32_e32 v28, 31, v0
	v_lshlrev_b32_e32 v29, 5, v33
	v_and_b32_e32 v30, 0xfc, v0
	v_lshlrev_b32_e32 v14, 5, v14
	v_xor_b32_e32 v19, v26, v18
	v_and_b32_e32 v26, 28, v20
	v_lshl_or_b32 v63, v28, 2, v61
	v_add_nc_u32_e32 v28, 32, v33
	v_add_nc_u32_e32 v20, 64, v33
	v_sub_nc_u32_e32 v18, v19, v18
	v_add_nc_u32_e32 v19, 0x60, v33
	v_mul_lo_u32 v58, v23, s4
	v_lshrrev_b32_e32 v65, 3, v28
	v_and_b32_e32 v20, 0x1fc, v20
	v_and_b32_e32 v28, 0x1fc, v28
	;; [unrolled: 1-line block ×3, first 2 shown]
	v_lshlrev_b32_e32 v23, 5, v23
	v_mul_lo_u32 v60, v21, s4
	v_lshlrev_b32_e32 v21, 5, v21
	v_add_nc_u32_e32 v20, v29, v20
	v_add_nc_u32_e32 v55, v29, v19
	;; [unrolled: 1-line block ×4, first 2 shown]
	v_mul_lo_u32 v0, v18, s6
	v_cmp_gt_u32_e32 vcc_lo, 4, v33
	v_cmp_gt_i32_e64 s0, s7, v18
	v_add_co_u32 v18, s1, s2, v26
	s_wait_alu 0xf1ff
	v_add_co_ci_u32_e64 v19, null, s3, 0, s1
	v_add_nc_u32_e32 v66, 0x4e00, v55
	v_add_nc_u32_e32 v67, 0x4a00, v20
	;; [unrolled: 1-line block ×12, first 2 shown]
	v_dual_mov_b32 v55, 0 :: v_dual_mov_b32 v14, 0
	s_and_b32 s8, vcc_lo, s0
	s_wait_alu 0xfffe
	s_mov_b32 s16, s17
	s_branch .LBB220_5
.LBB220_4:                              ;   in Loop: Header=BB220_5 Depth=1
	s_add_co_i32 s16, s16, 8
	s_wait_alu 0xfffe
	s_cmp_ge_i32 s16, s4
	s_cbranch_scc1 .LBB220_21
.LBB220_5:                              ; =>This Loop Header: Depth=1
                                        ;     Child Loop BB220_11 Depth 2
                                        ;     Child Loop BB220_19 Depth 2
	s_wait_alu 0xfffe
	s_mul_u64 s[18:19], s[16:17], 20
	s_wait_alu 0xfffe
	s_add_nc_u64 s[18:19], s[14:15], s[18:19]
	s_wait_alu 0xfffe
	v_mad_co_u64_u32 v[20:21], null, v35, 20, s[18:19]
	s_delay_alu instid0(VALU_DEP_1) | instskip(SKIP_3) | instid1(VALU_DEP_4)
	v_mad_co_i64_i32 v[22:23], null, v37, 20, v[20:21]
	v_mad_co_i64_i32 v[24:25], null, v38, 20, v[20:21]
	;; [unrolled: 1-line block ×4, first 2 shown]
	v_add_co_u32 v22, s1, v22, v36
	v_mad_co_i64_i32 v[30:31], null, v41, 20, v[20:21]
	s_wait_alu 0xf1ff
	v_add_co_ci_u32_e64 v23, null, 0, v23, s1
	v_add_co_u32 v24, s1, v24, v36
	v_mad_co_i64_i32 v[78:79], null, v42, 20, v[20:21]
	s_wait_alu 0xf1ff
	v_add_co_ci_u32_e64 v25, null, 0, v25, s1
	;; [unrolled: 4-line block ×4, first 2 shown]
	v_add_co_u32 v30, s1, v30, v36
	s_wait_alu 0xf1ff
	v_add_co_ci_u32_e64 v31, null, 0, v31, s1
	v_add_co_u32 v78, s1, v78, v36
	s_wait_alu 0xf1ff
	v_add_co_ci_u32_e64 v79, null, 0, v79, s1
	;; [unrolled: 3-line block ×3, first 2 shown]
	v_add_co_u32 v82, s1, v82, v36
	v_mad_co_i64_i32 v[84:85], null, v45, 20, v[20:21]
	s_wait_alu 0xf1ff
	v_add_co_ci_u32_e64 v83, null, 0, v83, s1
	s_clause 0x7
	global_load_b32 v90, v[22:23], off offset:4
	global_load_b32 v91, v[24:25], off offset:4
	;; [unrolled: 1-line block ×8, first 2 shown]
	v_mad_co_i64_i32 v[22:23], null, v46, 20, v[20:21]
	v_mad_co_i64_i32 v[26:27], null, v47, 20, v[20:21]
	;; [unrolled: 1-line block ×3, first 2 shown]
	v_add_co_u32 v24, s1, v84, v36
	v_mad_co_i64_i32 v[30:31], null, v50, 20, v[20:21]
	s_wait_alu 0xf1ff
	v_add_co_ci_u32_e64 v25, null, 0, v85, s1
	v_add_co_u32 v22, s1, v22, v36
	v_mad_co_i64_i32 v[78:79], null, v51, 20, v[20:21]
	s_wait_alu 0xf1ff
	v_add_co_ci_u32_e64 v23, null, 0, v23, s1
	;; [unrolled: 4-line block ×4, first 2 shown]
	v_add_co_u32 v30, s1, v30, v36
	v_mad_co_u64_u32 v[82:83], null, v54, 20, s[18:19]
	s_wait_alu 0xf1ff
	v_add_co_ci_u32_e64 v31, null, 0, v31, s1
	v_add_co_u32 v78, s1, v78, v36
	s_wait_alu 0xf1ff
	v_add_co_ci_u32_e64 v79, null, 0, v79, s1
	v_add_co_u32 v80, s1, v80, v36
	;; [unrolled: 3-line block ×3, first 2 shown]
	s_wait_alu 0xf1ff
	v_add_co_ci_u32_e64 v21, null, 0, v21, s1
	v_mad_co_i64_i32 v[84:85], null, v56, 20, v[82:83]
	v_mad_co_i64_i32 v[86:87], null, v57, 20, v[82:83]
	;; [unrolled: 1-line block ×4, first 2 shown]
	s_clause 0xb
	global_load_b32 v24, v[24:25], off offset:4
	global_load_b32 v22, v[22:23], off offset:4
	;; [unrolled: 1-line block ×8, first 2 shown]
	global_load_b32 v21, v[84:85], off
	global_load_b32 v29, v[86:87], off
	;; [unrolled: 1-line block ×4, first 2 shown]
	s_lshl_b32 s18, s16, 5
	s_wait_loadcnt 0x13
	ds_store_b32 v1, v90
	s_wait_loadcnt 0x12
	ds_store_b32 v2, v91
	;; [unrolled: 2-line block ×20, first 2 shown]
	s_wait_alu 0xfffe
	s_cmp_lt_i32 s18, s5
	s_cbranch_scc0 .LBB220_4
; %bb.6:                                ;   in Loop: Header=BB220_5 Depth=1
	v_add_nc_u32_e32 v20, s16, v49
	s_delay_alu instid0(VALU_DEP_1)
	v_cmp_gt_i32_e64 s1, s6, v20
	s_and_b32 s19, s0, s1
	s_wait_alu 0xfffe
	s_and_saveexec_b32 s1, s19
	s_cbranch_execz .LBB220_8
; %bb.7:                                ;   in Loop: Header=BB220_5 Depth=1
	v_add_nc_u32_e32 v20, v0, v20
	s_delay_alu instid0(VALU_DEP_1)
	v_mad_co_i64_i32 v[20:21], null, v20, 36, v[18:19]
	global_load_b32 v20, v[20:21], off offset:4
	s_wait_loadcnt 0x0
	ds_store_b32 v63, v20
.LBB220_8:                              ;   in Loop: Header=BB220_5 Depth=1
	s_wait_alu 0xfffe
	s_or_b32 exec_lo, exec_lo, s1
	v_add_nc_u32_e32 v78, s16, v33
	s_delay_alu instid0(VALU_DEP_1)
	v_cmp_gt_i32_e64 s1, s6, v78
	s_and_b32 s19, s8, s1
	s_wait_alu 0xfffe
	s_and_saveexec_b32 s1, s19
	s_cbranch_execz .LBB220_10
; %bb.9:                                ;   in Loop: Header=BB220_5 Depth=1
	v_add_nc_u32_e32 v20, v0, v78
	s_delay_alu instid0(VALU_DEP_1)
	v_mad_co_i64_i32 v[20:21], null, v20, 36, s[2:3]
	global_load_b32 v20, v[20:21], off
	s_wait_loadcnt 0x0
	ds_store_b32 v64, v20
.LBB220_10:                             ;   in Loop: Header=BB220_5 Depth=1
	s_wait_alu 0xfffe
	s_or_b32 exec_lo, exec_lo, s1
	v_dual_mov_b32 v79, v61 :: v_dual_mov_b32 v80, v62
	v_mul_u32_u24_e32 v85, 0x84, v33
	v_dual_mov_b32 v81, v69 :: v_dual_mov_b32 v82, v68
	v_dual_mov_b32 v83, v67 :: v_dual_mov_b32 v84, v66
	s_mov_b32 s1, -4
	s_wait_dscnt 0x0
	s_barrier_signal -1
	s_barrier_wait -1
	global_inv scope:SCOPE_SE
.LBB220_11:                             ;   Parent Loop BB220_5 Depth=1
                                        ; =>  This Inner Loop Header: Depth=2
	v_add_nc_u32_e32 v87, 0x1080, v85
	v_add_nc_u32_e32 v88, 0x1088, v85
	;; [unrolled: 1-line block ×5, first 2 shown]
	ds_load_2addr_b32 v[20:21], v79 offset0:4 offset1:7
	ds_load_2addr_b32 v[28:29], v85 offset1:1
	ds_load_2addr_b32 v[22:23], v79 offset1:3
	ds_load_2addr_b32 v[26:27], v79 offset0:1 offset1:2
	ds_load_2addr_b32 v[24:25], v79 offset0:5 offset1:6
	;; [unrolled: 1-line block ×3, first 2 shown]
	v_add_nc_u32_e32 v91, 0x3180, v85
	ds_load_b32 v86, v84
	ds_load_2addr_b32 v[92:93], v87 offset1:1
	ds_load_2addr_b32 v[87:88], v88 offset1:1
	;; [unrolled: 1-line block ×6, first 2 shown]
	v_add_nc_u32_e32 v85, 16, v85
	v_add_nc_u32_e32 v84, 4, v84
	;; [unrolled: 1-line block ×3, first 2 shown]
	s_wait_alu 0xfffe
	s_add_co_i32 s1, s1, 4
	s_wait_alu 0xfffe
	s_cmp_lt_u32 s1, 12
	s_wait_dscnt 0xc
	v_lshrrev_b16 v91, 8, v20
	v_ashrrev_i32_e32 v131, 24, v20
	v_bfe_i32 v132, v20, 16, 8
	v_bfe_i32 v20, v20, 0, 8
	s_wait_dscnt 0xb
	v_and_b32_e32 v101, 15, v28
	s_wait_dscnt 0xa
	v_lshrrev_b16 v128, 8, v22
	s_wait_dscnt 0x1
	v_bfe_u32 v201, v96, 4, 4
	v_ashrrev_i32_e32 v129, 24, v22
	v_bfe_i32 v130, v22, 16, 8
	v_bfe_i32 v22, v22, 0, 8
	v_and_b32_e32 v152, 15, v92
	v_and_b32_e32 v180, 15, v94
	v_mul_i32_i24_e32 v201, v201, v20
	v_and_b32_e32 v202, 15, v96
	v_mul_i32_i24_e32 v101, v22, v101
	v_mul_i32_i24_e32 v152, v22, v152
	v_bfe_u32 v103, v28, 16, 4
	v_bfe_u32 v154, v92, 16, 4
	v_mad_i32_i24 v201, v202, v22, v201
	v_mul_i32_i24_e32 v22, v22, v180
	v_bfe_u32 v180, v96, 20, 4
	v_bfe_u32 v182, v94, 16, 4
	;; [unrolled: 1-line block ×3, first 2 shown]
	v_mul_i32_i24_e32 v103, v130, v103
	v_mul_i32_i24_e32 v154, v130, v154
	;; [unrolled: 1-line block ×3, first 2 shown]
	v_bfe_u32 v102, v28, 8, 4
	v_bfe_u32 v104, v28, 24, 4
	;; [unrolled: 1-line block ×4, first 2 shown]
	v_mad_i32_i24 v180, v202, v130, v180
	v_mul_i32_i24_e32 v130, v130, v182
	v_lshrrev_b32_e32 v182, 28, v96
	v_bfe_u32 v181, v94, 8, 4
	v_bfe_u32 v183, v94, 24, 4
	v_bfe_i32 v128, v128, 0, 8
	v_bfe_u32 v202, v96, 24, 4
	v_mul_i32_i24_e32 v182, v182, v131
	v_bfe_u32 v105, v28, 4, 4
	v_bfe_u32 v106, v28, 12, 4
	;; [unrolled: 1-line block ×6, first 2 shown]
	v_mul_i32_i24_e32 v104, v129, v104
	v_mad_i32_i24 v101, v128, v102, v101
	v_mad_i32_i24 v152, v128, v153, v152
	v_mul_i32_i24_e32 v155, v129, v155
	v_mad_i32_i24 v182, v202, v129, v182
	v_mul_i32_i24_e32 v129, v129, v183
	v_mad_i32_i24 v22, v128, v181, v22
	v_bfe_i32 v91, v91, 0, 8
	v_bfe_u32 v100, v28, 20, 4
	v_lshrrev_b32_e32 v28, 28, v28
	v_bfe_u32 v151, v92, 20, 4
	v_lshrrev_b32_e32 v92, 28, v92
	;; [unrolled: 2-line block ×3, first 2 shown]
	v_add3_u32 v101, v101, v103, v104
	v_add3_u32 v152, v152, v154, v155
	;; [unrolled: 1-line block ×3, first 2 shown]
	v_mul_i32_i24_e32 v105, v20, v105
	v_mul_i32_i24_e32 v156, v20, v156
	;; [unrolled: 1-line block ×6, first 2 shown]
	v_and_b32_e32 v108, 15, v29
	v_bfe_u32 v109, v29, 8, 4
	v_ashrrev_i32_e32 v133, 24, v26
	v_bfe_i32 v134, v26, 16, 8
	v_bfe_i32 v135, v26, 8, 8
	;; [unrolled: 1-line block ×3, first 2 shown]
	v_and_b32_e32 v159, 15, v93
	v_bfe_u32 v160, v93, 8, 4
	v_and_b32_e32 v187, 15, v95
	v_bfe_u32 v188, v95, 8, 4
	v_mul_i32_i24_e32 v100, v132, v100
	v_mul_i32_i24_e32 v151, v132, v151
	;; [unrolled: 1-line block ×6, first 2 shown]
	v_add3_u32 v101, v101, v106, v105
	v_add3_u32 v105, v152, v157, v156
	;; [unrolled: 1-line block ×3, first 2 shown]
	v_bfe_u32 v110, v29, 16, 4
	v_bfe_u32 v111, v29, 24, 4
	;; [unrolled: 1-line block ×6, first 2 shown]
	v_mul_i32_i24_e32 v108, v26, v108
	v_mul_i32_i24_e32 v131, v26, v159
	;; [unrolled: 1-line block ×6, first 2 shown]
	v_add3_u32 v28, v101, v100, v28
	v_add3_u32 v92, v105, v151, v92
	;; [unrolled: 1-line block ×3, first 2 shown]
	v_bfe_u32 v112, v29, 4, 4
	v_bfe_u32 v113, v29, 12, 4
	v_ashrrev_i32_e32 v136, 24, v24
	v_bfe_i32 v137, v24, 16, 8
	v_bfe_i32 v138, v24, 8, 8
	;; [unrolled: 1-line block ×3, first 2 shown]
	v_bfe_u32 v163, v93, 4, 4
	v_bfe_u32 v164, v93, 12, 4
	;; [unrolled: 1-line block ×5, first 2 shown]
	v_mul_i32_i24_e32 v110, v134, v110
	v_mul_i32_i24_e32 v161, v134, v161
	;; [unrolled: 1-line block ×6, first 2 shown]
	v_add3_u32 v28, v28, v109, v108
	v_add3_u32 v92, v92, v160, v131
	;; [unrolled: 1-line block ×3, first 2 shown]
	v_bfe_u32 v107, v29, 20, 4
	v_lshrrev_b32_e32 v29, 28, v29
	v_bfe_u32 v158, v93, 20, 4
	v_lshrrev_b32_e32 v93, 28, v93
	;; [unrolled: 2-line block ×3, first 2 shown]
	v_and_b32_e32 v130, 0xf0f0f0f, v97
	v_lshrrev_b32_e32 v181, 4, v97
	v_lshrrev_b32_e32 v202, 28, v97
	v_bfe_u32 v203, v97, 16, 4
	v_and_b32_e32 v204, 15, v97
	v_bfe_u32 v205, v97, 20, 4
	v_bfe_u32 v97, v97, 4, 4
	v_mul_i32_i24_e32 v129, v133, v129
	v_mul_i32_i24_e32 v112, v24, v112
	;; [unrolled: 1-line block ×7, first 2 shown]
	v_add3_u32 v28, v28, v110, v111
	v_add3_u32 v92, v92, v161, v162
	;; [unrolled: 1-line block ×3, first 2 shown]
	v_and_b32_e32 v115, 15, v30
	v_bfe_u32 v116, v30, 8, 4
	v_ashrrev_i32_e32 v139, 24, v27
	v_bfe_i32 v140, v27, 16, 8
	v_bfe_i32 v141, v27, 8, 8
	;; [unrolled: 1-line block ×3, first 2 shown]
	v_and_b32_e32 v166, 15, v87
	v_bfe_u32 v167, v87, 8, 4
	v_and_b32_e32 v194, 15, v89
	v_bfe_u32 v195, v89, 8, 4
	v_and_b32_e32 v183, 0xf0f0f0f, v96
	v_lshrrev_b32_e32 v96, 4, v96
	v_mul_i32_i24_e32 v26, v26, v204
	v_mul_i32_i24_e32 v24, v24, v97
	;; [unrolled: 1-line block ×8, first 2 shown]
	v_add3_u32 v28, v28, v112, v113
	v_add3_u32 v92, v92, v133, v164
	;; [unrolled: 1-line block ×3, first 2 shown]
	v_bfe_u32 v117, v30, 16, 4
	v_bfe_u32 v118, v30, 24, 4
	;; [unrolled: 1-line block ×6, first 2 shown]
	v_mul_i32_i24_e32 v115, v27, v115
	v_mul_i32_i24_e32 v166, v27, v166
	;; [unrolled: 1-line block ×4, first 2 shown]
	v_lshrrev_b16 v96, 8, v96
	v_mul_i32_i24_e32 v167, v141, v167
	v_mul_i32_i24_e32 v195, v141, v195
	v_add3_u32 v24, v201, v26, v24
	v_add3_u32 v26, v28, v97, v29
	;; [unrolled: 1-line block ×4, first 2 shown]
	v_bfe_u32 v119, v30, 4, 4
	v_bfe_u32 v120, v30, 12, 4
	v_ashrrev_i32_e32 v142, 24, v25
	v_bfe_i32 v143, v25, 16, 8
	v_bfe_i32 v144, v25, 8, 8
	;; [unrolled: 1-line block ×3, first 2 shown]
	v_bfe_u32 v170, v87, 4, 4
	v_bfe_u32 v171, v87, 12, 4
	;; [unrolled: 1-line block ×4, first 2 shown]
	s_wait_dscnt 0x0
	v_bfe_u32 v206, v98, 24, 4
	v_and_b32_e32 v207, 0xf0f0f0f, v98
	v_lshrrev_b32_e32 v208, 4, v98
	v_lshrrev_b32_e32 v209, 28, v98
	v_bfe_u32 v210, v98, 16, 4
	v_and_b32_e32 v211, 15, v98
	v_bfe_u32 v212, v98, 20, 4
	v_bfe_u32 v98, v98, 4, 4
	v_mul_i32_i24_e32 v117, v140, v117
	v_mul_i32_i24_e32 v168, v140, v168
	;; [unrolled: 1-line block ×6, first 2 shown]
	v_lshrrev_b16 v183, 8, v183
	v_lshrrev_b16 v130, 8, v130
	;; [unrolled: 1-line block ×3, first 2 shown]
	v_and_b32_e32 v96, 15, v96
	v_add3_u32 v26, v26, v116, v115
	v_add3_u32 v28, v28, v167, v166
	;; [unrolled: 1-line block ×3, first 2 shown]
	v_bfe_u32 v114, v30, 20, 4
	v_lshrrev_b32_e32 v30, 28, v30
	v_bfe_i32 v149, v21, 16, 8
	v_bfe_u32 v165, v87, 20, 4
	v_lshrrev_b32_e32 v87, 28, v87
	v_bfe_u32 v193, v89, 20, 4
	v_lshrrev_b32_e32 v89, 28, v89
	v_bfe_u32 v200, v90, 20, 4
	v_and_b32_e32 v214, 0xf0f0f0f, v99
	v_lshrrev_b32_e32 v215, 4, v99
	v_mul_i32_i24_e32 v27, v27, v211
	v_mul_i32_i24_e32 v119, v25, v119
	;; [unrolled: 1-line block ×5, first 2 shown]
	v_and_b32_e32 v183, 0xffff, v183
	v_mul_i32_i24_e32 v120, v144, v120
	v_lshrrev_b16 v196, 8, v207
	v_lshrrev_b16 v197, 8, v208
	v_mul_i32_i24_e32 v171, v144, v171
	v_mul_i32_i24_e32 v198, v144, v199
	v_and_b32_e32 v181, 15, v181
	v_and_b32_e32 v130, 0xffff, v130
	;; [unrolled: 1-line block ×3, first 2 shown]
	v_add3_u32 v26, v26, v117, v118
	v_add3_u32 v28, v28, v168, v169
	;; [unrolled: 1-line block ×3, first 2 shown]
	v_and_b32_e32 v122, 15, v31
	v_bfe_u32 v123, v31, 8, 4
	v_ashrrev_i32_e32 v145, 24, v23
	v_bfe_i32 v146, v23, 16, 8
	v_bfe_i32 v147, v23, 8, 8
	;; [unrolled: 1-line block ×3, first 2 shown]
	v_and_b32_e32 v173, 15, v88
	v_bfe_u32 v174, v88, 8, 4
	v_and_b32_e32 v102, 15, v90
	v_bfe_u32 v103, v90, 8, 4
	v_mul_i32_i24_e32 v136, v136, v202
	v_mul_i32_i24_e32 v98, v143, v114
	;; [unrolled: 1-line block ×9, first 2 shown]
	v_lshrrev_b16 v199, 8, v214
	v_lshrrev_b16 v200, 8, v215
	v_and_b32_e32 v197, 15, v197
	v_and_b32_e32 v196, 0xffff, v196
	v_mul_i32_i24_e32 v96, v135, v130
	v_and_b32_e32 v94, 0xffff, v181
	v_mul_i32_i24_e32 v22, v22, v91
	v_add3_u32 v24, v24, v27, v25
	v_add3_u32 v25, v26, v119, v120
	v_add3_u32 v26, v28, v170, v171
	v_add3_u32 v20, v20, v190, v198
	v_bfe_u32 v121, v31, 20, 4
	v_bfe_u32 v124, v31, 16, 4
	;; [unrolled: 1-line block ×5, first 2 shown]
	v_lshrrev_b32_e32 v31, 28, v31
	v_ashrrev_i32_e32 v148, 24, v21
	v_bfe_i32 v150, v21, 8, 8
	v_bfe_i32 v21, v21, 0, 8
	v_bfe_u32 v172, v88, 20, 4
	v_bfe_u32 v175, v88, 16, 4
	;; [unrolled: 1-line block ×5, first 2 shown]
	v_lshrrev_b32_e32 v88, 28, v88
	v_bfe_u32 v104, v90, 16, 4
	v_bfe_u32 v153, v90, 24, 4
	;; [unrolled: 1-line block ×4, first 2 shown]
	v_lshrrev_b32_e32 v90, 28, v90
	v_bfe_u32 v213, v99, 24, 4
	v_lshrrev_b32_e32 v216, 28, v99
	v_bfe_u32 v217, v99, 16, 4
	v_and_b32_e32 v218, 15, v99
	v_bfe_u32 v219, v99, 20, 4
	v_bfe_u32 v99, v99, 4, 4
	v_mul_i32_i24_e32 v134, v134, v203
	v_mul_i32_i24_e32 v137, v137, v205
	;; [unrolled: 1-line block ×10, first 2 shown]
	v_and_b32_e32 v200, 15, v200
	v_and_b32_e32 v199, 0xffff, v199
	v_mul_i32_i24_e32 v100, v141, v196
	v_and_b32_e32 v101, 0xffff, v197
	v_add3_u32 v108, v182, v129, v136
	v_mul_i32_i24_e32 v29, v138, v94
	v_add3_u32 v22, v128, v22, v96
	v_add3_u32 v25, v25, v98, v30
	;; [unrolled: 1-line block ×4, first 2 shown]
	v_mul_i32_i24_e32 v140, v140, v210
	v_mul_i32_i24_e32 v143, v143, v212
	;; [unrolled: 1-line block ×13, first 2 shown]
	ds_load_b32 v99, v80
	ds_load_b32 v193, v81
	;; [unrolled: 1-line block ×4, first 2 shown]
	v_mul_i32_i24_e32 v31, v148, v31
	v_mul_i32_i24_e32 v88, v148, v88
	;; [unrolled: 1-line block ×5, first 2 shown]
	v_and_b32_e32 v106, 0xffff, v200
	v_add3_u32 v109, v180, v134, v137
	v_mul_i32_i24_e32 v91, v144, v101
	v_add3_u32 v93, v108, v139, v142
	v_add3_u32 v22, v22, v29, v100
	;; [unrolled: 1-line block ×5, first 2 shown]
	v_mul_i32_i24_e32 v23, v23, v218
	v_mul_i32_i24_e32 v146, v146, v217
	;; [unrolled: 1-line block ×9, first 2 shown]
	v_add3_u32 v27, v109, v140, v143
	v_add3_u32 v28, v93, v145, v148
	;; [unrolled: 1-line block ×12, first 2 shown]
	s_wait_dscnt 0x2
	v_pk_mul_f16 v193, v99, v193
	v_add3_u32 v21, v21, v27, v22
	v_add3_u32 v22, v23, v121, v31
	v_add3_u32 v23, v24, v172, v88
	v_add3_u32 v20, v20, v191, v90
	s_wait_dscnt 0x1
	v_pk_mul_f16 v194, v99, v194
	s_wait_dscnt 0x0
	v_pk_mul_f16 v25, v99, v183
	v_pk_mul_f16 v24, v99, v86
	v_cvt_f32_i32_e32 v21, v21
	v_cvt_f32_i32_e32 v22, v22
	v_cvt_f32_i32_e32 v23, v23
	v_cvt_f32_i32_e32 v20, v20
	v_add_nc_u32_e32 v83, 4, v83
	v_fma_mix_f32 v21, v24, v21, v24 op_sel:[0,0,1] op_sel_hi:[1,0,1]
	v_fma_mix_f32 v22, v193, v22, v193 op_sel:[0,0,1] op_sel_hi:[1,0,1]
	;; [unrolled: 1-line block ×4, first 2 shown]
	v_add_nc_u32_e32 v82, 4, v82
	v_add_nc_u32_e32 v81, 4, v81
	;; [unrolled: 1-line block ×3, first 2 shown]
	v_add_f32_e32 v14, v14, v21
	v_dual_add_f32 v34, v34, v22 :: v_dual_add_f32 v59, v59, v23
	v_add_f32_e32 v55, v55, v20
	s_cbranch_scc1 .LBB220_11
; %bb.12:                               ;   in Loop: Header=BB220_5 Depth=1
	s_bitset1_b32 s18, 7
	s_wait_loadcnt 0x0
	s_wait_alu 0xfffe
	s_cmp_ge_i32 s18, s5
	s_barrier_signal -1
	s_barrier_wait -1
	global_inv scope:SCOPE_SE
	s_cbranch_scc1 .LBB220_4
; %bb.13:                               ;   in Loop: Header=BB220_5 Depth=1
	v_add_nc_u32_e32 v20, s16, v65
	s_delay_alu instid0(VALU_DEP_1)
	v_cmp_gt_i32_e64 s1, s6, v20
	s_and_b32 s18, s0, s1
	s_wait_alu 0xfffe
	s_and_saveexec_b32 s1, s18
	s_cbranch_execz .LBB220_15
; %bb.14:                               ;   in Loop: Header=BB220_5 Depth=1
	v_add_nc_u32_e32 v20, v0, v20
	s_delay_alu instid0(VALU_DEP_1)
	v_mad_co_i64_i32 v[20:21], null, v20, 36, v[18:19]
	global_load_b32 v20, v[20:21], off offset:4
	s_wait_loadcnt 0x0
	ds_store_b32 v63, v20
.LBB220_15:                             ;   in Loop: Header=BB220_5 Depth=1
	s_wait_alu 0xfffe
	s_or_b32 exec_lo, exec_lo, s1
	s_and_saveexec_b32 s18, vcc_lo
	s_cbranch_execz .LBB220_18
; %bb.16:                               ;   in Loop: Header=BB220_5 Depth=1
	v_or_b32_e32 v20, 4, v78
	s_delay_alu instid0(VALU_DEP_1)
	v_cmp_gt_i32_e64 s1, s6, v20
	s_and_b32 s1, s0, s1
	s_wait_alu 0xfffe
	s_and_b32 exec_lo, exec_lo, s1
	s_cbranch_execz .LBB220_18
; %bb.17:                               ;   in Loop: Header=BB220_5 Depth=1
	v_ashrrev_i32_e32 v20, 31, v78
	v_ashrrev_i32_e32 v21, 31, v0
	v_add_co_u32 v22, s1, v0, v78
	s_wait_alu 0xf1ff
	s_delay_alu instid0(VALU_DEP_2) | instskip(NEXT) | instid1(VALU_DEP_2)
	v_add_co_ci_u32_e64 v23, null, v21, v20, s1
	v_mad_co_u64_u32 v[20:21], null, v22, 36, s[2:3]
	s_delay_alu instid0(VALU_DEP_1)
	v_mad_i32_i24 v21, v23, 36, v21
	global_load_b32 v20, v[20:21], off offset:144
	s_wait_loadcnt 0x0
	ds_store_b32 v64, v20
.LBB220_18:                             ;   in Loop: Header=BB220_5 Depth=1
	s_wait_alu 0xfffe
	s_or_b32 exec_lo, exec_lo, s18
	v_dual_mov_b32 v20, v62 :: v_dual_mov_b32 v21, v61
	v_mad_u32_u24 v26, 0x84, v33, 64
	v_dual_mov_b32 v22, v73 :: v_dual_mov_b32 v23, v72
	v_dual_mov_b32 v24, v71 :: v_dual_mov_b32 v25, v70
	s_mov_b32 s1, 12
	s_wait_loadcnt_dscnt 0x0
	s_barrier_signal -1
	s_barrier_wait -1
	global_inv scope:SCOPE_SE
.LBB220_19:                             ;   Parent Loop BB220_5 Depth=1
                                        ; =>  This Inner Loop Header: Depth=2
	ds_load_2addr_b32 v[30:31], v21 offset1:3
	ds_load_2addr_b32 v[78:79], v21 offset0:4 offset1:7
	ds_load_2addr_b32 v[80:81], v21 offset0:1 offset1:2
	ds_load_b32 v27, v20
	ds_load_2addr_b32 v[82:83], v26 offset1:1
	ds_load_2addr_b32 v[84:85], v26 offset0:2 offset1:3
	v_add_nc_u32_e32 v88, 0x1080, v26
	v_add_nc_u32_e32 v90, 0x1088, v26
	;; [unrolled: 1-line block ×6, first 2 shown]
	ds_load_2addr_b32 v[86:87], v21 offset0:5 offset1:6
	ds_load_b32 v100, v22
	ds_load_b32 v101, v23
	;; [unrolled: 1-line block ×4, first 2 shown]
	ds_load_2addr_b32 v[88:89], v88 offset1:1
	ds_load_2addr_b32 v[90:91], v90 offset1:1
	ds_load_2addr_b32 v[92:93], v92 offset1:1
	ds_load_2addr_b32 v[94:95], v94 offset1:1
	ds_load_2addr_b32 v[96:97], v96 offset1:1
	ds_load_2addr_b32 v[98:99], v98 offset1:1
	v_add_nc_u32_e32 v26, 16, v26
	v_add_nc_u32_e32 v22, 4, v22
	v_add_nc_u32_e32 v21, 32, v21
	v_add_nc_u32_e32 v20, 4, v20
	s_wait_alu 0xfffe
	s_add_co_i32 s1, s1, 4
	s_wait_alu 0xfffe
	s_cmp_lt_u32 s1, 28
	s_wait_dscnt 0x10
	v_lshrrev_b16 v131, 8, v30
	v_ashrrev_i32_e32 v132, 24, v30
	v_bfe_i32 v133, v30, 16, 8
	s_wait_dscnt 0xc
	v_and_b32_e32 v104, 15, v82
	v_bfe_i32 v30, v30, 0, 8
	v_bfe_u32 v105, v82, 8, 4
	v_bfe_u32 v106, v82, 16, 4
	;; [unrolled: 1-line block ×3, first 2 shown]
	s_wait_dscnt 0x5
	v_and_b32_e32 v155, 15, v88
	v_bfe_u32 v157, v88, 16, 4
	v_bfe_u32 v158, v88, 24, 4
	s_wait_dscnt 0x3
	v_and_b32_e32 v183, 15, v92
	v_bfe_i32 v131, v131, 0, 8
	v_mul_i32_i24_e32 v104, v30, v104
	v_lshrrev_b16 v102, 8, v78
	v_bfe_u32 v108, v82, 4, 4
	v_ashrrev_i32_e32 v134, 24, v78
	v_bfe_i32 v135, v78, 16, 8
	v_bfe_i32 v78, v78, 0, 8
	v_bfe_u32 v156, v88, 8, 4
	v_bfe_u32 v159, v88, 4, 4
	;; [unrolled: 1-line block ×6, first 2 shown]
	s_wait_dscnt 0x1
	v_bfe_u32 v210, v96, 24, 4
	v_and_b32_e32 v211, 0xf0f0f0f, v96
	v_lshrrev_b32_e32 v212, 4, v96
	v_lshrrev_b32_e32 v213, 28, v96
	v_mul_i32_i24_e32 v106, v133, v106
	v_mul_i32_i24_e32 v107, v132, v107
	v_bfe_u32 v214, v96, 16, 4
	v_and_b32_e32 v215, 15, v96
	v_bfe_u32 v216, v96, 20, 4
	v_bfe_u32 v96, v96, 4, 4
	v_mad_i32_i24 v104, v131, v105, v104
	v_mul_i32_i24_e32 v105, v30, v155
	v_mul_i32_i24_e32 v155, v133, v157
	;; [unrolled: 1-line block ×4, first 2 shown]
	v_bfe_u32 v109, v82, 12, 4
	v_bfe_u32 v160, v88, 12, 4
	;; [unrolled: 1-line block ×3, first 2 shown]
	v_bfe_i32 v102, v102, 0, 8
	v_mul_i32_i24_e32 v108, v78, v108
	v_mul_i32_i24_e32 v183, v133, v185
	;; [unrolled: 1-line block ×7, first 2 shown]
	v_add3_u32 v104, v104, v106, v107
	v_mad_i32_i24 v105, v131, v156, v105
	v_mad_i32_i24 v106, v131, v184, v158
	v_bfe_u32 v103, v82, 20, 4
	v_lshrrev_b32_e32 v82, 28, v82
	v_bfe_u32 v154, v88, 20, 4
	v_lshrrev_b32_e32 v88, 28, v88
	;; [unrolled: 2-line block ×3, first 2 shown]
	v_mul_i32_i24_e32 v109, v102, v109
	v_mul_i32_i24_e32 v160, v102, v160
	;; [unrolled: 1-line block ×3, first 2 shown]
	v_mad_i32_i24 v30, v215, v30, v78
	v_mad_i32_i24 v78, v214, v133, v96
	v_add3_u32 v96, v105, v155, v157
	v_add3_u32 v105, v106, v183, v185
	v_and_b32_e32 v111, 15, v83
	v_bfe_u32 v112, v83, 8, 4
	v_ashrrev_i32_e32 v136, 24, v80
	v_bfe_i32 v137, v80, 16, 8
	v_bfe_i32 v138, v80, 8, 8
	;; [unrolled: 1-line block ×3, first 2 shown]
	v_and_b32_e32 v162, 15, v89
	v_bfe_u32 v163, v89, 8, 4
	v_and_b32_e32 v190, 15, v93
	v_bfe_u32 v191, v93, 8, 4
	v_mul_i32_i24_e32 v103, v135, v103
	v_mul_i32_i24_e32 v82, v134, v82
	;; [unrolled: 1-line block ×6, first 2 shown]
	v_add3_u32 v104, v104, v109, v108
	v_add3_u32 v96, v96, v160, v159
	v_add3_u32 v105, v105, v187, v186
	v_bfe_u32 v113, v83, 16, 4
	v_bfe_u32 v114, v83, 24, 4
	v_bfe_u32 v164, v89, 16, 4
	v_bfe_u32 v165, v89, 24, 4
	v_bfe_u32 v192, v93, 16, 4
	v_bfe_u32 v193, v93, 24, 4
	v_mul_i32_i24_e32 v111, v80, v111
	v_mul_i32_i24_e32 v112, v138, v112
	v_mul_i32_i24_e32 v162, v80, v162
	v_mul_i32_i24_e32 v163, v138, v163
	v_mul_i32_i24_e32 v190, v80, v190
	v_mul_i32_i24_e32 v191, v138, v191
	v_add3_u32 v82, v104, v103, v82
	v_add3_u32 v88, v96, v154, v88
	;; [unrolled: 1-line block ×3, first 2 shown]
	v_bfe_u32 v115, v83, 4, 4
	v_bfe_u32 v116, v83, 12, 4
	v_ashrrev_i32_e32 v139, 24, v86
	v_bfe_i32 v140, v86, 16, 8
	v_bfe_i32 v141, v86, 8, 8
	;; [unrolled: 1-line block ×3, first 2 shown]
	v_bfe_u32 v166, v89, 4, 4
	v_bfe_u32 v167, v89, 12, 4
	;; [unrolled: 1-line block ×4, first 2 shown]
	v_mul_i32_i24_e32 v113, v137, v113
	v_mul_i32_i24_e32 v114, v136, v114
	;; [unrolled: 1-line block ×6, first 2 shown]
	v_add3_u32 v82, v82, v112, v111
	v_add3_u32 v88, v88, v163, v162
	;; [unrolled: 1-line block ×3, first 2 shown]
	v_bfe_u32 v110, v83, 20, 4
	v_lshrrev_b32_e32 v83, 28, v83
	v_bfe_u32 v161, v89, 20, 4
	v_lshrrev_b32_e32 v89, 28, v89
	;; [unrolled: 2-line block ×3, first 2 shown]
	v_bfe_u32 v217, v97, 24, 4
	v_and_b32_e32 v218, 0xf0f0f0f, v97
	v_lshrrev_b32_e32 v219, 4, v97
	v_lshrrev_b32_e32 v220, 28, v97
	v_bfe_u32 v221, v97, 16, 4
	v_and_b32_e32 v222, 15, v97
	v_mul_i32_i24_e32 v115, v86, v115
	v_mul_i32_i24_e32 v116, v141, v116
	v_bfe_u32 v223, v97, 20, 4
	v_bfe_u32 v97, v97, 4, 4
	v_mul_i32_i24_e32 v166, v86, v166
	v_mul_i32_i24_e32 v167, v141, v167
	;; [unrolled: 1-line block ×4, first 2 shown]
	v_add3_u32 v82, v82, v113, v114
	v_add3_u32 v88, v88, v164, v165
	;; [unrolled: 1-line block ×3, first 2 shown]
	v_and_b32_e32 v118, 15, v84
	v_bfe_u32 v119, v84, 8, 4
	v_ashrrev_i32_e32 v142, 24, v81
	v_bfe_i32 v143, v81, 16, 8
	v_bfe_i32 v144, v81, 8, 8
	;; [unrolled: 1-line block ×3, first 2 shown]
	v_and_b32_e32 v169, 15, v90
	v_bfe_u32 v170, v90, 8, 4
	v_and_b32_e32 v197, 15, v94
	v_bfe_u32 v198, v94, 8, 4
	v_mul_i32_i24_e32 v110, v140, v110
	v_mul_i32_i24_e32 v83, v139, v83
	;; [unrolled: 1-line block ×8, first 2 shown]
	v_add3_u32 v82, v82, v115, v116
	v_add3_u32 v88, v88, v166, v167
	;; [unrolled: 1-line block ×3, first 2 shown]
	v_bfe_u32 v120, v84, 16, 4
	v_bfe_u32 v121, v84, 24, 4
	;; [unrolled: 1-line block ×4, first 2 shown]
	v_ashrrev_i32_e32 v151, 24, v79
	v_bfe_i32 v152, v79, 16, 8
	v_bfe_i32 v153, v79, 8, 8
	;; [unrolled: 1-line block ×3, first 2 shown]
	v_bfe_u32 v171, v90, 16, 4
	v_bfe_u32 v172, v90, 24, 4
	;; [unrolled: 1-line block ×8, first 2 shown]
	v_mul_i32_i24_e32 v118, v81, v118
	v_mul_i32_i24_e32 v119, v144, v119
	s_wait_dscnt 0x0
	v_bfe_u32 v231, v99, 24, 4
	v_and_b32_e32 v232, 0xf0f0f0f, v99
	v_lshrrev_b32_e32 v233, 4, v99
	v_lshrrev_b32_e32 v234, 28, v99
	v_bfe_u32 v235, v99, 16, 4
	v_and_b32_e32 v236, 15, v99
	v_bfe_u32 v237, v99, 20, 4
	v_bfe_u32 v99, v99, 4, 4
	v_lshrrev_b16 v212, 8, v212
	v_mul_i32_i24_e32 v169, v81, v169
	v_mul_i32_i24_e32 v170, v144, v170
	v_mul_i32_i24_e32 v197, v81, v197
	v_mul_i32_i24_e32 v198, v144, v198
	v_add3_u32 v30, v30, v80, v86
	v_add3_u32 v80, v82, v110, v83
	;; [unrolled: 1-line block ×4, first 2 shown]
	v_bfe_u32 v122, v84, 4, 4
	v_bfe_u32 v123, v84, 12, 4
	v_ashrrev_i32_e32 v145, 24, v87
	v_bfe_i32 v146, v87, 16, 8
	v_bfe_i32 v147, v87, 8, 8
	;; [unrolled: 1-line block ×3, first 2 shown]
	v_bfe_u32 v173, v90, 4, 4
	v_bfe_u32 v174, v90, 12, 4
	;; [unrolled: 1-line block ×5, first 2 shown]
	v_and_b32_e32 v225, 0xf0f0f0f, v98
	v_lshrrev_b32_e32 v226, 4, v98
	v_lshrrev_b32_e32 v227, 28, v98
	v_mul_i32_i24_e32 v120, v143, v120
	v_mul_i32_i24_e32 v121, v142, v121
	v_bfe_u32 v228, v98, 16, 4
	v_and_b32_e32 v229, 15, v98
	v_bfe_u32 v230, v98, 20, 4
	v_bfe_u32 v98, v98, 4, 4
	v_mul_i32_i24_e32 v129, v79, v129
	v_mul_i32_i24_e32 v124, v152, v124
	v_lshrrev_b16 v211, 8, v211
	v_lshrrev_b16 v135, 8, v218
	;; [unrolled: 1-line block ×3, first 2 shown]
	v_mul_i32_i24_e32 v171, v143, v171
	v_mul_i32_i24_e32 v172, v142, v172
	;; [unrolled: 1-line block ×10, first 2 shown]
	v_and_b32_e32 v152, 15, v212
	v_add3_u32 v80, v80, v119, v118
	v_add3_u32 v82, v82, v170, v169
	v_add3_u32 v83, v83, v198, v197
	v_bfe_u32 v117, v84, 20, 4
	v_lshrrev_b32_e32 v84, 28, v84
	v_bfe_u32 v168, v90, 20, 4
	v_lshrrev_b32_e32 v90, 28, v90
	;; [unrolled: 2-line block ×3, first 2 shown]
	v_mul_i32_i24_e32 v122, v87, v122
	v_mul_i32_i24_e32 v123, v147, v123
	;; [unrolled: 1-line block ×4, first 2 shown]
	v_lshrrev_b16 v140, 8, v225
	v_lshrrev_b16 v213, 8, v226
	v_mul_i32_i24_e32 v81, v81, v229
	v_mul_i32_i24_e32 v173, v87, v173
	;; [unrolled: 1-line block ×6, first 2 shown]
	v_and_b32_e32 v107, 0xffff, v211
	v_and_b32_e32 v156, 15, v188
	;; [unrolled: 1-line block ×4, first 2 shown]
	v_add3_u32 v80, v80, v120, v121
	v_add3_u32 v82, v82, v171, v172
	;; [unrolled: 1-line block ×3, first 2 shown]
	v_and_b32_e32 v125, 15, v85
	v_bfe_u32 v126, v85, 8, 4
	v_ashrrev_i32_e32 v148, 24, v31
	v_bfe_i32 v149, v31, 16, 8
	v_bfe_i32 v150, v31, 8, 8
	;; [unrolled: 1-line block ×3, first 2 shown]
	v_and_b32_e32 v176, 15, v91
	v_bfe_u32 v177, v91, 8, 4
	v_and_b32_e32 v204, 15, v95
	v_bfe_u32 v205, v95, 8, 4
	v_mul_i32_i24_e32 v117, v146, v117
	v_mul_i32_i24_e32 v84, v145, v84
	;; [unrolled: 1-line block ×9, first 2 shown]
	v_lshrrev_b16 v146, 8, v232
	v_lshrrev_b16 v216, 8, v233
	v_and_b32_e32 v158, 15, v213
	v_and_b32_e32 v140, 0xffff, v140
	v_mad_i32_i24 v106, v210, v132, v134
	v_mul_i32_i24_e32 v107, v107, v131
	v_mul_i32_i24_e32 v109, v138, v135
	v_and_b32_e32 v96, 0xffff, v156
	v_mul_i32_i24_e32 v86, v108, v102
	v_add3_u32 v30, v30, v81, v87
	v_add3_u32 v80, v80, v122, v123
	;; [unrolled: 1-line block ×4, first 2 shown]
	v_bfe_u32 v127, v85, 16, 4
	v_bfe_u32 v128, v85, 24, 4
	v_bfe_u32 v130, v85, 12, 4
	v_lshrrev_b32_e32 v85, 28, v85
	v_bfe_u32 v178, v91, 16, 4
	v_bfe_u32 v179, v91, 24, 4
	v_bfe_u32 v181, v91, 12, 4
	v_lshrrev_b32_e32 v91, 28, v91
	;; [unrolled: 4-line block ×3, first 2 shown]
	v_mul_i32_i24_e32 v125, v31, v125
	v_mul_i32_i24_e32 v126, v150, v126
	;; [unrolled: 1-line block ×9, first 2 shown]
	v_and_b32_e32 v184, 15, v216
	v_and_b32_e32 v146, 0xffff, v146
	v_mul_i32_i24_e32 v103, v144, v140
	v_and_b32_e32 v104, 0xffff, v158
	v_add3_u32 v106, v106, v136, v139
	v_mul_i32_i24_e32 v88, v141, v96
	v_add3_u32 v83, v107, v86, v109
	v_add3_u32 v80, v80, v117, v84
	;; [unrolled: 1-line block ×4, first 2 shown]
	v_mul_i32_i24_e32 v127, v149, v127
	v_mul_i32_i24_e32 v128, v148, v128
	v_mul_i32_i24_e32 v85, v151, v85
	v_mul_i32_i24_e32 v143, v143, v228
	v_mul_i32_i24_e32 v178, v149, v178
	v_mul_i32_i24_e32 v179, v148, v179
	v_mul_i32_i24_e32 v206, v149, v206
	v_mul_i32_i24_e32 v207, v148, v207
	v_mul_i32_i24_e32 v148, v148, v231
	v_mul_i32_i24_e32 v91, v151, v91
	v_mul_i32_i24_e32 v95, v151, v95
	v_mul_i32_i24_e32 v151, v151, v234
	v_mul_i32_i24_e32 v105, v150, v146
	v_and_b32_e32 v111, 0xffff, v184
	v_add3_u32 v78, v78, v137, v97
	v_mul_i32_i24_e32 v89, v147, v104
	v_add3_u32 v93, v106, v142, v145
	v_add3_u32 v83, v83, v88, v103
	;; [unrolled: 1-line block ×5, first 2 shown]
	v_mul_i32_i24_e32 v130, v153, v130
	v_mul_i32_i24_e32 v31, v31, v236
	;; [unrolled: 1-line block ×6, first 2 shown]
	v_add3_u32 v78, v78, v143, v98
	v_add3_u32 v84, v93, v148, v151
	;; [unrolled: 1-line block ×12, first 2 shown]
	v_pk_mul_f16 v100, v27, v100
	v_add3_u32 v30, v30, v78, v31
	v_add3_u32 v31, v79, v124, v85
	;; [unrolled: 1-line block ×4, first 2 shown]
	v_pk_mul_f16 v101, v27, v101
	v_pk_mul_f16 v29, v27, v29
	;; [unrolled: 1-line block ×3, first 2 shown]
	v_cvt_f32_i32_e32 v28, v30
	v_cvt_f32_i32_e32 v30, v31
	v_cvt_f32_i32_e32 v31, v78
	v_cvt_f32_i32_e32 v78, v79
	s_delay_alu instid0(VALU_DEP_4) | instskip(NEXT) | instid1(VALU_DEP_4)
	v_fma_mix_f32 v27, v27, v28, v27 op_sel:[0,0,1] op_sel_hi:[1,0,1]
	v_fma_mix_f32 v28, v100, v30, v100 op_sel:[0,0,1] op_sel_hi:[1,0,1]
	s_delay_alu instid0(VALU_DEP_4) | instskip(NEXT) | instid1(VALU_DEP_4)
	v_fma_mix_f32 v30, v101, v31, v101 op_sel:[0,0,1] op_sel_hi:[1,0,1]
	v_fma_mix_f32 v29, v29, v78, v29 op_sel:[0,0,1] op_sel_hi:[1,0,1]
	s_delay_alu instid0(VALU_DEP_4) | instskip(NEXT) | instid1(VALU_DEP_3)
	v_dual_add_f32 v14, v14, v27 :: v_dual_add_nc_u32 v25, 4, v25
	v_dual_add_f32 v59, v59, v30 :: v_dual_add_nc_u32 v24, 4, v24
	;; [unrolled: 1-line block ×3, first 2 shown]
	s_delay_alu instid0(VALU_DEP_4)
	v_add_f32_e32 v55, v55, v29
	s_cbranch_scc1 .LBB220_19
; %bb.20:                               ;   in Loop: Header=BB220_5 Depth=1
	s_wait_loadcnt 0x0
	s_barrier_signal -1
	s_barrier_wait -1
	global_inv scope:SCOPE_SE
	s_branch .LBB220_4
.LBB220_21:
	s_mul_i32 s0, s10, s7
	s_wait_loadcnt 0x0
	s_wait_alu 0xfffe
	v_cmp_gt_i32_e32 vcc_lo, s0, v32
	s_and_saveexec_b32 s0, vcc_lo
	s_cbranch_execz .LBB220_30
; %bb.22:
	v_mul_lo_u32 v0, v32, s9
	v_add_nc_u32_e32 v1, s11, v33
	s_mov_b32 s0, exec_lo
	s_delay_alu instid0(VALU_DEP_1)
	v_cmpx_gt_u32_e64 s9, v1
	s_cbranch_execz .LBB220_24
; %bb.23:
	v_bfe_u32 v3, v34, 16, 1
	s_delay_alu instid0(VALU_DEP_4) | instskip(SKIP_1) | instid1(VALU_DEP_3)
	v_add_nc_u32_e32 v2, v0, v1
	v_cmp_o_f32_e32 vcc_lo, v34, v34
	v_add3_u32 v4, v34, v3, 0x7fff
	v_mov_b32_e32 v3, 0
	s_delay_alu instid0(VALU_DEP_2) | instskip(NEXT) | instid1(VALU_DEP_2)
	v_lshrrev_b32_e32 v4, 16, v4
	v_lshlrev_b64_e32 v[2:3], 1, v[2:3]
	s_wait_alu 0xfffd
	s_delay_alu instid0(VALU_DEP_2) | instskip(NEXT) | instid1(VALU_DEP_2)
	v_cndmask_b32_e32 v4, 0x7fc0, v4, vcc_lo
	v_add_co_u32 v2, vcc_lo, s12, v2
	s_wait_alu 0xfffd
	s_delay_alu instid0(VALU_DEP_3)
	v_add_co_ci_u32_e64 v3, null, s13, v3, vcc_lo
	global_store_b16 v[2:3], v4, off
.LBB220_24:
	s_wait_alu 0xfffe
	s_or_b32 exec_lo, exec_lo, s0
	v_add_nc_u32_e32 v2, 32, v1
	s_mov_b32 s0, exec_lo
	s_delay_alu instid0(VALU_DEP_1)
	v_cmpx_gt_u32_e64 s9, v2
	s_cbranch_execz .LBB220_26
; %bb.25:
	v_bfe_u32 v3, v59, 16, 1
	v_add_nc_u32_e32 v2, v0, v2
	v_cmp_o_f32_e32 vcc_lo, v59, v59
	s_delay_alu instid0(VALU_DEP_3) | instskip(SKIP_1) | instid1(VALU_DEP_2)
	v_add3_u32 v4, v59, v3, 0x7fff
	v_mov_b32_e32 v3, 0
	v_lshrrev_b32_e32 v4, 16, v4
	s_delay_alu instid0(VALU_DEP_2) | instskip(SKIP_1) | instid1(VALU_DEP_2)
	v_lshlrev_b64_e32 v[2:3], 1, v[2:3]
	s_wait_alu 0xfffd
	v_cndmask_b32_e32 v4, 0x7fc0, v4, vcc_lo
	s_delay_alu instid0(VALU_DEP_2) | instskip(SKIP_1) | instid1(VALU_DEP_3)
	v_add_co_u32 v2, vcc_lo, s12, v2
	s_wait_alu 0xfffd
	v_add_co_ci_u32_e64 v3, null, s13, v3, vcc_lo
	global_store_b16 v[2:3], v4, off
.LBB220_26:
	s_wait_alu 0xfffe
	s_or_b32 exec_lo, exec_lo, s0
	v_add_nc_u32_e32 v2, 64, v1
	s_mov_b32 s0, exec_lo
	s_delay_alu instid0(VALU_DEP_1)
	v_cmpx_gt_u32_e64 s9, v2
	s_cbranch_execz .LBB220_28
; %bb.27:
	v_bfe_u32 v3, v55, 16, 1
	v_add_nc_u32_e32 v2, v0, v2
	v_cmp_o_f32_e32 vcc_lo, v55, v55
	s_delay_alu instid0(VALU_DEP_3) | instskip(SKIP_1) | instid1(VALU_DEP_2)
	v_add3_u32 v4, v55, v3, 0x7fff
	v_mov_b32_e32 v3, 0
	v_lshrrev_b32_e32 v4, 16, v4
	s_delay_alu instid0(VALU_DEP_2) | instskip(SKIP_1) | instid1(VALU_DEP_2)
	v_lshlrev_b64_e32 v[2:3], 1, v[2:3]
	s_wait_alu 0xfffd
	v_cndmask_b32_e32 v4, 0x7fc0, v4, vcc_lo
	s_delay_alu instid0(VALU_DEP_2) | instskip(SKIP_1) | instid1(VALU_DEP_3)
	v_add_co_u32 v2, vcc_lo, s12, v2
	s_wait_alu 0xfffd
	v_add_co_ci_u32_e64 v3, null, s13, v3, vcc_lo
	global_store_b16 v[2:3], v4, off
.LBB220_28:
	s_wait_alu 0xfffe
	s_or_b32 exec_lo, exec_lo, s0
	v_add_nc_u32_e32 v1, 0x60, v1
	s_delay_alu instid0(VALU_DEP_1)
	v_cmp_gt_u32_e32 vcc_lo, s9, v1
	s_and_b32 exec_lo, exec_lo, vcc_lo
	s_cbranch_execz .LBB220_30
; %bb.29:
	v_bfe_u32 v2, v14, 16, 1
	v_dual_mov_b32 v1, 0 :: v_dual_add_nc_u32 v0, v0, v1
	v_cmp_o_f32_e32 vcc_lo, v14, v14
	s_delay_alu instid0(VALU_DEP_3) | instskip(NEXT) | instid1(VALU_DEP_3)
	v_add3_u32 v2, v14, v2, 0x7fff
	v_lshlrev_b64_e32 v[0:1], 1, v[0:1]
	s_delay_alu instid0(VALU_DEP_2) | instskip(SKIP_1) | instid1(VALU_DEP_1)
	v_lshrrev_b32_e32 v2, 16, v2
	s_wait_alu 0xfffd
	v_cndmask_b32_e32 v2, 0x7fc0, v2, vcc_lo
	s_delay_alu instid0(VALU_DEP_3)
	v_add_co_u32 v0, vcc_lo, s12, v0
	s_wait_alu 0xfffd
	v_add_co_ci_u32_e64 v1, null, s13, v1, vcc_lo
	global_store_b16 v[0:1], v2, off
.LBB220_30:
	s_nop 0
	s_sendmsg sendmsg(MSG_DEALLOC_VGPRS)
	s_endpgm
	.section	.rodata,"a",@progbits
	.p2align	6, 0x0
	.amdhsa_kernel _ZL8moe_q4_1IN3c108BFloat16ELb1EEvPKvS3_PT_PKiS7_S7_iiiiiii
		.amdhsa_group_segment_fixed_size 22272
		.amdhsa_private_segment_fixed_size 0
		.amdhsa_kernarg_size 76
		.amdhsa_user_sgpr_count 2
		.amdhsa_user_sgpr_dispatch_ptr 0
		.amdhsa_user_sgpr_queue_ptr 0
		.amdhsa_user_sgpr_kernarg_segment_ptr 1
		.amdhsa_user_sgpr_dispatch_id 0
		.amdhsa_user_sgpr_private_segment_size 0
		.amdhsa_wavefront_size32 1
		.amdhsa_uses_dynamic_stack 0
		.amdhsa_enable_private_segment 0
		.amdhsa_system_sgpr_workgroup_id_x 1
		.amdhsa_system_sgpr_workgroup_id_y 1
		.amdhsa_system_sgpr_workgroup_id_z 0
		.amdhsa_system_sgpr_workgroup_info 0
		.amdhsa_system_vgpr_workitem_id 1
		.amdhsa_next_free_vgpr 238
		.amdhsa_next_free_sgpr 21
		.amdhsa_reserve_vcc 1
		.amdhsa_float_round_mode_32 0
		.amdhsa_float_round_mode_16_64 0
		.amdhsa_float_denorm_mode_32 3
		.amdhsa_float_denorm_mode_16_64 3
		.amdhsa_fp16_overflow 0
		.amdhsa_workgroup_processor_mode 1
		.amdhsa_memory_ordered 1
		.amdhsa_forward_progress 1
		.amdhsa_inst_pref_size 70
		.amdhsa_round_robin_scheduling 0
		.amdhsa_exception_fp_ieee_invalid_op 0
		.amdhsa_exception_fp_denorm_src 0
		.amdhsa_exception_fp_ieee_div_zero 0
		.amdhsa_exception_fp_ieee_overflow 0
		.amdhsa_exception_fp_ieee_underflow 0
		.amdhsa_exception_fp_ieee_inexact 0
		.amdhsa_exception_int_div_zero 0
	.end_amdhsa_kernel
	.section	.text._ZL8moe_q4_1IN3c108BFloat16ELb1EEvPKvS3_PT_PKiS7_S7_iiiiiii,"axG",@progbits,_ZL8moe_q4_1IN3c108BFloat16ELb1EEvPKvS3_PT_PKiS7_S7_iiiiiii,comdat
.Lfunc_end220:
	.size	_ZL8moe_q4_1IN3c108BFloat16ELb1EEvPKvS3_PT_PKiS7_S7_iiiiiii, .Lfunc_end220-_ZL8moe_q4_1IN3c108BFloat16ELb1EEvPKvS3_PT_PKiS7_S7_iiiiiii
                                        ; -- End function
	.set _ZL8moe_q4_1IN3c108BFloat16ELb1EEvPKvS3_PT_PKiS7_S7_iiiiiii.num_vgpr, 238
	.set _ZL8moe_q4_1IN3c108BFloat16ELb1EEvPKvS3_PT_PKiS7_S7_iiiiiii.num_agpr, 0
	.set _ZL8moe_q4_1IN3c108BFloat16ELb1EEvPKvS3_PT_PKiS7_S7_iiiiiii.numbered_sgpr, 21
	.set _ZL8moe_q4_1IN3c108BFloat16ELb1EEvPKvS3_PT_PKiS7_S7_iiiiiii.num_named_barrier, 0
	.set _ZL8moe_q4_1IN3c108BFloat16ELb1EEvPKvS3_PT_PKiS7_S7_iiiiiii.private_seg_size, 0
	.set _ZL8moe_q4_1IN3c108BFloat16ELb1EEvPKvS3_PT_PKiS7_S7_iiiiiii.uses_vcc, 1
	.set _ZL8moe_q4_1IN3c108BFloat16ELb1EEvPKvS3_PT_PKiS7_S7_iiiiiii.uses_flat_scratch, 0
	.set _ZL8moe_q4_1IN3c108BFloat16ELb1EEvPKvS3_PT_PKiS7_S7_iiiiiii.has_dyn_sized_stack, 0
	.set _ZL8moe_q4_1IN3c108BFloat16ELb1EEvPKvS3_PT_PKiS7_S7_iiiiiii.has_recursion, 0
	.set _ZL8moe_q4_1IN3c108BFloat16ELb1EEvPKvS3_PT_PKiS7_S7_iiiiiii.has_indirect_call, 0
	.section	.AMDGPU.csdata,"",@progbits
; Kernel info:
; codeLenInByte = 8856
; TotalNumSgprs: 23
; NumVgprs: 238
; ScratchSize: 0
; MemoryBound: 0
; FloatMode: 240
; IeeeMode: 1
; LDSByteSize: 22272 bytes/workgroup (compile time only)
; SGPRBlocks: 0
; VGPRBlocks: 29
; NumSGPRsForWavesPerEU: 23
; NumVGPRsForWavesPerEU: 238
; Occupancy: 6
; WaveLimiterHint : 1
; COMPUTE_PGM_RSRC2:SCRATCH_EN: 0
; COMPUTE_PGM_RSRC2:USER_SGPR: 2
; COMPUTE_PGM_RSRC2:TRAP_HANDLER: 0
; COMPUTE_PGM_RSRC2:TGID_X_EN: 1
; COMPUTE_PGM_RSRC2:TGID_Y_EN: 1
; COMPUTE_PGM_RSRC2:TGID_Z_EN: 0
; COMPUTE_PGM_RSRC2:TIDIG_COMP_CNT: 1
	.section	.text._ZL8moe_q5_0IN3c108BFloat16ELb0EEvPKvS3_PT_PKiS7_S7_iiiiiii,"axG",@progbits,_ZL8moe_q5_0IN3c108BFloat16ELb0EEvPKvS3_PT_PKiS7_S7_iiiiiii,comdat
	.globl	_ZL8moe_q5_0IN3c108BFloat16ELb0EEvPKvS3_PT_PKiS7_S7_iiiiiii ; -- Begin function _ZL8moe_q5_0IN3c108BFloat16ELb0EEvPKvS3_PT_PKiS7_S7_iiiiiii
	.p2align	8
	.type	_ZL8moe_q5_0IN3c108BFloat16ELb0EEvPKvS3_PT_PKiS7_S7_iiiiiii,@function
_ZL8moe_q5_0IN3c108BFloat16ELb0EEvPKvS3_PT_PKiS7_S7_iiiiiii: ; @_ZL8moe_q5_0IN3c108BFloat16ELb0EEvPKvS3_PT_PKiS7_S7_iiiiiii
; %bb.0:
	s_load_b128 s[4:7], s[0:1], 0x18
	s_mov_b32 s2, ttmp7
	s_mov_b32 s3, 0
	s_delay_alu instid0(SALU_CYCLE_1)
	s_lshl_b64 s[2:3], s[2:3], 2
	s_wait_kmcnt 0x0
	s_add_nc_u64 s[2:3], s[6:7], s[2:3]
	s_load_b32 s12, s[2:3], 0x0
	s_wait_kmcnt 0x0
	s_cmp_gt_u32 s12, 0xff
	s_cbranch_scc1 .LBB221_30
; %bb.1:
	s_load_b64 s[2:3], s[0:1], 0x28
	s_wait_kmcnt 0x0
	s_load_b32 s3, s[2:3], 0x0
	s_lshl_b32 s2, ttmp7, 3
	s_wait_kmcnt 0x0
	s_cmp_gt_u32 s2, s3
	s_cbranch_scc1 .LBB221_30
; %bb.2:
	v_bfe_u32 v3, v0, 10, 10
	v_mov_b32_e32 v2, 0
	s_lshl_b32 s18, ttmp9, 7
	s_delay_alu instid0(VALU_DEP_2) | instskip(NEXT) | instid1(VALU_DEP_2)
	v_add_nc_u32_e32 v1, s2, v3
	v_dual_mov_b32 v9, v2 :: v_dual_and_b32 v8, 0x3ff, v0
	v_mov_b32_e32 v40, v2
	v_mov_b32_e32 v50, v2
	s_delay_alu instid0(VALU_DEP_4) | instskip(NEXT) | instid1(VALU_DEP_1)
	v_lshlrev_b64_e32 v[4:5], 2, v[1:2]
	v_add_co_u32 v4, vcc_lo, s4, v4
	s_delay_alu instid0(VALU_DEP_1)
	v_add_co_ci_u32_e64 v5, null, s5, v5, vcc_lo
	global_load_b32 v7, v[4:5], off
	s_clause 0x2
	s_load_b64 s[10:11], s[0:1], 0x30
	s_load_b64 s[8:9], s[0:1], 0x10
	s_load_b128 s[4:7], s[0:1], 0x3c
	s_wait_kmcnt 0x0
	s_cmp_lt_i32 s11, 32
	s_cbranch_scc1 .LBB221_21
; %bb.3:
	s_abs_i32 s17, s7
	s_wait_loadcnt 0x0
	v_sub_nc_u32_e32 v4, 0, v7
	s_cvt_f32_u32 s19, s17
	s_sub_co_i32 s20, 0, s17
	s_ashr_i32 s13, s11, 31
	s_mul_i32 s12, s12, s10
	v_rcp_iflag_f32_e32 v6, s19
	v_max_i32_e32 v4, v7, v4
	s_lshr_b32 s13, s13, 27
	v_dual_mov_b32 v9, 0 :: v_dual_lshlrev_b32 v2, 3, v8
	s_add_co_i32 s15, s11, s13
	v_bfe_u32 v13, v0, 3, 7
	s_ashr_i32 s10, s15, 5
	v_and_b32_e32 v12, 7, v0
	v_mul_lo_u32 v11, s10, v3
	s_delay_alu instid0(TRANS32_DEP_1)
	v_readfirstlane_b32 s19, v6
	s_lshl_b32 s16, s10, 3
	v_mad_u32_u24 v17, 0x104, v3, v2
	v_lshl_add_u32 v2, v3, 2, v13
	s_load_b128 s[0:3], s[0:1], 0x0
	s_mul_f32 s19, s19, 0x4f7ffffe
	v_xor_b32_e32 v55, s7, v7
	v_add_nc_u32_e32 v14, s16, v11
	v_add_nc_u32_e32 v45, 32, v2
	s_wait_alu 0xfffe
	s_cvt_u32_f32 s19, s19
	v_add_nc_u32_e32 v50, 64, v2
	v_ashrrev_i32_e32 v56, 31, v55
	s_ashr_i32 s14, s5, 31
	s_wait_alu 0xfffe
	s_mul_i32 s20, s20, s19
	v_and_b32_e32 v47, 0x3ffc, v45
	s_mul_hi_u32 s20, s19, s20
	v_and_b32_e32 v48, 0x3ffc, v50
	s_add_co_i32 s19, s19, s20
	v_lshlrev_b32_e32 v70, 5, v45
	s_wait_alu 0xfffe
	v_mul_hi_u32 v51, v4, s19
	v_lshlrev_b32_e32 v50, 5, v50
	s_lshr_b32 s14, s14, 27
	v_mul_lo_u32 v41, s10, v2
	s_add_co_i32 s5, s5, s14
	s_mul_i32 s14, s10, s18
	v_and_b32_e32 v6, 0x1ffc, v2
	v_lshlrev_b32_e32 v40, 5, v2
	v_mul_lo_u32 v49, v51, s17
	v_add_nc_u32_e32 v52, 1, v51
	v_add_nc_u32_e32 v2, 0x60, v2
	;; [unrolled: 1-line block ×4, first 2 shown]
	s_ashr_i32 s13, s12, 31
	s_and_b32 s21, s15, 0xffffffe0
	s_ashr_i32 s15, s14, 31
	v_sub_nc_u32_e32 v4, v4, v49
	s_wait_alu 0xfffe
	s_ashr_i32 s5, s5, 5
	s_mul_u64 s[14:15], s[14:15], 22
	s_wait_kmcnt 0x0
	s_add_nc_u64 s[0:1], s[0:1], s[12:13]
	v_add_nc_u32_e32 v46, s21, v41
	v_subrev_nc_u32_e32 v53, s17, v4
	v_cmp_le_u32_e32 vcc_lo, s17, v4
	v_lshlrev_b32_e32 v1, 2, v8
	v_add_nc_u32_e32 v15, s16, v14
	s_add_nc_u64 s[12:13], s[0:1], s[14:15]
	v_and_b32_e32 v54, 0x3ffc, v2
	s_wait_alu 0xfffd
	v_cndmask_b32_e32 v52, v51, v52, vcc_lo
	v_cndmask_b32_e32 v4, v4, v53, vcc_lo
	v_add_nc_u32_e32 v18, s16, v15
	v_and_b32_e32 v16, 12, v1
	v_and_b32_e32 v60, 0x1fc, v60
	v_add_nc_u32_e32 v53, 1, v52
	v_cmp_le_u32_e32 vcc_lo, s17, v4
	v_lshlrev_b32_e32 v5, 2, v12
	v_add_nc_u32_e32 v19, s16, v18
	v_and_b32_e32 v59, 0x1fc, v59
	v_and_b32_e32 v62, 0xfc, v0
	s_wait_alu 0xfffd
	v_cndmask_b32_e32 v4, v52, v53, vcc_lo
	v_add3_u32 v71, v47, v5, 0x8200
	v_add3_u32 v72, v48, v5, 0x8200
	v_lshl_add_u32 v53, v3, 4, 0x9680
	v_lshl_add_u32 v52, v3, 7, 0x9280
	v_xor_b32_e32 v4, v4, v56
	v_add_nc_u32_e32 v70, v71, v70
	v_dual_mov_b32 v50, 0 :: v_dual_add_nc_u32 v71, v72, v50
	v_add_nc_u32_e32 v20, s16, v19
	v_and_b32_e32 v3, 28, v1
	v_add_nc_u32_e32 v55, v53, v1
	v_add_nc_u32_e32 v1, 32, v8
	v_sub_nc_u32_e32 v4, v4, v56
	v_add_nc_u32_e32 v25, s16, v20
	v_bfe_u32 v10, v0, 2, 8
	v_add3_u32 v6, v6, v5, 0x8200
	v_and_b32_e32 v61, 0x1fc, v1
	v_cmp_gt_i32_e64 s0, s4, v4
	v_add_nc_u32_e32 v30, s16, v25
	s_wait_alu 0xfffe
	v_mul_lo_u32 v58, v4, s5
	v_lshlrev_b32_e32 v4, 5, v8
	v_add_nc_u32_e32 v48, s21, v46
	v_add3_u32 v5, v54, v5, 0x8200
	v_add_nc_u32_e32 v34, s16, v30
	v_and_b32_e32 v54, 31, v0
	v_lshlrev_b32_e32 v2, 5, v2
	v_add_co_u32 v0, s1, s2, v3
	s_delay_alu instid0(VALU_DEP_4)
	v_add_nc_u32_e32 v38, s16, v34
	v_add_nc_u32_e32 v3, v4, v60
	;; [unrolled: 1-line block ×6, first 2 shown]
	v_cmp_gt_u32_e32 vcc_lo, 4, v8
	v_lshrrev_b32_e32 v57, 3, v1
	v_add_co_ci_u32_e64 v1, null, s3, 0, s1
	s_delay_alu instid0(VALU_DEP_4)
	v_add_nc_u32_e32 v43, s16, v42
	s_movk_i32 s1, 0x80
	v_add_nc_u32_e32 v21, 0x820, v17
	v_add_nc_u32_e32 v22, 0x1040, v17
	;; [unrolled: 1-line block ×20, first 2 shown]
	v_lshl_or_b32 v54, v54, 2, v52
	v_mul_u32_u24_e32 v56, 0x104, v8
	v_ashrrev_i32_e32 v59, 31, v58
	v_add_nc_u32_e32 v60, 0x8e00, v3
	v_add_nc_u32_e32 v61, 0x8a00, v65
	;; [unrolled: 1-line block ×8, first 2 shown]
	s_wait_alu 0xfffe
	v_mad_u32_u24 v68, 0x104, v8, s1
	v_add_nc_u32_e32 v69, v6, v40
	v_add_nc_u32_e32 v72, v5, v2
	v_mov_b32_e32 v40, 0
	v_mov_b32_e32 v2, 0
	s_mov_b32 s15, 0
	s_and_b32 s19, vcc_lo, s0
	s_mov_b32 s14, s15
	s_branch .LBB221_5
.LBB221_4:                              ;   in Loop: Header=BB221_5 Depth=1
	s_add_co_i32 s14, s14, 8
	s_wait_alu 0xfffe
	s_cmp_ge_i32 s14, s10
	s_cbranch_scc1 .LBB221_21
.LBB221_5:                              ; =>This Loop Header: Depth=1
                                        ;     Child Loop BB221_11 Depth 2
                                        ;     Child Loop BB221_19 Depth 2
	s_mul_u64 s[16:17], s[14:15], 22
	s_wait_alu 0xfffe
	s_add_nc_u64 s[16:17], s[12:13], s[16:17]
	s_wait_alu 0xfffe
	v_mad_co_u64_u32 v[3:4], null, v10, 22, s[16:17]
	s_delay_alu instid0(VALU_DEP_1) | instskip(SKIP_3) | instid1(VALU_DEP_4)
	v_mad_co_u64_u32 v[5:6], null, v11, 22, v[3:4]
	v_mad_co_u64_u32 v[73:74], null, v14, 22, v[3:4]
	;; [unrolled: 1-line block ×4, first 2 shown]
	v_add_co_u32 v77, s1, v5, v16
	s_wait_alu 0xf1ff
	v_add_co_ci_u32_e64 v78, null, 0, v6, s1
	v_add_co_u32 v79, s1, v73, v16
	s_wait_alu 0xf1ff
	v_add_co_ci_u32_e64 v80, null, 0, v74, s1
	;; [unrolled: 3-line block ×4, first 2 shown]
	s_clause 0x7
	global_load_b32 v81, v[77:78], off offset:6
	global_load_b32 v79, v[79:80], off offset:6
	;; [unrolled: 1-line block ×8, first 2 shown]
	v_mad_co_u64_u32 v[5:6], null, v19, 22, v[3:4]
	v_mad_co_u64_u32 v[85:86], null, v20, 22, v[3:4]
	;; [unrolled: 1-line block ×4, first 2 shown]
	s_delay_alu instid0(VALU_DEP_4)
	v_add_co_u32 v89, s1, v5, v16
	s_wait_alu 0xf1ff
	v_add_co_ci_u32_e64 v90, null, 0, v6, s1
	v_add_co_u32 v96, s1, v85, v16
	s_wait_alu 0xf1ff
	v_add_co_ci_u32_e64 v97, null, 0, v86, s1
	s_clause 0x5
	global_load_b32 v74, v[94:95], off offset:2
	global_load_b32 v76, v[92:93], off offset:2
	;; [unrolled: 1-line block ×6, first 2 shown]
	v_add_co_u32 v5, s1, v92, v16
	s_wait_alu 0xf1ff
	v_add_co_ci_u32_e64 v6, null, 0, v93, s1
	v_add_co_u32 v85, s1, v94, v16
	s_wait_alu 0xf1ff
	v_add_co_ci_u32_e64 v86, null, 0, v95, s1
	s_clause 0x1
	global_load_b32 v75, v[5:6], off offset:6
	global_load_b32 v73, v[85:86], off offset:6
	v_mad_co_u64_u32 v[94:95], null, v34, 22, v[3:4]
	v_mad_co_u64_u32 v[5:6], null, v12, 22, s[16:17]
	;; [unrolled: 1-line block ×5, first 2 shown]
	v_add_co_u32 v92, s1, v94, v16
	v_mad_co_u64_u32 v[85:86], null, v41, 22, v[5:6]
	s_wait_alu 0xf1ff
	v_add_co_ci_u32_e64 v93, null, 0, v95, s1
	v_add_co_u32 v106, s1, v96, v16
	s_wait_alu 0xf1ff
	v_add_co_ci_u32_e64 v107, null, 0, v97, s1
	v_add_co_u32 v108, s1, v98, v16
	;; [unrolled: 3-line block ×3, first 2 shown]
	s_wait_alu 0xf1ff
	v_add_co_ci_u32_e64 v111, null, 0, v101, s1
	s_clause 0x8
	global_load_u16 v86, v[85:86], off
	global_load_b32 v112, v[92:93], off offset:6
	global_load_b32 v106, v[106:107], off offset:6
	;; [unrolled: 1-line block ×8, first 2 shown]
	v_mad_co_u64_u32 v[102:103], null, v44, 22, v[3:4]
	v_mad_co_u64_u32 v[104:105], null, v45, 22, v[3:4]
	s_lshl_b32 s16, s14, 5
	s_wait_alu 0xfffe
	s_cmp_lt_i32 s16, s11
	s_wait_loadcnt 0x18
	v_and_b32_e32 v95, 0xf0f0f0f, v81
	v_lshrrev_b32_e32 v81, 4, v81
	s_wait_loadcnt 0x17
	v_and_b32_e32 v97, 0xf0f0f0f, v79
	v_lshrrev_b32_e32 v79, 4, v79
	s_wait_loadcnt 0x14
	v_ashrrev_i32_e32 v80, v16, v80
	s_wait_loadcnt 0x13
	v_ashrrev_i32_e32 v82, v16, v82
	;; [unrolled: 2-line block ×4, first 2 shown]
	v_and_b32_e32 v98, 0xf0f0f0f, v77
	v_lshrrev_b32_e32 v77, 4, v77
	v_lshlrev_b32_e32 v122, 4, v82
	v_lshlrev_b32_e32 v115, 4, v83
	;; [unrolled: 1-line block ×6, first 2 shown]
	v_lshrrev_b32_e32 v111, 12, v84
	v_lshrrev_b32_e32 v113, 5, v84
	v_lshlrev_b32_e32 v114, 2, v84
	v_lshlrev_b32_e32 v84, 9, v84
	;; [unrolled: 1-line block ×3, first 2 shown]
	s_wait_loadcnt 0xe
	v_ashrrev_i32_e32 v88, v16, v88
	s_wait_loadcnt 0xd
	v_ashrrev_i32_e32 v91, v16, v91
	v_lshlrev_b32_e32 v117, 18, v83
	v_lshlrev_b32_e32 v118, 25, v83
	v_lshrrev_b32_e32 v119, 12, v83
	v_lshrrev_b32_e32 v120, 5, v83
	v_lshlrev_b32_e32 v121, 2, v83
	v_lshlrev_b32_e32 v83, 9, v83
	;; [unrolled: 1-line block ×5, first 2 shown]
	v_lshrrev_b32_e32 v126, 12, v82
	v_lshrrev_b32_e32 v127, 5, v82
	v_lshlrev_b32_e32 v128, 2, v82
	v_lshlrev_b32_e32 v82, 9, v82
	;; [unrolled: 1-line block ×4, first 2 shown]
	v_and_b32_e32 v99, 0xf0f0f0f, v78
	v_lshrrev_b32_e32 v78, 4, v78
	s_wait_loadcnt 0xb
	v_and_b32_e32 v101, 0xf0f0f0f, v89
	v_lshrrev_b32_e32 v89, 4, v89
	v_and_b32_e32 v81, 0xf0f0f0f, v81
	v_lshlrev_b32_e32 v131, 18, v80
	v_lshlrev_b32_e32 v132, 25, v80
	v_lshrrev_b32_e32 v133, 12, v80
	v_lshrrev_b32_e32 v134, 5, v80
	v_lshlrev_b32_e32 v135, 2, v80
	v_lshlrev_b32_e32 v80, 9, v80
	v_lshlrev_b32_e32 v136, 4, v91
	v_lshlrev_b32_e32 v137, 11, v91
	v_lshlrev_b32_e32 v143, 4, v88
	v_lshlrev_b32_e32 v144, 11, v88
	v_lshlrev_b32_e32 v145, 18, v88
	v_lshlrev_b32_e32 v146, 25, v88
	v_lshrrev_b32_e32 v147, 12, v88
	v_lshrrev_b32_e32 v148, 5, v88
	v_lshlrev_b32_e32 v149, 2, v88
	v_lshlrev_b32_e32 v88, 9, v88
	v_and_b32_e32 v107, 16, v107
	v_and_b32_e32 v108, 0x1000, v108
	;; [unrolled: 1-line block ×37, first 2 shown]
	v_or3_b32 v107, v107, v95, v108
	v_or3_b32 v95, v95, v109, v110
	;; [unrolled: 1-line block ×5, first 2 shown]
	v_and_b32_e32 v117, 0x100000, v117
	v_and_b32_e32 v118, 0x10000000, v118
	v_or3_b32 v109, v119, v79, v120
	v_or3_b32 v79, v79, v121, v83
	;; [unrolled: 1-line block ×6, first 2 shown]
	v_lshlrev_b32_e32 v138, 18, v91
	v_lshlrev_b32_e32 v139, 25, v91
	v_and_b32_e32 v124, 0x100000, v124
	v_and_b32_e32 v125, 0x10000000, v125
	v_or3_b32 v111, v133, v78, v134
	v_or3_b32 v78, v78, v135, v80
	;; [unrolled: 1-line block ×5, first 2 shown]
	v_lshrrev_b32_e32 v89, 16, v95
	v_and_b32_e32 v95, 0x1f00, v107
	v_lshlrev_b16 v107, 8, v107
	v_and_b32_e32 v115, 0x1f00, v108
	v_lshlrev_b16 v108, 8, v108
	v_and_b32_e32 v116, 0x1f00, v84
	v_lshlrev_b16 v84, 8, v84
	v_or3_b32 v97, v97, v117, v118
	v_and_b32_e32 v118, 0x1f00, v83
	v_lshlrev_b16 v83, 8, v83
	v_and_b32_e32 v131, 0x100000, v131
	v_and_b32_e32 v132, 0x10000000, v132
	;; [unrolled: 1-line block ×3, first 2 shown]
	v_lshlrev_b16 v82, 8, v82
	v_and_b32_e32 v138, 0x100000, v138
	v_and_b32_e32 v139, 0x10000000, v139
	v_or3_b32 v98, v98, v124, v125
	v_and_b32_e32 v122, 0x1f00, v80
	v_lshlrev_b16 v80, 8, v80
	v_lshrrev_b32_e32 v125, 16, v88
	v_and_b32_e32 v88, 0x1f00, v114
	v_add_nc_u16 v95, 0xf000, v95
	v_add_nc_u16 v107, 0xf000, v107
	v_and_b32_e32 v126, 0x1f00, v89
	v_lshlrev_b16 v89, 8, v89
	v_add_nc_u16 v108, 0xf000, v108
	v_add_nc_u16 v84, 0xf000, v84
	;; [unrolled: 1-line block ×3, first 2 shown]
	v_or3_b32 v99, v99, v131, v132
	v_add_nc_u16 v82, 0xf000, v82
	v_or3_b32 v100, v100, v138, v139
	v_lshrrev_b32_e32 v81, 16, v81
	v_add_nc_u16 v80, 0xf000, v80
	v_add_nc_u16 v137, 0xf000, v88
	v_perm_b32 v88, v107, v95, 0xc0c0105
	v_add_nc_u16 v95, 0xf000, v126
	v_add_nc_u16 v89, 0xf000, v89
	v_lshrrev_b16 v108, 8, v108
	v_lshrrev_b32_e32 v97, 16, v97
	v_lshrrev_b32_e32 v79, 16, v79
	v_and_b32_e32 v117, 0x1f00, v109
	v_lshlrev_b16 v109, 8, v109
	v_lshrrev_b16 v84, 8, v84
	v_lshrrev_b32_e32 v98, 16, v98
	v_lshrrev_b32_e32 v77, 16, v77
	v_and_b32_e32 v119, 0x1f00, v110
	v_lshlrev_b16 v110, 8, v110
	;; [unrolled: 5-line block ×3, first 2 shown]
	v_lshrrev_b16 v82, 8, v82
	v_lshrrev_b32_e32 v100, 16, v100
	v_and_b32_e32 v127, 0x1f00, v81
	v_lshlrev_b16 v81, 8, v81
	v_lshrrev_b16 v80, 8, v80
	v_perm_b32 v89, v89, v95, 0xc0c0105
	v_or_b32_e32 v95, v115, v108
	v_and_b32_e32 v128, 0x1f00, v97
	v_lshlrev_b16 v97, 8, v97
	v_add_nc_u16 v117, 0xf000, v117
	v_add_nc_u16 v109, 0xf000, v109
	v_and_b32_e32 v129, 0x1f00, v79
	v_lshlrev_b16 v79, 8, v79
	v_or_b32_e32 v84, v116, v84
	v_and_b32_e32 v130, 0x1f00, v98
	v_lshlrev_b16 v98, 8, v98
	v_add_nc_u16 v119, 0xf000, v119
	v_add_nc_u16 v110, 0xf000, v110
	v_and_b32_e32 v131, 0x1f00, v77
	v_lshlrev_b16 v77, 8, v77
	;; [unrolled: 7-line block ×3, first 2 shown]
	v_or_b32_e32 v82, v120, v82
	v_and_b32_e32 v134, 0x1f00, v100
	v_lshlrev_b16 v100, 8, v100
	v_add_nc_u16 v107, 0xf000, v127
	v_add_nc_u16 v81, 0xf000, v81
	v_or_b32_e32 v80, v122, v80
	v_lshl_or_b32 v88, v89, 16, v88
	v_add_nc_u16 v89, 0xf000, v95
	v_add_nc_u16 v126, 0xf000, v128
	v_add_nc_u16 v97, 0xf000, v97
	v_perm_b32 v109, v109, v117, 0xc0c0105
	v_add_nc_u16 v117, 0xf000, v129
	v_add_nc_u16 v79, 0xf000, v79
	v_add_nc_u16 v84, 0xf000, v84
	v_add_nc_u16 v127, 0xf000, v130
	v_add_nc_u16 v98, 0xf000, v98
	v_perm_b32 v110, v110, v119, 0xc0c0105
	v_add_nc_u16 v119, 0xf000, v131
	v_add_nc_u16 v77, 0xf000, v77
	v_add_nc_u16 v83, 0xf000, v83
	v_add_nc_u16 v128, 0xf000, v132
	v_add_nc_u16 v99, 0xf000, v99
	v_perm_b32 v111, v111, v121, 0xc0c0105
	v_add_nc_u16 v121, 0xf000, v133
	v_add_nc_u16 v78, 0xf000, v78
	v_add_nc_u16 v82, 0xf000, v82
	v_lshrrev_b32_e32 v90, 4, v90
	v_lshrrev_b32_e32 v140, 12, v91
	v_lshrrev_b32_e32 v141, 5, v91
	v_lshlrev_b32_e32 v142, 2, v91
	v_lshlrev_b32_e32 v91, 9, v91
	v_add_nc_u16 v129, 0xf000, v134
	v_add_nc_u16 v100, 0xf000, v100
	v_perm_b32 v81, v81, v107, 0xc0c0105
	v_add_nc_u16 v80, 0xf000, v80
	v_and_b32_e32 v89, 0xffff, v89
	v_perm_b32 v97, v97, v126, 0xc0c0105
	v_perm_b32 v79, v79, v117, 0xc0c0105
	v_and_b32_e32 v84, 0xffff, v84
	v_perm_b32 v98, v98, v127, 0xc0c0105
	v_perm_b32 v77, v77, v119, 0xc0c0105
	;; [unrolled: 3-line block ×3, first 2 shown]
	v_and_b32_e32 v82, 0xffff, v82
	v_and_b32_e32 v90, 0xf0f0f0f, v90
	;; [unrolled: 1-line block ×8, first 2 shown]
	v_perm_b32 v100, v100, v129, 0xc0c0105
	v_and_b32_e32 v80, 0xffff, v80
	v_lshl_or_b32 v81, v81, 16, v89
	v_lshl_or_b32 v79, v79, 16, v109
	;; [unrolled: 1-line block ×7, first 2 shown]
	v_or3_b32 v113, v140, v90, v141
	v_or3_b32 v90, v90, v142, v91
	;; [unrolled: 1-line block ×3, first 2 shown]
	v_lshl_or_b32 v95, v100, 16, v80
	ds_store_2addr_b32 v17, v88, v81 offset1:1
	ds_store_2addr_b32 v21, v84, v79 offset1:1
	;; [unrolled: 1-line block ×4, first 2 shown]
	v_mad_co_u64_u32 v[79:80], null, v47, 22, v[3:4]
	v_mad_co_u64_u32 v[3:4], null, v49, 22, v[3:4]
	v_add_co_u32 v77, s1, v102, v16
	v_and_b32_e32 v145, 0x100000, v145
	v_and_b32_e32 v146, 0x10000000, v146
	;; [unrolled: 1-line block ×3, first 2 shown]
	v_lshlrev_b16 v91, 8, v91
	s_wait_alu 0xf1ff
	v_add_co_ci_u32_e64 v78, null, 0, v103, s1
	v_add_co_u32 v81, s1, v104, v16
	s_wait_alu 0xf1ff
	v_add_co_ci_u32_e64 v82, null, 0, v105, s1
	v_add_co_u32 v83, s1, v79, v16
	v_or3_b32 v101, v101, v145, v146
	v_add_nc_u16 v91, 0xf000, v91
	s_wait_alu 0xf1ff
	v_add_co_ci_u32_e64 v84, null, 0, v80, s1
	v_add_co_u32 v88, s1, v3, v16
	v_ashrrev_i32_e32 v76, v16, v76
	s_wait_alu 0xf1ff
	v_add_co_ci_u32_e64 v89, null, 0, v4, s1
	s_clause 0x7
	global_load_b32 v77, v[77:78], off offset:6
	global_load_b32 v78, v[81:82], off offset:6
	;; [unrolled: 1-line block ×8, first 2 shown]
	v_lshrrev_b32_e32 v101, 16, v101
	v_lshrrev_b16 v91, 8, v91
	v_and_b32_e32 v3, 0x1f00, v125
	v_lshlrev_b16 v4, 8, v125
	v_lshlrev_b32_e32 v89, 4, v76
	v_lshlrev_b32_e32 v97, 11, v76
	v_and_b32_e32 v136, 0x1f00, v101
	v_lshlrev_b16 v101, 8, v101
	v_or_b32_e32 v91, v124, v91
	v_add_nc_u16 v3, 0xf000, v3
	v_add_nc_u16 v4, 0xf000, v4
	s_wait_loadcnt 0x12
	v_and_b32_e32 v98, 0xf0f0f0f, v75
	v_and_b32_e32 v89, 16, v89
	;; [unrolled: 1-line block ×3, first 2 shown]
	v_add_nc_u16 v130, 0xf000, v136
	v_add_nc_u16 v101, 0xf000, v101
	;; [unrolled: 1-line block ×3, first 2 shown]
	v_perm_b32 v3, v4, v3, 0xc0c0105
	v_or3_b32 v4, v89, v98, v97
	v_lshlrev_b32_e32 v89, 18, v76
	v_lshlrev_b32_e32 v97, 25, v76
	v_lshrrev_b32_e32 v75, 4, v75
	v_lshrrev_b32_e32 v99, 12, v76
	;; [unrolled: 1-line block ×3, first 2 shown]
	v_perm_b32 v101, v101, v130, 0xc0c0105
	v_and_b32_e32 v91, 0xffff, v91
	v_and_b32_e32 v89, 0x100000, v89
	;; [unrolled: 1-line block ×6, first 2 shown]
	v_lshl_or_b32 v91, v101, 16, v91
	v_lshlrev_b32_e32 v101, 2, v76
	v_lshlrev_b32_e32 v76, 9, v76
	v_or3_b32 v89, v98, v89, v97
	v_or3_b32 v98, v99, v75, v100
	v_lshlrev_b16 v114, 8, v114
	v_and_b32_e32 v99, 0x100000, v101
	v_and_b32_e32 v76, 0x10000000, v76
	v_lshrrev_b32_e32 v89, 16, v89
	v_lshlrev_b16 v100, 8, v98
	v_and_b32_e32 v97, 0x1f00, v4
	v_lshlrev_b16 v4, 8, v4
	v_or3_b32 v75, v75, v99, v76
	v_and_b32_e32 v76, 0x1f00, v89
	v_lshlrev_b16 v89, 8, v89
	v_add_nc_u16 v99, 0xf000, v100
	v_add_nc_u16 v88, 0xf000, v114
	;; [unrolled: 1-line block ×4, first 2 shown]
	v_lshrrev_b32_e32 v75, 16, v75
	v_add_nc_u16 v76, 0xf000, v76
	v_add_nc_u16 v89, 0xf000, v89
	v_and_b32_e32 v98, 0x1f00, v98
	v_lshrrev_b16 v99, 8, v99
	v_perm_b32 v88, v88, v137, 0xc0c0105
	v_and_b32_e32 v100, 0x1f00, v75
	v_lshlrev_b16 v75, 8, v75
	v_perm_b32 v4, v4, v97, 0xc0c0105
	v_perm_b32 v76, v89, v76, 0xc0c0105
	v_or_b32_e32 v89, v98, v99
	v_ashrrev_i32_e32 v74, v16, v74
	v_add_nc_u16 v97, 0xf000, v100
	v_add_nc_u16 v75, 0xf000, v75
	v_lshl_or_b32 v3, v3, 16, v88
	v_add_nc_u16 v88, 0xf000, v89
	v_lshl_or_b32 v4, v76, 16, v4
	v_lshlrev_b32_e32 v76, 4, v74
	v_lshlrev_b32_e32 v89, 11, v74
	v_perm_b32 v75, v75, v97, 0xc0c0105
	v_lshlrev_b32_e32 v97, 18, v74
	s_wait_loadcnt 0x11
	v_and_b32_e32 v98, 0xf0f0f0f, v73
	v_and_b32_e32 v76, 16, v76
	;; [unrolled: 1-line block ×3, first 2 shown]
	v_lshlrev_b32_e32 v99, 25, v74
	v_lshrrev_b32_e32 v73, 4, v73
	v_lshrrev_b32_e32 v100, 12, v74
	;; [unrolled: 1-line block ×3, first 2 shown]
	v_and_b32_e32 v97, 0x100000, v97
	v_and_b32_e32 v99, 0x10000000, v99
	v_or3_b32 v76, v76, v98, v89
	v_and_b32_e32 v73, 0xf0f0f0f, v73
	v_and_b32_e32 v89, 16, v100
	;; [unrolled: 1-line block ×3, first 2 shown]
	v_or3_b32 v97, v98, v97, v99
	v_lshlrev_b32_e32 v98, 2, v74
	v_lshlrev_b32_e32 v74, 9, v74
	v_and_b32_e32 v88, 0xffff, v88
	v_or3_b32 v89, v89, v73, v100
	v_lshrrev_b32_e32 v90, 16, v90
	v_and_b32_e32 v98, 0x100000, v98
	v_and_b32_e32 v74, 0x10000000, v74
	;; [unrolled: 1-line block ×3, first 2 shown]
	v_lshlrev_b16 v100, 8, v89
	v_lshlrev_b16 v113, 8, v113
	v_lshrrev_b32_e32 v97, 16, v97
	v_or3_b32 v73, v73, v98, v74
	v_lshl_or_b32 v74, v75, 16, v88
	v_add_nc_u16 v75, 0xf000, v100
	v_and_b32_e32 v89, 0x1f00, v89
	v_add_nc_u16 v123, 0xf000, v123
	v_lshrrev_b32_e32 v73, 16, v73
	v_add_nc_u16 v113, 0xf000, v113
	v_lshrrev_b16 v75, 8, v75
	v_and_b32_e32 v135, 0x1f00, v90
	v_lshlrev_b16 v90, 8, v90
	v_and_b32_e32 v88, 0x1f00, v97
	v_lshlrev_b16 v97, 8, v97
	;; [unrolled: 2-line block ×4, first 2 shown]
	v_or_b32_e32 v75, v89, v75
	v_perm_b32 v113, v113, v123, 0xc0c0105
	v_add_nc_u16 v123, 0xf000, v135
	v_add_nc_u16 v90, 0xf000, v90
	v_add_nc_u16 v88, 0xf000, v88
	v_add_nc_u16 v89, 0xf000, v97
	s_wait_loadcnt 0x8
	v_ashrrev_i32_e32 v94, v16, v94
	v_add_nc_u16 v99, 0xf000, v99
	v_add_nc_u16 v76, 0xf000, v76
	;; [unrolled: 1-line block ×5, first 2 shown]
	v_perm_b32 v90, v90, v123, 0xc0c0105
	v_perm_b32 v88, v89, v88, 0xc0c0105
	v_lshlrev_b32_e32 v89, 4, v94
	v_lshlrev_b32_e32 v98, 11, v94
	v_perm_b32 v76, v76, v99, 0xc0c0105
	v_perm_b32 v73, v73, v97, 0xc0c0105
	v_and_b32_e32 v75, 0xffff, v75
	v_lshl_or_b32 v90, v90, 16, v113
	v_and_b32_e32 v97, 0xf0f0f0f, v112
	v_and_b32_e32 v89, 16, v89
	;; [unrolled: 1-line block ×3, first 2 shown]
	v_lshlrev_b32_e32 v99, 18, v94
	v_lshlrev_b32_e32 v100, 25, v94
	v_lshl_or_b32 v76, v88, 16, v76
	v_lshl_or_b32 v73, v73, 16, v75
	v_or3_b32 v75, v89, v97, v98
	v_and_b32_e32 v88, 0x100000, v99
	v_and_b32_e32 v89, 0x10000000, v100
	ds_store_2addr_b32 v24, v95, v90 offset1:1
	ds_store_2addr_b32 v26, v91, v3 offset1:1
	;; [unrolled: 1-line block ×4, first 2 shown]
	v_lshrrev_b32_e32 v73, 4, v112
	v_lshrrev_b32_e32 v74, 12, v94
	;; [unrolled: 1-line block ×3, first 2 shown]
	v_or3_b32 v3, v97, v88, v89
	v_lshlrev_b32_e32 v88, 2, v94
	v_lshlrev_b32_e32 v89, 9, v94
	v_and_b32_e32 v73, 0xf0f0f0f, v73
	v_and_b32_e32 v74, 16, v74
	;; [unrolled: 1-line block ×6, first 2 shown]
	v_lshlrev_b16 v75, 8, v75
	v_lshrrev_b32_e32 v3, 16, v3
	v_or3_b32 v74, v74, v73, v76
	v_add_nc_u16 v4, 0xf000, v4
	v_or3_b32 v73, v73, v88, v89
	v_add_nc_u16 v75, 0xf000, v75
	v_and_b32_e32 v76, 0x1f00, v3
	v_lshlrev_b16 v88, 8, v74
	v_lshlrev_b16 v3, 8, v3
	v_lshrrev_b32_e32 v73, 16, v73
	v_perm_b32 v4, v75, v4, 0xc0c0105
	v_add_nc_u16 v75, 0xf000, v76
	v_add_nc_u16 v76, 0xf000, v88
	;; [unrolled: 1-line block ×3, first 2 shown]
	v_and_b32_e32 v88, 0x1f00, v73
	v_ashrrev_i32_e32 v89, v16, v96
	v_and_b32_e32 v74, 0x1f00, v74
	v_lshrrev_b16 v76, 8, v76
	v_perm_b32 v3, v3, v75, 0xc0c0105
	v_add_nc_u16 v75, 0xf000, v88
	v_lshlrev_b32_e32 v88, 4, v89
	v_lshlrev_b16 v73, 8, v73
	v_or_b32_e32 v74, v74, v76
	v_lshlrev_b32_e32 v76, 11, v89
	v_and_b32_e32 v90, 0xf0f0f0f, v106
	v_and_b32_e32 v88, 16, v88
	v_lshlrev_b32_e32 v91, 18, v89
	v_lshlrev_b32_e32 v94, 25, v89
	v_and_b32_e32 v76, 0x1000, v76
	v_add_nc_u16 v73, 0xf000, v73
	v_add_nc_u16 v74, 0xf000, v74
	v_and_b32_e32 v91, 0x100000, v91
	v_and_b32_e32 v94, 0x10000000, v94
	v_or3_b32 v76, v88, v90, v76
	v_lshl_or_b32 v88, v3, 16, v4
	v_perm_b32 v75, v73, v75, 0xc0c0105
	v_and_b32_e32 v95, 0xffff, v74
	v_or3_b32 v3, v90, v91, v94
	v_and_b32_e32 v4, 0x1f00, v76
	v_lshlrev_b16 v73, 8, v76
	v_lshrrev_b32_e32 v74, 4, v106
	v_lshlrev_b32_e32 v76, 2, v89
	v_lshlrev_b32_e32 v90, 9, v89
	v_lshrrev_b32_e32 v91, 12, v89
	v_lshrrev_b32_e32 v89, 5, v89
	v_and_b32_e32 v74, 0xf0f0f0f, v74
	v_and_b32_e32 v76, 0x100000, v76
	;; [unrolled: 1-line block ×5, first 2 shown]
	v_lshrrev_b32_e32 v3, 16, v3
	v_add_nc_u16 v4, 0xf000, v4
	v_add_nc_u16 v73, 0xf000, v73
	v_or3_b32 v76, v74, v76, v90
	v_or3_b32 v89, v91, v74, v89
	v_and_b32_e32 v74, 0x1f00, v3
	v_lshlrev_b16 v3, 8, v3
	v_perm_b32 v90, v73, v4, 0xc0c0105
	v_lshrrev_b32_e32 v76, 16, v76
	v_lshlrev_b16 v4, 8, v89
	v_add_nc_u16 v91, 0xf000, v74
	v_add_nc_u16 v94, 0xf000, v3
	v_mad_co_u64_u32 v[73:74], null, v48, 22, v[5:6]
	s_delay_alu instid0(VALU_DEP_4)
	v_add_nc_u16 v97, 0xf000, v4
	v_mad_co_u64_u32 v[3:4], null, v46, 22, v[5:6]
	v_mad_co_u64_u32 v[5:6], null, v51, 22, v[5:6]
	v_and_b32_e32 v96, 0x1f00, v76
	v_lshlrev_b16 v76, 8, v76
	v_and_b32_e32 v89, 0x1f00, v89
	v_lshrrev_b16 v97, 8, v97
	s_clause 0x2
	global_load_u16 v3, v[3:4], off
	global_load_u16 v73, v[73:74], off
	;; [unrolled: 1-line block ×3, first 2 shown]
	v_add_nc_u16 v96, 0xf000, v96
	v_add_nc_u16 v76, 0xf000, v76
	v_ashrrev_i32_e32 v4, v16, v93
	v_perm_b32 v74, v94, v91, 0xc0c0105
	v_and_b32_e32 v93, 0xf0f0f0f, v92
	v_lshrrev_b32_e32 v92, 4, v92
	v_perm_b32 v76, v76, v96, 0xc0c0105
	v_lshrrev_b32_e32 v94, 12, v4
	v_lshrrev_b32_e32 v96, 5, v4
	v_or_b32_e32 v6, v89, v97
	v_lshlrev_b32_e32 v89, 4, v4
	v_lshlrev_b32_e32 v91, 11, v4
	v_and_b32_e32 v92, 0xf0f0f0f, v92
	v_and_b32_e32 v94, 16, v94
	;; [unrolled: 1-line block ×5, first 2 shown]
	v_lshlrev_b32_e32 v97, 18, v4
	v_lshlrev_b32_e32 v98, 25, v4
	;; [unrolled: 1-line block ×4, first 2 shown]
	v_or3_b32 v94, v94, v92, v96
	v_and_b32_e32 v97, 0x100000, v97
	v_and_b32_e32 v98, 0x10000000, v98
	v_or3_b32 v89, v89, v93, v91
	v_and_b32_e32 v91, 0x100000, v99
	v_and_b32_e32 v4, 0x10000000, v4
	v_lshlrev_b16 v96, 8, v94
	v_or3_b32 v93, v93, v97, v98
	v_and_b32_e32 v97, 0x1f00, v89
	v_and_b32_e32 v94, 0x1f00, v94
	v_or3_b32 v4, v92, v91, v4
	v_add_nc_u16 v92, 0xf000, v96
	v_lshrrev_b32_e32 v91, 16, v93
	v_lshlrev_b16 v89, 8, v89
	v_add_nc_u16 v93, 0xf000, v97
	v_lshrrev_b32_e32 v4, 16, v4
	v_lshrrev_b16 v92, 8, v92
	v_and_b32_e32 v96, 0x1f00, v91
	v_lshlrev_b16 v91, 8, v91
	v_add_nc_u16 v6, 0xf000, v6
	v_and_b32_e32 v97, 0x1f00, v4
	v_lshlrev_b16 v4, 8, v4
	v_or_b32_e32 v92, v94, v92
	v_add_nc_u16 v89, 0xf000, v89
	v_add_nc_u16 v94, 0xf000, v96
	;; [unrolled: 1-line block ×6, first 2 shown]
	v_and_b32_e32 v6, 0xffff, v6
	v_perm_b32 v89, v89, v93, 0xc0c0105
	v_perm_b32 v91, v91, v94, 0xc0c0105
	;; [unrolled: 1-line block ×3, first 2 shown]
	v_and_b32_e32 v92, 0xffff, v92
	v_lshl_or_b32 v75, v75, 16, v95
	v_ashrrev_i32_e32 v87, v16, v87
	v_lshl_or_b32 v74, v74, 16, v90
	v_lshl_or_b32 v6, v76, 16, v6
	;; [unrolled: 1-line block ×4, first 2 shown]
	ds_store_2addr_b32 v29, v88, v75 offset1:1
	ds_store_2addr_b32 v31, v74, v6 offset1:1
	;; [unrolled: 1-line block ×3, first 2 shown]
	v_lshlrev_b32_e32 v4, 4, v87
	v_lshlrev_b32_e32 v6, 11, v87
	;; [unrolled: 1-line block ×4, first 2 shown]
	v_and_b32_e32 v76, 0xf0f0f0f, v85
	v_and_b32_e32 v4, 16, v4
	v_and_b32_e32 v6, 0x1000, v6
	v_and_b32_e32 v74, 0x100000, v74
	v_and_b32_e32 v75, 0x10000000, v75
	v_lshrrev_b32_e32 v85, 4, v85
	v_lshrrev_b32_e32 v88, 12, v87
	;; [unrolled: 1-line block ×3, first 2 shown]
	v_or3_b32 v4, v4, v76, v6
	v_or3_b32 v6, v76, v74, v75
	v_and_b32_e32 v74, 0xf0f0f0f, v85
	v_and_b32_e32 v75, 16, v88
	;; [unrolled: 1-line block ×4, first 2 shown]
	v_lshlrev_b32_e32 v88, 2, v87
	v_lshlrev_b32_e32 v87, 9, v87
	v_lshrrev_b32_e32 v6, 16, v6
	v_or3_b32 v75, v75, v74, v76
	v_add_nc_u16 v76, 0xf000, v85
	v_and_b32_e32 v85, 0x100000, v88
	v_and_b32_e32 v87, 0x10000000, v87
	v_lshlrev_b16 v4, 8, v4
	v_lshlrev_b16 v88, 8, v75
	v_and_b32_e32 v89, 0x1f00, v6
	v_lshlrev_b16 v6, 8, v6
	v_or3_b32 v74, v74, v85, v87
	v_add_nc_u16 v4, 0xf000, v4
	v_add_nc_u16 v85, 0xf000, v88
	;; [unrolled: 1-line block ×4, first 2 shown]
	v_lshrrev_b32_e32 v74, 16, v74
	v_and_b32_e32 v75, 0x1f00, v75
	v_lshrrev_b16 v85, 8, v85
	v_perm_b32 v4, v4, v76, 0xc0c0105
	v_perm_b32 v6, v6, v87, 0xc0c0105
	v_and_b32_e32 v76, 0x1f00, v74
	s_wait_loadcnt 0x3
	v_ashrrev_i32_e32 v84, v16, v84
	v_lshlrev_b16 v74, 8, v74
	v_or_b32_e32 v75, v75, v85
	v_lshl_or_b32 v4, v6, 16, v4
	v_add_nc_u16 v6, 0xf000, v76
	v_lshlrev_b32_e32 v76, 18, v84
	v_lshlrev_b32_e32 v85, 25, v84
	v_add_nc_u16 v74, 0xf000, v74
	v_add_nc_u16 v75, 0xf000, v75
	v_and_b32_e32 v87, 0xf0f0f0f, v77
	v_lshlrev_b32_e32 v88, 4, v84
	v_lshlrev_b32_e32 v89, 11, v84
	v_and_b32_e32 v76, 0x100000, v76
	v_and_b32_e32 v85, 0x10000000, v85
	v_perm_b32 v6, v74, v6, 0xc0c0105
	v_and_b32_e32 v74, 0xffff, v75
	v_and_b32_e32 v75, 16, v88
	;; [unrolled: 1-line block ×3, first 2 shown]
	v_or3_b32 v76, v87, v76, v85
	v_lshrrev_b32_e32 v77, 4, v77
	v_lshrrev_b32_e32 v85, 12, v84
	;; [unrolled: 1-line block ×3, first 2 shown]
	v_or3_b32 v75, v75, v87, v88
	v_lshlrev_b32_e32 v88, 2, v84
	v_and_b32_e32 v77, 0xf0f0f0f, v77
	v_and_b32_e32 v85, 16, v85
	;; [unrolled: 1-line block ×3, first 2 shown]
	v_lshlrev_b32_e32 v84, 9, v84
	v_and_b32_e32 v89, 0x1f00, v75
	v_lshrrev_b32_e32 v76, 16, v76
	v_lshl_or_b32 v6, v6, 16, v74
	v_or3_b32 v85, v85, v77, v87
	v_and_b32_e32 v87, 0x100000, v88
	v_and_b32_e32 v84, 0x10000000, v84
	v_add_nc_u16 v88, 0xf000, v89
	v_lshlrev_b16 v75, 8, v75
	v_lshlrev_b16 v89, 8, v85
	v_and_b32_e32 v85, 0x1f00, v85
	v_or3_b32 v74, v77, v87, v84
	v_and_b32_e32 v77, 0x1f00, v76
	v_lshlrev_b16 v76, 8, v76
	v_add_nc_u16 v84, 0xf000, v89
	v_ashrrev_i32_e32 v80, v16, v80
	v_lshrrev_b32_e32 v74, 16, v74
	v_add_nc_u16 v77, 0xf000, v77
	v_add_nc_u16 v76, 0xf000, v76
	v_lshrrev_b16 v84, 8, v84
	v_add_nc_u16 v75, 0xf000, v75
	v_and_b32_e32 v87, 0x1f00, v74
	v_lshlrev_b16 v74, 8, v74
	v_perm_b32 v76, v76, v77, 0xc0c0105
	v_or_b32_e32 v84, v85, v84
	v_lshlrev_b32_e32 v85, 4, v80
	v_add_nc_u16 v77, 0xf000, v87
	v_add_nc_u16 v74, 0xf000, v74
	v_lshlrev_b32_e32 v87, 11, v80
	v_add_nc_u16 v84, 0xf000, v84
	v_lshlrev_b32_e32 v89, 18, v80
	v_lshlrev_b32_e32 v90, 25, v80
	v_perm_b32 v75, v75, v88, 0xc0c0105
	v_and_b32_e32 v88, 0xf0f0f0f, v78
	v_and_b32_e32 v85, 16, v85
	v_and_b32_e32 v87, 0x1000, v87
	v_perm_b32 v74, v74, v77, 0xc0c0105
	v_and_b32_e32 v77, 0xffff, v84
	v_and_b32_e32 v84, 0x100000, v89
	;; [unrolled: 1-line block ×3, first 2 shown]
	v_or3_b32 v85, v85, v88, v87
	v_lshl_or_b32 v75, v76, 16, v75
	v_lshl_or_b32 v74, v74, 16, v77
	v_lshrrev_b32_e32 v76, 4, v78
	v_or3_b32 v77, v88, v84, v89
	v_lshlrev_b32_e32 v84, 2, v80
	v_lshlrev_b32_e32 v87, 9, v80
	v_lshrrev_b32_e32 v88, 12, v80
	v_lshrrev_b32_e32 v80, 5, v80
	v_and_b32_e32 v76, 0xf0f0f0f, v76
	v_and_b32_e32 v84, 0x100000, v84
	v_and_b32_e32 v87, 0x10000000, v87
	v_lshrrev_b32_e32 v77, 16, v77
	v_and_b32_e32 v88, 16, v88
	v_and_b32_e32 v80, 0x1000, v80
	;; [unrolled: 1-line block ×3, first 2 shown]
	v_or3_b32 v84, v76, v84, v87
	v_lshlrev_b16 v85, 8, v85
	v_and_b32_e32 v87, 0x1f00, v77
	v_or3_b32 v76, v88, v76, v80
	v_add_nc_u16 v78, 0xf000, v78
	v_lshlrev_b16 v77, 8, v77
	v_lshrrev_b32_e32 v80, 16, v84
	v_add_nc_u16 v84, 0xf000, v85
	v_add_nc_u16 v85, 0xf000, v87
	v_lshlrev_b16 v87, 8, v76
	v_add_nc_u16 v77, 0xf000, v77
	v_and_b32_e32 v88, 0x1f00, v80
	v_perm_b32 v78, v84, v78, 0xc0c0105
	v_ashrrev_i32_e32 v79, v16, v79
	v_add_nc_u16 v84, 0xf000, v87
	v_perm_b32 v77, v77, v85, 0xc0c0105
	v_add_nc_u16 v85, 0xf000, v88
	v_lshlrev_b16 v80, 8, v80
	v_lshlrev_b32_e32 v87, 4, v79
	v_and_b32_e32 v76, 0x1f00, v76
	v_lshrrev_b16 v84, 8, v84
	v_lshlrev_b32_e32 v88, 11, v79
	v_lshlrev_b32_e32 v90, 18, v79
	;; [unrolled: 1-line block ×3, first 2 shown]
	v_and_b32_e32 v89, 0xf0f0f0f, v81
	v_and_b32_e32 v87, 16, v87
	;; [unrolled: 1-line block ×3, first 2 shown]
	v_add_nc_u16 v80, 0xf000, v80
	v_or_b32_e32 v76, v76, v84
	v_and_b32_e32 v84, 0x100000, v90
	v_and_b32_e32 v90, 0x10000000, v91
	v_or3_b32 v87, v87, v89, v88
	v_lshl_or_b32 v77, v77, 16, v78
	v_perm_b32 v78, v80, v85, 0xc0c0105
	v_lshrrev_b32_e32 v81, 4, v81
	v_or3_b32 v80, v89, v84, v90
	v_lshrrev_b32_e32 v85, 12, v79
	v_lshrrev_b32_e32 v88, 5, v79
	v_lshlrev_b32_e32 v89, 2, v79
	v_lshlrev_b32_e32 v79, 9, v79
	v_and_b32_e32 v81, 0xf0f0f0f, v81
	v_and_b32_e32 v85, 16, v85
	;; [unrolled: 1-line block ×6, first 2 shown]
	v_lshlrev_b16 v87, 8, v87
	v_lshrrev_b32_e32 v80, 16, v80
	v_or3_b32 v85, v85, v81, v88
	v_or3_b32 v79, v81, v89, v79
	v_add_nc_u16 v84, 0xf000, v84
	v_add_nc_u16 v81, 0xf000, v87
	v_and_b32_e32 v87, 0x1f00, v80
	v_lshlrev_b16 v88, 8, v85
	v_lshrrev_b32_e32 v79, 16, v79
	v_lshlrev_b16 v80, 8, v80
	v_perm_b32 v81, v81, v84, 0xc0c0105
	v_add_nc_u16 v84, 0xf000, v87
	v_add_nc_u16 v87, 0xf000, v88
	v_and_b32_e32 v88, 0x1f00, v79
	v_lshlrev_b16 v79, 8, v79
	v_ashrrev_i32_e32 v83, v16, v83
	v_and_b32_e32 v85, 0x1f00, v85
	v_lshrrev_b16 v87, 8, v87
	v_add_nc_u16 v88, 0xf000, v88
	v_add_nc_u16 v79, 0xf000, v79
	;; [unrolled: 1-line block ×3, first 2 shown]
	v_lshrrev_b32_e32 v89, 12, v83
	v_lshrrev_b32_e32 v90, 5, v83
	v_or_b32_e32 v85, v85, v87
	v_perm_b32 v79, v79, v88, 0xc0c0105
	v_and_b32_e32 v88, 0xf0f0f0f, v82
	v_lshrrev_b32_e32 v82, 4, v82
	v_perm_b32 v80, v80, v84, 0xc0c0105
	v_lshlrev_b32_e32 v84, 4, v83
	v_lshlrev_b32_e32 v87, 11, v83
	v_and_b32_e32 v89, 16, v89
	v_and_b32_e32 v82, 0xf0f0f0f, v82
	v_and_b32_e32 v90, 0x1000, v90
	v_and_b32_e32 v84, 16, v84
	v_and_b32_e32 v87, 0x1000, v87
	v_lshlrev_b32_e32 v91, 18, v83
	v_lshlrev_b32_e32 v92, 25, v83
	;; [unrolled: 1-line block ×4, first 2 shown]
	v_or3_b32 v89, v89, v82, v90
	v_and_b32_e32 v91, 0x100000, v91
	v_and_b32_e32 v92, 0x10000000, v92
	v_or3_b32 v84, v84, v88, v87
	v_and_b32_e32 v87, 0x100000, v93
	v_and_b32_e32 v83, 0x10000000, v83
	v_lshlrev_b16 v90, 8, v89
	v_or3_b32 v88, v88, v91, v92
	v_and_b32_e32 v91, 0x1f00, v84
	v_and_b32_e32 v89, 0x1f00, v89
	v_or3_b32 v82, v82, v87, v83
	v_add_nc_u16 v87, 0xf000, v90
	v_lshrrev_b32_e32 v83, 16, v88
	v_lshlrev_b16 v84, 8, v84
	v_add_nc_u16 v88, 0xf000, v91
	v_lshrrev_b32_e32 v82, 16, v82
	v_lshrrev_b16 v87, 8, v87
	v_and_b32_e32 v90, 0x1f00, v83
	v_lshlrev_b16 v83, 8, v83
	v_add_nc_u16 v76, 0xf000, v76
	v_and_b32_e32 v91, 0x1f00, v82
	v_lshlrev_b16 v82, 8, v82
	v_or_b32_e32 v87, v89, v87
	v_add_nc_u16 v85, 0xf000, v85
	v_add_nc_u16 v84, 0xf000, v84
	;; [unrolled: 1-line block ×7, first 2 shown]
	v_and_b32_e32 v76, 0xffff, v76
	v_and_b32_e32 v85, 0xffff, v85
	v_perm_b32 v84, v84, v88, 0xc0c0105
	v_perm_b32 v83, v83, v89, 0xc0c0105
	;; [unrolled: 1-line block ×3, first 2 shown]
	v_and_b32_e32 v87, 0xffff, v87
	v_lshl_or_b32 v76, v78, 16, v76
	v_lshl_or_b32 v78, v80, 16, v81
	;; [unrolled: 1-line block ×5, first 2 shown]
	v_cvt_f32_f16_e32 v86, v86
	ds_store_2addr_b32 v33, v4, v6 offset1:1
	ds_store_2addr_b32 v35, v75, v74 offset1:1
	;; [unrolled: 1-line block ×5, first 2 shown]
	s_wait_loadcnt 0x2
	v_cvt_f32_f16_e32 v3, v3
	s_wait_loadcnt 0x1
	v_cvt_f32_f16_e32 v4, v73
	;; [unrolled: 2-line block ×3, first 2 shown]
	ds_store_b32 v69, v86
	ds_store_b32 v70, v3
	;; [unrolled: 1-line block ×4, first 2 shown]
	s_cbranch_scc0 .LBB221_4
; %bb.6:                                ;   in Loop: Header=BB221_5 Depth=1
	v_add_nc_u32_e32 v3, s14, v13
	s_delay_alu instid0(VALU_DEP_1)
	v_cmp_gt_i32_e64 s1, s5, v3
	s_and_b32 s17, s0, s1
	s_wait_alu 0xfffe
	s_and_saveexec_b32 s1, s17
	s_cbranch_execz .LBB221_8
; %bb.7:                                ;   in Loop: Header=BB221_5 Depth=1
	v_add_nc_u32_e32 v3, v58, v3
	s_delay_alu instid0(VALU_DEP_1)
	v_mad_co_i64_i32 v[3:4], null, v3, 36, v[0:1]
	global_load_b32 v3, v[3:4], off offset:4
	s_wait_loadcnt 0x0
	ds_store_b32 v54, v3
.LBB221_8:                              ;   in Loop: Header=BB221_5 Depth=1
	s_wait_alu 0xfffe
	s_or_b32 exec_lo, exec_lo, s1
	v_add_nc_u32_e32 v3, s14, v8
	s_delay_alu instid0(VALU_DEP_1)
	v_cmp_gt_i32_e64 s1, s5, v3
	s_and_b32 s17, s19, s1
	s_wait_alu 0xfffe
	s_and_saveexec_b32 s1, s17
	s_cbranch_execz .LBB221_10
; %bb.9:                                ;   in Loop: Header=BB221_5 Depth=1
	v_add_nc_u32_e32 v4, v58, v3
	s_delay_alu instid0(VALU_DEP_1)
	v_mad_co_i64_i32 v[4:5], null, v4, 36, s[2:3]
	global_load_b32 v4, v[4:5], off
	s_wait_loadcnt 0x0
	v_cvt_f32_f16_e32 v4, v4
	ds_store_b32 v55, v4
.LBB221_10:                             ;   in Loop: Header=BB221_5 Depth=1
	s_wait_alu 0xfffe
	s_or_b32 exec_lo, exec_lo, s1
	v_dual_mov_b32 v4, v52 :: v_dual_mov_b32 v5, v56
	v_dual_mov_b32 v6, v53 :: v_dual_mov_b32 v73, v63
	;; [unrolled: 1-line block ×3, first 2 shown]
	v_mov_b32_e32 v76, v60
	s_mov_b32 s1, -4
	s_wait_dscnt 0x0
	s_barrier_signal -1
	s_barrier_wait -1
	global_inv scope:SCOPE_SE
.LBB221_11:                             ;   Parent Loop BB221_5 Depth=1
                                        ; =>  This Inner Loop Header: Depth=2
	ds_load_2addr_b32 v[77:78], v4 offset0:3 offset1:4
	ds_load_2addr_b32 v[79:80], v4 offset0:5 offset1:6
	ds_load_2addr_b32 v[81:82], v5 offset1:1
	ds_load_2addr_b32 v[83:84], v4 offset0:1 offset1:2
	ds_load_2addr_b32 v[85:86], v4 offset1:7
	ds_load_b32 v117, v6
	ds_load_2addr_b32 v[87:88], v5 offset0:2 offset1:3
	ds_load_2addr_b32 v[89:90], v5 offset0:4 offset1:5
	ds_load_2addr_b32 v[91:92], v5 offset0:6 offset1:7
	ds_load_b32 v118, v73
	ds_load_b32 v119, v74
	;; [unrolled: 1-line block ×4, first 2 shown]
	v_add_nc_u32_e32 v93, 0x2080, v5
	v_add_nc_u32_e32 v95, 0x2088, v5
	;; [unrolled: 1-line block ×12, first 2 shown]
	s_wait_dscnt 0xc
	v_lshlrev_b32_e32 v122, 8, v78
	v_lshlrev_b32_e32 v129, 24, v78
	;; [unrolled: 1-line block ×3, first 2 shown]
	v_add_nc_u32_e32 v76, 4, v76
	s_wait_dscnt 0x3
	v_mul_f32_e32 v118, v117, v118
	ds_load_2addr_b32 v[93:94], v93 offset1:1
	ds_load_2addr_b32 v[95:96], v95 offset1:1
	;; [unrolled: 1-line block ×12, first 2 shown]
	v_lshlrev_b32_e32 v124, 8, v79
	v_lshlrev_b32_e32 v125, 8, v84
	;; [unrolled: 1-line block ×4, first 2 shown]
	s_wait_dscnt 0xe
	v_dual_mul_f32 v119, v117, v119 :: v_dual_lshlrev_b32 v128, 8, v86
	v_lshlrev_b32_e32 v123, 8, v83
	v_lshlrev_b32_e32 v131, 24, v83
	;; [unrolled: 1-line block ×12, first 2 shown]
	v_perm_b32 v146, v130, v129, 0xc0c0703
	v_perm_b32 v147, v78, v122, 0x7030c0c
	v_dot4_i32_iu8 v81, v85, v81, 0 neg_lo:[1,1,0]
	v_lshlrev_b32_e32 v142, 16, v86
	v_perm_b32 v143, v79, v83, 0x7030c0c
	v_perm_b32 v144, v80, v84, 0xc0c0703
	;; [unrolled: 1-line block ×3, first 2 shown]
	s_wait_dscnt 0xb
	v_dot4_i32_iu8 v93, v85, v93, 0 neg_lo:[1,1,0]
	s_wait_dscnt 0x7
	v_dot4_i32_iu8 v101, v85, v101, 0 neg_lo:[1,1,0]
	v_perm_b32 v148, v132, v131, 0xc0c0703
	v_perm_b32 v83, v83, v123, 0x7030c0c
	;; [unrolled: 1-line block ×11, first 2 shown]
	s_wait_dscnt 0x3
	v_perm_b32 v130, v109, v130, 0xc0c0503
	v_perm_b32 v132, v134, v132, 0x7030c0c
	s_wait_dscnt 0x2
	v_perm_b32 v134, v112, v111, 0x5010c0c
	v_perm_b32 v154, v85, v110, 0xc0c0501
	v_perm_b32 v155, v112, v111, 0x7030c0c
	v_perm_b32 v156, v85, v110, 0xc0c0703
	v_perm_b32 v78, v109, v78, 0xc0c0703
	v_perm_b32 v129, v109, v129, 0xc0c0403
	v_perm_b32 v131, v133, v131, 0x7030c0c
	v_perm_b32 v133, v112, v111, 0x4000c0c
	v_perm_b32 v157, v85, v110, 0xc0c0400
	v_perm_b32 v109, v109, v122, 0xc0c0603
	v_perm_b32 v122, v124, v123, 0x7030c0c
	v_perm_b32 v111, v112, v111, 0x6020c0c
	v_perm_b32 v85, v85, v110, 0xc0c0602
	s_wait_dscnt 0x1
	v_perm_b32 v110, v114, v113, 0xc0c0602
	s_wait_dscnt 0x0
	v_perm_b32 v112, v116, v115, 0x6020c0c
	v_perm_b32 v123, v126, v125, 0xc0c0703
	;; [unrolled: 1-line block ×12, first 2 shown]
	v_or_b32_e32 v136, v147, v146
	v_or_b32_e32 v83, v83, v148
	v_or_b32_e32 v79, v79, v149
	v_perm_b32 v116, v142, v140, 0x7030c0c
	v_or_b32_e32 v84, v84, v150
	v_dot4_i32_iu8 v81, v136, v82, v81 neg_lo:[1,1,0]
	v_dot4_i32_iu8 v82, v136, v94, v93 neg_lo:[1,1,0]
	v_dot4_i32_iu8 v93, v136, v102, v101 neg_lo:[1,1,0]
	v_or_b32_e32 v130, v132, v130
	v_or_b32_e32 v132, v134, v154
	v_dot4_i32_iu8 v81, v83, v87, v81 neg_lo:[1,1,0]
	v_dot4_i32_iu8 v82, v83, v95, v82 neg_lo:[1,1,0]
	v_dot4_i32_iu8 v83, v83, v103, v93 neg_lo:[1,1,0]
	v_or_b32_e32 v134, v155, v156
	;; [unrolled: 5-line block ×3, first 2 shown]
	v_or_b32_e32 v80, v80, v151
	v_or_b32_e32 v129, v131, v129
	;; [unrolled: 1-line block ×9, first 2 shown]
	v_dot4_i32_iu8 v101, v130, v132, 0 neg_lo:[1,1,0]
	v_dot4_i32_iu8 v78, v78, v134, 0 neg_lo:[1,1,0]
	;; [unrolled: 1-line block ×5, first 2 shown]
	v_perm_b32 v153, v142, v141, 0xc0c0703
	v_or_b32_e32 v77, v77, v152
	v_or_b32_e32 v110, v112, v110
	;; [unrolled: 1-line block ×4, first 2 shown]
	v_dot4_i32_iu8 v85, v109, v85, 0 neg_lo:[1,1,0]
	v_dot4_i32_iu8 v83, v129, v131, 0 neg_lo:[1,1,0]
	v_dot4_i32_iu8 v78, v135, v123, v78 neg_lo:[1,1,0]
	v_dot4_i32_iu8 v84, v94, v113, v101 neg_lo:[1,1,0]
	v_dot4_i32_iu8 v81, v80, v90, v81 neg_lo:[1,1,0]
	v_dot4_i32_iu8 v82, v80, v98, v82 neg_lo:[1,1,0]
	v_dot4_i32_iu8 v79, v80, v106, v79 neg_lo:[1,1,0]
	v_or_b32_e32 v86, v86, v153
	v_dot4_i32_iu8 v85, v111, v110, v85 neg_lo:[1,1,0]
	v_dot4_i32_iu8 v80, v122, v112, v83 neg_lo:[1,1,0]
	v_add_nc_u32_e32 v78, v84, v78
	v_dot4_i32_iu8 v81, v77, v91, v81 neg_lo:[1,1,0]
	v_dot4_i32_iu8 v82, v77, v99, v82 neg_lo:[1,1,0]
	;; [unrolled: 1-line block ×3, first 2 shown]
	v_add_nc_u32_e32 v75, 4, v75
	v_add3_u32 v78, v80, v85, v78
	v_dot4_i32_iu8 v80, v86, v92, v81 neg_lo:[1,1,0]
	v_dot4_i32_iu8 v81, v86, v100, v82 neg_lo:[1,1,0]
	;; [unrolled: 1-line block ×3, first 2 shown]
	v_dual_mul_f32 v79, v117, v120 :: v_dual_add_nc_u32 v74, 4, v74
	v_mul_f32_e32 v82, v117, v121
	v_cvt_f32_i32_e32 v78, v78
	v_cvt_f32_i32_e32 v80, v80
	;; [unrolled: 1-line block ×4, first 2 shown]
	v_add_nc_u32_e32 v73, 4, v73
	s_delay_alu instid0(VALU_DEP_4)
	v_dual_fmac_f32 v9, v118, v80 :: v_dual_add_nc_u32 v6, 4, v6
	v_add_nc_u32_e32 v5, 32, v5
	v_add_nc_u32_e32 v4, 32, v4
	v_fmac_f32_e32 v2, v82, v78
	v_fmac_f32_e32 v50, v119, v81
	v_fmac_f32_e32 v40, v79, v77
	s_wait_alu 0xfffe
	s_add_co_i32 s1, s1, 4
	s_wait_alu 0xfffe
	s_cmp_lt_u32 s1, 12
	s_cbranch_scc1 .LBB221_11
; %bb.12:                               ;   in Loop: Header=BB221_5 Depth=1
	s_bitset1_b32 s16, 7
	s_wait_loadcnt 0x0
	s_wait_alu 0xfffe
	s_cmp_ge_i32 s16, s11
	s_barrier_signal -1
	s_barrier_wait -1
	global_inv scope:SCOPE_SE
	s_cbranch_scc1 .LBB221_4
; %bb.13:                               ;   in Loop: Header=BB221_5 Depth=1
	v_add_nc_u32_e32 v4, s14, v57
	s_delay_alu instid0(VALU_DEP_1)
	v_cmp_gt_i32_e64 s1, s5, v4
	s_and_b32 s16, s0, s1
	s_wait_alu 0xfffe
	s_and_saveexec_b32 s1, s16
	s_cbranch_execz .LBB221_15
; %bb.14:                               ;   in Loop: Header=BB221_5 Depth=1
	v_add_nc_u32_e32 v4, v58, v4
	s_delay_alu instid0(VALU_DEP_1)
	v_mad_co_i64_i32 v[4:5], null, v4, 36, v[0:1]
	global_load_b32 v4, v[4:5], off offset:4
	s_wait_loadcnt 0x0
	ds_store_b32 v54, v4
.LBB221_15:                             ;   in Loop: Header=BB221_5 Depth=1
	s_wait_alu 0xfffe
	s_or_b32 exec_lo, exec_lo, s1
	s_and_saveexec_b32 s16, vcc_lo
	s_cbranch_execz .LBB221_18
; %bb.16:                               ;   in Loop: Header=BB221_5 Depth=1
	v_or_b32_e32 v4, 4, v3
	s_delay_alu instid0(VALU_DEP_1)
	v_cmp_gt_i32_e64 s1, s5, v4
	s_and_b32 s1, s0, s1
	s_wait_alu 0xfffe
	s_and_b32 exec_lo, exec_lo, s1
	s_cbranch_execz .LBB221_18
; %bb.17:                               ;   in Loop: Header=BB221_5 Depth=1
	v_ashrrev_i32_e32 v4, 31, v3
	v_add_co_u32 v3, s1, v58, v3
	s_wait_alu 0xf1ff
	s_delay_alu instid0(VALU_DEP_2) | instskip(NEXT) | instid1(VALU_DEP_2)
	v_add_co_ci_u32_e64 v5, null, v59, v4, s1
	v_mad_co_u64_u32 v[3:4], null, v3, 36, s[2:3]
	s_delay_alu instid0(VALU_DEP_1)
	v_mad_i32_i24 v4, v5, 36, v4
	global_load_b32 v3, v[3:4], off offset:144
	s_wait_loadcnt 0x0
	v_cvt_f32_f16_e32 v3, v3
	ds_store_b32 v55, v3
.LBB221_18:                             ;   in Loop: Header=BB221_5 Depth=1
	s_wait_alu 0xfffe
	s_or_b32 exec_lo, exec_lo, s16
	v_dual_mov_b32 v3, v53 :: v_dual_mov_b32 v4, v52
	v_dual_mov_b32 v5, v68 :: v_dual_mov_b32 v6, v67
	;; [unrolled: 1-line block ×3, first 2 shown]
	v_mov_b32_e32 v75, v64
	s_mov_b32 s1, 12
	s_wait_loadcnt_dscnt 0x0
	s_barrier_signal -1
	s_barrier_wait -1
	global_inv scope:SCOPE_SE
.LBB221_19:                             ;   Parent Loop BB221_5 Depth=1
                                        ; =>  This Inner Loop Header: Depth=2
	ds_load_2addr_b32 v[76:77], v4 offset1:7
	ds_load_2addr_b32 v[78:79], v4 offset0:3 offset1:4
	ds_load_2addr_b32 v[80:81], v4 offset0:5 offset1:6
	ds_load_2addr_b32 v[82:83], v4 offset0:1 offset1:2
	ds_load_b32 v116, v3
	ds_load_2addr_b32 v[84:85], v5 offset1:1
	ds_load_2addr_b32 v[86:87], v5 offset0:2 offset1:3
	ds_load_2addr_b32 v[88:89], v5 offset0:4 offset1:5
	;; [unrolled: 1-line block ×3, first 2 shown]
	ds_load_b32 v117, v6
	ds_load_b32 v118, v73
	;; [unrolled: 1-line block ×4, first 2 shown]
	v_add_nc_u32_e32 v74, 4, v74
	v_add_nc_u32_e32 v94, 0x2088, v5
	;; [unrolled: 1-line block ×12, first 2 shown]
	s_wait_dscnt 0xb
	v_lshlrev_b32_e32 v121, 8, v79
	v_lshlrev_b32_e32 v128, 24, v79
	;; [unrolled: 1-line block ×3, first 2 shown]
	v_add_nc_u32_e32 v75, 4, v75
	s_wait_dscnt 0x3
	v_mul_f32_e32 v117, v116, v117
	v_add_nc_u32_e32 v92, 0x2080, v5
	v_lshlrev_b32_e32 v122, 8, v82
	v_lshlrev_b32_e32 v124, 8, v83
	ds_load_2addr_b32 v[92:93], v92 offset1:1
	ds_load_2addr_b32 v[94:95], v94 offset1:1
	;; [unrolled: 1-line block ×12, first 2 shown]
	v_lshlrev_b32_e32 v125, 8, v81
	v_lshlrev_b32_e32 v126, 8, v78
	s_wait_dscnt 0xe
	v_dual_mul_f32 v118, v116, v118 :: v_dual_lshlrev_b32 v127, 8, v77
	v_lshlrev_b32_e32 v123, 8, v80
	v_lshlrev_b32_e32 v130, 24, v82
	;; [unrolled: 1-line block ×12, first 2 shown]
	v_perm_b32 v145, v129, v128, 0xc0c0703
	v_perm_b32 v146, v79, v121, 0x7030c0c
	v_dot4_i32_iu8 v84, v76, v84, 0 neg_lo:[1,1,0]
	v_lshlrev_b32_e32 v141, 16, v77
	v_perm_b32 v142, v80, v82, 0x7030c0c
	v_perm_b32 v143, v81, v83, 0xc0c0703
	;; [unrolled: 1-line block ×3, first 2 shown]
	s_wait_dscnt 0xb
	v_dot4_i32_iu8 v92, v76, v92, 0 neg_lo:[1,1,0]
	s_wait_dscnt 0x7
	v_dot4_i32_iu8 v100, v76, v100, 0 neg_lo:[1,1,0]
	v_perm_b32 v147, v131, v130, 0xc0c0703
	v_perm_b32 v82, v82, v122, 0x7030c0c
	;; [unrolled: 1-line block ×11, first 2 shown]
	s_wait_dscnt 0x3
	v_perm_b32 v129, v108, v129, 0xc0c0503
	v_perm_b32 v131, v133, v131, 0x7030c0c
	s_wait_dscnt 0x2
	v_perm_b32 v133, v111, v110, 0x5010c0c
	v_perm_b32 v153, v76, v109, 0xc0c0501
	;; [unrolled: 1-line block ×13, first 2 shown]
	s_wait_dscnt 0x1
	v_perm_b32 v109, v113, v112, 0xc0c0602
	s_wait_dscnt 0x0
	v_perm_b32 v111, v115, v114, 0x6020c0c
	v_perm_b32 v122, v125, v124, 0xc0c0703
	;; [unrolled: 1-line block ×12, first 2 shown]
	v_or_b32_e32 v135, v146, v145
	v_or_b32_e32 v82, v82, v147
	;; [unrolled: 1-line block ×3, first 2 shown]
	v_perm_b32 v115, v141, v139, 0x7030c0c
	v_or_b32_e32 v83, v83, v149
	v_dot4_i32_iu8 v84, v135, v85, v84 neg_lo:[1,1,0]
	v_dot4_i32_iu8 v85, v135, v93, v92 neg_lo:[1,1,0]
	v_dot4_i32_iu8 v92, v135, v101, v100 neg_lo:[1,1,0]
	v_or_b32_e32 v129, v131, v129
	v_or_b32_e32 v131, v133, v153
	v_dot4_i32_iu8 v84, v82, v86, v84 neg_lo:[1,1,0]
	v_dot4_i32_iu8 v85, v82, v94, v85 neg_lo:[1,1,0]
	v_dot4_i32_iu8 v82, v82, v102, v92 neg_lo:[1,1,0]
	v_or_b32_e32 v133, v154, v155
	v_or_b32_e32 v79, v142, v79
	v_dot4_i32_iu8 v84, v80, v87, v84 neg_lo:[1,1,0]
	v_dot4_i32_iu8 v85, v80, v95, v85 neg_lo:[1,1,0]
	v_dot4_i32_iu8 v80, v80, v103, v82 neg_lo:[1,1,0]
	v_or_b32_e32 v134, v144, v143
	v_or_b32_e32 v81, v81, v150
	v_or_b32_e32 v128, v130, v128
	;; [unrolled: 1-line block ×9, first 2 shown]
	v_dot4_i32_iu8 v100, v129, v131, 0 neg_lo:[1,1,0]
	v_dot4_i32_iu8 v79, v79, v133, 0 neg_lo:[1,1,0]
	;; [unrolled: 1-line block ×5, first 2 shown]
	v_perm_b32 v152, v141, v140, 0xc0c0703
	v_or_b32_e32 v78, v78, v151
	v_or_b32_e32 v109, v111, v109
	;; [unrolled: 1-line block ×4, first 2 shown]
	v_dot4_i32_iu8 v76, v108, v76, 0 neg_lo:[1,1,0]
	v_dot4_i32_iu8 v82, v128, v130, 0 neg_lo:[1,1,0]
	;; [unrolled: 1-line block ×7, first 2 shown]
	v_or_b32_e32 v77, v77, v152
	v_dot4_i32_iu8 v76, v110, v109, v76 neg_lo:[1,1,0]
	v_dot4_i32_iu8 v81, v121, v111, v82 neg_lo:[1,1,0]
	v_add_nc_u32_e32 v79, v83, v79
	v_dot4_i32_iu8 v82, v78, v90, v84 neg_lo:[1,1,0]
	v_dot4_i32_iu8 v83, v78, v98, v85 neg_lo:[1,1,0]
	;; [unrolled: 1-line block ×3, first 2 shown]
	v_dual_mul_f32 v80, v116, v119 :: v_dual_add_nc_u32 v73, 4, v73
	v_add3_u32 v76, v81, v76, v79
	v_dot4_i32_iu8 v79, v77, v91, v82 neg_lo:[1,1,0]
	v_dot4_i32_iu8 v81, v77, v99, v83 neg_lo:[1,1,0]
	;; [unrolled: 1-line block ×3, first 2 shown]
	v_dual_mul_f32 v78, v116, v120 :: v_dual_add_nc_u32 v5, 32, v5
	v_cvt_f32_i32_e32 v76, v76
	v_cvt_f32_i32_e32 v79, v79
	;; [unrolled: 1-line block ×4, first 2 shown]
	v_add_nc_u32_e32 v6, 4, v6
	v_add_nc_u32_e32 v4, 32, v4
	v_dual_fmac_f32 v2, v78, v76 :: v_dual_add_nc_u32 v3, 4, v3
	v_dual_fmac_f32 v9, v117, v79 :: v_dual_fmac_f32 v50, v118, v81
	v_fmac_f32_e32 v40, v80, v77
	s_wait_alu 0xfffe
	s_add_co_i32 s1, s1, 4
	s_wait_alu 0xfffe
	s_cmp_lt_u32 s1, 28
	s_cbranch_scc1 .LBB221_19
; %bb.20:                               ;   in Loop: Header=BB221_5 Depth=1
	s_wait_loadcnt 0x0
	s_barrier_signal -1
	s_barrier_wait -1
	global_inv scope:SCOPE_SE
	s_branch .LBB221_4
.LBB221_21:
	s_mul_i32 s0, s7, s4
	s_wait_loadcnt 0x0
	s_wait_alu 0xfffe
	v_cmp_gt_i32_e32 vcc_lo, s0, v7
	s_and_saveexec_b32 s0, vcc_lo
	s_cbranch_execz .LBB221_30
; %bb.22:
	v_mul_lo_u32 v0, v7, s6
	v_add_nc_u32_e32 v1, s18, v8
	s_mov_b32 s0, exec_lo
	s_delay_alu instid0(VALU_DEP_1)
	v_cmpx_gt_u32_e64 s6, v1
	s_cbranch_execz .LBB221_24
; %bb.23:
	v_bfe_u32 v4, v9, 16, 1
	s_delay_alu instid0(VALU_DEP_4) | instskip(SKIP_1) | instid1(VALU_DEP_3)
	v_add_nc_u32_e32 v3, v0, v1
	v_cmp_o_f32_e32 vcc_lo, v9, v9
	v_add3_u32 v5, v9, v4, 0x7fff
	v_mov_b32_e32 v4, 0
	s_delay_alu instid0(VALU_DEP_2) | instskip(NEXT) | instid1(VALU_DEP_2)
	v_lshrrev_b32_e32 v5, 16, v5
	v_lshlrev_b64_e32 v[3:4], 1, v[3:4]
	s_wait_alu 0xfffd
	s_delay_alu instid0(VALU_DEP_2) | instskip(NEXT) | instid1(VALU_DEP_2)
	v_cndmask_b32_e32 v5, 0x7fc0, v5, vcc_lo
	v_add_co_u32 v3, vcc_lo, s8, v3
	s_wait_alu 0xfffd
	s_delay_alu instid0(VALU_DEP_3)
	v_add_co_ci_u32_e64 v4, null, s9, v4, vcc_lo
	global_store_b16 v[3:4], v5, off
.LBB221_24:
	s_wait_alu 0xfffe
	s_or_b32 exec_lo, exec_lo, s0
	v_add_nc_u32_e32 v3, 32, v1
	s_mov_b32 s0, exec_lo
	s_delay_alu instid0(VALU_DEP_1)
	v_cmpx_gt_u32_e64 s6, v3
	s_cbranch_execz .LBB221_26
; %bb.25:
	v_bfe_u32 v4, v50, 16, 1
	v_add_nc_u32_e32 v3, v0, v3
	v_cmp_o_f32_e32 vcc_lo, v50, v50
	s_delay_alu instid0(VALU_DEP_3) | instskip(SKIP_1) | instid1(VALU_DEP_2)
	v_add3_u32 v5, v50, v4, 0x7fff
	v_mov_b32_e32 v4, 0
	v_lshrrev_b32_e32 v5, 16, v5
	s_delay_alu instid0(VALU_DEP_2) | instskip(SKIP_1) | instid1(VALU_DEP_2)
	v_lshlrev_b64_e32 v[3:4], 1, v[3:4]
	s_wait_alu 0xfffd
	v_cndmask_b32_e32 v5, 0x7fc0, v5, vcc_lo
	s_delay_alu instid0(VALU_DEP_2) | instskip(SKIP_1) | instid1(VALU_DEP_3)
	v_add_co_u32 v3, vcc_lo, s8, v3
	s_wait_alu 0xfffd
	v_add_co_ci_u32_e64 v4, null, s9, v4, vcc_lo
	global_store_b16 v[3:4], v5, off
.LBB221_26:
	s_wait_alu 0xfffe
	s_or_b32 exec_lo, exec_lo, s0
	v_add_nc_u32_e32 v3, 64, v1
	s_mov_b32 s0, exec_lo
	s_delay_alu instid0(VALU_DEP_1)
	v_cmpx_gt_u32_e64 s6, v3
	s_cbranch_execz .LBB221_28
; %bb.27:
	v_bfe_u32 v4, v40, 16, 1
	v_add_nc_u32_e32 v3, v0, v3
	v_cmp_o_f32_e32 vcc_lo, v40, v40
	s_delay_alu instid0(VALU_DEP_3) | instskip(SKIP_1) | instid1(VALU_DEP_2)
	v_add3_u32 v5, v40, v4, 0x7fff
	v_mov_b32_e32 v4, 0
	v_lshrrev_b32_e32 v5, 16, v5
	s_delay_alu instid0(VALU_DEP_2) | instskip(SKIP_1) | instid1(VALU_DEP_2)
	v_lshlrev_b64_e32 v[3:4], 1, v[3:4]
	s_wait_alu 0xfffd
	v_cndmask_b32_e32 v5, 0x7fc0, v5, vcc_lo
	s_delay_alu instid0(VALU_DEP_2) | instskip(SKIP_1) | instid1(VALU_DEP_3)
	v_add_co_u32 v3, vcc_lo, s8, v3
	s_wait_alu 0xfffd
	v_add_co_ci_u32_e64 v4, null, s9, v4, vcc_lo
	global_store_b16 v[3:4], v5, off
.LBB221_28:
	s_wait_alu 0xfffe
	s_or_b32 exec_lo, exec_lo, s0
	v_add_nc_u32_e32 v1, 0x60, v1
	s_delay_alu instid0(VALU_DEP_1)
	v_cmp_gt_u32_e32 vcc_lo, s6, v1
	s_and_b32 exec_lo, exec_lo, vcc_lo
	s_cbranch_execz .LBB221_30
; %bb.29:
	v_bfe_u32 v3, v2, 16, 1
	v_dual_mov_b32 v1, 0 :: v_dual_add_nc_u32 v0, v0, v1
	v_cmp_o_f32_e32 vcc_lo, v2, v2
	s_delay_alu instid0(VALU_DEP_3) | instskip(NEXT) | instid1(VALU_DEP_3)
	v_add3_u32 v3, v2, v3, 0x7fff
	v_lshlrev_b64_e32 v[0:1], 1, v[0:1]
	s_delay_alu instid0(VALU_DEP_2) | instskip(SKIP_1) | instid1(VALU_DEP_1)
	v_lshrrev_b32_e32 v3, 16, v3
	s_wait_alu 0xfffd
	v_cndmask_b32_e32 v2, 0x7fc0, v3, vcc_lo
	s_delay_alu instid0(VALU_DEP_3)
	v_add_co_u32 v0, vcc_lo, s8, v0
	s_wait_alu 0xfffd
	v_add_co_ci_u32_e64 v1, null, s9, v1, vcc_lo
	global_store_b16 v[0:1], v2, off
.LBB221_30:
	s_nop 0
	s_sendmsg sendmsg(MSG_DEALLOC_VGPRS)
	s_endpgm
	.section	.rodata,"a",@progbits
	.p2align	6, 0x0
	.amdhsa_kernel _ZL8moe_q5_0IN3c108BFloat16ELb0EEvPKvS3_PT_PKiS7_S7_iiiiiii
		.amdhsa_group_segment_fixed_size 38656
		.amdhsa_private_segment_fixed_size 0
		.amdhsa_kernarg_size 76
		.amdhsa_user_sgpr_count 2
		.amdhsa_user_sgpr_dispatch_ptr 0
		.amdhsa_user_sgpr_queue_ptr 0
		.amdhsa_user_sgpr_kernarg_segment_ptr 1
		.amdhsa_user_sgpr_dispatch_id 0
		.amdhsa_user_sgpr_private_segment_size 0
		.amdhsa_wavefront_size32 1
		.amdhsa_uses_dynamic_stack 0
		.amdhsa_enable_private_segment 0
		.amdhsa_system_sgpr_workgroup_id_x 1
		.amdhsa_system_sgpr_workgroup_id_y 1
		.amdhsa_system_sgpr_workgroup_id_z 0
		.amdhsa_system_sgpr_workgroup_info 0
		.amdhsa_system_vgpr_workitem_id 1
		.amdhsa_next_free_vgpr 217
		.amdhsa_next_free_sgpr 22
		.amdhsa_reserve_vcc 1
		.amdhsa_float_round_mode_32 0
		.amdhsa_float_round_mode_16_64 0
		.amdhsa_float_denorm_mode_32 3
		.amdhsa_float_denorm_mode_16_64 3
		.amdhsa_fp16_overflow 0
		.amdhsa_workgroup_processor_mode 1
		.amdhsa_memory_ordered 1
		.amdhsa_forward_progress 1
		.amdhsa_inst_pref_size 98
		.amdhsa_round_robin_scheduling 0
		.amdhsa_exception_fp_ieee_invalid_op 0
		.amdhsa_exception_fp_denorm_src 0
		.amdhsa_exception_fp_ieee_div_zero 0
		.amdhsa_exception_fp_ieee_overflow 0
		.amdhsa_exception_fp_ieee_underflow 0
		.amdhsa_exception_fp_ieee_inexact 0
		.amdhsa_exception_int_div_zero 0
	.end_amdhsa_kernel
	.section	.text._ZL8moe_q5_0IN3c108BFloat16ELb0EEvPKvS3_PT_PKiS7_S7_iiiiiii,"axG",@progbits,_ZL8moe_q5_0IN3c108BFloat16ELb0EEvPKvS3_PT_PKiS7_S7_iiiiiii,comdat
.Lfunc_end221:
	.size	_ZL8moe_q5_0IN3c108BFloat16ELb0EEvPKvS3_PT_PKiS7_S7_iiiiiii, .Lfunc_end221-_ZL8moe_q5_0IN3c108BFloat16ELb0EEvPKvS3_PT_PKiS7_S7_iiiiiii
                                        ; -- End function
	.set _ZL8moe_q5_0IN3c108BFloat16ELb0EEvPKvS3_PT_PKiS7_S7_iiiiiii.num_vgpr, 158
	.set _ZL8moe_q5_0IN3c108BFloat16ELb0EEvPKvS3_PT_PKiS7_S7_iiiiiii.num_agpr, 0
	.set _ZL8moe_q5_0IN3c108BFloat16ELb0EEvPKvS3_PT_PKiS7_S7_iiiiiii.numbered_sgpr, 22
	.set _ZL8moe_q5_0IN3c108BFloat16ELb0EEvPKvS3_PT_PKiS7_S7_iiiiiii.num_named_barrier, 0
	.set _ZL8moe_q5_0IN3c108BFloat16ELb0EEvPKvS3_PT_PKiS7_S7_iiiiiii.private_seg_size, 0
	.set _ZL8moe_q5_0IN3c108BFloat16ELb0EEvPKvS3_PT_PKiS7_S7_iiiiiii.uses_vcc, 1
	.set _ZL8moe_q5_0IN3c108BFloat16ELb0EEvPKvS3_PT_PKiS7_S7_iiiiiii.uses_flat_scratch, 0
	.set _ZL8moe_q5_0IN3c108BFloat16ELb0EEvPKvS3_PT_PKiS7_S7_iiiiiii.has_dyn_sized_stack, 0
	.set _ZL8moe_q5_0IN3c108BFloat16ELb0EEvPKvS3_PT_PKiS7_S7_iiiiiii.has_recursion, 0
	.set _ZL8moe_q5_0IN3c108BFloat16ELb0EEvPKvS3_PT_PKiS7_S7_iiiiiii.has_indirect_call, 0
	.section	.AMDGPU.csdata,"",@progbits
; Kernel info:
; codeLenInByte = 12484
; TotalNumSgprs: 24
; NumVgprs: 158
; ScratchSize: 0
; MemoryBound: 0
; FloatMode: 240
; IeeeMode: 1
; LDSByteSize: 38656 bytes/workgroup (compile time only)
; SGPRBlocks: 0
; VGPRBlocks: 27
; NumSGPRsForWavesPerEU: 24
; NumVGPRsForWavesPerEU: 217
; Occupancy: 6
; WaveLimiterHint : 1
; COMPUTE_PGM_RSRC2:SCRATCH_EN: 0
; COMPUTE_PGM_RSRC2:USER_SGPR: 2
; COMPUTE_PGM_RSRC2:TRAP_HANDLER: 0
; COMPUTE_PGM_RSRC2:TGID_X_EN: 1
; COMPUTE_PGM_RSRC2:TGID_Y_EN: 1
; COMPUTE_PGM_RSRC2:TGID_Z_EN: 0
; COMPUTE_PGM_RSRC2:TIDIG_COMP_CNT: 1
	.section	.text._ZL8moe_q5_0IN3c108BFloat16ELb1EEvPKvS3_PT_PKiS7_S7_iiiiiii,"axG",@progbits,_ZL8moe_q5_0IN3c108BFloat16ELb1EEvPKvS3_PT_PKiS7_S7_iiiiiii,comdat
	.globl	_ZL8moe_q5_0IN3c108BFloat16ELb1EEvPKvS3_PT_PKiS7_S7_iiiiiii ; -- Begin function _ZL8moe_q5_0IN3c108BFloat16ELb1EEvPKvS3_PT_PKiS7_S7_iiiiiii
	.p2align	8
	.type	_ZL8moe_q5_0IN3c108BFloat16ELb1EEvPKvS3_PT_PKiS7_S7_iiiiiii,@function
_ZL8moe_q5_0IN3c108BFloat16ELb1EEvPKvS3_PT_PKiS7_S7_iiiiiii: ; @_ZL8moe_q5_0IN3c108BFloat16ELb1EEvPKvS3_PT_PKiS7_S7_iiiiiii
; %bb.0:
	s_load_b128 s[4:7], s[0:1], 0x18
	s_mov_b32 s2, ttmp7
	s_mov_b32 s3, 0
	s_delay_alu instid0(SALU_CYCLE_1)
	s_lshl_b64 s[2:3], s[2:3], 2
	s_wait_kmcnt 0x0
	s_add_nc_u64 s[2:3], s[6:7], s[2:3]
	s_load_b32 s14, s[2:3], 0x0
	s_wait_kmcnt 0x0
	s_cmp_gt_u32 s14, 0xff
	s_cbranch_scc1 .LBB222_30
; %bb.1:
	s_load_b64 s[2:3], s[0:1], 0x28
	s_wait_kmcnt 0x0
	s_load_b32 s3, s[2:3], 0x0
	s_lshl_b32 s2, ttmp7, 3
	s_wait_kmcnt 0x0
	s_cmp_gt_u32 s2, s3
	s_cbranch_scc1 .LBB222_30
; %bb.2:
	v_bfe_u32 v19, v0, 10, 10
	v_mov_b32_e32 v14, 0
	s_lshl_b32 s11, ttmp9, 7
	s_delay_alu instid0(VALU_DEP_2) | instskip(NEXT) | instid1(VALU_DEP_2)
	v_add_nc_u32_e32 v13, s2, v19
	v_dual_mov_b32 v62, v14 :: v_dual_and_b32 v39, 0x3ff, v0
	v_dual_mov_b32 v65, v14 :: v_dual_mov_b32 v40, v14
	s_delay_alu instid0(VALU_DEP_3) | instskip(NEXT) | instid1(VALU_DEP_1)
	v_lshlrev_b64_e32 v[1:2], 2, v[13:14]
	v_add_co_u32 v1, vcc_lo, s4, v1
	s_delay_alu instid0(VALU_DEP_1)
	v_add_co_ci_u32_e64 v2, null, s5, v2, vcc_lo
	global_load_b32 v38, v[1:2], off
	s_clause 0x2
	s_load_b128 s[4:7], s[0:1], 0x30
	s_load_b64 s[12:13], s[0:1], 0x10
	s_load_b96 s[8:10], s[0:1], 0x40
	s_wait_kmcnt 0x0
	s_cmp_lt_i32 s5, 32
	s_cbranch_scc1 .LBB222_21
; %bb.3:
	s_load_b128 s[0:3], s[0:1], 0x0
	s_ashr_i32 s15, s5, 31
	s_mul_i32 s14, s14, s4
	s_lshr_b32 s4, s15, 27
	s_ashr_i32 s15, s14, 31
	s_wait_alu 0xfffe
	s_add_co_i32 s4, s5, s4
	s_ashr_i32 s16, s8, 31
	s_wait_alu 0xfffe
	s_ashr_i32 s4, s4, 5
	s_not_b32 s17, s11
	s_wait_alu 0xfffe
	s_mul_i32 s18, s4, s11
	s_lshr_b32 s20, s16, 27
	s_ashr_i32 s19, s18, 31
	s_wait_loadcnt 0x0
	v_sub_nc_u32_e32 v26, 0, v38
	s_mul_u64 s[18:19], s[18:19], 22
	s_add_co_i32 s16, s6, s17
	s_add_co_i32 s6, s8, s20
	v_dual_mov_b32 v40, 0 :: v_dual_add_nc_u32 v1, 8, v19
	v_max_i32_e32 v26, v38, v26
	v_add_nc_u32_e32 v6, 24, v19
	s_wait_kmcnt 0x0
	s_add_nc_u64 s[0:1], s[0:1], s[14:15]
	v_min_i32_e32 v2, s16, v19
	s_add_nc_u64 s[14:15], s[0:1], s[18:19]
	s_abs_i32 s0, s10
	v_lshlrev_b32_e32 v18, 3, v39
	s_cvt_f32_u32 s1, s0
	s_sub_co_i32 s8, 0, s0
	v_add_nc_u32_e32 v8, 40, v19
	v_min_i32_e32 v4, s16, v1
	v_rcp_iflag_f32_e32 v25, s1
	v_add_nc_u32_e32 v10, 56, v19
	v_min_i32_e32 v6, s16, v6
	v_dual_mov_b32 v62, 0 :: v_dual_add_nc_u32 v11, 64, v19
	v_add_nc_u32_e32 v12, 0x48, v19
	v_mul_lo_u32 v43, v2, s4
	v_mad_co_u64_u32 v[1:2], null, 0x104, v2, v[18:19]
	v_min_i32_e32 v8, s16, v8
	s_delay_alu instid0(TRANS32_DEP_1)
	v_readfirstlane_b32 s1, v25
	v_add_nc_u32_e32 v13, 0x50, v19
	v_add_nc_u32_e32 v14, 0x58, v19
	v_mul_lo_u32 v44, v4, s4
	v_min_i32_e32 v10, s16, v10
	s_mul_f32 s1, s1, 0x4f7ffffe
	v_add_nc_u32_e32 v15, 0x60, v19
	v_min_i32_e32 v11, s16, v11
	v_mul_lo_u32 v46, v6, s4
	s_wait_alu 0xfffe
	s_cvt_u32_f32 s1, s1
	v_min_i32_e32 v12, s16, v12
	v_min_i32_e32 v13, s16, v13
	v_mul_lo_u32 v48, v8, s4
	s_wait_alu 0xfffe
	s_mul_i32 s8, s8, s1
	v_min_i32_e32 v14, s16, v14
	s_mul_hi_u32 s8, s1, s8
	v_min_i32_e32 v15, s16, v15
	s_add_co_i32 s1, s1, s8
	v_mul_lo_u32 v50, v10, s4
	s_wait_alu 0xfffe
	v_mul_hi_u32 v28, v26, s1
	v_add_nc_u32_e32 v17, 0x70, v19
	v_mul_lo_u32 v51, v11, s4
	v_bfe_u32 v55, v0, 3, 7
	v_mul_lo_u32 v52, v12, s4
	v_mul_lo_u32 v53, v13, s4
	v_add_nc_u32_e32 v16, 0x68, v19
	v_mul_lo_u32 v54, v14, s4
	v_mul_lo_u32 v29, v28, s0
	v_lshl_add_u32 v21, v19, 2, v55
	v_mul_lo_u32 v56, v15, s4
	v_min_i32_e32 v16, s16, v16
	v_and_b32_e32 v60, 7, v0
	v_dual_mov_b32 v65, 0 :: v_dual_lshlrev_b32 v20, 2, v39
	v_min_i32_e32 v22, s16, v21
	v_sub_nc_u32_e32 v26, v26, v29
	v_add_nc_u32_e32 v29, 1, v28
	v_mul_lo_u32 v57, v16, s4
	v_lshl_add_u32 v67, v19, 7, 0x9280
	v_ashrrev_i32_e32 v23, 31, v22
	v_cmp_le_u32_e32 vcc_lo, s0, v26
	v_add_nc_u32_e32 v3, 16, v19
	v_add_nc_u32_e32 v7, 32, v19
	v_lshl_add_u32 v68, v19, 4, 0x9680
	v_and_b32_e32 v42, 12, v20
	s_wait_alu 0xfffd
	v_dual_cndmask_b32 v28, v28, v29 :: v_dual_add_nc_u32 v9, 48, v19
	v_min_i32_e32 v5, s16, v3
	v_min_i32_e32 v7, s16, v7
	v_mad_co_u64_u32 v[2:3], null, 0x104, v4, v[18:19]
	s_delay_alu instid0(VALU_DEP_4) | instskip(NEXT) | instid1(VALU_DEP_4)
	v_min_i32_e32 v9, s16, v9
	v_mad_co_u64_u32 v[3:4], null, 0x104, v5, v[18:19]
	v_mul_lo_u32 v45, v5, s4
	v_mad_co_u64_u32 v[4:5], null, 0x104, v6, v[18:19]
	v_mad_co_u64_u32 v[5:6], null, 0x104, v7, v[18:19]
	v_mul_lo_u32 v47, v7, s4
	v_mad_co_u64_u32 v[6:7], null, 0x104, v8, v[18:19]
	;; [unrolled: 3-line block ×3, first 2 shown]
	v_mad_co_u64_u32 v[9:10], null, 0x104, v11, v[18:19]
	v_mad_co_u64_u32 v[10:11], null, 0x104, v12, v[18:19]
	;; [unrolled: 1-line block ×5, first 2 shown]
	v_min_i32_e32 v14, s16, v17
	v_add_nc_u32_e32 v17, 0x78, v19
	v_mad_co_u64_u32 v[15:16], null, 0x104, v16, v[18:19]
	v_xor_b32_e32 v29, s10, v38
	s_delay_alu instid0(VALU_DEP_4) | instskip(NEXT) | instid1(VALU_DEP_4)
	v_mul_lo_u32 v58, v14, s4
	v_min_i32_e32 v24, s16, v17
	v_mad_co_u64_u32 v[16:17], null, 0x104, v14, v[18:19]
	v_lshrrev_b32_e32 v14, 30, v23
	v_add_nc_u32_e32 v23, 64, v21
	s_delay_alu instid0(VALU_DEP_4) | instskip(SKIP_2) | instid1(VALU_DEP_4)
	v_mad_co_u64_u32 v[17:18], null, 0x104, v24, v[18:19]
	v_add_nc_u32_e32 v18, 32, v21
	v_add_nc_u32_e32 v21, 0x60, v21
	v_min_i32_e32 v23, s16, v23
	v_add_nc_u32_e32 v14, v22, v14
	v_mul_lo_u32 v59, v24, s4
	v_min_i32_e32 v18, s16, v18
	v_min_i32_e32 v21, s16, v21
	v_ashrrev_i32_e32 v27, 31, v23
	v_and_b32_e32 v14, -4, v14
	v_lshlrev_b32_e32 v24, 2, v60
	v_ashrrev_i32_e32 v25, 31, v18
	v_ashrrev_i32_e32 v30, 31, v21
	v_mul_lo_u32 v63, v18, s4
	v_lshlrev_b32_e32 v31, 5, v18
	v_lshrrev_b32_e32 v27, 30, v27
	v_lshrrev_b32_e32 v25, 30, v25
	v_ashrrev_i32_e32 v29, 31, v29
	v_add3_u32 v14, v14, v24, 0x8200
	v_and_b32_e32 v19, 28, v20
	v_add_nc_u32_e32 v27, v23, v27
	v_add_nc_u32_e32 v25, v18, v25
	v_lshrrev_b32_e32 v18, 30, v30
	v_subrev_nc_u32_e32 v30, s0, v26
	v_add_nc_u32_e32 v70, v68, v20
	v_and_b32_e32 v27, -4, v27
	v_and_b32_e32 v25, -4, v25
	v_add_nc_u32_e32 v18, v21, v18
	v_cndmask_b32_e32 v26, v26, v30, vcc_lo
	v_add_nc_u32_e32 v30, 1, v28
	v_add3_u32 v27, v27, v24, 0x8200
	v_add3_u32 v25, v25, v24, 0x8200
	v_and_b32_e32 v18, -4, v18
	v_cmp_le_u32_e32 vcc_lo, s0, v26
	s_ashr_i32 s6, s6, 5
	v_bfe_u32 v41, v0, 2, 8
	v_mul_lo_u32 v61, v22, s4
	v_add3_u32 v24, v18, v24, 0x8200
	s_wait_alu 0xfffd
	v_cndmask_b32_e32 v26, v28, v30, vcc_lo
	v_and_b32_e32 v18, 31, v0
	v_add_nc_u32_e32 v28, 0x60, v39
	v_and_b32_e32 v0, 0xfc, v0
	v_lshlrev_b32_e32 v22, 5, v22
	v_xor_b32_e32 v26, v26, v29
	v_lshl_or_b32 v69, v18, 2, v67
	v_add_nc_u32_e32 v18, 32, v39
	v_and_b32_e32 v28, 0x1fc, v28
	v_mul_lo_u32 v64, v23, s4
	v_sub_nc_u32_e32 v20, v26, v29
	v_add_nc_u32_e32 v26, 64, v39
	v_and_b32_e32 v29, 0x1fc, v18
	v_lshlrev_b32_e32 v23, 5, v23
	v_mul_lo_u32 v66, v21, s4
	v_cmp_gt_i32_e64 s0, s7, v20
	v_mul_lo_u32 v73, v20, s6
	v_lshlrev_b32_e32 v20, 5, v39
	v_and_b32_e32 v26, 0x1fc, v26
	v_lshlrev_b32_e32 v21, 5, v21
	v_lshrrev_b32_e32 v72, 3, v18
	v_add_co_u32 v18, s1, s2, v19
	v_add_nc_u32_e32 v28, v20, v28
	v_add_nc_u32_e32 v26, v20, v26
	;; [unrolled: 1-line block ×4, first 2 shown]
	v_cmp_gt_u32_e32 vcc_lo, 4, v39
	s_wait_alu 0xf1ff
	v_add_co_ci_u32_e64 v19, null, s3, 0, s1
	s_movk_i32 s1, 0x80
	v_mul_u32_u24_e32 v71, 0x104, v39
	v_ashrrev_i32_e32 v0, 31, v73
	v_add_nc_u32_e32 v74, 0x8e00, v28
	v_add_nc_u32_e32 v75, 0x8a00, v26
	;; [unrolled: 1-line block ×8, first 2 shown]
	s_wait_alu 0xfffe
	v_mad_u32_u24 v82, 0x104, v39, s1
	v_add_nc_u32_e32 v83, v14, v22
	v_add_nc_u32_e32 v84, v25, v31
	;; [unrolled: 1-line block ×4, first 2 shown]
	v_mov_b32_e32 v14, 0
	s_mov_b32 s17, 0
	s_and_b32 s8, vcc_lo, s0
	s_wait_alu 0xfffe
	s_mov_b32 s16, s17
	s_branch .LBB222_5
.LBB222_4:                              ;   in Loop: Header=BB222_5 Depth=1
	s_add_co_i32 s16, s16, 8
	s_wait_alu 0xfffe
	s_cmp_ge_i32 s16, s4
	s_cbranch_scc1 .LBB222_21
.LBB222_5:                              ; =>This Loop Header: Depth=1
                                        ;     Child Loop BB222_11 Depth 2
                                        ;     Child Loop BB222_19 Depth 2
	s_wait_alu 0xfffe
	s_mul_u64 s[18:19], s[16:17], 22
	s_wait_alu 0xfffe
	s_add_nc_u64 s[18:19], s[14:15], s[18:19]
	s_wait_alu 0xfffe
	v_mad_co_u64_u32 v[20:21], null, v41, 22, s[18:19]
	v_mad_co_u64_u32 v[87:88], null, v60, 22, s[18:19]
	s_lshl_b32 s18, s16, 5
	s_wait_alu 0xfffe
	s_cmp_lt_i32 s18, s5
	v_mad_co_i64_i32 v[22:23], null, v43, 22, v[20:21]
	v_mad_co_i64_i32 v[24:25], null, v44, 22, v[20:21]
	;; [unrolled: 1-line block ×4, first 2 shown]
	s_delay_alu instid0(VALU_DEP_4)
	v_add_co_u32 v30, s1, v22, v42
	s_wait_alu 0xf1ff
	v_add_co_ci_u32_e64 v31, null, 0, v23, s1
	v_add_co_u32 v32, s1, v24, v42
	s_wait_alu 0xf1ff
	v_add_co_ci_u32_e64 v33, null, 0, v25, s1
	;; [unrolled: 3-line block ×4, first 2 shown]
	s_clause 0x7
	global_load_b32 v91, v[30:31], off offset:6
	global_load_b32 v92, v[32:33], off offset:6
	;; [unrolled: 1-line block ×8, first 2 shown]
	v_mad_co_i64_i32 v[24:25], null, v61, 22, v[87:88]
	v_mad_co_i64_i32 v[26:27], null, v63, 22, v[87:88]
	;; [unrolled: 1-line block ×6, first 2 shown]
	s_clause 0x3
	global_load_u16 v98, v[24:25], off
	global_load_u16 v99, v[26:27], off
	;; [unrolled: 1-line block ×4, first 2 shown]
	v_mad_co_i64_i32 v[24:25], null, v50, 22, v[20:21]
	v_mad_co_i64_i32 v[34:35], null, v49, 22, v[20:21]
	v_add_co_u32 v26, s1, v22, v42
	s_wait_alu 0xf1ff
	v_add_co_ci_u32_e64 v27, null, 0, v23, s1
	v_add_co_u32 v28, s1, v32, v42
	s_wait_alu 0xf1ff
	v_add_co_ci_u32_e64 v29, null, 0, v33, s1
	s_clause 0x5
	global_load_b32 v102, v[24:25], off offset:2
	global_load_b32 v103, v[34:35], off offset:2
	;; [unrolled: 1-line block ×6, first 2 shown]
	v_add_co_u32 v22, s1, v34, v42
	s_wait_alu 0xf1ff
	v_add_co_ci_u32_e64 v23, null, 0, v35, s1
	v_add_co_u32 v24, s1, v24, v42
	s_wait_alu 0xf1ff
	v_add_co_ci_u32_e64 v25, null, 0, v25, s1
	s_clause 0x1
	global_load_b32 v108, v[22:23], off offset:6
	global_load_b32 v109, v[24:25], off offset:6
	v_mad_co_i64_i32 v[27:28], null, v51, 22, v[20:21]
	v_mad_co_i64_i32 v[29:30], null, v52, 22, v[20:21]
	;; [unrolled: 1-line block ×4, first 2 shown]
	s_delay_alu instid0(VALU_DEP_4)
	v_add_co_u32 v22, s1, v27, v42
	s_wait_alu 0xf1ff
	v_add_co_ci_u32_e64 v23, null, 0, v28, s1
	v_add_co_u32 v24, s1, v29, v42
	s_wait_alu 0xf1ff
	v_add_co_ci_u32_e64 v25, null, 0, v30, s1
	;; [unrolled: 3-line block ×4, first 2 shown]
	s_clause 0x7
	global_load_b32 v110, v[22:23], off offset:6
	global_load_b32 v111, v[24:25], off offset:6
	;; [unrolled: 1-line block ×8, first 2 shown]
	v_mad_co_i64_i32 v[89:90], null, v56, 22, v[20:21]
	s_wait_loadcnt 0x1b
	v_and_b32_e32 v31, 0xf0f0f0f, v91
	v_lshrrev_b32_e32 v32, 4, v91
	s_wait_loadcnt 0x19
	v_and_b32_e32 v87, 0xf0f0f0f, v93
	v_lshrrev_b32_e32 v88, 4, v93
	s_wait_loadcnt 0x17
	v_ashrrev_i32_e32 v91, v42, v94
	s_wait_loadcnt 0x16
	v_ashrrev_i32_e32 v36, v42, v95
	;; [unrolled: 2-line block ×4, first 2 shown]
	v_lshrrev_b32_e32 v35, 4, v92
	v_and_b32_e32 v32, 0xf0f0f0f, v32
	v_lshlrev_b32_e32 v121, 4, v36
	v_lshlrev_b32_e32 v114, 4, v33
	;; [unrolled: 1-line block ×5, first 2 shown]
	v_lshrrev_b32_e32 v118, 12, v33
	v_lshrrev_b32_e32 v119, 5, v33
	s_wait_loadcnt 0x13
	v_cvt_f32_f16_e32 v27, v98
	s_wait_loadcnt 0x12
	v_cvt_f32_f16_e32 v28, v99
	;; [unrolled: 2-line block ×4, first 2 shown]
	v_lshlrev_b32_e32 v99, 4, v30
	v_lshlrev_b32_e32 v100, 11, v30
	;; [unrolled: 1-line block ×8, first 2 shown]
	v_lshrrev_b32_e32 v125, 12, v36
	s_wait_loadcnt 0xd
	v_ashrrev_i32_e32 v96, v42, v104
	s_wait_loadcnt 0xc
	v_ashrrev_i32_e32 v93, v42, v105
	s_wait_loadcnt 0xb
	v_and_b32_e32 v94, 0xf0f0f0f, v106
	v_lshrrev_b32_e32 v95, 4, v106
	v_lshlrev_b32_e32 v104, 25, v30
	v_lshrrev_b32_e32 v105, 12, v30
	v_lshrrev_b32_e32 v106, 5, v30
	s_wait_loadcnt 0xa
	v_and_b32_e32 v97, 0xf0f0f0f, v107
	v_lshrrev_b32_e32 v98, 4, v107
	v_lshlrev_b32_e32 v107, 2, v30
	v_lshlrev_b32_e32 v30, 9, v30
	v_lshrrev_b32_e32 v126, 5, v36
	v_lshlrev_b32_e32 v127, 2, v36
	v_lshlrev_b32_e32 v36, 9, v36
	;; [unrolled: 1-line block ×8, first 2 shown]
	v_lshrrev_b32_e32 v146, 12, v96
	v_lshrrev_b32_e32 v147, 5, v96
	v_lshlrev_b32_e32 v148, 2, v96
	v_lshlrev_b32_e32 v96, 9, v96
	v_and_b32_e32 v99, 16, v99
	v_and_b32_e32 v100, 0x1000, v100
	;; [unrolled: 1-line block ×31, first 2 shown]
	v_or3_b32 v99, v99, v31, v100
	v_or3_b32 v31, v31, v101, v104
	;; [unrolled: 1-line block ×5, first 2 shown]
	v_and_b32_e32 v116, 0x100000, v116
	v_and_b32_e32 v117, 0x10000000, v117
	v_or3_b32 v101, v118, v35, v119
	v_or3_b32 v33, v35, v120, v33
	;; [unrolled: 1-line block ×3, first 2 shown]
	v_lshrrev_b32_e32 v37, 4, v37
	v_lshlrev_b32_e32 v130, 18, v91
	v_lshlrev_b32_e32 v131, 25, v91
	v_lshrrev_b32_e32 v132, 12, v91
	v_lshrrev_b32_e32 v133, 5, v91
	v_lshlrev_b32_e32 v134, 2, v91
	v_lshlrev_b32_e32 v91, 9, v91
	v_and_b32_e32 v123, 0x100000, v123
	v_and_b32_e32 v124, 0x10000000, v124
	v_or3_b32 v104, v125, v88, v126
	v_or3_b32 v36, v88, v127, v36
	;; [unrolled: 1-line block ×5, first 2 shown]
	v_lshrrev_b32_e32 v31, 16, v31
	v_and_b32_e32 v98, 0x1f00, v99
	v_lshlrev_b16 v99, 8, v99
	v_and_b32_e32 v114, 0x1f00, v100
	v_lshlrev_b16 v100, 8, v100
	;; [unrolled: 2-line block ×3, first 2 shown]
	v_or3_b32 v34, v34, v116, v117
	v_and_b32_e32 v117, 0x1f00, v35
	v_lshlrev_b16 v35, 8, v35
	v_and_b32_e32 v37, 0xf0f0f0f, v37
	v_and_b32_e32 v130, 0x100000, v130
	;; [unrolled: 1-line block ×7, first 2 shown]
	v_or3_b32 v87, v87, v123, v124
	v_and_b32_e32 v119, 0x1f00, v88
	v_lshlrev_b16 v88, 8, v88
	v_add_nc_u16 v98, 0xf000, v98
	v_add_nc_u16 v99, 0xf000, v99
	v_and_b32_e32 v124, 0x1f00, v31
	v_lshlrev_b16 v31, 8, v31
	v_add_nc_u16 v100, 0xf000, v100
	v_add_nc_u16 v32, 0xf000, v32
	;; [unrolled: 1-line block ×3, first 2 shown]
	v_or3_b32 v92, v92, v130, v131
	v_or3_b32 v105, v132, v37, v133
	v_or3_b32 v37, v37, v134, v91
	v_lshrrev_b32_e32 v30, 16, v30
	v_add_nc_u16 v88, 0xf000, v88
	v_perm_b32 v98, v99, v98, 0xc0c0105
	v_add_nc_u16 v99, 0xf000, v124
	v_add_nc_u16 v31, 0xf000, v31
	v_lshrrev_b16 v100, 8, v100
	v_lshrrev_b32_e32 v34, 16, v34
	v_lshrrev_b32_e32 v33, 16, v33
	v_and_b32_e32 v116, 0x1f00, v101
	v_lshlrev_b16 v101, 8, v101
	v_lshrrev_b16 v32, 8, v32
	v_lshrrev_b32_e32 v87, 16, v87
	v_lshrrev_b32_e32 v36, 16, v36
	v_and_b32_e32 v118, 0x1f00, v104
	v_lshlrev_b16 v104, 8, v104
	;; [unrolled: 5-line block ×3, first 2 shown]
	v_and_b32_e32 v125, 0x1f00, v30
	v_lshlrev_b16 v30, 8, v30
	v_lshrrev_b16 v88, 8, v88
	v_perm_b32 v31, v31, v99, 0xc0c0105
	v_or_b32_e32 v99, v114, v100
	v_and_b32_e32 v126, 0x1f00, v34
	v_lshlrev_b16 v34, 8, v34
	v_add_nc_u16 v116, 0xf000, v116
	v_add_nc_u16 v101, 0xf000, v101
	v_and_b32_e32 v127, 0x1f00, v33
	v_lshlrev_b16 v33, 8, v33
	v_or_b32_e32 v32, v115, v32
	v_and_b32_e32 v128, 0x1f00, v87
	v_lshlrev_b16 v87, 8, v87
	v_add_nc_u16 v118, 0xf000, v118
	v_add_nc_u16 v104, 0xf000, v104
	v_and_b32_e32 v129, 0x1f00, v36
	v_lshlrev_b16 v36, 8, v36
	;; [unrolled: 7-line block ×3, first 2 shown]
	v_add_nc_u16 v124, 0xf000, v125
	v_add_nc_u16 v30, 0xf000, v30
	v_or_b32_e32 v88, v119, v88
	v_lshl_or_b32 v31, v31, 16, v98
	v_add_nc_u16 v98, 0xf000, v99
	v_add_nc_u16 v125, 0xf000, v126
	v_add_nc_u16 v34, 0xf000, v34
	v_perm_b32 v101, v101, v116, 0xc0c0105
	v_add_nc_u16 v116, 0xf000, v127
	v_add_nc_u16 v33, 0xf000, v33
	v_add_nc_u16 v32, 0xf000, v32
	v_add_nc_u16 v126, 0xf000, v128
	v_add_nc_u16 v87, 0xf000, v87
	v_perm_b32 v104, v104, v118, 0xc0c0105
	v_add_nc_u16 v118, 0xf000, v129
	v_add_nc_u16 v36, 0xf000, v36
	;; [unrolled: 6-line block ×3, first 2 shown]
	v_perm_b32 v30, v30, v124, 0xc0c0105
	v_add_nc_u16 v88, 0xf000, v88
	v_and_b32_e32 v98, 0xffff, v98
	v_perm_b32 v34, v34, v125, 0xc0c0105
	v_perm_b32 v33, v33, v116, 0xc0c0105
	v_and_b32_e32 v32, 0xffff, v32
	v_perm_b32 v87, v87, v126, 0xc0c0105
	v_perm_b32 v36, v36, v118, 0xc0c0105
	;; [unrolled: 3-line block ×3, first 2 shown]
	v_and_b32_e32 v88, 0xffff, v88
	v_lshl_or_b32 v30, v30, 16, v98
	v_lshl_or_b32 v33, v33, 16, v101
	;; [unrolled: 1-line block ×7, first 2 shown]
	ds_store_2addr_b32 v1, v31, v30 offset1:1
	ds_store_b32 v83, v27
	ds_store_2addr_b32 v2, v32, v33 offset1:1
	ds_store_b32 v84, v28
	;; [unrolled: 2-line block ×3, first 2 shown]
	ds_store_2addr_b32 v4, v35, v37 offset1:1
	v_mad_co_i64_i32 v[27:28], null, v57, 22, v[20:21]
	v_mad_co_i64_i32 v[31:32], null, v58, 22, v[20:21]
	;; [unrolled: 1-line block ×3, first 2 shown]
	v_add_co_u32 v29, s1, v89, v42
	s_wait_alu 0xf1ff
	v_add_co_ci_u32_e64 v30, null, 0, v90, s1
	v_add_co_u32 v33, s1, v27, v42
	s_wait_alu 0xf1ff
	v_add_co_ci_u32_e64 v34, null, 0, v28, s1
	v_add_co_u32 v35, s1, v31, v42
	v_lshlrev_b32_e32 v135, 4, v93
	v_lshlrev_b32_e32 v136, 11, v93
	s_wait_alu 0xf1ff
	v_add_co_ci_u32_e64 v36, null, 0, v32, s1
	v_add_co_u32 v87, s1, v20, v42
	s_wait_alu 0xf1ff
	v_add_co_ci_u32_e64 v88, null, 0, v21, s1
	v_and_b32_e32 v135, 16, v135
	v_and_b32_e32 v136, 0x1000, v136
	s_clause 0x7
	global_load_b32 v29, v[29:30], off offset:6
	global_load_b32 v30, v[33:34], off offset:6
	;; [unrolled: 1-line block ×8, first 2 shown]
	v_lshlrev_b32_e32 v137, 18, v93
	v_lshlrev_b32_e32 v138, 25, v93
	v_lshrrev_b32_e32 v139, 12, v93
	v_or3_b32 v91, v135, v94, v136
	v_lshrrev_b32_e32 v140, 5, v93
	v_and_b32_e32 v137, 0x100000, v137
	v_and_b32_e32 v138, 0x10000000, v138
	v_lshlrev_b32_e32 v141, 2, v93
	v_and_b32_e32 v121, 0x1f00, v91
	v_lshlrev_b16 v91, 8, v91
	v_lshlrev_b32_e32 v93, 9, v93
	v_or3_b32 v94, v94, v137, v138
	v_and_b32_e32 v95, 0xf0f0f0f, v95
	v_and_b32_e32 v139, 16, v139
	v_add_nc_u16 v91, 0xf000, v91
	v_and_b32_e32 v140, 0x1000, v140
	v_and_b32_e32 v141, 0x100000, v141
	;; [unrolled: 1-line block ×5, first 2 shown]
	v_lshrrev_b32_e32 v94, 16, v94
	v_lshrrev_b16 v91, 8, v91
	v_or3_b32 v106, v139, v95, v140
	v_or3_b32 v93, v95, v141, v93
	;; [unrolled: 1-line block ×3, first 2 shown]
	v_and_b32_e32 v132, 0x1f00, v94
	v_lshlrev_b16 v94, 8, v94
	v_or_b32_e32 v91, v121, v91
	v_and_b32_e32 v144, 0x100000, v144
	v_and_b32_e32 v145, 0x10000000, v145
	;; [unrolled: 1-line block ×3, first 2 shown]
	v_lshlrev_b16 v95, 8, v95
	v_add_nc_u16 v128, 0xf000, v132
	v_add_nc_u16 v94, 0xf000, v94
	;; [unrolled: 1-line block ×3, first 2 shown]
	v_or3_b32 v97, v97, v144, v145
	v_add_nc_u16 v92, 0xf000, v95
	v_lshlrev_b16 v95, 8, v107
	v_perm_b32 v94, v94, v128, 0xc0c0105
	v_and_b32_e32 v91, 0xffff, v91
	v_lshrrev_b32_e32 v97, 16, v97
	v_lshrrev_b32_e32 v93, 16, v93
	v_add_nc_u16 v95, 0xf000, v95
	v_and_b32_e32 v122, 0x1f00, v106
	v_lshl_or_b32 v91, v94, 16, v91
	v_lshrrev_b32_e32 v94, 16, v96
	v_lshlrev_b16 v106, 8, v106
	v_and_b32_e32 v31, 0x1f00, v107
	v_lshrrev_b16 v32, 8, v95
	v_and_b32_e32 v35, 0x1f00, v97
	v_lshlrev_b16 v36, 8, v97
	v_and_b32_e32 v87, 0x1f00, v94
	v_lshlrev_b16 v88, 8, v94
	v_add_nc_u16 v122, 0xf000, v122
	v_add_nc_u16 v106, 0xf000, v106
	v_and_b32_e32 v133, 0x1f00, v93
	v_lshlrev_b16 v93, 8, v93
	v_add_nc_u16 v37, 0xf000, v123
	v_or_b32_e32 v31, v31, v32
	v_add_nc_u16 v32, 0xf000, v35
	v_add_nc_u16 v35, 0xf000, v36
	;; [unrolled: 1-line block ×4, first 2 shown]
	v_ashrrev_i32_e32 v88, v42, v103
	v_perm_b32 v106, v106, v122, 0xc0c0105
	v_add_nc_u16 v122, 0xf000, v133
	v_add_nc_u16 v93, 0xf000, v93
	v_perm_b32 v37, v92, v37, 0xc0c0105
	v_perm_b32 v32, v35, v32, 0xc0c0105
	;; [unrolled: 1-line block ×3, first 2 shown]
	v_lshlrev_b32_e32 v87, 11, v88
	v_perm_b32 v93, v93, v122, 0xc0c0105
	v_add_nc_u16 v31, 0xf000, v31
	v_lshl_or_b32 v32, v32, 16, v37
	v_lshrrev_b32_e32 v89, 12, v88
	v_and_b32_e32 v37, 0x1000, v87
	s_wait_loadcnt 0x11
	v_lshrrev_b32_e32 v87, 4, v108
	v_lshrrev_b32_e32 v90, 5, v88
	v_lshl_or_b32 v93, v93, 16, v106
	v_and_b32_e32 v31, 0xffff, v31
	v_lshlrev_b32_e32 v36, 4, v88
	v_and_b32_e32 v87, 0xf0f0f0f, v87
	v_and_b32_e32 v89, 16, v89
	;; [unrolled: 1-line block ×3, first 2 shown]
	ds_store_2addr_b32 v5, v91, v93 offset1:1
	v_lshl_or_b32 v31, v35, 16, v31
	v_and_b32_e32 v35, 0xf0f0f0f, v108
	v_and_b32_e32 v36, 16, v36
	v_lshlrev_b32_e32 v91, 18, v88
	v_lshlrev_b32_e32 v92, 25, v88
	;; [unrolled: 1-line block ×4, first 2 shown]
	v_or3_b32 v89, v89, v87, v90
	v_and_b32_e32 v91, 0x100000, v91
	v_and_b32_e32 v92, 0x10000000, v92
	v_or3_b32 v36, v36, v35, v37
	v_and_b32_e32 v37, 0x100000, v93
	v_and_b32_e32 v88, 0x10000000, v88
	v_lshlrev_b16 v90, 8, v89
	v_or3_b32 v35, v35, v91, v92
	v_and_b32_e32 v91, 0x1f00, v36
	v_and_b32_e32 v89, 0x1f00, v89
	v_or3_b32 v37, v87, v37, v88
	v_add_nc_u16 v87, 0xf000, v90
	v_lshrrev_b32_e32 v35, 16, v35
	v_lshlrev_b16 v36, 8, v36
	v_add_nc_u16 v88, 0xf000, v91
	v_lshrrev_b32_e32 v37, 16, v37
	v_lshrrev_b16 v87, 8, v87
	v_and_b32_e32 v90, 0x1f00, v35
	v_lshlrev_b16 v35, 8, v35
	v_add_nc_u16 v36, 0xf000, v36
	v_and_b32_e32 v91, 0x1f00, v37
	v_lshlrev_b16 v37, 8, v37
	v_or_b32_e32 v87, v89, v87
	v_add_nc_u16 v89, 0xf000, v90
	v_add_nc_u16 v35, 0xf000, v35
	;; [unrolled: 1-line block ×5, first 2 shown]
	v_perm_b32 v36, v36, v88, 0xc0c0105
	v_ashrrev_i32_e32 v88, v42, v102
	v_perm_b32 v35, v35, v89, 0xc0c0105
	v_perm_b32 v37, v37, v90, 0xc0c0105
	v_and_b32_e32 v87, 0xffff, v87
	ds_store_2addr_b32 v6, v32, v31 offset1:1
	v_lshrrev_b32_e32 v89, 12, v88
	v_lshl_or_b32 v35, v35, 16, v36
	v_lshrrev_b32_e32 v90, 5, v88
	v_lshl_or_b32 v36, v37, 16, v87
	s_wait_loadcnt 0x10
	v_lshrrev_b32_e32 v87, 4, v109
	v_lshlrev_b32_e32 v31, 4, v88
	v_lshlrev_b32_e32 v32, 11, v88
	v_and_b32_e32 v89, 16, v89
	v_and_b32_e32 v90, 0x1000, v90
	;; [unrolled: 1-line block ×6, first 2 shown]
	v_lshlrev_b32_e32 v91, 18, v88
	v_lshlrev_b32_e32 v92, 25, v88
	;; [unrolled: 1-line block ×4, first 2 shown]
	v_or3_b32 v89, v89, v87, v90
	v_and_b32_e32 v91, 0x100000, v91
	v_and_b32_e32 v92, 0x10000000, v92
	v_or3_b32 v31, v31, v37, v32
	v_and_b32_e32 v32, 0x100000, v93
	v_and_b32_e32 v88, 0x10000000, v88
	v_lshlrev_b16 v90, 8, v89
	v_or3_b32 v37, v37, v91, v92
	v_and_b32_e32 v91, 0x1f00, v31
	v_and_b32_e32 v89, 0x1f00, v89
	v_or3_b32 v32, v87, v32, v88
	v_add_nc_u16 v87, 0xf000, v90
	v_lshrrev_b32_e32 v37, 16, v37
	v_lshlrev_b16 v31, 8, v31
	v_add_nc_u16 v88, 0xf000, v91
	v_lshrrev_b32_e32 v32, 16, v32
	v_lshrrev_b16 v87, 8, v87
	v_and_b32_e32 v90, 0x1f00, v37
	v_add_nc_u16 v31, 0xf000, v31
	v_lshlrev_b16 v37, 8, v37
	v_and_b32_e32 v91, 0x1f00, v32
	v_lshlrev_b16 v32, 8, v32
	v_or_b32_e32 v87, v89, v87
	v_add_nc_u16 v89, 0xf000, v90
	v_add_nc_u16 v37, 0xf000, v37
	;; [unrolled: 1-line block ×5, first 2 shown]
	v_perm_b32 v31, v31, v88, 0xc0c0105
	s_wait_loadcnt 0x8
	v_ashrrev_i32_e32 v88, v42, v113
	v_perm_b32 v37, v37, v89, 0xc0c0105
	v_perm_b32 v32, v32, v90, 0xc0c0105
	v_and_b32_e32 v87, 0xffff, v87
	ds_store_2addr_b32 v7, v35, v36 offset1:1
	v_lshrrev_b32_e32 v89, 12, v88
	v_lshrrev_b32_e32 v90, 5, v88
	v_lshlrev_b32_e32 v35, 4, v88
	v_lshl_or_b32 v32, v32, 16, v87
	v_lshrrev_b32_e32 v87, 4, v110
	v_lshlrev_b32_e32 v36, 11, v88
	v_and_b32_e32 v89, 16, v89
	v_and_b32_e32 v90, 0x1000, v90
	v_lshl_or_b32 v31, v37, 16, v31
	v_and_b32_e32 v87, 0xf0f0f0f, v87
	v_and_b32_e32 v37, 0xf0f0f0f, v110
	v_and_b32_e32 v35, 16, v35
	v_and_b32_e32 v36, 0x1000, v36
	v_lshlrev_b32_e32 v91, 18, v88
	v_lshlrev_b32_e32 v92, 25, v88
	;; [unrolled: 1-line block ×4, first 2 shown]
	v_or3_b32 v89, v89, v87, v90
	v_and_b32_e32 v91, 0x100000, v91
	v_and_b32_e32 v92, 0x10000000, v92
	v_or3_b32 v35, v35, v37, v36
	v_and_b32_e32 v36, 0x100000, v93
	v_and_b32_e32 v88, 0x10000000, v88
	v_lshlrev_b16 v90, 8, v89
	v_or3_b32 v37, v37, v91, v92
	v_and_b32_e32 v91, 0x1f00, v35
	v_and_b32_e32 v89, 0x1f00, v89
	v_or3_b32 v36, v87, v36, v88
	v_add_nc_u16 v87, 0xf000, v90
	v_lshrrev_b32_e32 v37, 16, v37
	v_lshlrev_b16 v35, 8, v35
	v_add_nc_u16 v88, 0xf000, v91
	v_lshrrev_b32_e32 v36, 16, v36
	v_lshrrev_b16 v87, 8, v87
	v_and_b32_e32 v90, 0x1f00, v37
	v_add_nc_u16 v35, 0xf000, v35
	v_lshlrev_b16 v37, 8, v37
	v_and_b32_e32 v91, 0x1f00, v36
	v_lshlrev_b16 v36, 8, v36
	v_or_b32_e32 v87, v89, v87
	v_add_nc_u16 v89, 0xf000, v90
	v_add_nc_u16 v37, 0xf000, v37
	;; [unrolled: 1-line block ×5, first 2 shown]
	v_perm_b32 v35, v35, v88, 0xc0c0105
	v_ashrrev_i32_e32 v88, v42, v112
	v_perm_b32 v37, v37, v89, 0xc0c0105
	v_perm_b32 v36, v36, v90, 0xc0c0105
	v_and_b32_e32 v87, 0xffff, v87
	ds_store_2addr_b32 v8, v31, v32 offset1:1
	v_lshrrev_b32_e32 v89, 12, v88
	v_lshrrev_b32_e32 v90, 5, v88
	v_lshlrev_b32_e32 v31, 4, v88
	v_lshl_or_b32 v36, v36, 16, v87
	v_lshrrev_b32_e32 v87, 4, v111
	v_lshlrev_b32_e32 v32, 11, v88
	v_and_b32_e32 v89, 16, v89
	v_and_b32_e32 v90, 0x1000, v90
	v_lshl_or_b32 v35, v37, 16, v35
	v_and_b32_e32 v87, 0xf0f0f0f, v87
	v_and_b32_e32 v37, 0xf0f0f0f, v111
	;; [unrolled: 1-line block ×4, first 2 shown]
	v_lshlrev_b32_e32 v91, 18, v88
	v_lshlrev_b32_e32 v92, 25, v88
	;; [unrolled: 1-line block ×4, first 2 shown]
	v_or3_b32 v89, v89, v87, v90
	v_and_b32_e32 v91, 0x100000, v91
	v_and_b32_e32 v92, 0x10000000, v92
	v_or3_b32 v31, v31, v37, v32
	v_and_b32_e32 v32, 0x100000, v93
	v_and_b32_e32 v88, 0x10000000, v88
	v_lshlrev_b16 v90, 8, v89
	v_or3_b32 v37, v37, v91, v92
	v_and_b32_e32 v91, 0x1f00, v31
	v_and_b32_e32 v89, 0x1f00, v89
	v_or3_b32 v32, v87, v32, v88
	v_add_nc_u16 v87, 0xf000, v90
	v_lshrrev_b32_e32 v37, 16, v37
	v_lshlrev_b16 v31, 8, v31
	v_add_nc_u16 v88, 0xf000, v91
	v_lshrrev_b32_e32 v32, 16, v32
	v_lshrrev_b16 v87, 8, v87
	v_and_b32_e32 v90, 0x1f00, v37
	v_lshlrev_b16 v37, 8, v37
	v_add_nc_u16 v31, 0xf000, v31
	v_and_b32_e32 v91, 0x1f00, v32
	v_lshlrev_b16 v32, 8, v32
	v_or_b32_e32 v87, v89, v87
	v_add_nc_u16 v89, 0xf000, v90
	v_add_nc_u16 v37, 0xf000, v37
	;; [unrolled: 1-line block ×5, first 2 shown]
	v_perm_b32 v31, v31, v88, 0xc0c0105
	v_ashrrev_i32_e32 v26, v42, v26
	v_perm_b32 v37, v37, v89, 0xc0c0105
	v_perm_b32 v32, v32, v90, 0xc0c0105
	v_and_b32_e32 v87, 0xffff, v87
	ds_store_2addr_b32 v9, v35, v36 offset1:1
	v_lshrrev_b32_e32 v88, 5, v26
	v_lshl_or_b32 v31, v37, 16, v31
	v_and_b32_e32 v37, 0xf0f0f0f, v25
	v_lshl_or_b32 v32, v32, 16, v87
	v_lshrrev_b32_e32 v25, 4, v25
	v_lshrrev_b32_e32 v87, 12, v26
	v_lshlrev_b32_e32 v35, 4, v26
	v_lshlrev_b32_e32 v36, 11, v26
	v_and_b32_e32 v88, 0x1000, v88
	v_and_b32_e32 v25, 0xf0f0f0f, v25
	;; [unrolled: 1-line block ×5, first 2 shown]
	v_lshlrev_b32_e32 v89, 18, v26
	v_lshlrev_b32_e32 v90, 25, v26
	;; [unrolled: 1-line block ×4, first 2 shown]
	v_or3_b32 v87, v87, v25, v88
	v_and_b32_e32 v89, 0x100000, v89
	v_and_b32_e32 v90, 0x10000000, v90
	v_or3_b32 v35, v35, v37, v36
	v_and_b32_e32 v36, 0x100000, v91
	v_and_b32_e32 v26, 0x10000000, v26
	v_lshlrev_b16 v88, 8, v87
	v_or3_b32 v37, v37, v89, v90
	v_and_b32_e32 v89, 0x1f00, v35
	v_and_b32_e32 v87, 0x1f00, v87
	v_or3_b32 v25, v25, v36, v26
	v_add_nc_u16 v36, 0xf000, v88
	v_lshrrev_b32_e32 v26, 16, v37
	v_lshlrev_b16 v35, 8, v35
	v_add_nc_u16 v37, 0xf000, v89
	v_lshrrev_b32_e32 v25, 16, v25
	v_lshrrev_b16 v36, 8, v36
	v_and_b32_e32 v88, 0x1f00, v26
	v_lshlrev_b16 v26, 8, v26
	v_add_nc_u16 v35, 0xf000, v35
	v_and_b32_e32 v89, 0x1f00, v25
	v_lshlrev_b16 v25, 8, v25
	v_or_b32_e32 v36, v87, v36
	v_add_nc_u16 v87, 0xf000, v88
	v_add_nc_u16 v26, 0xf000, v26
	;; [unrolled: 1-line block ×5, first 2 shown]
	v_perm_b32 v35, v35, v37, 0xc0c0105
	v_ashrrev_i32_e32 v24, v42, v24
	v_perm_b32 v26, v26, v87, 0xc0c0105
	v_perm_b32 v25, v25, v88, 0xc0c0105
	v_and_b32_e32 v36, 0xffff, v36
	ds_store_2addr_b32 v10, v31, v32 offset1:1
	v_lshrrev_b32_e32 v37, 5, v24
	v_lshl_or_b32 v26, v26, 16, v35
	v_and_b32_e32 v35, 0xf0f0f0f, v23
	v_lshl_or_b32 v25, v25, 16, v36
	v_lshrrev_b32_e32 v23, 4, v23
	v_lshrrev_b32_e32 v36, 12, v24
	v_lshlrev_b32_e32 v31, 4, v24
	v_lshlrev_b32_e32 v32, 11, v24
	v_lshlrev_b32_e32 v87, 18, v24
	v_lshlrev_b32_e32 v88, 25, v24
	v_and_b32_e32 v23, 0xf0f0f0f, v23
	v_and_b32_e32 v36, 16, v36
	;; [unrolled: 1-line block ×6, first 2 shown]
	v_lshlrev_b32_e32 v89, 2, v24
	v_lshlrev_b32_e32 v24, 9, v24
	v_and_b32_e32 v88, 0x10000000, v88
	v_or3_b32 v36, v36, v23, v37
	v_or3_b32 v31, v31, v35, v32
	v_and_b32_e32 v32, 0x100000, v89
	v_and_b32_e32 v24, 0x10000000, v24
	v_or3_b32 v35, v35, v87, v88
	v_lshlrev_b16 v37, 8, v36
	v_and_b32_e32 v87, 0x1f00, v31
	v_lshlrev_b16 v31, 8, v31
	v_or3_b32 v23, v23, v32, v24
	v_lshrrev_b32_e32 v24, 16, v35
	v_add_nc_u16 v32, 0xf000, v37
	v_and_b32_e32 v36, 0x1f00, v36
	v_add_nc_u16 v35, 0xf000, v87
	v_lshrrev_b32_e32 v23, 16, v23
	v_and_b32_e32 v37, 0x1f00, v24
	v_lshrrev_b16 v32, 8, v32
	v_lshlrev_b16 v24, 8, v24
	v_add_nc_u16 v31, 0xf000, v31
	v_and_b32_e32 v87, 0x1f00, v23
	v_lshlrev_b16 v23, 8, v23
	v_or_b32_e32 v32, v36, v32
	v_add_nc_u16 v36, 0xf000, v37
	v_add_nc_u16 v24, 0xf000, v24
	;; [unrolled: 1-line block ×5, first 2 shown]
	v_perm_b32 v31, v31, v35, 0xc0c0105
	s_wait_loadcnt 0x0
	v_ashrrev_i32_e32 v28, v42, v28
	v_perm_b32 v24, v24, v36, 0xc0c0105
	v_perm_b32 v23, v23, v37, 0xc0c0105
	v_and_b32_e32 v32, 0xffff, v32
	ds_store_2addr_b32 v11, v26, v25 offset1:1
	v_lshlrev_b32_e32 v25, 4, v28
	v_lshl_or_b32 v24, v24, 16, v31
	v_lshlrev_b32_e32 v26, 11, v28
	v_and_b32_e32 v31, 0xf0f0f0f, v29
	v_lshrrev_b32_e32 v29, 4, v29
	v_lshrrev_b32_e32 v35, 12, v28
	;; [unrolled: 1-line block ×3, first 2 shown]
	v_lshl_or_b32 v23, v23, 16, v32
	v_and_b32_e32 v25, 16, v25
	v_lshlrev_b32_e32 v32, 18, v28
	v_and_b32_e32 v26, 0x1000, v26
	v_lshlrev_b32_e32 v37, 25, v28
	v_and_b32_e32 v29, 0xf0f0f0f, v29
	v_and_b32_e32 v35, 16, v35
	;; [unrolled: 1-line block ×4, first 2 shown]
	v_lshlrev_b32_e32 v87, 2, v28
	v_lshlrev_b32_e32 v28, 9, v28
	v_and_b32_e32 v37, 0x10000000, v37
	v_or3_b32 v25, v25, v31, v26
	v_or3_b32 v26, v35, v29, v36
	v_and_b32_e32 v35, 0x100000, v87
	v_and_b32_e32 v28, 0x10000000, v28
	v_or3_b32 v31, v31, v32, v37
	v_and_b32_e32 v32, 0x1f00, v25
	v_lshlrev_b16 v36, 8, v26
	v_and_b32_e32 v26, 0x1f00, v26
	v_or3_b32 v28, v29, v35, v28
	v_lshrrev_b32_e32 v29, 16, v31
	v_add_nc_u16 v31, 0xf000, v32
	v_add_nc_u16 v32, 0xf000, v36
	v_lshlrev_b16 v25, 8, v25
	v_lshrrev_b32_e32 v28, 16, v28
	v_and_b32_e32 v35, 0x1f00, v29
	v_lshlrev_b16 v29, 8, v29
	v_lshrrev_b16 v32, 8, v32
	v_add_nc_u16 v25, 0xf000, v25
	v_and_b32_e32 v36, 0x1f00, v28
	v_lshlrev_b16 v28, 8, v28
	v_add_nc_u16 v35, 0xf000, v35
	v_or_b32_e32 v26, v26, v32
	v_add_nc_u16 v29, 0xf000, v29
	v_add_nc_u16 v32, 0xf000, v36
	v_ashrrev_i32_e32 v27, v42, v27
	v_add_nc_u16 v28, 0xf000, v28
	v_add_nc_u16 v26, 0xf000, v26
	v_perm_b32 v25, v25, v31, 0xc0c0105
	v_perm_b32 v29, v29, v35, 0xc0c0105
	v_lshlrev_b32_e32 v36, 18, v27
	v_perm_b32 v28, v28, v32, 0xc0c0105
	v_and_b32_e32 v26, 0xffff, v26
	v_lshlrev_b32_e32 v37, 25, v27
	v_lshlrev_b32_e32 v31, 4, v27
	;; [unrolled: 1-line block ×3, first 2 shown]
	v_and_b32_e32 v35, 0xf0f0f0f, v30
	v_lshl_or_b32 v25, v29, 16, v25
	v_lshl_or_b32 v26, v28, 16, v26
	v_and_b32_e32 v28, 0x100000, v36
	v_and_b32_e32 v29, 0x10000000, v37
	;; [unrolled: 1-line block ×4, first 2 shown]
	ds_store_2addr_b32 v12, v24, v23 offset1:1
	ds_store_2addr_b32 v13, v25, v26 offset1:1
	v_lshrrev_b32_e32 v23, 4, v30
	v_or3_b32 v24, v35, v28, v29
	v_lshlrev_b32_e32 v26, 2, v27
	v_lshlrev_b32_e32 v28, 9, v27
	v_lshrrev_b32_e32 v29, 12, v27
	v_lshrrev_b32_e32 v27, 5, v27
	v_or3_b32 v31, v31, v35, v32
	v_and_b32_e32 v23, 0xf0f0f0f, v23
	v_and_b32_e32 v26, 0x100000, v26
	;; [unrolled: 1-line block ×6, first 2 shown]
	v_lshrrev_b32_e32 v24, 16, v24
	v_or3_b32 v26, v23, v26, v28
	v_lshlrev_b16 v28, 8, v31
	v_or3_b32 v23, v29, v23, v27
	v_add_nc_u16 v25, 0xf000, v25
	v_and_b32_e32 v30, 0x1f00, v24
	v_lshlrev_b16 v24, 8, v24
	v_lshrrev_b32_e32 v26, 16, v26
	v_add_nc_u16 v27, 0xf000, v28
	v_lshlrev_b16 v29, 8, v23
	v_add_nc_u16 v28, 0xf000, v30
	v_add_nc_u16 v24, 0xf000, v24
	v_and_b32_e32 v30, 0x1f00, v26
	v_perm_b32 v25, v27, v25, 0xc0c0105
	v_ashrrev_i32_e32 v21, v42, v21
	v_add_nc_u16 v27, 0xf000, v29
	v_perm_b32 v24, v24, v28, 0xc0c0105
	v_add_nc_u16 v28, 0xf000, v30
	v_lshlrev_b16 v26, 8, v26
	v_lshlrev_b32_e32 v29, 4, v21
	v_and_b32_e32 v23, 0x1f00, v23
	v_lshrrev_b16 v27, 8, v27
	v_lshlrev_b32_e32 v30, 11, v21
	v_lshlrev_b32_e32 v32, 18, v21
	;; [unrolled: 1-line block ×3, first 2 shown]
	v_and_b32_e32 v31, 0xf0f0f0f, v33
	v_and_b32_e32 v29, 16, v29
	;; [unrolled: 1-line block ×3, first 2 shown]
	v_add_nc_u16 v26, 0xf000, v26
	v_or_b32_e32 v23, v23, v27
	v_and_b32_e32 v27, 0x100000, v32
	v_and_b32_e32 v32, 0x10000000, v35
	v_or3_b32 v29, v29, v31, v30
	v_lshl_or_b32 v24, v24, 16, v25
	v_perm_b32 v25, v26, v28, 0xc0c0105
	v_lshrrev_b32_e32 v28, 4, v33
	v_or3_b32 v26, v31, v27, v32
	v_lshrrev_b32_e32 v30, 12, v21
	v_lshrrev_b32_e32 v31, 5, v21
	v_lshlrev_b32_e32 v32, 2, v21
	v_lshlrev_b32_e32 v21, 9, v21
	v_and_b32_e32 v28, 0xf0f0f0f, v28
	v_and_b32_e32 v30, 16, v30
	;; [unrolled: 1-line block ×6, first 2 shown]
	v_lshlrev_b16 v29, 8, v29
	v_lshrrev_b32_e32 v26, 16, v26
	v_or3_b32 v30, v30, v28, v31
	v_or3_b32 v21, v28, v32, v21
	v_add_nc_u16 v27, 0xf000, v27
	v_add_nc_u16 v28, 0xf000, v29
	v_and_b32_e32 v29, 0x1f00, v26
	v_lshlrev_b16 v31, 8, v30
	v_lshrrev_b32_e32 v21, 16, v21
	v_lshlrev_b16 v26, 8, v26
	v_perm_b32 v27, v28, v27, 0xc0c0105
	v_add_nc_u16 v28, 0xf000, v29
	v_add_nc_u16 v29, 0xf000, v31
	v_and_b32_e32 v31, 0x1f00, v21
	v_lshlrev_b16 v21, 8, v21
	v_ashrrev_i32_e32 v20, v42, v20
	v_and_b32_e32 v30, 0x1f00, v30
	v_lshrrev_b16 v29, 8, v29
	v_add_nc_u16 v31, 0xf000, v31
	v_add_nc_u16 v21, 0xf000, v21
	;; [unrolled: 1-line block ×3, first 2 shown]
	v_lshrrev_b32_e32 v32, 4, v34
	v_lshrrev_b32_e32 v33, 12, v20
	v_or_b32_e32 v29, v30, v29
	v_perm_b32 v21, v21, v31, 0xc0c0105
	v_and_b32_e32 v31, 0xf0f0f0f, v34
	v_lshrrev_b32_e32 v34, 5, v20
	v_perm_b32 v26, v26, v28, 0xc0c0105
	v_lshlrev_b32_e32 v28, 4, v20
	v_lshlrev_b32_e32 v30, 11, v20
	;; [unrolled: 1-line block ×4, first 2 shown]
	v_and_b32_e32 v32, 0xf0f0f0f, v32
	v_and_b32_e32 v33, 16, v33
	;; [unrolled: 1-line block ×6, first 2 shown]
	v_lshlrev_b32_e32 v37, 2, v20
	v_lshlrev_b32_e32 v20, 9, v20
	v_and_b32_e32 v36, 0x10000000, v36
	v_or3_b32 v33, v33, v32, v34
	v_or3_b32 v28, v28, v31, v30
	v_and_b32_e32 v30, 0x100000, v37
	v_and_b32_e32 v20, 0x10000000, v20
	v_or3_b32 v31, v31, v35, v36
	v_lshlrev_b16 v34, 8, v33
	v_and_b32_e32 v35, 0x1f00, v28
	v_and_b32_e32 v33, 0x1f00, v33
	v_or3_b32 v20, v32, v30, v20
	v_lshrrev_b32_e32 v30, 16, v31
	v_add_nc_u16 v31, 0xf000, v34
	v_lshlrev_b16 v28, 8, v28
	v_add_nc_u16 v32, 0xf000, v35
	v_lshrrev_b32_e32 v20, 16, v20
	v_and_b32_e32 v34, 0x1f00, v30
	v_lshrrev_b16 v31, 8, v31
	v_lshlrev_b16 v30, 8, v30
	v_add_nc_u16 v23, 0xf000, v23
	v_and_b32_e32 v35, 0x1f00, v20
	v_lshlrev_b16 v20, 8, v20
	v_or_b32_e32 v31, v33, v31
	v_add_nc_u16 v29, 0xf000, v29
	v_add_nc_u16 v28, 0xf000, v28
	;; [unrolled: 1-line block ×7, first 2 shown]
	v_and_b32_e32 v23, 0xffff, v23
	v_and_b32_e32 v29, 0xffff, v29
	v_perm_b32 v28, v28, v32, 0xc0c0105
	v_perm_b32 v30, v30, v33, 0xc0c0105
	;; [unrolled: 1-line block ×3, first 2 shown]
	v_and_b32_e32 v31, 0xffff, v31
	v_lshl_or_b32 v23, v25, 16, v23
	v_lshl_or_b32 v25, v26, 16, v27
	;; [unrolled: 1-line block ×5, first 2 shown]
	ds_store_2addr_b32 v15, v24, v23 offset1:1
	ds_store_2addr_b32 v16, v25, v21 offset1:1
	ds_store_2addr_b32 v17, v26, v20 offset1:1
	ds_store_b32 v86, v22
	s_cbranch_scc0 .LBB222_4
; %bb.6:                                ;   in Loop: Header=BB222_5 Depth=1
	v_add_nc_u32_e32 v20, s16, v55
	s_delay_alu instid0(VALU_DEP_1)
	v_cmp_gt_i32_e64 s1, s6, v20
	s_and_b32 s19, s0, s1
	s_wait_alu 0xfffe
	s_and_saveexec_b32 s1, s19
	s_cbranch_execz .LBB222_8
; %bb.7:                                ;   in Loop: Header=BB222_5 Depth=1
	v_add_nc_u32_e32 v20, v73, v20
	s_delay_alu instid0(VALU_DEP_1)
	v_mad_co_i64_i32 v[20:21], null, v20, 36, v[18:19]
	global_load_b32 v20, v[20:21], off offset:4
	s_wait_loadcnt 0x0
	ds_store_b32 v69, v20
.LBB222_8:                              ;   in Loop: Header=BB222_5 Depth=1
	s_wait_alu 0xfffe
	s_or_b32 exec_lo, exec_lo, s1
	v_add_nc_u32_e32 v20, s16, v39
	s_delay_alu instid0(VALU_DEP_1)
	v_cmp_gt_i32_e64 s1, s6, v20
	s_and_b32 s19, s8, s1
	s_wait_alu 0xfffe
	s_and_saveexec_b32 s1, s19
	s_cbranch_execz .LBB222_10
; %bb.9:                                ;   in Loop: Header=BB222_5 Depth=1
	v_add_nc_u32_e32 v21, v73, v20
	s_delay_alu instid0(VALU_DEP_1)
	v_mad_co_i64_i32 v[21:22], null, v21, 36, s[2:3]
	global_load_b32 v21, v[21:22], off
	s_wait_loadcnt 0x0
	v_cvt_f32_f16_e32 v21, v21
	ds_store_b32 v70, v21
.LBB222_10:                             ;   in Loop: Header=BB222_5 Depth=1
	s_wait_alu 0xfffe
	s_or_b32 exec_lo, exec_lo, s1
	v_dual_mov_b32 v21, v67 :: v_dual_mov_b32 v22, v71
	v_dual_mov_b32 v23, v68 :: v_dual_mov_b32 v24, v77
	;; [unrolled: 1-line block ×3, first 2 shown]
	v_mov_b32_e32 v27, v74
	s_mov_b32 s1, -4
	s_wait_dscnt 0x0
	s_barrier_signal -1
	s_barrier_wait -1
	global_inv scope:SCOPE_SE
.LBB222_11:                             ;   Parent Loop BB222_5 Depth=1
                                        ; =>  This Inner Loop Header: Depth=2
	ds_load_2addr_b32 v[28:29], v21 offset0:3 offset1:4
	ds_load_2addr_b32 v[30:31], v21 offset0:5 offset1:6
	ds_load_2addr_b32 v[32:33], v22 offset1:1
	ds_load_2addr_b32 v[34:35], v21 offset0:1 offset1:2
	ds_load_2addr_b32 v[36:37], v21 offset1:7
	ds_load_b32 v117, v23
	ds_load_2addr_b32 v[87:88], v22 offset0:2 offset1:3
	ds_load_2addr_b32 v[89:90], v22 offset0:4 offset1:5
	ds_load_2addr_b32 v[91:92], v22 offset0:6 offset1:7
	ds_load_b32 v118, v24
	ds_load_b32 v119, v25
	;; [unrolled: 1-line block ×4, first 2 shown]
	v_add_nc_u32_e32 v93, 0x2080, v22
	v_add_nc_u32_e32 v95, 0x2088, v22
	;; [unrolled: 1-line block ×12, first 2 shown]
	s_wait_dscnt 0xc
	v_lshlrev_b32_e32 v122, 8, v29
	v_lshlrev_b32_e32 v129, 24, v29
	;; [unrolled: 1-line block ×3, first 2 shown]
	s_wait_dscnt 0x9
	v_lshlrev_b32_e32 v123, 8, v34
	s_wait_dscnt 0x3
	v_mul_f32_e32 v118, v117, v118
	v_add_nc_u32_e32 v97, 0x2090, v22
	ds_load_2addr_b32 v[93:94], v93 offset1:1
	ds_load_2addr_b32 v[95:96], v95 offset1:1
	;; [unrolled: 1-line block ×12, first 2 shown]
	v_lshlrev_b32_e32 v124, 8, v30
	v_lshlrev_b32_e32 v125, 8, v35
	;; [unrolled: 1-line block ×16, first 2 shown]
	v_perm_b32 v146, v130, v129, 0xc0c0703
	v_perm_b32 v147, v29, v122, 0x7030c0c
	v_dot4_i32_iu8 v32, v36, v32, 0 neg_lo:[1,1,0]
	v_lshlrev_b32_e32 v142, 16, v37
	v_perm_b32 v143, v30, v34, 0x7030c0c
	v_perm_b32 v144, v31, v35, 0xc0c0703
	;; [unrolled: 1-line block ×3, first 2 shown]
	s_wait_dscnt 0xb
	v_dot4_i32_iu8 v93, v36, v93, 0 neg_lo:[1,1,0]
	s_wait_dscnt 0x7
	v_dot4_i32_iu8 v101, v36, v101, 0 neg_lo:[1,1,0]
	v_perm_b32 v148, v132, v131, 0xc0c0703
	v_perm_b32 v34, v34, v123, 0x7030c0c
	;; [unrolled: 1-line block ×11, first 2 shown]
	s_wait_dscnt 0x3
	v_perm_b32 v130, v109, v130, 0xc0c0503
	v_perm_b32 v132, v134, v132, 0x7030c0c
	s_wait_dscnt 0x2
	v_perm_b32 v134, v112, v111, 0x5010c0c
	v_perm_b32 v154, v36, v110, 0xc0c0501
	;; [unrolled: 1-line block ×13, first 2 shown]
	s_wait_dscnt 0x1
	v_perm_b32 v110, v114, v113, 0xc0c0602
	s_wait_dscnt 0x0
	v_perm_b32 v112, v116, v115, 0x6020c0c
	v_perm_b32 v123, v126, v125, 0xc0c0703
	;; [unrolled: 1-line block ×12, first 2 shown]
	v_or_b32_e32 v136, v147, v146
	v_or_b32_e32 v34, v34, v148
	;; [unrolled: 1-line block ×3, first 2 shown]
	v_perm_b32 v116, v142, v140, 0x7030c0c
	v_or_b32_e32 v35, v35, v150
	v_dot4_i32_iu8 v32, v136, v33, v32 neg_lo:[1,1,0]
	v_dot4_i32_iu8 v33, v136, v94, v93 neg_lo:[1,1,0]
	v_dot4_i32_iu8 v93, v136, v102, v101 neg_lo:[1,1,0]
	v_or_b32_e32 v130, v132, v130
	v_or_b32_e32 v132, v134, v154
	v_dot4_i32_iu8 v32, v34, v87, v32 neg_lo:[1,1,0]
	v_dot4_i32_iu8 v33, v34, v95, v33 neg_lo:[1,1,0]
	v_dot4_i32_iu8 v34, v34, v103, v93 neg_lo:[1,1,0]
	v_or_b32_e32 v134, v155, v156
	;; [unrolled: 5-line block ×3, first 2 shown]
	v_or_b32_e32 v31, v31, v151
	v_or_b32_e32 v129, v131, v129
	;; [unrolled: 1-line block ×9, first 2 shown]
	v_dot4_i32_iu8 v101, v130, v132, 0 neg_lo:[1,1,0]
	v_dot4_i32_iu8 v29, v29, v134, 0 neg_lo:[1,1,0]
	;; [unrolled: 1-line block ×5, first 2 shown]
	v_perm_b32 v153, v142, v141, 0xc0c0703
	v_or_b32_e32 v28, v28, v152
	v_or_b32_e32 v110, v112, v110
	;; [unrolled: 1-line block ×4, first 2 shown]
	v_dot4_i32_iu8 v36, v109, v36, 0 neg_lo:[1,1,0]
	v_dot4_i32_iu8 v34, v129, v131, 0 neg_lo:[1,1,0]
	;; [unrolled: 1-line block ×7, first 2 shown]
	v_or_b32_e32 v37, v37, v153
	v_dot4_i32_iu8 v36, v111, v110, v36 neg_lo:[1,1,0]
	v_dot4_i32_iu8 v31, v122, v112, v34 neg_lo:[1,1,0]
	v_add_nc_u32_e32 v29, v35, v29
	v_dot4_i32_iu8 v32, v28, v91, v32 neg_lo:[1,1,0]
	v_dot4_i32_iu8 v33, v28, v99, v33 neg_lo:[1,1,0]
	;; [unrolled: 1-line block ×3, first 2 shown]
	v_dual_mul_f32 v119, v117, v119 :: v_dual_add_nc_u32 v26, 4, v26
	v_add3_u32 v29, v31, v36, v29
	v_dot4_i32_iu8 v31, v37, v92, v32 neg_lo:[1,1,0]
	v_dot4_i32_iu8 v32, v37, v100, v33 neg_lo:[1,1,0]
	;; [unrolled: 1-line block ×3, first 2 shown]
	v_dual_mul_f32 v33, v117, v121 :: v_dual_add_nc_u32 v24, 4, v24
	v_mul_f32_e32 v30, v117, v120
	v_cvt_f32_i32_e32 v29, v29
	v_cvt_f32_i32_e32 v31, v31
	;; [unrolled: 1-line block ×4, first 2 shown]
	v_add_nc_u32_e32 v25, 4, v25
	v_add_nc_u32_e32 v23, 4, v23
	s_delay_alu instid0(VALU_DEP_4)
	v_dual_fmac_f32 v65, v119, v32 :: v_dual_add_nc_u32 v22, 32, v22
	v_add_nc_u32_e32 v21, 32, v21
	v_fmac_f32_e32 v14, v33, v29
	v_fmac_f32_e32 v40, v118, v31
	;; [unrolled: 1-line block ×3, first 2 shown]
	s_wait_alu 0xfffe
	s_add_co_i32 s1, s1, 4
	s_wait_alu 0xfffe
	s_cmp_lt_u32 s1, 12
	s_cbranch_scc1 .LBB222_11
; %bb.12:                               ;   in Loop: Header=BB222_5 Depth=1
	s_bitset1_b32 s18, 7
	s_wait_loadcnt 0x0
	s_wait_alu 0xfffe
	s_cmp_ge_i32 s18, s5
	s_barrier_signal -1
	s_barrier_wait -1
	global_inv scope:SCOPE_SE
	s_cbranch_scc1 .LBB222_4
; %bb.13:                               ;   in Loop: Header=BB222_5 Depth=1
	v_add_nc_u32_e32 v21, s16, v72
	s_delay_alu instid0(VALU_DEP_1)
	v_cmp_gt_i32_e64 s1, s6, v21
	s_and_b32 s18, s0, s1
	s_wait_alu 0xfffe
	s_and_saveexec_b32 s1, s18
	s_cbranch_execz .LBB222_15
; %bb.14:                               ;   in Loop: Header=BB222_5 Depth=1
	v_add_nc_u32_e32 v21, v73, v21
	s_delay_alu instid0(VALU_DEP_1)
	v_mad_co_i64_i32 v[21:22], null, v21, 36, v[18:19]
	global_load_b32 v21, v[21:22], off offset:4
	s_wait_loadcnt 0x0
	ds_store_b32 v69, v21
.LBB222_15:                             ;   in Loop: Header=BB222_5 Depth=1
	s_wait_alu 0xfffe
	s_or_b32 exec_lo, exec_lo, s1
	s_and_saveexec_b32 s18, vcc_lo
	s_cbranch_execz .LBB222_18
; %bb.16:                               ;   in Loop: Header=BB222_5 Depth=1
	v_or_b32_e32 v21, 4, v20
	s_delay_alu instid0(VALU_DEP_1)
	v_cmp_gt_i32_e64 s1, s6, v21
	s_and_b32 s1, s0, s1
	s_wait_alu 0xfffe
	s_and_b32 exec_lo, exec_lo, s1
	s_cbranch_execz .LBB222_18
; %bb.17:                               ;   in Loop: Header=BB222_5 Depth=1
	v_ashrrev_i32_e32 v21, 31, v20
	v_add_co_u32 v20, s1, v73, v20
	s_wait_alu 0xf1ff
	s_delay_alu instid0(VALU_DEP_2) | instskip(NEXT) | instid1(VALU_DEP_2)
	v_add_co_ci_u32_e64 v22, null, v0, v21, s1
	v_mad_co_u64_u32 v[20:21], null, v20, 36, s[2:3]
	s_delay_alu instid0(VALU_DEP_1)
	v_mad_i32_i24 v21, v22, 36, v21
	global_load_b32 v20, v[20:21], off offset:144
	s_wait_loadcnt 0x0
	v_cvt_f32_f16_e32 v20, v20
	ds_store_b32 v70, v20
.LBB222_18:                             ;   in Loop: Header=BB222_5 Depth=1
	s_wait_alu 0xfffe
	s_or_b32 exec_lo, exec_lo, s18
	v_dual_mov_b32 v20, v68 :: v_dual_mov_b32 v21, v67
	v_dual_mov_b32 v22, v82 :: v_dual_mov_b32 v23, v81
	v_dual_mov_b32 v24, v80 :: v_dual_mov_b32 v25, v79
	v_mov_b32_e32 v26, v78
	s_mov_b32 s1, 12
	s_wait_loadcnt_dscnt 0x0
	s_barrier_signal -1
	s_barrier_wait -1
	global_inv scope:SCOPE_SE
.LBB222_19:                             ;   Parent Loop BB222_5 Depth=1
                                        ; =>  This Inner Loop Header: Depth=2
	v_add_nc_u32_e32 v93, 0x2080, v22
	v_add_nc_u32_e32 v95, 0x2088, v22
	ds_load_2addr_b32 v[27:28], v21 offset1:7
	ds_load_2addr_b32 v[29:30], v21 offset0:3 offset1:4
	ds_load_2addr_b32 v[31:32], v21 offset0:5 offset1:6
	;; [unrolled: 1-line block ×3, first 2 shown]
	ds_load_b32 v37, v20
	ds_load_2addr_b32 v[35:36], v22 offset1:1
	ds_load_2addr_b32 v[87:88], v22 offset0:2 offset1:3
	ds_load_2addr_b32 v[89:90], v22 offset0:4 offset1:5
	;; [unrolled: 1-line block ×3, first 2 shown]
	v_add_nc_u32_e32 v97, 0x2090, v22
	ds_load_b32 v117, v23
	ds_load_b32 v118, v24
	ds_load_b32 v119, v25
	ds_load_b32 v120, v26
	v_add_nc_u32_e32 v99, 0x2098, v22
	v_add_nc_u32_e32 v101, 0x4100, v22
	v_add_nc_u32_e32 v103, 0x4108, v22
	v_add_nc_u32_e32 v105, 0x4110, v22
	v_add_nc_u32_e32 v107, 0x4118, v22
	v_add_nc_u32_e32 v109, 0x6180, v22
	v_add_nc_u32_e32 v111, 0x6188, v22
	v_add_nc_u32_e32 v113, 0x6190, v22
	v_add_nc_u32_e32 v115, 0x6198, v22
	ds_load_2addr_b32 v[93:94], v93 offset1:1
	ds_load_2addr_b32 v[95:96], v95 offset1:1
	ds_load_2addr_b32 v[97:98], v97 offset1:1
	ds_load_2addr_b32 v[99:100], v99 offset1:1
	ds_load_2addr_b32 v[101:102], v101 offset1:1
	ds_load_2addr_b32 v[103:104], v103 offset1:1
	ds_load_2addr_b32 v[105:106], v105 offset1:1
	ds_load_2addr_b32 v[107:108], v107 offset1:1
	ds_load_2addr_b32 v[109:110], v109 offset1:1
	ds_load_2addr_b32 v[111:112], v111 offset1:1
	ds_load_2addr_b32 v[113:114], v113 offset1:1
	ds_load_2addr_b32 v[115:116], v115 offset1:1
	s_wait_dscnt 0x17
	v_lshlrev_b32_e32 v121, 8, v30
	v_lshlrev_b32_e32 v128, 24, v30
	;; [unrolled: 1-line block ×3, first 2 shown]
	v_add_nc_u32_e32 v25, 4, v25
	s_wait_dscnt 0x16
	v_lshlrev_b32_e32 v123, 8, v31
	s_wait_dscnt 0x15
	v_lshlrev_b32_e32 v124, 8, v34
	v_lshlrev_b32_e32 v125, 8, v32
	;; [unrolled: 1-line block ×3, first 2 shown]
	s_wait_dscnt 0xe
	v_dual_mul_f32 v118, v37, v118 :: v_dual_lshlrev_b32 v127, 8, v28
	v_lshlrev_b32_e32 v122, 8, v33
	v_lshlrev_b32_e32 v130, 24, v33
	;; [unrolled: 1-line block ×12, first 2 shown]
	v_perm_b32 v145, v129, v128, 0xc0c0703
	v_perm_b32 v146, v30, v121, 0x7030c0c
	v_dot4_i32_iu8 v35, v27, v35, 0 neg_lo:[1,1,0]
	v_lshlrev_b32_e32 v141, 16, v28
	v_perm_b32 v142, v31, v33, 0x7030c0c
	v_perm_b32 v143, v32, v34, 0xc0c0703
	;; [unrolled: 1-line block ×3, first 2 shown]
	s_wait_dscnt 0xb
	v_dot4_i32_iu8 v93, v27, v93, 0 neg_lo:[1,1,0]
	s_wait_dscnt 0x7
	v_dot4_i32_iu8 v101, v27, v101, 0 neg_lo:[1,1,0]
	v_perm_b32 v147, v131, v130, 0xc0c0703
	v_perm_b32 v33, v33, v122, 0x7030c0c
	v_perm_b32 v148, v133, v132, 0xc0c0703
	v_perm_b32 v31, v31, v123, 0x7030c0c
	v_perm_b32 v149, v135, v134, 0xc0c0703
	v_perm_b32 v34, v34, v124, 0x7030c0c
	v_perm_b32 v150, v137, v136, 0xc0c0703
	v_perm_b32 v32, v32, v125, 0x7030c0c
	v_perm_b32 v151, v139, v138, 0xc0c0703
	v_perm_b32 v29, v29, v126, 0x7030c0c
	v_perm_b32 v28, v28, v127, 0x7030c0c
	s_wait_dscnt 0x3
	v_perm_b32 v129, v109, v129, 0xc0c0503
	v_perm_b32 v131, v133, v131, 0x7030c0c
	s_wait_dscnt 0x2
	v_perm_b32 v133, v112, v111, 0x5010c0c
	v_perm_b32 v153, v27, v110, 0xc0c0501
	;; [unrolled: 1-line block ×13, first 2 shown]
	s_wait_dscnt 0x1
	v_perm_b32 v110, v114, v113, 0xc0c0602
	s_wait_dscnt 0x0
	v_perm_b32 v112, v116, v115, 0x6020c0c
	v_perm_b32 v122, v125, v124, 0xc0c0703
	;; [unrolled: 1-line block ×12, first 2 shown]
	v_or_b32_e32 v135, v146, v145
	v_or_b32_e32 v33, v33, v147
	;; [unrolled: 1-line block ×3, first 2 shown]
	v_perm_b32 v116, v141, v139, 0x7030c0c
	v_or_b32_e32 v34, v34, v149
	v_dot4_i32_iu8 v35, v135, v36, v35 neg_lo:[1,1,0]
	v_dot4_i32_iu8 v36, v135, v94, v93 neg_lo:[1,1,0]
	v_dot4_i32_iu8 v93, v135, v102, v101 neg_lo:[1,1,0]
	v_or_b32_e32 v129, v131, v129
	v_or_b32_e32 v131, v133, v153
	v_dot4_i32_iu8 v35, v33, v87, v35 neg_lo:[1,1,0]
	v_dot4_i32_iu8 v36, v33, v95, v36 neg_lo:[1,1,0]
	v_dot4_i32_iu8 v33, v33, v103, v93 neg_lo:[1,1,0]
	v_or_b32_e32 v133, v154, v155
	;; [unrolled: 5-line block ×3, first 2 shown]
	v_or_b32_e32 v32, v32, v150
	v_or_b32_e32 v128, v130, v128
	;; [unrolled: 1-line block ×9, first 2 shown]
	v_dot4_i32_iu8 v101, v129, v131, 0 neg_lo:[1,1,0]
	v_dot4_i32_iu8 v30, v30, v133, 0 neg_lo:[1,1,0]
	v_dot4_i32_iu8 v35, v34, v89, v35 neg_lo:[1,1,0]
	v_dot4_i32_iu8 v36, v34, v97, v36 neg_lo:[1,1,0]
	v_dot4_i32_iu8 v31, v34, v105, v31 neg_lo:[1,1,0]
	v_perm_b32 v152, v141, v140, 0xc0c0703
	v_or_b32_e32 v29, v29, v151
	v_or_b32_e32 v110, v112, v110
	;; [unrolled: 1-line block ×4, first 2 shown]
	v_dot4_i32_iu8 v27, v109, v27, 0 neg_lo:[1,1,0]
	v_dot4_i32_iu8 v33, v128, v130, 0 neg_lo:[1,1,0]
	;; [unrolled: 1-line block ×7, first 2 shown]
	v_or_b32_e32 v28, v28, v152
	v_dot4_i32_iu8 v27, v111, v110, v27 neg_lo:[1,1,0]
	v_dot4_i32_iu8 v32, v121, v112, v33 neg_lo:[1,1,0]
	v_add_nc_u32_e32 v30, v34, v30
	v_dot4_i32_iu8 v33, v29, v91, v35 neg_lo:[1,1,0]
	v_dot4_i32_iu8 v34, v29, v99, v36 neg_lo:[1,1,0]
	;; [unrolled: 1-line block ×3, first 2 shown]
	v_dual_mul_f32 v117, v37, v117 :: v_dual_add_nc_u32 v26, 4, v26
	v_add3_u32 v27, v32, v27, v30
	v_dot4_i32_iu8 v30, v28, v92, v33 neg_lo:[1,1,0]
	v_dot4_i32_iu8 v32, v28, v100, v34 neg_lo:[1,1,0]
	;; [unrolled: 1-line block ×3, first 2 shown]
	v_dual_mul_f32 v31, v37, v119 :: v_dual_add_nc_u32 v24, 4, v24
	v_dual_mul_f32 v29, v37, v120 :: v_dual_add_nc_u32 v22, 32, v22
	v_cvt_f32_i32_e32 v27, v27
	v_cvt_f32_i32_e32 v30, v30
	;; [unrolled: 1-line block ×4, first 2 shown]
	v_add_nc_u32_e32 v23, 4, v23
	v_add_nc_u32_e32 v21, 32, v21
	v_add_nc_u32_e32 v20, 4, v20
	v_fmac_f32_e32 v14, v29, v27
	v_dual_fmac_f32 v40, v117, v30 :: v_dual_fmac_f32 v65, v118, v32
	v_fmac_f32_e32 v62, v31, v28
	s_wait_alu 0xfffe
	s_add_co_i32 s1, s1, 4
	s_wait_alu 0xfffe
	s_cmp_lt_u32 s1, 28
	s_cbranch_scc1 .LBB222_19
; %bb.20:                               ;   in Loop: Header=BB222_5 Depth=1
	s_wait_loadcnt 0x0
	s_barrier_signal -1
	s_barrier_wait -1
	global_inv scope:SCOPE_SE
	s_branch .LBB222_4
.LBB222_21:
	s_mul_i32 s0, s10, s7
	s_wait_loadcnt 0x0
	s_wait_alu 0xfffe
	v_cmp_gt_i32_e32 vcc_lo, s0, v38
	s_and_saveexec_b32 s0, vcc_lo
	s_cbranch_execz .LBB222_30
; %bb.22:
	v_mul_lo_u32 v0, v38, s9
	v_add_nc_u32_e32 v1, s11, v39
	s_mov_b32 s0, exec_lo
	s_delay_alu instid0(VALU_DEP_1)
	v_cmpx_gt_u32_e64 s9, v1
	s_cbranch_execz .LBB222_24
; %bb.23:
	v_bfe_u32 v3, v40, 16, 1
	s_delay_alu instid0(VALU_DEP_4) | instskip(SKIP_1) | instid1(VALU_DEP_3)
	v_add_nc_u32_e32 v2, v0, v1
	v_cmp_o_f32_e32 vcc_lo, v40, v40
	v_add3_u32 v4, v40, v3, 0x7fff
	v_mov_b32_e32 v3, 0
	s_delay_alu instid0(VALU_DEP_2) | instskip(NEXT) | instid1(VALU_DEP_2)
	v_lshrrev_b32_e32 v4, 16, v4
	v_lshlrev_b64_e32 v[2:3], 1, v[2:3]
	s_wait_alu 0xfffd
	s_delay_alu instid0(VALU_DEP_2) | instskip(NEXT) | instid1(VALU_DEP_2)
	v_cndmask_b32_e32 v4, 0x7fc0, v4, vcc_lo
	v_add_co_u32 v2, vcc_lo, s12, v2
	s_wait_alu 0xfffd
	s_delay_alu instid0(VALU_DEP_3)
	v_add_co_ci_u32_e64 v3, null, s13, v3, vcc_lo
	global_store_b16 v[2:3], v4, off
.LBB222_24:
	s_wait_alu 0xfffe
	s_or_b32 exec_lo, exec_lo, s0
	v_add_nc_u32_e32 v2, 32, v1
	s_mov_b32 s0, exec_lo
	s_delay_alu instid0(VALU_DEP_1)
	v_cmpx_gt_u32_e64 s9, v2
	s_cbranch_execz .LBB222_26
; %bb.25:
	v_bfe_u32 v3, v65, 16, 1
	v_add_nc_u32_e32 v2, v0, v2
	v_cmp_o_f32_e32 vcc_lo, v65, v65
	s_delay_alu instid0(VALU_DEP_3) | instskip(SKIP_1) | instid1(VALU_DEP_2)
	v_add3_u32 v4, v65, v3, 0x7fff
	v_mov_b32_e32 v3, 0
	v_lshrrev_b32_e32 v4, 16, v4
	s_delay_alu instid0(VALU_DEP_2) | instskip(SKIP_1) | instid1(VALU_DEP_2)
	v_lshlrev_b64_e32 v[2:3], 1, v[2:3]
	s_wait_alu 0xfffd
	v_cndmask_b32_e32 v4, 0x7fc0, v4, vcc_lo
	s_delay_alu instid0(VALU_DEP_2) | instskip(SKIP_1) | instid1(VALU_DEP_3)
	v_add_co_u32 v2, vcc_lo, s12, v2
	s_wait_alu 0xfffd
	v_add_co_ci_u32_e64 v3, null, s13, v3, vcc_lo
	global_store_b16 v[2:3], v4, off
.LBB222_26:
	s_wait_alu 0xfffe
	s_or_b32 exec_lo, exec_lo, s0
	v_add_nc_u32_e32 v2, 64, v1
	s_mov_b32 s0, exec_lo
	s_delay_alu instid0(VALU_DEP_1)
	v_cmpx_gt_u32_e64 s9, v2
	s_cbranch_execz .LBB222_28
; %bb.27:
	v_bfe_u32 v3, v62, 16, 1
	v_add_nc_u32_e32 v2, v0, v2
	v_cmp_o_f32_e32 vcc_lo, v62, v62
	s_delay_alu instid0(VALU_DEP_3) | instskip(SKIP_1) | instid1(VALU_DEP_2)
	v_add3_u32 v4, v62, v3, 0x7fff
	v_mov_b32_e32 v3, 0
	v_lshrrev_b32_e32 v4, 16, v4
	s_delay_alu instid0(VALU_DEP_2) | instskip(SKIP_1) | instid1(VALU_DEP_2)
	v_lshlrev_b64_e32 v[2:3], 1, v[2:3]
	s_wait_alu 0xfffd
	v_cndmask_b32_e32 v4, 0x7fc0, v4, vcc_lo
	s_delay_alu instid0(VALU_DEP_2) | instskip(SKIP_1) | instid1(VALU_DEP_3)
	v_add_co_u32 v2, vcc_lo, s12, v2
	s_wait_alu 0xfffd
	v_add_co_ci_u32_e64 v3, null, s13, v3, vcc_lo
	global_store_b16 v[2:3], v4, off
.LBB222_28:
	s_wait_alu 0xfffe
	s_or_b32 exec_lo, exec_lo, s0
	v_add_nc_u32_e32 v1, 0x60, v1
	s_delay_alu instid0(VALU_DEP_1)
	v_cmp_gt_u32_e32 vcc_lo, s9, v1
	s_and_b32 exec_lo, exec_lo, vcc_lo
	s_cbranch_execz .LBB222_30
; %bb.29:
	v_bfe_u32 v2, v14, 16, 1
	v_dual_mov_b32 v1, 0 :: v_dual_add_nc_u32 v0, v0, v1
	v_cmp_o_f32_e32 vcc_lo, v14, v14
	s_delay_alu instid0(VALU_DEP_3) | instskip(NEXT) | instid1(VALU_DEP_3)
	v_add3_u32 v2, v14, v2, 0x7fff
	v_lshlrev_b64_e32 v[0:1], 1, v[0:1]
	s_delay_alu instid0(VALU_DEP_2) | instskip(SKIP_1) | instid1(VALU_DEP_1)
	v_lshrrev_b32_e32 v2, 16, v2
	s_wait_alu 0xfffd
	v_cndmask_b32_e32 v2, 0x7fc0, v2, vcc_lo
	s_delay_alu instid0(VALU_DEP_3)
	v_add_co_u32 v0, vcc_lo, s12, v0
	s_wait_alu 0xfffd
	v_add_co_ci_u32_e64 v1, null, s13, v1, vcc_lo
	global_store_b16 v[0:1], v2, off
.LBB222_30:
	s_nop 0
	s_sendmsg sendmsg(MSG_DEALLOC_VGPRS)
	s_endpgm
	.section	.rodata,"a",@progbits
	.p2align	6, 0x0
	.amdhsa_kernel _ZL8moe_q5_0IN3c108BFloat16ELb1EEvPKvS3_PT_PKiS7_S7_iiiiiii
		.amdhsa_group_segment_fixed_size 38656
		.amdhsa_private_segment_fixed_size 0
		.amdhsa_kernarg_size 76
		.amdhsa_user_sgpr_count 2
		.amdhsa_user_sgpr_dispatch_ptr 0
		.amdhsa_user_sgpr_queue_ptr 0
		.amdhsa_user_sgpr_kernarg_segment_ptr 1
		.amdhsa_user_sgpr_dispatch_id 0
		.amdhsa_user_sgpr_private_segment_size 0
		.amdhsa_wavefront_size32 1
		.amdhsa_uses_dynamic_stack 0
		.amdhsa_enable_private_segment 0
		.amdhsa_system_sgpr_workgroup_id_x 1
		.amdhsa_system_sgpr_workgroup_id_y 1
		.amdhsa_system_sgpr_workgroup_id_z 0
		.amdhsa_system_sgpr_workgroup_info 0
		.amdhsa_system_vgpr_workitem_id 1
		.amdhsa_next_free_vgpr 217
		.amdhsa_next_free_sgpr 21
		.amdhsa_reserve_vcc 1
		.amdhsa_float_round_mode_32 0
		.amdhsa_float_round_mode_16_64 0
		.amdhsa_float_denorm_mode_32 3
		.amdhsa_float_denorm_mode_16_64 3
		.amdhsa_fp16_overflow 0
		.amdhsa_workgroup_processor_mode 1
		.amdhsa_memory_ordered 1
		.amdhsa_forward_progress 1
		.amdhsa_inst_pref_size 101
		.amdhsa_round_robin_scheduling 0
		.amdhsa_exception_fp_ieee_invalid_op 0
		.amdhsa_exception_fp_denorm_src 0
		.amdhsa_exception_fp_ieee_div_zero 0
		.amdhsa_exception_fp_ieee_overflow 0
		.amdhsa_exception_fp_ieee_underflow 0
		.amdhsa_exception_fp_ieee_inexact 0
		.amdhsa_exception_int_div_zero 0
	.end_amdhsa_kernel
	.section	.text._ZL8moe_q5_0IN3c108BFloat16ELb1EEvPKvS3_PT_PKiS7_S7_iiiiiii,"axG",@progbits,_ZL8moe_q5_0IN3c108BFloat16ELb1EEvPKvS3_PT_PKiS7_S7_iiiiiii,comdat
.Lfunc_end222:
	.size	_ZL8moe_q5_0IN3c108BFloat16ELb1EEvPKvS3_PT_PKiS7_S7_iiiiiii, .Lfunc_end222-_ZL8moe_q5_0IN3c108BFloat16ELb1EEvPKvS3_PT_PKiS7_S7_iiiiiii
                                        ; -- End function
	.set _ZL8moe_q5_0IN3c108BFloat16ELb1EEvPKvS3_PT_PKiS7_S7_iiiiiii.num_vgpr, 158
	.set _ZL8moe_q5_0IN3c108BFloat16ELb1EEvPKvS3_PT_PKiS7_S7_iiiiiii.num_agpr, 0
	.set _ZL8moe_q5_0IN3c108BFloat16ELb1EEvPKvS3_PT_PKiS7_S7_iiiiiii.numbered_sgpr, 21
	.set _ZL8moe_q5_0IN3c108BFloat16ELb1EEvPKvS3_PT_PKiS7_S7_iiiiiii.num_named_barrier, 0
	.set _ZL8moe_q5_0IN3c108BFloat16ELb1EEvPKvS3_PT_PKiS7_S7_iiiiiii.private_seg_size, 0
	.set _ZL8moe_q5_0IN3c108BFloat16ELb1EEvPKvS3_PT_PKiS7_S7_iiiiiii.uses_vcc, 1
	.set _ZL8moe_q5_0IN3c108BFloat16ELb1EEvPKvS3_PT_PKiS7_S7_iiiiiii.uses_flat_scratch, 0
	.set _ZL8moe_q5_0IN3c108BFloat16ELb1EEvPKvS3_PT_PKiS7_S7_iiiiiii.has_dyn_sized_stack, 0
	.set _ZL8moe_q5_0IN3c108BFloat16ELb1EEvPKvS3_PT_PKiS7_S7_iiiiiii.has_recursion, 0
	.set _ZL8moe_q5_0IN3c108BFloat16ELb1EEvPKvS3_PT_PKiS7_S7_iiiiiii.has_indirect_call, 0
	.section	.AMDGPU.csdata,"",@progbits
; Kernel info:
; codeLenInByte = 12840
; TotalNumSgprs: 23
; NumVgprs: 158
; ScratchSize: 0
; MemoryBound: 0
; FloatMode: 240
; IeeeMode: 1
; LDSByteSize: 38656 bytes/workgroup (compile time only)
; SGPRBlocks: 0
; VGPRBlocks: 27
; NumSGPRsForWavesPerEU: 23
; NumVGPRsForWavesPerEU: 217
; Occupancy: 6
; WaveLimiterHint : 1
; COMPUTE_PGM_RSRC2:SCRATCH_EN: 0
; COMPUTE_PGM_RSRC2:USER_SGPR: 2
; COMPUTE_PGM_RSRC2:TRAP_HANDLER: 0
; COMPUTE_PGM_RSRC2:TGID_X_EN: 1
; COMPUTE_PGM_RSRC2:TGID_Y_EN: 1
; COMPUTE_PGM_RSRC2:TGID_Z_EN: 0
; COMPUTE_PGM_RSRC2:TIDIG_COMP_CNT: 1
	.section	.text._ZL8moe_q5_1IN3c108BFloat16ELb0EEvPKvS3_PT_PKiS7_S7_iiiiiii,"axG",@progbits,_ZL8moe_q5_1IN3c108BFloat16ELb0EEvPKvS3_PT_PKiS7_S7_iiiiiii,comdat
	.globl	_ZL8moe_q5_1IN3c108BFloat16ELb0EEvPKvS3_PT_PKiS7_S7_iiiiiii ; -- Begin function _ZL8moe_q5_1IN3c108BFloat16ELb0EEvPKvS3_PT_PKiS7_S7_iiiiiii
	.p2align	8
	.type	_ZL8moe_q5_1IN3c108BFloat16ELb0EEvPKvS3_PT_PKiS7_S7_iiiiiii,@function
_ZL8moe_q5_1IN3c108BFloat16ELb0EEvPKvS3_PT_PKiS7_S7_iiiiiii: ; @_ZL8moe_q5_1IN3c108BFloat16ELb0EEvPKvS3_PT_PKiS7_S7_iiiiiii
; %bb.0:
	s_load_b128 s[4:7], s[0:1], 0x18
	s_mov_b32 s2, ttmp7
	s_mov_b32 s3, 0
	s_delay_alu instid0(SALU_CYCLE_1)
	s_lshl_b64 s[2:3], s[2:3], 2
	s_wait_kmcnt 0x0
	s_add_nc_u64 s[2:3], s[6:7], s[2:3]
	s_load_b32 s12, s[2:3], 0x0
	s_wait_kmcnt 0x0
	s_cmp_gt_u32 s12, 0xff
	s_cbranch_scc1 .LBB223_30
; %bb.1:
	s_load_b64 s[2:3], s[0:1], 0x28
	s_wait_kmcnt 0x0
	s_load_b32 s3, s[2:3], 0x0
	s_lshl_b32 s2, ttmp7, 3
	s_wait_kmcnt 0x0
	s_cmp_gt_u32 s2, s3
	s_cbranch_scc1 .LBB223_30
; %bb.2:
	v_bfe_u32 v3, v0, 10, 10
	v_mov_b32_e32 v2, 0
	s_lshl_b32 s18, ttmp9, 7
	s_delay_alu instid0(VALU_DEP_2) | instskip(NEXT) | instid1(VALU_DEP_2)
	v_add_nc_u32_e32 v1, s2, v3
	v_dual_mov_b32 v7, v2 :: v_dual_and_b32 v6, 0x3ff, v0
	v_mov_b32_e32 v38, v2
	v_mov_b32_e32 v48, v2
	s_delay_alu instid0(VALU_DEP_4) | instskip(NEXT) | instid1(VALU_DEP_1)
	v_lshlrev_b64_e32 v[4:5], 2, v[1:2]
	v_add_co_u32 v4, vcc_lo, s4, v4
	s_delay_alu instid0(VALU_DEP_1)
	v_add_co_ci_u32_e64 v5, null, s5, v5, vcc_lo
	global_load_b32 v5, v[4:5], off
	s_clause 0x2
	s_load_b64 s[10:11], s[0:1], 0x30
	s_load_b64 s[8:9], s[0:1], 0x10
	s_load_b128 s[4:7], s[0:1], 0x3c
	s_wait_kmcnt 0x0
	s_cmp_lt_i32 s11, 32
	s_cbranch_scc1 .LBB223_21
; %bb.3:
	s_abs_i32 s17, s7
	s_wait_loadcnt 0x0
	v_sub_nc_u32_e32 v4, 0, v5
	s_cvt_f32_u32 s19, s17
	s_sub_co_i32 s20, 0, s17
	s_ashr_i32 s13, s11, 31
	s_mul_i32 s12, s12, s10
	v_rcp_iflag_f32_e32 v32, s19
	v_max_i32_e32 v4, v5, v4
	s_lshr_b32 s13, s13, 27
	v_dual_mov_b32 v7, 0 :: v_dual_lshlrev_b32 v2, 3, v6
	s_add_co_i32 s15, s11, s13
	v_bfe_u32 v11, v0, 3, 7
	s_ashr_i32 s10, s15, 5
	v_and_b32_e32 v10, 7, v0
	v_mul_lo_u32 v9, s10, v3
	s_delay_alu instid0(TRANS32_DEP_1)
	v_readfirstlane_b32 s19, v32
	v_mad_u32_u24 v15, 0x104, v3, v2
	v_lshl_add_u32 v2, v3, 2, v11
	s_lshl_b32 s16, s10, 3
	v_lshlrev_b32_e32 v38, 2, v10
	s_mul_f32 s19, s19, 0x4f7ffffe
	s_load_b128 s[0:3], s[0:1], 0x0
	v_add_nc_u32_e32 v12, s16, v9
	v_and_b32_e32 v43, 0x1ffc, v2
	s_cvt_u32_f32 s19, s19
	v_mul_lo_u32 v39, s10, v2
	v_lshlrev_b32_e32 v48, 5, v2
	v_add_nc_u32_e32 v13, s16, v12
	s_wait_alu 0xfffe
	s_mul_i32 s20, s20, s19
	v_add_nc_u32_e32 v44, 32, v2
	s_mul_hi_u32 s20, s19, s20
	v_add_nc_u32_e32 v49, 64, v2
	s_add_co_i32 s19, s19, s20
	v_add3_u32 v67, v43, v38, 0x8200
	s_wait_alu 0xfffe
	v_mul_hi_u32 v50, v4, s19
	v_add_nc_u32_e32 v2, 0x60, v2
	v_and_b32_e32 v45, 0x3ffc, v44
	v_and_b32_e32 v46, 0x3ffc, v49
	v_dual_mov_b32 v48, 0 :: v_dual_add_nc_u32 v67, v67, v48
	v_add_nc_u32_e32 v16, s16, v13
	v_lshlrev_b32_e32 v68, 5, v44
	v_mul_lo_u32 v47, v50, s17
	v_add_nc_u32_e32 v51, 1, v50
	v_add3_u32 v69, v45, v38, 0x8200
	v_add_nc_u32_e32 v17, s16, v16
	v_add3_u32 v70, v46, v38, 0x8200
	v_lshlrev_b32_e32 v71, 5, v49
	v_xor_b32_e32 v53, s7, v5
	v_add_nc_u32_e32 v68, v69, v68
	v_sub_nc_u32_e32 v4, v4, v47
	s_ashr_i32 s14, s5, 31
	v_add_nc_u32_e32 v69, v70, v71
	v_ashrrev_i32_e32 v55, 31, v53
	s_lshr_b32 s14, s14, 27
	v_cmp_le_u32_e32 vcc_lo, s17, v4
	v_lshlrev_b32_e32 v1, 2, v6
	v_subrev_nc_u32_e32 v52, s17, v4
	v_add_nc_u32_e32 v19, 0x820, v15
	s_add_co_i32 s5, s5, s14
	s_wait_alu 0xfffd
	v_dual_cndmask_b32 v50, v50, v51 :: v_dual_and_b32 v51, 0x3ffc, v2
	v_lshlrev_b32_e32 v2, 5, v2
	v_cndmask_b32_e32 v4, v4, v52, vcc_lo
	s_mul_i32 s14, s10, s18
	s_delay_alu instid0(VALU_DEP_3)
	v_add_nc_u32_e32 v52, 1, v50
	v_add3_u32 v38, v51, v38, 0x8200
	v_lshl_add_u32 v51, v3, 4, 0x9680
	v_cmp_le_u32_e32 vcc_lo, s17, v4
	v_add_nc_u32_e32 v21, 0x1860, v15
	v_and_b32_e32 v14, 12, v1
	v_add_nc_u32_e32 v70, v38, v2
	v_mov_b32_e32 v38, 0
	v_add_nc_u32_e32 v18, s16, v17
	s_wait_alu 0xfffd
	v_cndmask_b32_e32 v4, v50, v52, vcc_lo
	v_mov_b32_e32 v2, 0
	v_lshl_add_u32 v50, v3, 7, 0x9280
	v_and_b32_e32 v3, 28, v1
	v_add_nc_u32_e32 v23, s16, v18
	v_xor_b32_e32 v4, v4, v55
	v_add_nc_u32_e32 v53, v51, v1
	v_add_nc_u32_e32 v1, 32, v6
	;; [unrolled: 1-line block ×4, first 2 shown]
	v_sub_nc_u32_e32 v4, v4, v55
	v_add_nc_u32_e32 v58, 0x60, v6
	s_ashr_i32 s13, s12, 31
	s_and_b32 s21, s15, 0xffffffe0
	v_add_nc_u32_e32 v32, s16, v28
	s_ashr_i32 s15, s14, 31
	s_wait_alu 0xfffe
	s_ashr_i32 s5, s5, 5
	s_mul_u64 s[14:15], s[14:15], 24
	s_wait_kmcnt 0x0
	s_add_nc_u64 s[0:1], s[0:1], s[12:13]
	v_add_nc_u32_e32 v36, s16, v32
	v_add_nc_u32_e32 v44, s21, v39
	s_add_nc_u64 s[12:13], s[0:1], s[14:15]
	v_cmp_gt_i32_e64 s0, s4, v4
	s_wait_alu 0xfffe
	v_mul_lo_u32 v56, v4, s5
	v_add_nc_u32_e32 v40, s16, v36
	v_lshlrev_b32_e32 v4, 5, v6
	v_and_b32_e32 v58, 0x1fc, v58
	v_and_b32_e32 v57, 0x1fc, v57
	;; [unrolled: 1-line block ×3, first 2 shown]
	v_add_nc_u32_e32 v41, s16, v40
	v_and_b32_e32 v60, 0xfc, v0
	v_bfe_u32 v8, v0, 2, 8
	v_add_nc_u32_e32 v46, s21, v44
	v_and_b32_e32 v54, 31, v0
	v_add_nc_u32_e32 v42, s16, v41
	v_add_co_u32 v0, s1, s2, v3
	v_add_nc_u32_e32 v3, v4, v58
	v_add_nc_u32_e32 v63, v4, v57
	s_delay_alu instid0(VALU_DEP_4)
	v_add_nc_u32_e32 v43, s16, v42
	v_add_nc_u32_e32 v64, v4, v59
	;; [unrolled: 1-line block ×3, first 2 shown]
	v_cmp_gt_u32_e32 vcc_lo, 4, v6
	v_lshrrev_b32_e32 v55, 3, v1
	v_add_nc_u32_e32 v45, s16, v43
	v_add_co_ci_u32_e64 v1, null, s3, 0, s1
	s_movk_i32 s1, 0x80
	v_add_nc_u32_e32 v20, 0x1040, v15
	v_add_nc_u32_e32 v22, 0x2080, v15
	v_add_nc_u32_e32 v24, 0x28a0, v15
	v_add_nc_u32_e32 v25, 0x30c0, v15
	v_add_nc_u32_e32 v26, 0x38e0, v15
	v_add_nc_u32_e32 v27, 0x4100, v15
	v_add_nc_u32_e32 v29, 0x4920, v15
	v_add_nc_u32_e32 v30, 0x5140, v15
	v_add_nc_u32_e32 v31, 0x5960, v15
	v_add_nc_u32_e32 v33, 0x6180, v15
	v_add_nc_u32_e32 v34, 0x69a0, v15
	v_add_nc_u32_e32 v35, 0x71c0, v15
	v_add_nc_u32_e32 v37, 0x79e0, v15
	v_add_nc_u32_e32 v47, s16, v45
	v_add_nc_u32_e32 v49, s21, v46
	v_lshl_or_b32 v52, v54, 2, v50
	v_mul_u32_u24_e32 v54, 0x104, v6
	v_ashrrev_i32_e32 v57, 31, v56
	v_add_nc_u32_e32 v58, 0x8e00, v3
	v_add_nc_u32_e32 v59, 0x8a00, v63
	;; [unrolled: 1-line block ×8, first 2 shown]
	s_wait_alu 0xfffe
	v_mad_u32_u24 v66, 0x104, v6, s1
	s_mov_b32 s15, 0
	s_and_b32 s19, vcc_lo, s0
	s_mov_b32 s14, s15
	s_branch .LBB223_5
.LBB223_4:                              ;   in Loop: Header=BB223_5 Depth=1
	s_add_co_i32 s14, s14, 8
	s_wait_alu 0xfffe
	s_cmp_ge_i32 s14, s10
	s_cbranch_scc1 .LBB223_21
.LBB223_5:                              ; =>This Loop Header: Depth=1
                                        ;     Child Loop BB223_11 Depth 2
                                        ;     Child Loop BB223_19 Depth 2
	s_mul_u64 s[16:17], s[14:15], 24
	s_wait_alu 0xfffe
	s_add_nc_u64 s[16:17], s[12:13], s[16:17]
	s_wait_alu 0xfffe
	v_mad_co_u64_u32 v[3:4], null, v8, 24, s[16:17]
	s_delay_alu instid0(VALU_DEP_1) | instskip(SKIP_3) | instid1(VALU_DEP_4)
	v_mad_co_u64_u32 v[71:72], null, v9, 24, v[3:4]
	v_mad_co_u64_u32 v[73:74], null, v12, 24, v[3:4]
	;; [unrolled: 1-line block ×4, first 2 shown]
	v_add_co_u32 v79, s1, v71, v14
	v_mad_co_u64_u32 v[85:86], null, v17, 24, v[3:4]
	s_wait_alu 0xf1ff
	v_add_co_ci_u32_e64 v80, null, 0, v72, s1
	v_add_co_u32 v81, s1, v73, v14
	v_mad_co_u64_u32 v[89:90], null, v18, 24, v[3:4]
	s_wait_alu 0xf1ff
	v_add_co_ci_u32_e64 v82, null, 0, v74, s1
	;; [unrolled: 4-line block ×4, first 2 shown]
	v_add_co_u32 v91, s1, v85, v14
	s_wait_alu 0xf1ff
	v_add_co_ci_u32_e64 v92, null, 0, v86, s1
	v_add_co_u32 v97, s1, v89, v14
	s_wait_alu 0xf1ff
	v_add_co_ci_u32_e64 v98, null, 0, v90, s1
	;; [unrolled: 3-line block ×4, first 2 shown]
	s_clause 0xf
	global_load_b32 v103, v[79:80], off offset:8
	global_load_b32 v104, v[81:82], off offset:8
	;; [unrolled: 1-line block ×16, first 2 shown]
	v_mad_co_u64_u32 v[71:72], null, v32, 24, v[3:4]
	v_mad_co_u64_u32 v[73:74], null, v36, 24, v[3:4]
	;; [unrolled: 1-line block ×4, first 2 shown]
	s_delay_alu instid0(VALU_DEP_4)
	v_add_co_u32 v79, s1, v71, v14
	s_wait_alu 0xf1ff
	v_add_co_ci_u32_e64 v80, null, 0, v72, s1
	v_add_co_u32 v81, s1, v73, v14
	s_wait_alu 0xf1ff
	v_add_co_ci_u32_e64 v82, null, 0, v74, s1
	s_clause 0x5
	global_load_b32 v86, v[77:78], off offset:4
	global_load_b32 v90, v[75:76], off offset:4
	global_load_b32 v94, v[73:74], off offset:4
	global_load_b32 v96, v[71:72], off offset:4
	global_load_b32 v99, v[79:80], off offset:8
	global_load_b32 v100, v[81:82], off offset:8
	v_add_co_u32 v71, s1, v75, v14
	s_wait_alu 0xf1ff
	v_add_co_ci_u32_e64 v72, null, 0, v76, s1
	v_mad_co_u64_u32 v[75:76], null, v47, 24, v[3:4]
	v_mad_co_u64_u32 v[73:74], null, v43, 24, v[3:4]
	global_load_b32 v101, v[71:72], off offset:8
	v_add_co_u32 v71, s1, v77, v14
	s_wait_alu 0xf1ff
	v_add_co_ci_u32_e64 v72, null, 0, v78, s1
	v_mad_co_u64_u32 v[77:78], null, v10, 24, s[16:17]
	s_lshl_b32 s16, s14, 5
	global_load_b32 v102, v[71:72], off offset:8
	v_mad_co_u64_u32 v[71:72], null, v42, 24, v[3:4]
	v_mad_co_u64_u32 v[3:4], null, v45, 24, v[3:4]
	;; [unrolled: 1-line block ×3, first 2 shown]
	s_wait_alu 0xfffe
	s_cmp_lt_i32 s16, s11
	s_delay_alu instid0(VALU_DEP_3) | instskip(SKIP_1) | instid1(VALU_DEP_4)
	v_add_co_u32 v79, s1, v71, v14
	s_wait_alu 0xf1ff
	v_add_co_ci_u32_e64 v80, null, 0, v72, s1
	s_clause 0x4
	global_load_b32 v107, v[75:76], off offset:4
	global_load_b32 v108, v[3:4], off offset:4
	;; [unrolled: 1-line block ×5, first 2 shown]
	v_add_co_u32 v73, s1, v73, v14
	s_wait_alu 0xf1ff
	v_add_co_ci_u32_e64 v74, null, 0, v74, s1
	v_add_co_u32 v3, s1, v3, v14
	v_mad_co_u64_u32 v[71:72], null, v39, 24, v[77:78]
	s_wait_alu 0xf1ff
	v_add_co_ci_u32_e64 v4, null, 0, v4, s1
	v_add_co_u32 v75, s1, v75, v14
	v_mad_co_u64_u32 v[79:80], null, v44, 24, v[77:78]
	s_wait_alu 0xf1ff
	v_add_co_ci_u32_e64 v76, null, 0, v76, s1
	v_mad_co_u64_u32 v[77:78], null, v49, 24, v[77:78]
	s_clause 0x6
	global_load_b32 v73, v[73:74], off offset:8
	global_load_b32 v3, v[3:4], off offset:8
	;; [unrolled: 1-line block ×3, first 2 shown]
	global_load_b32 v71, v[71:72], off
	global_load_b32 v72, v[79:80], off
	global_load_b32 v74, v[81:82], off
	global_load_b32 v75, v[77:78], off
	s_wait_loadcnt 0x23
	v_lshrrev_b32_e32 v78, 4, v103
	s_wait_loadcnt 0x22
	v_lshrrev_b32_e32 v81, 4, v104
	v_and_b32_e32 v77, 0xf0f0f0f, v103
	s_wait_loadcnt 0x20
	v_and_b32_e32 v103, 0xf0f0f0f, v84
	s_wait_loadcnt 0x1f
	v_ashrrev_i32_e32 v87, v14, v87
	s_wait_loadcnt 0x1e
	v_ashrrev_i32_e32 v82, v14, v88
	;; [unrolled: 2-line block ×4, first 2 shown]
	v_and_b32_e32 v88, 0xf0f0f0f, v83
	v_lshrrev_b32_e32 v83, 4, v83
	v_lshlrev_b32_e32 v129, 4, v82
	v_lshlrev_b32_e32 v122, 4, v79
	s_wait_loadcnt 0x17
	v_ashrrev_i32_e32 v95, v14, v95
	s_wait_loadcnt 0x16
	v_ashrrev_i32_e32 v93, v14, v93
	;; [unrolled: 2-line block ×4, first 2 shown]
	v_lshlrev_b32_e32 v115, 4, v76
	v_lshlrev_b32_e32 v116, 11, v76
	v_lshrrev_b32_e32 v119, 12, v76
	v_lshrrev_b32_e32 v120, 5, v76
	v_lshlrev_b32_e32 v123, 11, v79
	v_lshrrev_b32_e32 v126, 12, v79
	v_lshrrev_b32_e32 v127, 5, v79
	;; [unrolled: 3-line block ×3, first 2 shown]
	v_lshrrev_b32_e32 v84, 4, v84
	v_lshlrev_b32_e32 v136, 4, v87
	v_lshlrev_b32_e32 v137, 11, v87
	v_lshrrev_b32_e32 v140, 12, v87
	v_lshrrev_b32_e32 v141, 5, v87
	v_and_b32_e32 v80, 0xf0f0f0f, v104
	v_and_b32_e32 v104, 0xf0f0f0f, v91
	v_lshrrev_b32_e32 v91, 4, v91
	v_lshlrev_b32_e32 v143, 4, v85
	v_lshlrev_b32_e32 v144, 11, v85
	v_lshrrev_b32_e32 v147, 12, v85
	v_lshrrev_b32_e32 v148, 5, v85
	v_and_b32_e32 v105, 0xf0f0f0f, v92
	v_lshrrev_b32_e32 v92, 4, v92
	v_and_b32_e32 v106, 0xf0f0f0f, v97
	;; [unrolled: 2-line block ×3, first 2 shown]
	v_lshrrev_b32_e32 v98, 4, v98
	v_lshlrev_b32_e32 v117, 18, v76
	v_lshlrev_b32_e32 v118, 25, v76
	v_and_b32_e32 v78, 0xf0f0f0f, v78
	v_lshlrev_b32_e32 v121, 2, v76
	v_lshlrev_b32_e32 v76, 9, v76
	;; [unrolled: 1-line block ×4, first 2 shown]
	v_lshrrev_b32_e32 v154, 12, v89
	v_lshrrev_b32_e32 v155, 5, v89
	v_lshlrev_b32_e32 v157, 4, v93
	v_lshlrev_b32_e32 v158, 11, v93
	v_lshrrev_b32_e32 v161, 12, v93
	v_lshrrev_b32_e32 v162, 5, v93
	v_lshlrev_b32_e32 v164, 4, v95
	v_lshlrev_b32_e32 v165, 11, v95
	v_lshrrev_b32_e32 v168, 12, v95
	v_lshrrev_b32_e32 v169, 5, v95
	v_and_b32_e32 v115, 16, v115
	v_and_b32_e32 v116, 0x1000, v116
	v_and_b32_e32 v119, 16, v119
	v_and_b32_e32 v120, 0x1000, v120
	v_lshlrev_b32_e32 v124, 18, v79
	v_lshlrev_b32_e32 v125, 25, v79
	v_and_b32_e32 v81, 0xf0f0f0f, v81
	v_lshlrev_b32_e32 v128, 2, v79
	v_lshlrev_b32_e32 v79, 9, v79
	v_and_b32_e32 v122, 16, v122
	v_and_b32_e32 v123, 0x1000, v123
	v_and_b32_e32 v126, 16, v126
	v_and_b32_e32 v127, 0x1000, v127
	v_lshlrev_b32_e32 v131, 18, v82
	v_lshlrev_b32_e32 v132, 25, v82
	v_and_b32_e32 v83, 0xf0f0f0f, v83
	v_lshlrev_b32_e32 v135, 2, v82
	v_lshlrev_b32_e32 v82, 9, v82
	;; [unrolled: 9-line block ×5, first 2 shown]
	v_lshlrev_b32_e32 v159, 18, v93
	v_lshlrev_b32_e32 v160, 25, v93
	v_and_b32_e32 v97, 0xf0f0f0f, v97
	v_lshlrev_b32_e32 v163, 2, v93
	v_lshlrev_b32_e32 v93, 9, v93
	;; [unrolled: 1-line block ×4, first 2 shown]
	v_and_b32_e32 v98, 0xf0f0f0f, v98
	v_lshlrev_b32_e32 v170, 2, v95
	v_lshlrev_b32_e32 v95, 9, v95
	v_and_b32_e32 v117, 0x100000, v117
	v_and_b32_e32 v118, 0x10000000, v118
	;; [unrolled: 1-line block ×16, first 2 shown]
	v_or3_b32 v77, v115, v77, v116
	v_or3_b32 v78, v119, v78, v120
	v_and_b32_e32 v124, 0x100000, v124
	v_and_b32_e32 v125, 0x10000000, v125
	v_and_b32_e32 v128, 0x100000, v128
	v_and_b32_e32 v79, 0x10000000, v79
	v_or3_b32 v80, v122, v80, v123
	v_or3_b32 v81, v126, v81, v127
	v_and_b32_e32 v131, 0x100000, v131
	v_and_b32_e32 v132, 0x10000000, v132
	v_and_b32_e32 v135, 0x100000, v135
	v_and_b32_e32 v82, 0x10000000, v82
	v_or3_b32 v88, v129, v88, v130
	v_or3_b32 v83, v133, v83, v134
	v_and_b32_e32 v138, 0x100000, v138
	v_and_b32_e32 v139, 0x10000000, v139
	v_and_b32_e32 v142, 0x100000, v142
	v_and_b32_e32 v87, 0x10000000, v87
	v_or3_b32 v103, v136, v103, v137
	v_or3_b32 v84, v140, v84, v141
	v_and_b32_e32 v145, 0x100000, v145
	v_and_b32_e32 v146, 0x10000000, v146
	v_and_b32_e32 v149, 0x100000, v149
	v_and_b32_e32 v85, 0x10000000, v85
	v_or3_b32 v104, v143, v104, v144
	v_or3_b32 v91, v147, v91, v148
	s_wait_loadcnt 0x10
	v_ashrrev_i32_e32 v96, v14, v96
	v_ashrrev_i32_e32 v94, v14, v94
	v_and_b32_e32 v152, 0x100000, v152
	v_and_b32_e32 v153, 0x10000000, v153
	v_and_b32_e32 v156, 0x100000, v156
	v_and_b32_e32 v89, 0x10000000, v89
	v_and_b32_e32 v159, 0x100000, v159
	v_and_b32_e32 v160, 0x10000000, v160
	v_and_b32_e32 v163, 0x100000, v163
	v_and_b32_e32 v93, 0x10000000, v93
	v_and_b32_e32 v166, 0x100000, v166
	v_and_b32_e32 v167, 0x10000000, v167
	v_and_b32_e32 v170, 0x100000, v170
	v_and_b32_e32 v95, 0x10000000, v95
	v_or3_b32 v105, v150, v105, v151
	v_or3_b32 v92, v154, v92, v155
	;; [unrolled: 1-line block ×16, first 2 shown]
	s_wait_loadcnt 0xf
	v_and_b32_e32 v113, 0xf0f0f0f, v99
	v_lshrrev_b32_e32 v99, 4, v99
	v_lshlrev_b32_e32 v171, 4, v96
	v_lshlrev_b32_e32 v172, 11, v96
	v_lshrrev_b32_e32 v175, 12, v96
	v_lshrrev_b32_e32 v176, 5, v96
	v_or3_b32 v87, v105, v152, v153
	v_or3_b32 v88, v92, v156, v89
	;; [unrolled: 1-line block ×6, first 2 shown]
	ds_store_2addr_b32 v15, v77, v76 offset1:1
	ds_store_2addr_b32 v19, v78, v79 offset1:1
	ds_store_2addr_b32 v20, v80, v81 offset1:1
	ds_store_2addr_b32 v21, v82, v83 offset1:1
	ds_store_2addr_b32 v22, v84, v85 offset1:1
	ds_store_2addr_b32 v24, v87, v88 offset1:1
	ds_store_2addr_b32 v25, v89, v91 offset1:1
	ds_store_2addr_b32 v26, v92, v93 offset1:1
	s_wait_loadcnt 0xe
	v_lshrrev_b32_e32 v80, 4, v100
	v_lshrrev_b32_e32 v81, 12, v94
	;; [unrolled: 1-line block ×3, first 2 shown]
	v_lshlrev_b32_e32 v173, 18, v96
	v_lshlrev_b32_e32 v174, 25, v96
	v_and_b32_e32 v99, 0xf0f0f0f, v99
	v_lshlrev_b32_e32 v177, 2, v96
	v_lshlrev_b32_e32 v96, 9, v96
	;; [unrolled: 1-line block ×4, first 2 shown]
	v_and_b32_e32 v171, 16, v171
	v_and_b32_e32 v172, 0x1000, v172
	;; [unrolled: 1-line block ×7, first 2 shown]
	v_ashrrev_i32_e32 v84, v14, v90
	v_and_b32_e32 v114, 0xf0f0f0f, v100
	v_and_b32_e32 v173, 0x100000, v173
	;; [unrolled: 1-line block ×7, first 2 shown]
	v_or3_b32 v113, v171, v113, v172
	v_or3_b32 v99, v175, v99, v176
	v_lshlrev_b32_e32 v78, 18, v94
	v_lshlrev_b32_e32 v83, 25, v94
	;; [unrolled: 1-line block ×4, first 2 shown]
	v_or3_b32 v80, v81, v80, v82
	v_lshlrev_b32_e32 v81, 4, v84
	v_lshlrev_b32_e32 v82, 11, v84
	v_or3_b32 v76, v113, v173, v174
	v_or3_b32 v77, v99, v177, v96
	;; [unrolled: 1-line block ×3, first 2 shown]
	v_and_b32_e32 v78, 0x100000, v78
	v_and_b32_e32 v83, 0x10000000, v83
	;; [unrolled: 1-line block ×4, first 2 shown]
	s_wait_loadcnt 0xd
	v_and_b32_e32 v88, 0xf0f0f0f, v101
	v_and_b32_e32 v81, 16, v81
	;; [unrolled: 1-line block ×3, first 2 shown]
	ds_store_2addr_b32 v27, v76, v77 offset1:1
	v_or3_b32 v76, v79, v78, v83
	v_or3_b32 v77, v80, v85, v87
	v_lshrrev_b32_e32 v80, 4, v101
	v_or3_b32 v79, v81, v88, v82
	v_lshrrev_b32_e32 v81, 12, v84
	v_lshrrev_b32_e32 v82, 5, v84
	v_ashrrev_i32_e32 v85, v14, v86
	v_and_b32_e32 v80, 0xf0f0f0f, v80
	v_lshlrev_b32_e32 v78, 18, v84
	v_and_b32_e32 v81, 16, v81
	v_and_b32_e32 v82, 0x1000, v82
	v_lshlrev_b32_e32 v83, 25, v84
	v_lshlrev_b32_e32 v86, 2, v84
	;; [unrolled: 1-line block ×3, first 2 shown]
	v_and_b32_e32 v78, 0x100000, v78
	v_or3_b32 v80, v81, v80, v82
	v_lshlrev_b32_e32 v81, 4, v85
	v_lshlrev_b32_e32 v82, 11, v85
	v_and_b32_e32 v83, 0x10000000, v83
	v_and_b32_e32 v86, 0x100000, v86
	;; [unrolled: 1-line block ×3, first 2 shown]
	s_wait_loadcnt 0xc
	v_and_b32_e32 v87, 0xf0f0f0f, v102
	v_and_b32_e32 v81, 16, v81
	;; [unrolled: 1-line block ×3, first 2 shown]
	ds_store_2addr_b32 v29, v76, v77 offset1:1
	v_or3_b32 v76, v79, v78, v83
	v_or3_b32 v77, v80, v86, v84
	v_lshrrev_b32_e32 v80, 4, v102
	v_or3_b32 v79, v81, v87, v82
	v_lshrrev_b32_e32 v81, 12, v85
	v_lshrrev_b32_e32 v82, 5, v85
	s_wait_loadcnt 0x8
	v_ashrrev_i32_e32 v84, v14, v110
	v_and_b32_e32 v80, 0xf0f0f0f, v80
	v_lshlrev_b32_e32 v78, 18, v85
	v_and_b32_e32 v81, 16, v81
	v_and_b32_e32 v82, 0x1000, v82
	v_lshlrev_b32_e32 v83, 25, v85
	v_lshlrev_b32_e32 v86, 2, v85
	;; [unrolled: 1-line block ×3, first 2 shown]
	v_and_b32_e32 v78, 0x100000, v78
	v_or3_b32 v80, v81, v80, v82
	v_lshlrev_b32_e32 v81, 4, v84
	v_lshlrev_b32_e32 v82, 11, v84
	v_and_b32_e32 v83, 0x10000000, v83
	v_and_b32_e32 v86, 0x100000, v86
	;; [unrolled: 1-line block ×3, first 2 shown]
	s_wait_loadcnt 0x7
	v_and_b32_e32 v87, 0xf0f0f0f, v111
	v_and_b32_e32 v81, 16, v81
	;; [unrolled: 1-line block ×3, first 2 shown]
	ds_store_2addr_b32 v30, v76, v77 offset1:1
	v_or3_b32 v76, v79, v78, v83
	v_or3_b32 v77, v80, v86, v85
	v_lshrrev_b32_e32 v80, 4, v111
	v_or3_b32 v79, v81, v87, v82
	v_lshrrev_b32_e32 v81, 12, v84
	v_lshrrev_b32_e32 v82, 5, v84
	v_ashrrev_i32_e32 v85, v14, v109
	v_and_b32_e32 v80, 0xf0f0f0f, v80
	v_lshlrev_b32_e32 v78, 18, v84
	v_and_b32_e32 v81, 16, v81
	v_and_b32_e32 v82, 0x1000, v82
	v_lshlrev_b32_e32 v83, 25, v84
	v_lshlrev_b32_e32 v86, 2, v84
	;; [unrolled: 1-line block ×3, first 2 shown]
	v_and_b32_e32 v78, 0x100000, v78
	v_or3_b32 v80, v81, v80, v82
	v_lshlrev_b32_e32 v81, 4, v85
	v_lshlrev_b32_e32 v82, 11, v85
	v_and_b32_e32 v83, 0x10000000, v83
	v_and_b32_e32 v86, 0x100000, v86
	;; [unrolled: 1-line block ×3, first 2 shown]
	s_wait_loadcnt 0x6
	v_and_b32_e32 v87, 0xf0f0f0f, v73
	v_and_b32_e32 v81, 16, v81
	;; [unrolled: 1-line block ×3, first 2 shown]
	v_lshlrev_b32_e32 v88, 18, v85
	v_lshlrev_b32_e32 v89, 25, v85
	v_or3_b32 v78, v79, v78, v83
	v_or3_b32 v79, v80, v86, v84
	;; [unrolled: 1-line block ×3, first 2 shown]
	v_and_b32_e32 v81, 0x100000, v88
	v_and_b32_e32 v82, 0x10000000, v89
	v_lshrrev_b32_e32 v83, 12, v85
	v_lshrrev_b32_e32 v84, 5, v85
	v_ashrrev_i32_e32 v86, v14, v108
	v_lshrrev_b32_e32 v73, 4, v73
	v_or3_b32 v80, v80, v81, v82
	v_and_b32_e32 v81, 16, v83
	v_and_b32_e32 v82, 0x1000, v84
	v_lshlrev_b32_e32 v83, 4, v86
	v_lshlrev_b32_e32 v84, 11, v86
	s_wait_loadcnt 0x5
	v_and_b32_e32 v88, 0xf0f0f0f, v3
	v_and_b32_e32 v73, 0xf0f0f0f, v73
	v_lshlrev_b32_e32 v87, 2, v85
	v_and_b32_e32 v83, 16, v83
	v_and_b32_e32 v84, 0x1000, v84
	v_lshlrev_b32_e32 v85, 9, v85
	v_or3_b32 v73, v81, v73, v82
	v_and_b32_e32 v81, 0x100000, v87
	v_lshrrev_b32_e32 v3, 4, v3
	v_or3_b32 v83, v83, v88, v84
	v_ashrrev_i32_e32 v88, v14, v107
	v_and_b32_e32 v82, 0x10000000, v85
	v_lshrrev_b32_e32 v85, 12, v86
	v_lshrrev_b32_e32 v87, 5, v86
	v_and_b32_e32 v3, 0xf0f0f0f, v3
	v_lshlrev_b32_e32 v90, 4, v88
	v_lshlrev_b32_e32 v91, 11, v88
	v_and_b32_e32 v85, 16, v85
	v_and_b32_e32 v87, 0x1000, v87
	s_wait_loadcnt 0x4
	v_and_b32_e32 v93, 0xf0f0f0f, v4
	v_and_b32_e32 v90, 16, v90
	;; [unrolled: 1-line block ×3, first 2 shown]
	v_lshlrev_b32_e32 v89, 18, v86
	v_lshlrev_b32_e32 v92, 2, v86
	v_or3_b32 v3, v85, v3, v87
	v_lshrrev_b32_e32 v4, 4, v4
	v_or3_b32 v87, v90, v93, v91
	v_lshrrev_b32_e32 v90, 12, v88
	v_lshrrev_b32_e32 v91, 5, v88
	v_and_b32_e32 v84, 0x100000, v89
	v_lshlrev_b32_e32 v89, 25, v86
	v_lshlrev_b32_e32 v86, 9, v86
	v_and_b32_e32 v85, 0x100000, v92
	v_lshlrev_b32_e32 v92, 18, v88
	v_lshlrev_b32_e32 v93, 25, v88
	v_and_b32_e32 v4, 0xf0f0f0f, v4
	v_and_b32_e32 v90, 16, v90
	;; [unrolled: 1-line block ×3, first 2 shown]
	v_lshlrev_b32_e32 v94, 2, v88
	v_lshlrev_b32_e32 v88, 9, v88
	v_and_b32_e32 v89, 0x10000000, v89
	v_and_b32_e32 v86, 0x10000000, v86
	;; [unrolled: 1-line block ×4, first 2 shown]
	v_or3_b32 v4, v90, v4, v91
	v_and_b32_e32 v90, 0x100000, v94
	v_and_b32_e32 v88, 0x10000000, v88
	v_or3_b32 v73, v73, v81, v82
	v_or3_b32 v81, v83, v84, v89
	;; [unrolled: 1-line block ×5, first 2 shown]
	ds_store_2addr_b32 v31, v76, v77 offset1:1
	ds_store_2addr_b32 v33, v78, v79 offset1:1
	;; [unrolled: 1-line block ×5, first 2 shown]
	s_wait_loadcnt 0x3
	ds_store_b32 v67, v71
	s_wait_loadcnt 0x2
	ds_store_b32 v68, v72
	;; [unrolled: 2-line block ×4, first 2 shown]
	s_cbranch_scc0 .LBB223_4
; %bb.6:                                ;   in Loop: Header=BB223_5 Depth=1
	v_add_nc_u32_e32 v3, s14, v11
	s_delay_alu instid0(VALU_DEP_1)
	v_cmp_gt_i32_e64 s1, s5, v3
	s_and_b32 s17, s0, s1
	s_wait_alu 0xfffe
	s_and_saveexec_b32 s1, s17
	s_cbranch_execz .LBB223_8
; %bb.7:                                ;   in Loop: Header=BB223_5 Depth=1
	v_add_nc_u32_e32 v3, v56, v3
	s_delay_alu instid0(VALU_DEP_1)
	v_mad_co_i64_i32 v[3:4], null, v3, 36, v[0:1]
	global_load_b32 v3, v[3:4], off offset:4
	s_wait_loadcnt 0x0
	ds_store_b32 v52, v3
.LBB223_8:                              ;   in Loop: Header=BB223_5 Depth=1
	s_wait_alu 0xfffe
	s_or_b32 exec_lo, exec_lo, s1
	v_add_nc_u32_e32 v3, s14, v6
	s_delay_alu instid0(VALU_DEP_1)
	v_cmp_gt_i32_e64 s1, s5, v3
	s_and_b32 s17, s19, s1
	s_wait_alu 0xfffe
	s_and_saveexec_b32 s1, s17
	s_cbranch_execz .LBB223_10
; %bb.9:                                ;   in Loop: Header=BB223_5 Depth=1
	v_add_nc_u32_e32 v4, v56, v3
	s_delay_alu instid0(VALU_DEP_1)
	v_mad_co_i64_i32 v[71:72], null, v4, 36, s[2:3]
	global_load_b32 v4, v[71:72], off
	s_wait_loadcnt 0x0
	ds_store_b32 v53, v4
.LBB223_10:                             ;   in Loop: Header=BB223_5 Depth=1
	s_wait_alu 0xfffe
	s_or_b32 exec_lo, exec_lo, s1
	v_dual_mov_b32 v4, v50 :: v_dual_mov_b32 v71, v54
	v_dual_mov_b32 v72, v51 :: v_dual_mov_b32 v73, v61
	v_dual_mov_b32 v74, v60 :: v_dual_mov_b32 v75, v59
	v_mov_b32_e32 v76, v58
	s_mov_b32 s1, -4
	s_wait_dscnt 0x0
	s_barrier_signal -1
	s_barrier_wait -1
	global_inv scope:SCOPE_SE
.LBB223_11:                             ;   Parent Loop BB223_5 Depth=1
                                        ; =>  This Inner Loop Header: Depth=2
	v_add_nc_u32_e32 v93, 0x2080, v71
	v_add_nc_u32_e32 v95, 0x2088, v71
	;; [unrolled: 1-line block ×3, first 2 shown]
	ds_load_2addr_b32 v[77:78], v4 offset0:3 offset1:4
	ds_load_2addr_b32 v[79:80], v4 offset0:5 offset1:6
	ds_load_2addr_b32 v[81:82], v71 offset1:1
	ds_load_2addr_b32 v[83:84], v4 offset0:1 offset1:2
	ds_load_2addr_b32 v[85:86], v4 offset1:7
	ds_load_b32 v117, v72
	ds_load_2addr_b32 v[87:88], v71 offset0:2 offset1:3
	ds_load_2addr_b32 v[89:90], v71 offset0:4 offset1:5
	;; [unrolled: 1-line block ×3, first 2 shown]
	v_add_nc_u32_e32 v99, 0x2098, v71
	v_add_nc_u32_e32 v101, 0x4100, v71
	;; [unrolled: 1-line block ×9, first 2 shown]
	ds_load_b32 v118, v73
	ds_load_b32 v119, v74
	;; [unrolled: 1-line block ×4, first 2 shown]
	ds_load_2addr_b32 v[93:94], v93 offset1:1
	ds_load_2addr_b32 v[95:96], v95 offset1:1
	;; [unrolled: 1-line block ×12, first 2 shown]
	s_wait_dscnt 0x18
	v_lshlrev_b32_e32 v122, 8, v78
	v_lshlrev_b32_e32 v129, 24, v78
	;; [unrolled: 1-line block ×3, first 2 shown]
	s_wait_dscnt 0x15
	v_lshlrev_b32_e32 v123, 8, v83
	v_lshlrev_b32_e32 v124, 8, v79
	v_lshlrev_b32_e32 v125, 8, v84
	v_lshlrev_b32_e32 v126, 8, v80
	v_lshlrev_b32_e32 v127, 8, v77
	s_wait_dscnt 0x14
	v_lshlrev_b32_e32 v128, 8, v86
	v_lshlrev_b32_e32 v131, 24, v83
	;; [unrolled: 1-line block ×12, first 2 shown]
	v_perm_b32 v146, v130, v129, 0xc0c0703
	v_perm_b32 v147, v78, v122, 0x7030c0c
	v_dot4_i32_iu8 v81, v85, v81, 0 neg_lo:[1,1,0]
	v_lshlrev_b32_e32 v142, 16, v86
	v_perm_b32 v143, v79, v83, 0x7030c0c
	v_perm_b32 v144, v80, v84, 0xc0c0703
	;; [unrolled: 1-line block ×3, first 2 shown]
	s_wait_dscnt 0xb
	v_dot4_i32_iu8 v93, v85, v93, 0 neg_lo:[1,1,0]
	s_wait_dscnt 0x7
	v_dot4_i32_iu8 v101, v85, v101, 0 neg_lo:[1,1,0]
	v_perm_b32 v148, v132, v131, 0xc0c0703
	v_perm_b32 v83, v83, v123, 0x7030c0c
	;; [unrolled: 1-line block ×11, first 2 shown]
	s_wait_dscnt 0x3
	v_perm_b32 v130, v109, v130, 0xc0c0503
	v_perm_b32 v132, v134, v132, 0x7030c0c
	s_wait_dscnt 0x2
	v_perm_b32 v134, v112, v111, 0x5010c0c
	v_perm_b32 v154, v85, v110, 0xc0c0501
	;; [unrolled: 1-line block ×13, first 2 shown]
	s_wait_dscnt 0x1
	v_perm_b32 v110, v114, v113, 0xc0c0602
	s_wait_dscnt 0x0
	v_perm_b32 v112, v116, v115, 0x6020c0c
	v_perm_b32 v123, v126, v125, 0xc0c0703
	;; [unrolled: 1-line block ×12, first 2 shown]
	v_or_b32_e32 v136, v147, v146
	v_or_b32_e32 v83, v83, v148
	;; [unrolled: 1-line block ×3, first 2 shown]
	v_perm_b32 v116, v142, v140, 0x7030c0c
	v_or_b32_e32 v84, v84, v150
	v_dot4_i32_iu8 v81, v136, v82, v81 neg_lo:[1,1,0]
	v_dot4_i32_iu8 v82, v136, v94, v93 neg_lo:[1,1,0]
	v_dot4_i32_iu8 v93, v136, v102, v101 neg_lo:[1,1,0]
	v_or_b32_e32 v130, v132, v130
	v_or_b32_e32 v132, v134, v154
	v_dot4_i32_iu8 v81, v83, v87, v81 neg_lo:[1,1,0]
	v_dot4_i32_iu8 v82, v83, v95, v82 neg_lo:[1,1,0]
	v_dot4_i32_iu8 v83, v83, v103, v93 neg_lo:[1,1,0]
	v_or_b32_e32 v134, v155, v156
	;; [unrolled: 5-line block ×3, first 2 shown]
	v_or_b32_e32 v80, v80, v151
	v_or_b32_e32 v129, v131, v129
	;; [unrolled: 1-line block ×9, first 2 shown]
	v_dot4_i32_iu8 v101, v130, v132, 0 neg_lo:[1,1,0]
	v_dot4_i32_iu8 v78, v78, v134, 0 neg_lo:[1,1,0]
	;; [unrolled: 1-line block ×5, first 2 shown]
	v_perm_b32 v153, v142, v141, 0xc0c0703
	v_or_b32_e32 v77, v77, v152
	v_or_b32_e32 v110, v112, v110
	v_or_b32_e32 v112, v126, v125
	v_or_b32_e32 v122, v128, v127
	v_dot4_i32_iu8 v85, v109, v85, 0 neg_lo:[1,1,0]
	v_dot4_i32_iu8 v83, v129, v131, 0 neg_lo:[1,1,0]
	v_dot4_i32_iu8 v78, v135, v123, v78 neg_lo:[1,1,0]
	v_dot4_i32_iu8 v84, v94, v113, v101 neg_lo:[1,1,0]
	v_dot4_i32_iu8 v81, v80, v90, v81 neg_lo:[1,1,0]
	v_dot4_i32_iu8 v82, v80, v98, v82 neg_lo:[1,1,0]
	v_dot4_i32_iu8 v79, v80, v106, v79 neg_lo:[1,1,0]
	v_or_b32_e32 v86, v86, v153
	v_dot4_i32_iu8 v85, v111, v110, v85 neg_lo:[1,1,0]
	v_dot4_i32_iu8 v80, v122, v112, v83 neg_lo:[1,1,0]
	v_add_nc_u32_e32 v78, v84, v78
	v_dot4_i32_iu8 v81, v77, v91, v81 neg_lo:[1,1,0]
	v_dot4_i32_iu8 v82, v77, v99, v82 neg_lo:[1,1,0]
	v_dot4_i32_iu8 v77, v77, v107, v79 neg_lo:[1,1,0]
	v_pk_mul_f16 v118, v117, v118
	v_add3_u32 v78, v80, v85, v78
	v_dot4_i32_iu8 v80, v86, v92, v81 neg_lo:[1,1,0]
	v_dot4_i32_iu8 v81, v86, v100, v82 neg_lo:[1,1,0]
	;; [unrolled: 1-line block ×3, first 2 shown]
	v_pk_mul_f16 v119, v117, v119
	v_pk_mul_f16 v79, v117, v120
	;; [unrolled: 1-line block ×3, first 2 shown]
	v_cvt_f32_i32_e32 v78, v78
	v_cvt_f32_i32_e32 v80, v80
	;; [unrolled: 1-line block ×4, first 2 shown]
	v_add_nc_u32_e32 v76, 4, v76
	v_fma_mix_f32 v78, v82, v78, v82 op_sel:[0,0,1] op_sel_hi:[1,0,1]
	v_fma_mix_f32 v80, v118, v80, v118 op_sel:[0,0,1] op_sel_hi:[1,0,1]
	;; [unrolled: 1-line block ×4, first 2 shown]
	v_add_nc_u32_e32 v75, 4, v75
	s_delay_alu instid0(VALU_DEP_4)
	v_dual_add_f32 v7, v7, v80 :: v_dual_add_nc_u32 v74, 4, v74
	v_add_nc_u32_e32 v73, 4, v73
	v_add_nc_u32_e32 v72, 4, v72
	;; [unrolled: 1-line block ×4, first 2 shown]
	v_add_f32_e32 v2, v2, v78
	v_add_f32_e32 v48, v48, v81
	v_add_f32_e32 v38, v38, v77
	s_wait_alu 0xfffe
	s_add_co_i32 s1, s1, 4
	s_wait_alu 0xfffe
	s_cmp_lt_u32 s1, 12
	s_cbranch_scc1 .LBB223_11
; %bb.12:                               ;   in Loop: Header=BB223_5 Depth=1
	s_bitset1_b32 s16, 7
	s_wait_loadcnt 0x0
	s_wait_alu 0xfffe
	s_cmp_ge_i32 s16, s11
	s_barrier_signal -1
	s_barrier_wait -1
	global_inv scope:SCOPE_SE
	s_cbranch_scc1 .LBB223_4
; %bb.13:                               ;   in Loop: Header=BB223_5 Depth=1
	v_add_nc_u32_e32 v4, s14, v55
	s_delay_alu instid0(VALU_DEP_1)
	v_cmp_gt_i32_e64 s1, s5, v4
	s_and_b32 s16, s0, s1
	s_wait_alu 0xfffe
	s_and_saveexec_b32 s1, s16
	s_cbranch_execz .LBB223_15
; %bb.14:                               ;   in Loop: Header=BB223_5 Depth=1
	v_add_nc_u32_e32 v4, v56, v4
	s_delay_alu instid0(VALU_DEP_1)
	v_mad_co_i64_i32 v[71:72], null, v4, 36, v[0:1]
	global_load_b32 v4, v[71:72], off offset:4
	s_wait_loadcnt 0x0
	ds_store_b32 v52, v4
.LBB223_15:                             ;   in Loop: Header=BB223_5 Depth=1
	s_wait_alu 0xfffe
	s_or_b32 exec_lo, exec_lo, s1
	s_and_saveexec_b32 s16, vcc_lo
	s_cbranch_execz .LBB223_18
; %bb.16:                               ;   in Loop: Header=BB223_5 Depth=1
	v_or_b32_e32 v4, 4, v3
	s_delay_alu instid0(VALU_DEP_1)
	v_cmp_gt_i32_e64 s1, s5, v4
	s_and_b32 s1, s0, s1
	s_wait_alu 0xfffe
	s_and_b32 exec_lo, exec_lo, s1
	s_cbranch_execz .LBB223_18
; %bb.17:                               ;   in Loop: Header=BB223_5 Depth=1
	v_ashrrev_i32_e32 v4, 31, v3
	v_add_co_u32 v3, s1, v56, v3
	s_wait_alu 0xf1ff
	s_delay_alu instid0(VALU_DEP_2) | instskip(NEXT) | instid1(VALU_DEP_2)
	v_add_co_ci_u32_e64 v71, null, v57, v4, s1
	v_mad_co_u64_u32 v[3:4], null, v3, 36, s[2:3]
	s_delay_alu instid0(VALU_DEP_1)
	v_mad_i32_i24 v4, v71, 36, v4
	global_load_b32 v3, v[3:4], off offset:144
	s_wait_loadcnt 0x0
	ds_store_b32 v53, v3
.LBB223_18:                             ;   in Loop: Header=BB223_5 Depth=1
	s_wait_alu 0xfffe
	s_or_b32 exec_lo, exec_lo, s16
	v_dual_mov_b32 v3, v51 :: v_dual_mov_b32 v4, v50
	v_dual_mov_b32 v71, v66 :: v_dual_mov_b32 v72, v65
	;; [unrolled: 1-line block ×3, first 2 shown]
	v_mov_b32_e32 v75, v62
	s_mov_b32 s1, 12
	s_wait_loadcnt_dscnt 0x0
	s_barrier_signal -1
	s_barrier_wait -1
	global_inv scope:SCOPE_SE
.LBB223_19:                             ;   Parent Loop BB223_5 Depth=1
                                        ; =>  This Inner Loop Header: Depth=2
	v_add_nc_u32_e32 v92, 0x2080, v71
	v_add_nc_u32_e32 v94, 0x2088, v71
	ds_load_2addr_b32 v[76:77], v4 offset1:7
	ds_load_2addr_b32 v[78:79], v4 offset0:3 offset1:4
	ds_load_2addr_b32 v[80:81], v4 offset0:5 offset1:6
	;; [unrolled: 1-line block ×3, first 2 shown]
	ds_load_b32 v116, v3
	ds_load_2addr_b32 v[84:85], v71 offset1:1
	ds_load_2addr_b32 v[86:87], v71 offset0:2 offset1:3
	ds_load_2addr_b32 v[88:89], v71 offset0:4 offset1:5
	;; [unrolled: 1-line block ×3, first 2 shown]
	v_add_nc_u32_e32 v96, 0x2090, v71
	v_add_nc_u32_e32 v98, 0x2098, v71
	;; [unrolled: 1-line block ×10, first 2 shown]
	ds_load_b32 v117, v72
	ds_load_b32 v118, v73
	;; [unrolled: 1-line block ×4, first 2 shown]
	ds_load_2addr_b32 v[92:93], v92 offset1:1
	ds_load_2addr_b32 v[94:95], v94 offset1:1
	;; [unrolled: 1-line block ×12, first 2 shown]
	s_wait_dscnt 0x17
	v_lshlrev_b32_e32 v121, 8, v79
	v_lshlrev_b32_e32 v128, 24, v79
	;; [unrolled: 1-line block ×3, first 2 shown]
	s_wait_dscnt 0x15
	v_lshlrev_b32_e32 v122, 8, v82
	v_lshlrev_b32_e32 v123, 8, v80
	;; [unrolled: 1-line block ×17, first 2 shown]
	v_perm_b32 v145, v129, v128, 0xc0c0703
	v_perm_b32 v146, v79, v121, 0x7030c0c
	s_wait_dscnt 0x13
	v_dot4_i32_iu8 v84, v76, v84, 0 neg_lo:[1,1,0]
	v_lshlrev_b32_e32 v141, 16, v77
	v_perm_b32 v142, v80, v82, 0x7030c0c
	v_perm_b32 v143, v81, v83, 0xc0c0703
	;; [unrolled: 1-line block ×3, first 2 shown]
	s_wait_dscnt 0xb
	v_dot4_i32_iu8 v92, v76, v92, 0 neg_lo:[1,1,0]
	s_wait_dscnt 0x7
	v_dot4_i32_iu8 v100, v76, v100, 0 neg_lo:[1,1,0]
	v_perm_b32 v147, v131, v130, 0xc0c0703
	v_perm_b32 v82, v82, v122, 0x7030c0c
	;; [unrolled: 1-line block ×11, first 2 shown]
	s_wait_dscnt 0x3
	v_perm_b32 v129, v108, v129, 0xc0c0503
	v_perm_b32 v131, v133, v131, 0x7030c0c
	s_wait_dscnt 0x2
	v_perm_b32 v133, v111, v110, 0x5010c0c
	v_perm_b32 v153, v76, v109, 0xc0c0501
	;; [unrolled: 1-line block ×13, first 2 shown]
	s_wait_dscnt 0x1
	v_perm_b32 v109, v113, v112, 0xc0c0602
	s_wait_dscnt 0x0
	v_perm_b32 v111, v115, v114, 0x6020c0c
	v_perm_b32 v122, v125, v124, 0xc0c0703
	;; [unrolled: 1-line block ×12, first 2 shown]
	v_or_b32_e32 v135, v146, v145
	v_or_b32_e32 v82, v82, v147
	;; [unrolled: 1-line block ×3, first 2 shown]
	v_perm_b32 v115, v141, v139, 0x7030c0c
	v_or_b32_e32 v83, v83, v149
	v_dot4_i32_iu8 v84, v135, v85, v84 neg_lo:[1,1,0]
	v_dot4_i32_iu8 v85, v135, v93, v92 neg_lo:[1,1,0]
	v_dot4_i32_iu8 v92, v135, v101, v100 neg_lo:[1,1,0]
	v_or_b32_e32 v129, v131, v129
	v_or_b32_e32 v131, v133, v153
	v_dot4_i32_iu8 v84, v82, v86, v84 neg_lo:[1,1,0]
	v_dot4_i32_iu8 v85, v82, v94, v85 neg_lo:[1,1,0]
	v_dot4_i32_iu8 v82, v82, v102, v92 neg_lo:[1,1,0]
	v_or_b32_e32 v133, v154, v155
	;; [unrolled: 5-line block ×3, first 2 shown]
	v_or_b32_e32 v81, v81, v150
	v_or_b32_e32 v128, v130, v128
	;; [unrolled: 1-line block ×9, first 2 shown]
	v_dot4_i32_iu8 v100, v129, v131, 0 neg_lo:[1,1,0]
	v_dot4_i32_iu8 v79, v79, v133, 0 neg_lo:[1,1,0]
	;; [unrolled: 1-line block ×5, first 2 shown]
	v_perm_b32 v152, v141, v140, 0xc0c0703
	v_or_b32_e32 v78, v78, v151
	v_or_b32_e32 v109, v111, v109
	;; [unrolled: 1-line block ×4, first 2 shown]
	v_dot4_i32_iu8 v76, v108, v76, 0 neg_lo:[1,1,0]
	v_dot4_i32_iu8 v82, v128, v130, 0 neg_lo:[1,1,0]
	;; [unrolled: 1-line block ×7, first 2 shown]
	v_or_b32_e32 v77, v77, v152
	v_dot4_i32_iu8 v76, v110, v109, v76 neg_lo:[1,1,0]
	v_dot4_i32_iu8 v81, v121, v111, v82 neg_lo:[1,1,0]
	v_add_nc_u32_e32 v79, v83, v79
	v_dot4_i32_iu8 v82, v78, v90, v84 neg_lo:[1,1,0]
	v_dot4_i32_iu8 v83, v78, v98, v85 neg_lo:[1,1,0]
	;; [unrolled: 1-line block ×3, first 2 shown]
	v_pk_mul_f16 v117, v116, v117
	v_add3_u32 v76, v81, v76, v79
	v_dot4_i32_iu8 v79, v77, v91, v82 neg_lo:[1,1,0]
	v_dot4_i32_iu8 v81, v77, v99, v83 neg_lo:[1,1,0]
	;; [unrolled: 1-line block ×3, first 2 shown]
	v_pk_mul_f16 v118, v116, v118
	v_pk_mul_f16 v80, v116, v119
	;; [unrolled: 1-line block ×3, first 2 shown]
	v_cvt_f32_i32_e32 v76, v76
	v_cvt_f32_i32_e32 v79, v79
	;; [unrolled: 1-line block ×4, first 2 shown]
	v_add_nc_u32_e32 v74, 4, v74
	v_fma_mix_f32 v76, v78, v76, v78 op_sel:[0,0,1] op_sel_hi:[1,0,1]
	v_fma_mix_f32 v78, v117, v79, v117 op_sel:[0,0,1] op_sel_hi:[1,0,1]
	v_fma_mix_f32 v79, v118, v81, v118 op_sel:[0,0,1] op_sel_hi:[1,0,1]
	v_fma_mix_f32 v77, v80, v77, v80 op_sel:[0,0,1] op_sel_hi:[1,0,1]
	s_delay_alu instid0(VALU_DEP_4) | instskip(NEXT) | instid1(VALU_DEP_3)
	v_dual_add_f32 v2, v2, v76 :: v_dual_add_nc_u32 v75, 4, v75
	v_dual_add_f32 v48, v48, v79 :: v_dual_add_nc_u32 v73, 4, v73
	v_add_nc_u32_e32 v72, 4, v72
	s_delay_alu instid0(VALU_DEP_4)
	v_dual_add_f32 v38, v38, v77 :: v_dual_add_nc_u32 v71, 32, v71
	v_add_nc_u32_e32 v4, 32, v4
	v_add_nc_u32_e32 v3, 4, v3
	v_add_f32_e32 v7, v7, v78
	s_wait_alu 0xfffe
	s_add_co_i32 s1, s1, 4
	s_wait_alu 0xfffe
	s_cmp_lt_u32 s1, 28
	s_cbranch_scc1 .LBB223_19
; %bb.20:                               ;   in Loop: Header=BB223_5 Depth=1
	s_wait_loadcnt 0x0
	s_barrier_signal -1
	s_barrier_wait -1
	global_inv scope:SCOPE_SE
	s_branch .LBB223_4
.LBB223_21:
	s_mul_i32 s0, s7, s4
	s_wait_loadcnt 0x0
	s_wait_alu 0xfffe
	v_cmp_gt_i32_e32 vcc_lo, s0, v5
	s_and_saveexec_b32 s0, vcc_lo
	s_cbranch_execz .LBB223_30
; %bb.22:
	v_mul_lo_u32 v0, v5, s6
	v_add_nc_u32_e32 v1, s18, v6
	s_mov_b32 s0, exec_lo
	s_delay_alu instid0(VALU_DEP_1)
	v_cmpx_gt_u32_e64 s6, v1
	s_cbranch_execz .LBB223_24
; %bb.23:
	v_bfe_u32 v4, v7, 16, 1
	s_delay_alu instid0(VALU_DEP_4) | instskip(SKIP_1) | instid1(VALU_DEP_3)
	v_add_nc_u32_e32 v3, v0, v1
	v_cmp_o_f32_e32 vcc_lo, v7, v7
	v_add3_u32 v5, v7, v4, 0x7fff
	v_mov_b32_e32 v4, 0
	s_delay_alu instid0(VALU_DEP_2) | instskip(NEXT) | instid1(VALU_DEP_2)
	v_lshrrev_b32_e32 v5, 16, v5
	v_lshlrev_b64_e32 v[3:4], 1, v[3:4]
	s_wait_alu 0xfffd
	s_delay_alu instid0(VALU_DEP_2) | instskip(NEXT) | instid1(VALU_DEP_2)
	v_cndmask_b32_e32 v5, 0x7fc0, v5, vcc_lo
	v_add_co_u32 v3, vcc_lo, s8, v3
	s_wait_alu 0xfffd
	s_delay_alu instid0(VALU_DEP_3)
	v_add_co_ci_u32_e64 v4, null, s9, v4, vcc_lo
	global_store_b16 v[3:4], v5, off
.LBB223_24:
	s_wait_alu 0xfffe
	s_or_b32 exec_lo, exec_lo, s0
	v_add_nc_u32_e32 v3, 32, v1
	s_mov_b32 s0, exec_lo
	s_delay_alu instid0(VALU_DEP_1)
	v_cmpx_gt_u32_e64 s6, v3
	s_cbranch_execz .LBB223_26
; %bb.25:
	v_bfe_u32 v4, v48, 16, 1
	v_add_nc_u32_e32 v3, v0, v3
	v_cmp_o_f32_e32 vcc_lo, v48, v48
	s_delay_alu instid0(VALU_DEP_3) | instskip(SKIP_1) | instid1(VALU_DEP_2)
	v_add3_u32 v5, v48, v4, 0x7fff
	v_mov_b32_e32 v4, 0
	v_lshrrev_b32_e32 v5, 16, v5
	s_delay_alu instid0(VALU_DEP_2) | instskip(SKIP_1) | instid1(VALU_DEP_2)
	v_lshlrev_b64_e32 v[3:4], 1, v[3:4]
	s_wait_alu 0xfffd
	v_cndmask_b32_e32 v5, 0x7fc0, v5, vcc_lo
	s_delay_alu instid0(VALU_DEP_2) | instskip(SKIP_1) | instid1(VALU_DEP_3)
	v_add_co_u32 v3, vcc_lo, s8, v3
	s_wait_alu 0xfffd
	v_add_co_ci_u32_e64 v4, null, s9, v4, vcc_lo
	global_store_b16 v[3:4], v5, off
.LBB223_26:
	s_wait_alu 0xfffe
	s_or_b32 exec_lo, exec_lo, s0
	v_add_nc_u32_e32 v3, 64, v1
	s_mov_b32 s0, exec_lo
	s_delay_alu instid0(VALU_DEP_1)
	v_cmpx_gt_u32_e64 s6, v3
	s_cbranch_execz .LBB223_28
; %bb.27:
	v_bfe_u32 v4, v38, 16, 1
	v_add_nc_u32_e32 v3, v0, v3
	v_cmp_o_f32_e32 vcc_lo, v38, v38
	s_delay_alu instid0(VALU_DEP_3) | instskip(SKIP_1) | instid1(VALU_DEP_2)
	v_add3_u32 v5, v38, v4, 0x7fff
	v_mov_b32_e32 v4, 0
	v_lshrrev_b32_e32 v5, 16, v5
	s_delay_alu instid0(VALU_DEP_2) | instskip(SKIP_1) | instid1(VALU_DEP_2)
	v_lshlrev_b64_e32 v[3:4], 1, v[3:4]
	s_wait_alu 0xfffd
	v_cndmask_b32_e32 v5, 0x7fc0, v5, vcc_lo
	s_delay_alu instid0(VALU_DEP_2) | instskip(SKIP_1) | instid1(VALU_DEP_3)
	v_add_co_u32 v3, vcc_lo, s8, v3
	s_wait_alu 0xfffd
	v_add_co_ci_u32_e64 v4, null, s9, v4, vcc_lo
	global_store_b16 v[3:4], v5, off
.LBB223_28:
	s_wait_alu 0xfffe
	s_or_b32 exec_lo, exec_lo, s0
	v_add_nc_u32_e32 v1, 0x60, v1
	s_delay_alu instid0(VALU_DEP_1)
	v_cmp_gt_u32_e32 vcc_lo, s6, v1
	s_and_b32 exec_lo, exec_lo, vcc_lo
	s_cbranch_execz .LBB223_30
; %bb.29:
	v_bfe_u32 v3, v2, 16, 1
	v_dual_mov_b32 v1, 0 :: v_dual_add_nc_u32 v0, v0, v1
	v_cmp_o_f32_e32 vcc_lo, v2, v2
	s_delay_alu instid0(VALU_DEP_3) | instskip(NEXT) | instid1(VALU_DEP_3)
	v_add3_u32 v3, v2, v3, 0x7fff
	v_lshlrev_b64_e32 v[0:1], 1, v[0:1]
	s_delay_alu instid0(VALU_DEP_2) | instskip(SKIP_1) | instid1(VALU_DEP_1)
	v_lshrrev_b32_e32 v3, 16, v3
	s_wait_alu 0xfffd
	v_cndmask_b32_e32 v2, 0x7fc0, v3, vcc_lo
	s_delay_alu instid0(VALU_DEP_3)
	v_add_co_u32 v0, vcc_lo, s8, v0
	s_wait_alu 0xfffd
	v_add_co_ci_u32_e64 v1, null, s9, v1, vcc_lo
	global_store_b16 v[0:1], v2, off
.LBB223_30:
	s_nop 0
	s_sendmsg sendmsg(MSG_DEALLOC_VGPRS)
	s_endpgm
	.section	.rodata,"a",@progbits
	.p2align	6, 0x0
	.amdhsa_kernel _ZL8moe_q5_1IN3c108BFloat16ELb0EEvPKvS3_PT_PKiS7_S7_iiiiiii
		.amdhsa_group_segment_fixed_size 38656
		.amdhsa_private_segment_fixed_size 0
		.amdhsa_kernarg_size 76
		.amdhsa_user_sgpr_count 2
		.amdhsa_user_sgpr_dispatch_ptr 0
		.amdhsa_user_sgpr_queue_ptr 0
		.amdhsa_user_sgpr_kernarg_segment_ptr 1
		.amdhsa_user_sgpr_dispatch_id 0
		.amdhsa_user_sgpr_private_segment_size 0
		.amdhsa_wavefront_size32 1
		.amdhsa_uses_dynamic_stack 0
		.amdhsa_enable_private_segment 0
		.amdhsa_system_sgpr_workgroup_id_x 1
		.amdhsa_system_sgpr_workgroup_id_y 1
		.amdhsa_system_sgpr_workgroup_id_z 0
		.amdhsa_system_sgpr_workgroup_info 0
		.amdhsa_system_vgpr_workitem_id 1
		.amdhsa_next_free_vgpr 217
		.amdhsa_next_free_sgpr 22
		.amdhsa_reserve_vcc 1
		.amdhsa_float_round_mode_32 0
		.amdhsa_float_round_mode_16_64 0
		.amdhsa_float_denorm_mode_32 3
		.amdhsa_float_denorm_mode_16_64 3
		.amdhsa_fp16_overflow 0
		.amdhsa_workgroup_processor_mode 1
		.amdhsa_memory_ordered 1
		.amdhsa_forward_progress 1
		.amdhsa_inst_pref_size 69
		.amdhsa_round_robin_scheduling 0
		.amdhsa_exception_fp_ieee_invalid_op 0
		.amdhsa_exception_fp_denorm_src 0
		.amdhsa_exception_fp_ieee_div_zero 0
		.amdhsa_exception_fp_ieee_overflow 0
		.amdhsa_exception_fp_ieee_underflow 0
		.amdhsa_exception_fp_ieee_inexact 0
		.amdhsa_exception_int_div_zero 0
	.end_amdhsa_kernel
	.section	.text._ZL8moe_q5_1IN3c108BFloat16ELb0EEvPKvS3_PT_PKiS7_S7_iiiiiii,"axG",@progbits,_ZL8moe_q5_1IN3c108BFloat16ELb0EEvPKvS3_PT_PKiS7_S7_iiiiiii,comdat
.Lfunc_end223:
	.size	_ZL8moe_q5_1IN3c108BFloat16ELb0EEvPKvS3_PT_PKiS7_S7_iiiiiii, .Lfunc_end223-_ZL8moe_q5_1IN3c108BFloat16ELb0EEvPKvS3_PT_PKiS7_S7_iiiiiii
                                        ; -- End function
	.set _ZL8moe_q5_1IN3c108BFloat16ELb0EEvPKvS3_PT_PKiS7_S7_iiiiiii.num_vgpr, 180
	.set _ZL8moe_q5_1IN3c108BFloat16ELb0EEvPKvS3_PT_PKiS7_S7_iiiiiii.num_agpr, 0
	.set _ZL8moe_q5_1IN3c108BFloat16ELb0EEvPKvS3_PT_PKiS7_S7_iiiiiii.numbered_sgpr, 22
	.set _ZL8moe_q5_1IN3c108BFloat16ELb0EEvPKvS3_PT_PKiS7_S7_iiiiiii.num_named_barrier, 0
	.set _ZL8moe_q5_1IN3c108BFloat16ELb0EEvPKvS3_PT_PKiS7_S7_iiiiiii.private_seg_size, 0
	.set _ZL8moe_q5_1IN3c108BFloat16ELb0EEvPKvS3_PT_PKiS7_S7_iiiiiii.uses_vcc, 1
	.set _ZL8moe_q5_1IN3c108BFloat16ELb0EEvPKvS3_PT_PKiS7_S7_iiiiiii.uses_flat_scratch, 0
	.set _ZL8moe_q5_1IN3c108BFloat16ELb0EEvPKvS3_PT_PKiS7_S7_iiiiiii.has_dyn_sized_stack, 0
	.set _ZL8moe_q5_1IN3c108BFloat16ELb0EEvPKvS3_PT_PKiS7_S7_iiiiiii.has_recursion, 0
	.set _ZL8moe_q5_1IN3c108BFloat16ELb0EEvPKvS3_PT_PKiS7_S7_iiiiiii.has_indirect_call, 0
	.section	.AMDGPU.csdata,"",@progbits
; Kernel info:
; codeLenInByte = 8748
; TotalNumSgprs: 24
; NumVgprs: 180
; ScratchSize: 0
; MemoryBound: 0
; FloatMode: 240
; IeeeMode: 1
; LDSByteSize: 38656 bytes/workgroup (compile time only)
; SGPRBlocks: 0
; VGPRBlocks: 27
; NumSGPRsForWavesPerEU: 24
; NumVGPRsForWavesPerEU: 217
; Occupancy: 6
; WaveLimiterHint : 1
; COMPUTE_PGM_RSRC2:SCRATCH_EN: 0
; COMPUTE_PGM_RSRC2:USER_SGPR: 2
; COMPUTE_PGM_RSRC2:TRAP_HANDLER: 0
; COMPUTE_PGM_RSRC2:TGID_X_EN: 1
; COMPUTE_PGM_RSRC2:TGID_Y_EN: 1
; COMPUTE_PGM_RSRC2:TGID_Z_EN: 0
; COMPUTE_PGM_RSRC2:TIDIG_COMP_CNT: 1
	.section	.text._ZL8moe_q5_1IN3c108BFloat16ELb1EEvPKvS3_PT_PKiS7_S7_iiiiiii,"axG",@progbits,_ZL8moe_q5_1IN3c108BFloat16ELb1EEvPKvS3_PT_PKiS7_S7_iiiiiii,comdat
	.globl	_ZL8moe_q5_1IN3c108BFloat16ELb1EEvPKvS3_PT_PKiS7_S7_iiiiiii ; -- Begin function _ZL8moe_q5_1IN3c108BFloat16ELb1EEvPKvS3_PT_PKiS7_S7_iiiiiii
	.p2align	8
	.type	_ZL8moe_q5_1IN3c108BFloat16ELb1EEvPKvS3_PT_PKiS7_S7_iiiiiii,@function
_ZL8moe_q5_1IN3c108BFloat16ELb1EEvPKvS3_PT_PKiS7_S7_iiiiiii: ; @_ZL8moe_q5_1IN3c108BFloat16ELb1EEvPKvS3_PT_PKiS7_S7_iiiiiii
; %bb.0:
	s_load_b128 s[4:7], s[0:1], 0x18
	s_mov_b32 s2, ttmp7
	s_mov_b32 s3, 0
	s_delay_alu instid0(SALU_CYCLE_1)
	s_lshl_b64 s[2:3], s[2:3], 2
	s_wait_kmcnt 0x0
	s_add_nc_u64 s[2:3], s[6:7], s[2:3]
	s_load_b32 s14, s[2:3], 0x0
	s_wait_kmcnt 0x0
	s_cmp_gt_u32 s14, 0xff
	s_cbranch_scc1 .LBB224_30
; %bb.1:
	s_load_b64 s[2:3], s[0:1], 0x28
	s_wait_kmcnt 0x0
	s_load_b32 s3, s[2:3], 0x0
	s_lshl_b32 s2, ttmp7, 3
	s_wait_kmcnt 0x0
	s_cmp_gt_u32 s2, s3
	s_cbranch_scc1 .LBB224_30
; %bb.2:
	v_bfe_u32 v19, v0, 10, 10
	v_mov_b32_e32 v14, 0
	s_lshl_b32 s11, ttmp9, 7
	s_delay_alu instid0(VALU_DEP_2) | instskip(NEXT) | instid1(VALU_DEP_2)
	v_add_nc_u32_e32 v13, s2, v19
	v_dual_mov_b32 v46, v14 :: v_dual_and_b32 v23, 0x3ff, v0
	v_dual_mov_b32 v49, v14 :: v_dual_mov_b32 v24, v14
	s_delay_alu instid0(VALU_DEP_3) | instskip(NEXT) | instid1(VALU_DEP_1)
	v_lshlrev_b64_e32 v[1:2], 2, v[13:14]
	v_add_co_u32 v1, vcc_lo, s4, v1
	s_delay_alu instid0(VALU_DEP_1)
	v_add_co_ci_u32_e64 v2, null, s5, v2, vcc_lo
	global_load_b32 v22, v[1:2], off
	s_clause 0x2
	s_load_b128 s[4:7], s[0:1], 0x30
	s_load_b64 s[12:13], s[0:1], 0x10
	s_load_b96 s[8:10], s[0:1], 0x40
	s_wait_kmcnt 0x0
	s_cmp_lt_i32 s5, 32
	s_cbranch_scc1 .LBB224_21
; %bb.3:
	s_load_b128 s[0:3], s[0:1], 0x0
	s_ashr_i32 s15, s5, 31
	s_mul_i32 s14, s14, s4
	s_lshr_b32 s4, s15, 27
	s_ashr_i32 s15, s14, 31
	s_wait_alu 0xfffe
	s_add_co_i32 s4, s5, s4
	s_ashr_i32 s16, s8, 31
	s_wait_alu 0xfffe
	s_ashr_i32 s4, s4, 5
	s_not_b32 s17, s11
	s_wait_alu 0xfffe
	s_mul_i32 s18, s4, s11
	s_lshr_b32 s20, s16, 27
	s_ashr_i32 s19, s18, 31
	s_wait_loadcnt 0x0
	v_sub_nc_u32_e32 v50, 0, v22
	s_mul_u64 s[18:19], s[18:19], 24
	s_add_co_i32 s16, s6, s17
	s_add_co_i32 s6, s8, s20
	v_dual_mov_b32 v24, 0 :: v_dual_add_nc_u32 v1, 8, v19
	v_max_i32_e32 v50, v22, v50
	v_add_nc_u32_e32 v6, 24, v19
	s_wait_kmcnt 0x0
	s_add_nc_u64 s[0:1], s[0:1], s[14:15]
	v_add_nc_u32_e32 v7, 32, v19
	s_add_nc_u64 s[14:15], s[0:1], s[18:19]
	s_abs_i32 s0, s10
	v_min_i32_e32 v2, s16, v19
	s_cvt_f32_u32 s1, s0
	s_sub_co_i32 s8, 0, s0
	v_lshlrev_b32_e32 v18, 3, v23
	v_add_nc_u32_e32 v8, 40, v19
	v_rcp_iflag_f32_e32 v45, s1
	v_min_i32_e32 v4, s16, v1
	v_add_nc_u32_e32 v9, 48, v19
	v_add_nc_u32_e32 v10, 56, v19
	v_min_i32_e32 v6, s16, v6
	v_add_nc_u32_e32 v11, 64, v19
	v_min_i32_e32 v7, s16, v7
	v_add_nc_u32_e32 v12, 0x48, v19
	v_mul_lo_u32 v27, v2, s4
	v_mad_co_u64_u32 v[1:2], null, 0x104, v2, v[18:19]
	v_readfirstlane_b32 s1, v45
	v_min_i32_e32 v8, s16, v8
	v_add_nc_u32_e32 v13, 0x50, v19
	v_min_i32_e32 v9, s16, v9
	v_add_nc_u32_e32 v14, 0x58, v19
	s_mul_f32 s1, s1, 0x4f7ffffe
	v_mul_lo_u32 v28, v4, s4
	v_min_i32_e32 v10, s16, v10
	v_add_nc_u32_e32 v15, 0x60, v19
	s_wait_alu 0xfffe
	s_cvt_u32_f32 s1, s1
	v_min_i32_e32 v11, s16, v11
	v_mul_lo_u32 v30, v6, s4
	v_min_i32_e32 v12, s16, v12
	s_wait_alu 0xfffe
	s_mul_i32 s8, s8, s1
	v_mul_lo_u32 v31, v7, s4
	s_mul_hi_u32 s8, s1, s8
	v_min_i32_e32 v13, s16, v13
	s_add_co_i32 s1, s1, s8
	v_mul_lo_u32 v32, v8, s4
	s_wait_alu 0xfffe
	v_mul_hi_u32 v52, v50, s1
	v_min_i32_e32 v14, s16, v14
	v_mul_lo_u32 v33, v9, s4
	v_min_i32_e32 v15, s16, v15
	v_mul_lo_u32 v34, v10, s4
	v_add_nc_u32_e32 v17, 0x70, v19
	v_mul_lo_u32 v35, v11, s4
	v_mul_lo_u32 v36, v12, s4
	;; [unrolled: 1-line block ×4, first 2 shown]
	v_add_nc_u32_e32 v16, 0x68, v19
	v_mul_lo_u32 v38, v14, s4
	v_bfe_u32 v39, v0, 3, 7
	v_mul_lo_u32 v40, v15, s4
	v_add_nc_u32_e32 v58, 64, v23
	v_min_i32_e32 v16, s16, v16
	v_sub_nc_u32_e32 v54, v50, v54
	v_add_nc_u32_e32 v50, 1, v52
	v_lshl_add_u32 v21, v19, 2, v39
	v_add_nc_u32_e32 v59, 0x60, v23
	v_mul_lo_u32 v41, v16, s4
	v_cmp_le_u32_e32 vcc_lo, s0, v54
	v_add_nc_u32_e32 v3, 16, v19
	v_add_nc_u32_e32 v47, 64, v21
	v_min_i32_e32 v46, s16, v21
	s_ashr_i32 s6, s6, 5
	s_wait_alu 0xfffd
	v_cndmask_b32_e32 v52, v52, v50, vcc_lo
	v_min_i32_e32 v5, s16, v3
	v_mad_co_u64_u32 v[2:3], null, 0x104, v4, v[18:19]
	v_min_i32_e32 v51, s16, v47
	v_ashrrev_i32_e32 v43, 31, v46
	s_delay_alu instid0(VALU_DEP_4)
	v_mad_co_u64_u32 v[3:4], null, 0x104, v5, v[18:19]
	v_mul_lo_u32 v29, v5, s4
	v_mad_co_u64_u32 v[4:5], null, 0x104, v6, v[18:19]
	v_mad_co_u64_u32 v[5:6], null, 0x104, v7, v[18:19]
	;; [unrolled: 1-line block ×10, first 2 shown]
	v_min_i32_e32 v14, s16, v17
	v_add_nc_u32_e32 v17, 0x78, v19
	v_mad_co_u64_u32 v[15:16], null, 0x104, v16, v[18:19]
	v_lshlrev_b32_e32 v71, 5, v51
	s_delay_alu instid0(VALU_DEP_4) | instskip(NEXT) | instid1(VALU_DEP_4)
	v_mul_lo_u32 v42, v14, s4
	v_min_i32_e32 v44, s16, v17
	v_mad_co_u64_u32 v[16:17], null, 0x104, v14, v[18:19]
	v_lshrrev_b32_e32 v14, 30, v43
	v_bfe_u32 v25, v0, 2, 8
	s_delay_alu instid0(VALU_DEP_4)
	v_mad_co_u64_u32 v[17:18], null, 0x104, v44, v[18:19]
	v_add_nc_u32_e32 v18, 32, v21
	v_mul_lo_u32 v43, v44, s4
	v_and_b32_e32 v44, 7, v0
	v_add_nc_u32_e32 v21, 0x60, v21
	v_add_nc_u32_e32 v14, v46, v14
	v_min_i32_e32 v18, s16, v18
	v_and_b32_e32 v59, 0x1fc, v59
	v_lshlrev_b32_e32 v49, 2, v44
	v_min_i32_e32 v21, s16, v21
	v_and_b32_e32 v14, -4, v14
	v_ashrrev_i32_e32 v48, 31, v18
	v_lshlrev_b32_e32 v69, 5, v18
	v_and_b32_e32 v58, 0x1fc, v58
	v_ashrrev_i32_e32 v55, 31, v21
	v_add3_u32 v14, v14, v49, 0x8200
	v_lshrrev_b32_e32 v47, 30, v48
	v_ashrrev_i32_e32 v48, 31, v51
	v_mul_lo_u32 v45, v46, s4
	v_lshlrev_b32_e32 v46, 5, v46
	v_mul_lo_u32 v50, v21, s4
	v_add_nc_u32_e32 v47, v18, v47
	v_lshrrev_b32_e32 v48, 30, v48
	s_mov_b32 s17, 0
	v_dual_mov_b32 v46, 0 :: v_dual_add_nc_u32 v67, v14, v46
	s_delay_alu instid0(VALU_DEP_3) | instskip(NEXT) | instid1(VALU_DEP_3)
	v_and_b32_e32 v53, -4, v47
	v_add_nc_u32_e32 v48, v51, v48
	v_mul_lo_u32 v47, v18, s4
	v_lshrrev_b32_e32 v18, 30, v55
	v_mov_b32_e32 v14, 0
	v_add3_u32 v68, v53, v49, 0x8200
	v_and_b32_e32 v53, -4, v48
	v_mul_lo_u32 v48, v51, s4
	v_subrev_nc_u32_e32 v51, s0, v54
	v_add_nc_u32_e32 v18, v21, v18
	v_lshlrev_b32_e32 v21, 5, v21
	v_add3_u32 v70, v53, v49, 0x8200
	v_xor_b32_e32 v53, s10, v22
	v_dual_cndmask_b32 v51, v54, v51 :: v_dual_add_nc_u32 v54, 1, v52
	v_and_b32_e32 v18, -4, v18
	v_add_nc_u32_e32 v68, v68, v69
	s_delay_alu instid0(VALU_DEP_4) | instskip(NEXT) | instid1(VALU_DEP_4)
	v_ashrrev_i32_e32 v55, 31, v53
	v_cmp_le_u32_e32 vcc_lo, s0, v51
	v_lshlrev_b32_e32 v20, 2, v23
	v_add3_u32 v49, v18, v49, 0x8200
	v_and_b32_e32 v18, 31, v0
	v_lshl_add_u32 v51, v19, 7, 0x9280
	s_wait_alu 0xfffd
	v_cndmask_b32_e32 v53, v52, v54, vcc_lo
	v_lshl_add_u32 v52, v19, 4, 0x9680
	v_and_b32_e32 v26, 12, v20
	v_and_b32_e32 v19, 28, v20
	v_and_b32_e32 v0, 0xfc, v0
	v_xor_b32_e32 v56, v53, v55
	v_lshl_or_b32 v53, v18, 2, v51
	v_add_nc_u32_e32 v54, v52, v20
	v_add_nc_u32_e32 v18, 32, v23
	v_cmp_gt_u32_e32 vcc_lo, 4, v23
	v_sub_nc_u32_e32 v20, v56, v55
	v_mul_u32_u24_e32 v55, 0x104, v23
	v_add_nc_u32_e32 v69, v70, v71
	v_and_b32_e32 v60, 0x1fc, v18
	v_lshrrev_b32_e32 v56, 3, v18
	v_cmp_gt_i32_e64 s0, s7, v20
	v_mul_lo_u32 v57, v20, s6
	v_lshlrev_b32_e32 v20, 5, v23
	v_add_co_u32 v18, s1, s2, v19
	s_wait_alu 0xf1ff
	v_add_co_ci_u32_e64 v19, null, s3, 0, s1
	s_delay_alu instid0(VALU_DEP_3)
	v_add_nc_u32_e32 v62, v20, v59
	v_add_nc_u32_e32 v63, v20, v58
	;; [unrolled: 1-line block ×4, first 2 shown]
	s_movk_i32 s1, 0x80
	v_ashrrev_i32_e32 v0, 31, v57
	v_add_nc_u32_e32 v58, 0x8e00, v62
	v_add_nc_u32_e32 v59, 0x8a00, v63
	;; [unrolled: 1-line block ×8, first 2 shown]
	s_wait_alu 0xfffe
	v_mad_u32_u24 v66, 0x104, v23, s1
	v_dual_mov_b32 v49, 0 :: v_dual_add_nc_u32 v70, v49, v21
	s_and_b32 s8, vcc_lo, s0
	s_mov_b32 s16, s17
	s_branch .LBB224_5
.LBB224_4:                              ;   in Loop: Header=BB224_5 Depth=1
	s_add_co_i32 s16, s16, 8
	s_wait_alu 0xfffe
	s_cmp_ge_i32 s16, s4
	s_cbranch_scc1 .LBB224_21
.LBB224_5:                              ; =>This Loop Header: Depth=1
                                        ;     Child Loop BB224_11 Depth 2
                                        ;     Child Loop BB224_19 Depth 2
	s_wait_alu 0xfffe
	s_mul_u64 s[18:19], s[16:17], 24
	s_wait_alu 0xfffe
	s_add_nc_u64 s[18:19], s[14:15], s[18:19]
	s_wait_alu 0xfffe
	v_mad_co_u64_u32 v[20:21], null, v25, 24, s[18:19]
	s_delay_alu instid0(VALU_DEP_1) | instskip(SKIP_3) | instid1(VALU_DEP_4)
	v_mad_co_i64_i32 v[71:72], null, v27, 24, v[20:21]
	v_mad_co_i64_i32 v[73:74], null, v28, 24, v[20:21]
	;; [unrolled: 1-line block ×4, first 2 shown]
	v_add_co_u32 v79, s1, v71, v26
	v_mad_co_i64_i32 v[85:86], null, v31, 24, v[20:21]
	s_wait_alu 0xf1ff
	v_add_co_ci_u32_e64 v80, null, 0, v72, s1
	v_add_co_u32 v81, s1, v73, v26
	v_mad_co_i64_i32 v[89:90], null, v32, 24, v[20:21]
	s_wait_alu 0xf1ff
	v_add_co_ci_u32_e64 v82, null, 0, v74, s1
	;; [unrolled: 4-line block ×4, first 2 shown]
	v_add_co_u32 v91, s1, v85, v26
	s_wait_alu 0xf1ff
	v_add_co_ci_u32_e64 v92, null, 0, v86, s1
	v_add_co_u32 v97, s1, v89, v26
	s_wait_alu 0xf1ff
	v_add_co_ci_u32_e64 v98, null, 0, v90, s1
	;; [unrolled: 3-line block ×4, first 2 shown]
	s_clause 0xf
	global_load_b32 v103, v[79:80], off offset:8
	global_load_b32 v104, v[81:82], off offset:8
	global_load_b32 v83, v[83:84], off offset:8
	global_load_b32 v84, v[87:88], off offset:8
	global_load_b32 v87, v[77:78], off offset:4
	global_load_b32 v88, v[75:76], off offset:4
	global_load_b32 v105, v[73:74], off offset:4
	global_load_b32 v106, v[71:72], off offset:4
	global_load_b32 v91, v[91:92], off offset:8
	global_load_b32 v92, v[97:98], off offset:8
	global_load_b32 v97, v[99:100], off offset:8
	global_load_b32 v98, v[101:102], off offset:8
	global_load_b32 v95, v[95:96], off offset:4
	global_load_b32 v93, v[93:94], off offset:4
	global_load_b32 v89, v[89:90], off offset:4
	global_load_b32 v85, v[85:86], off offset:4
	v_mad_co_i64_i32 v[71:72], null, v35, 24, v[20:21]
	v_mad_co_i64_i32 v[73:74], null, v36, 24, v[20:21]
	;; [unrolled: 1-line block ×4, first 2 shown]
	s_delay_alu instid0(VALU_DEP_4)
	v_add_co_u32 v79, s1, v71, v26
	s_wait_alu 0xf1ff
	v_add_co_ci_u32_e64 v80, null, 0, v72, s1
	v_add_co_u32 v81, s1, v73, v26
	s_wait_alu 0xf1ff
	v_add_co_ci_u32_e64 v82, null, 0, v74, s1
	s_clause 0x5
	global_load_b32 v86, v[77:78], off offset:4
	global_load_b32 v90, v[75:76], off offset:4
	;; [unrolled: 1-line block ×6, first 2 shown]
	v_add_co_u32 v71, s1, v75, v26
	s_wait_alu 0xf1ff
	v_add_co_ci_u32_e64 v72, null, 0, v76, s1
	v_mad_co_i64_i32 v[75:76], null, v43, 24, v[20:21]
	v_mad_co_i64_i32 v[73:74], null, v41, 24, v[20:21]
	global_load_b32 v101, v[71:72], off offset:8
	v_add_co_u32 v71, s1, v77, v26
	s_wait_alu 0xf1ff
	v_add_co_ci_u32_e64 v72, null, 0, v78, s1
	v_mad_co_u64_u32 v[77:78], null, v44, 24, s[18:19]
	s_lshl_b32 s18, s16, 5
	global_load_b32 v102, v[71:72], off offset:8
	v_mad_co_i64_i32 v[71:72], null, v40, 24, v[20:21]
	v_mad_co_i64_i32 v[20:21], null, v42, 24, v[20:21]
	;; [unrolled: 1-line block ×3, first 2 shown]
	s_wait_alu 0xfffe
	s_cmp_lt_i32 s18, s5
	s_delay_alu instid0(VALU_DEP_3) | instskip(SKIP_1) | instid1(VALU_DEP_4)
	v_add_co_u32 v79, s1, v71, v26
	s_wait_alu 0xf1ff
	v_add_co_ci_u32_e64 v80, null, 0, v72, s1
	s_clause 0x4
	global_load_b32 v107, v[75:76], off offset:4
	global_load_b32 v108, v[20:21], off offset:4
	;; [unrolled: 1-line block ×5, first 2 shown]
	v_add_co_u32 v73, s1, v73, v26
	s_wait_alu 0xf1ff
	v_add_co_ci_u32_e64 v74, null, 0, v74, s1
	v_add_co_u32 v20, s1, v20, v26
	v_mad_co_i64_i32 v[71:72], null, v45, 24, v[77:78]
	s_wait_alu 0xf1ff
	v_add_co_ci_u32_e64 v21, null, 0, v21, s1
	v_add_co_u32 v75, s1, v75, v26
	v_mad_co_i64_i32 v[79:80], null, v47, 24, v[77:78]
	s_wait_alu 0xf1ff
	v_add_co_ci_u32_e64 v76, null, 0, v76, s1
	v_mad_co_i64_i32 v[77:78], null, v50, 24, v[77:78]
	s_clause 0x6
	global_load_b32 v73, v[73:74], off offset:8
	global_load_b32 v20, v[20:21], off offset:8
	global_load_b32 v21, v[75:76], off offset:8
	global_load_b32 v71, v[71:72], off
	global_load_b32 v72, v[79:80], off
	;; [unrolled: 1-line block ×4, first 2 shown]
	s_wait_loadcnt 0x23
	v_lshrrev_b32_e32 v78, 4, v103
	s_wait_loadcnt 0x22
	v_lshrrev_b32_e32 v81, 4, v104
	v_and_b32_e32 v77, 0xf0f0f0f, v103
	s_wait_loadcnt 0x20
	v_and_b32_e32 v103, 0xf0f0f0f, v84
	s_wait_loadcnt 0x1f
	v_ashrrev_i32_e32 v87, v26, v87
	s_wait_loadcnt 0x1e
	v_ashrrev_i32_e32 v82, v26, v88
	;; [unrolled: 2-line block ×4, first 2 shown]
	v_and_b32_e32 v88, 0xf0f0f0f, v83
	v_lshrrev_b32_e32 v83, 4, v83
	v_lshlrev_b32_e32 v129, 4, v82
	v_lshlrev_b32_e32 v122, 4, v79
	s_wait_loadcnt 0x17
	v_ashrrev_i32_e32 v95, v26, v95
	s_wait_loadcnt 0x16
	v_ashrrev_i32_e32 v93, v26, v93
	;; [unrolled: 2-line block ×4, first 2 shown]
	v_lshlrev_b32_e32 v115, 4, v76
	v_lshlrev_b32_e32 v116, 11, v76
	v_lshrrev_b32_e32 v119, 12, v76
	v_lshrrev_b32_e32 v120, 5, v76
	v_lshlrev_b32_e32 v123, 11, v79
	v_lshrrev_b32_e32 v126, 12, v79
	v_lshrrev_b32_e32 v127, 5, v79
	;; [unrolled: 3-line block ×3, first 2 shown]
	v_lshrrev_b32_e32 v84, 4, v84
	v_lshlrev_b32_e32 v136, 4, v87
	v_lshlrev_b32_e32 v137, 11, v87
	v_lshrrev_b32_e32 v140, 12, v87
	v_lshrrev_b32_e32 v141, 5, v87
	v_and_b32_e32 v80, 0xf0f0f0f, v104
	v_and_b32_e32 v104, 0xf0f0f0f, v91
	v_lshrrev_b32_e32 v91, 4, v91
	v_lshlrev_b32_e32 v143, 4, v85
	v_lshlrev_b32_e32 v144, 11, v85
	v_lshrrev_b32_e32 v147, 12, v85
	v_lshrrev_b32_e32 v148, 5, v85
	v_and_b32_e32 v105, 0xf0f0f0f, v92
	v_lshrrev_b32_e32 v92, 4, v92
	v_and_b32_e32 v106, 0xf0f0f0f, v97
	;; [unrolled: 2-line block ×3, first 2 shown]
	v_lshrrev_b32_e32 v98, 4, v98
	v_lshlrev_b32_e32 v117, 18, v76
	v_lshlrev_b32_e32 v118, 25, v76
	v_and_b32_e32 v78, 0xf0f0f0f, v78
	v_lshlrev_b32_e32 v121, 2, v76
	v_lshlrev_b32_e32 v76, 9, v76
	;; [unrolled: 1-line block ×4, first 2 shown]
	v_lshrrev_b32_e32 v154, 12, v89
	v_lshrrev_b32_e32 v155, 5, v89
	v_lshlrev_b32_e32 v157, 4, v93
	v_lshlrev_b32_e32 v158, 11, v93
	v_lshrrev_b32_e32 v161, 12, v93
	v_lshrrev_b32_e32 v162, 5, v93
	v_lshlrev_b32_e32 v164, 4, v95
	v_lshlrev_b32_e32 v165, 11, v95
	v_lshrrev_b32_e32 v168, 12, v95
	v_lshrrev_b32_e32 v169, 5, v95
	v_and_b32_e32 v115, 16, v115
	v_and_b32_e32 v116, 0x1000, v116
	v_and_b32_e32 v119, 16, v119
	v_and_b32_e32 v120, 0x1000, v120
	v_lshlrev_b32_e32 v124, 18, v79
	v_lshlrev_b32_e32 v125, 25, v79
	v_and_b32_e32 v81, 0xf0f0f0f, v81
	v_lshlrev_b32_e32 v128, 2, v79
	v_lshlrev_b32_e32 v79, 9, v79
	v_and_b32_e32 v122, 16, v122
	v_and_b32_e32 v123, 0x1000, v123
	v_and_b32_e32 v126, 16, v126
	v_and_b32_e32 v127, 0x1000, v127
	v_lshlrev_b32_e32 v131, 18, v82
	v_lshlrev_b32_e32 v132, 25, v82
	v_and_b32_e32 v83, 0xf0f0f0f, v83
	v_lshlrev_b32_e32 v135, 2, v82
	v_lshlrev_b32_e32 v82, 9, v82
	v_and_b32_e32 v129, 16, v129
	v_and_b32_e32 v130, 0x1000, v130
	v_and_b32_e32 v133, 16, v133
	v_and_b32_e32 v134, 0x1000, v134
	v_lshlrev_b32_e32 v138, 18, v87
	v_lshlrev_b32_e32 v139, 25, v87
	v_and_b32_e32 v84, 0xf0f0f0f, v84
	v_lshlrev_b32_e32 v142, 2, v87
	v_lshlrev_b32_e32 v87, 9, v87
	v_and_b32_e32 v136, 16, v136
	v_and_b32_e32 v137, 0x1000, v137
	v_and_b32_e32 v140, 16, v140
	v_and_b32_e32 v141, 0x1000, v141
	v_lshlrev_b32_e32 v145, 18, v85
	v_lshlrev_b32_e32 v146, 25, v85
	v_and_b32_e32 v91, 0xf0f0f0f, v91
	v_lshlrev_b32_e32 v149, 2, v85
	v_lshlrev_b32_e32 v85, 9, v85
	v_and_b32_e32 v143, 16, v143
	v_and_b32_e32 v144, 0x1000, v144
	v_and_b32_e32 v147, 16, v147
	v_and_b32_e32 v148, 0x1000, v148
	v_lshlrev_b32_e32 v152, 18, v89
	v_lshlrev_b32_e32 v153, 25, v89
	v_and_b32_e32 v92, 0xf0f0f0f, v92
	v_lshlrev_b32_e32 v156, 2, v89
	v_lshlrev_b32_e32 v89, 9, v89
	v_lshlrev_b32_e32 v159, 18, v93
	v_lshlrev_b32_e32 v160, 25, v93
	v_and_b32_e32 v97, 0xf0f0f0f, v97
	v_lshlrev_b32_e32 v163, 2, v93
	v_lshlrev_b32_e32 v93, 9, v93
	;; [unrolled: 1-line block ×4, first 2 shown]
	v_and_b32_e32 v98, 0xf0f0f0f, v98
	v_lshlrev_b32_e32 v170, 2, v95
	v_lshlrev_b32_e32 v95, 9, v95
	v_and_b32_e32 v117, 0x100000, v117
	v_and_b32_e32 v118, 0x10000000, v118
	;; [unrolled: 1-line block ×16, first 2 shown]
	v_or3_b32 v77, v115, v77, v116
	v_or3_b32 v78, v119, v78, v120
	v_and_b32_e32 v124, 0x100000, v124
	v_and_b32_e32 v125, 0x10000000, v125
	v_and_b32_e32 v128, 0x100000, v128
	v_and_b32_e32 v79, 0x10000000, v79
	v_or3_b32 v80, v122, v80, v123
	v_or3_b32 v81, v126, v81, v127
	v_and_b32_e32 v131, 0x100000, v131
	v_and_b32_e32 v132, 0x10000000, v132
	v_and_b32_e32 v135, 0x100000, v135
	v_and_b32_e32 v82, 0x10000000, v82
	;; [unrolled: 6-line block ×4, first 2 shown]
	v_or3_b32 v104, v143, v104, v144
	v_or3_b32 v91, v147, v91, v148
	s_wait_loadcnt 0x10
	v_ashrrev_i32_e32 v96, v26, v96
	v_ashrrev_i32_e32 v94, v26, v94
	v_and_b32_e32 v152, 0x100000, v152
	v_and_b32_e32 v153, 0x10000000, v153
	;; [unrolled: 1-line block ×12, first 2 shown]
	v_or3_b32 v105, v150, v105, v151
	v_or3_b32 v92, v154, v92, v155
	;; [unrolled: 1-line block ×16, first 2 shown]
	s_wait_loadcnt 0xf
	v_and_b32_e32 v113, 0xf0f0f0f, v99
	v_lshrrev_b32_e32 v99, 4, v99
	v_lshlrev_b32_e32 v171, 4, v96
	v_lshlrev_b32_e32 v172, 11, v96
	v_lshrrev_b32_e32 v175, 12, v96
	v_lshrrev_b32_e32 v176, 5, v96
	v_or3_b32 v87, v105, v152, v153
	v_or3_b32 v88, v92, v156, v89
	;; [unrolled: 1-line block ×6, first 2 shown]
	ds_store_2addr_b32 v1, v77, v76 offset1:1
	ds_store_2addr_b32 v2, v78, v79 offset1:1
	;; [unrolled: 1-line block ×8, first 2 shown]
	s_wait_loadcnt 0xe
	v_lshrrev_b32_e32 v80, 4, v100
	v_lshrrev_b32_e32 v81, 12, v94
	;; [unrolled: 1-line block ×3, first 2 shown]
	v_lshlrev_b32_e32 v173, 18, v96
	v_lshlrev_b32_e32 v174, 25, v96
	v_and_b32_e32 v99, 0xf0f0f0f, v99
	v_lshlrev_b32_e32 v177, 2, v96
	v_lshlrev_b32_e32 v96, 9, v96
	;; [unrolled: 1-line block ×4, first 2 shown]
	v_and_b32_e32 v171, 16, v171
	v_and_b32_e32 v172, 0x1000, v172
	;; [unrolled: 1-line block ×7, first 2 shown]
	v_ashrrev_i32_e32 v84, v26, v90
	v_and_b32_e32 v114, 0xf0f0f0f, v100
	v_and_b32_e32 v173, 0x100000, v173
	;; [unrolled: 1-line block ×7, first 2 shown]
	v_or3_b32 v113, v171, v113, v172
	v_or3_b32 v99, v175, v99, v176
	v_lshlrev_b32_e32 v78, 18, v94
	v_lshlrev_b32_e32 v83, 25, v94
	;; [unrolled: 1-line block ×4, first 2 shown]
	v_or3_b32 v80, v81, v80, v82
	v_lshlrev_b32_e32 v81, 4, v84
	v_lshlrev_b32_e32 v82, 11, v84
	v_or3_b32 v76, v113, v173, v174
	v_or3_b32 v77, v99, v177, v96
	;; [unrolled: 1-line block ×3, first 2 shown]
	v_and_b32_e32 v78, 0x100000, v78
	v_and_b32_e32 v83, 0x10000000, v83
	;; [unrolled: 1-line block ×4, first 2 shown]
	s_wait_loadcnt 0xd
	v_and_b32_e32 v88, 0xf0f0f0f, v101
	v_and_b32_e32 v81, 16, v81
	;; [unrolled: 1-line block ×3, first 2 shown]
	ds_store_2addr_b32 v9, v76, v77 offset1:1
	v_or3_b32 v76, v79, v78, v83
	v_or3_b32 v77, v80, v85, v87
	v_lshrrev_b32_e32 v80, 4, v101
	v_or3_b32 v79, v81, v88, v82
	v_lshrrev_b32_e32 v81, 12, v84
	v_lshrrev_b32_e32 v82, 5, v84
	v_ashrrev_i32_e32 v85, v26, v86
	v_and_b32_e32 v80, 0xf0f0f0f, v80
	v_lshlrev_b32_e32 v78, 18, v84
	v_and_b32_e32 v81, 16, v81
	v_and_b32_e32 v82, 0x1000, v82
	v_lshlrev_b32_e32 v83, 25, v84
	v_lshlrev_b32_e32 v86, 2, v84
	;; [unrolled: 1-line block ×3, first 2 shown]
	v_and_b32_e32 v78, 0x100000, v78
	v_or3_b32 v80, v81, v80, v82
	v_lshlrev_b32_e32 v81, 4, v85
	v_lshlrev_b32_e32 v82, 11, v85
	v_and_b32_e32 v83, 0x10000000, v83
	v_and_b32_e32 v86, 0x100000, v86
	;; [unrolled: 1-line block ×3, first 2 shown]
	s_wait_loadcnt 0xc
	v_and_b32_e32 v87, 0xf0f0f0f, v102
	v_and_b32_e32 v81, 16, v81
	;; [unrolled: 1-line block ×3, first 2 shown]
	ds_store_2addr_b32 v10, v76, v77 offset1:1
	v_or3_b32 v76, v79, v78, v83
	v_or3_b32 v77, v80, v86, v84
	v_lshrrev_b32_e32 v80, 4, v102
	v_or3_b32 v79, v81, v87, v82
	v_lshrrev_b32_e32 v81, 12, v85
	v_lshrrev_b32_e32 v82, 5, v85
	s_wait_loadcnt 0x8
	v_ashrrev_i32_e32 v84, v26, v110
	v_and_b32_e32 v80, 0xf0f0f0f, v80
	v_lshlrev_b32_e32 v78, 18, v85
	v_and_b32_e32 v81, 16, v81
	v_and_b32_e32 v82, 0x1000, v82
	v_lshlrev_b32_e32 v83, 25, v85
	v_lshlrev_b32_e32 v86, 2, v85
	;; [unrolled: 1-line block ×3, first 2 shown]
	v_and_b32_e32 v78, 0x100000, v78
	v_or3_b32 v80, v81, v80, v82
	v_lshlrev_b32_e32 v81, 4, v84
	v_lshlrev_b32_e32 v82, 11, v84
	v_and_b32_e32 v83, 0x10000000, v83
	v_and_b32_e32 v86, 0x100000, v86
	;; [unrolled: 1-line block ×3, first 2 shown]
	s_wait_loadcnt 0x7
	v_and_b32_e32 v87, 0xf0f0f0f, v111
	v_and_b32_e32 v81, 16, v81
	;; [unrolled: 1-line block ×3, first 2 shown]
	ds_store_2addr_b32 v11, v76, v77 offset1:1
	v_or3_b32 v76, v79, v78, v83
	v_or3_b32 v77, v80, v86, v85
	v_lshrrev_b32_e32 v80, 4, v111
	v_or3_b32 v79, v81, v87, v82
	v_lshrrev_b32_e32 v81, 12, v84
	v_lshrrev_b32_e32 v82, 5, v84
	v_ashrrev_i32_e32 v85, v26, v109
	v_and_b32_e32 v80, 0xf0f0f0f, v80
	v_lshlrev_b32_e32 v78, 18, v84
	v_and_b32_e32 v81, 16, v81
	v_and_b32_e32 v82, 0x1000, v82
	v_lshlrev_b32_e32 v83, 25, v84
	v_lshlrev_b32_e32 v86, 2, v84
	;; [unrolled: 1-line block ×3, first 2 shown]
	v_and_b32_e32 v78, 0x100000, v78
	v_or3_b32 v80, v81, v80, v82
	v_lshlrev_b32_e32 v81, 4, v85
	v_lshlrev_b32_e32 v82, 11, v85
	v_and_b32_e32 v83, 0x10000000, v83
	v_and_b32_e32 v86, 0x100000, v86
	;; [unrolled: 1-line block ×3, first 2 shown]
	s_wait_loadcnt 0x6
	v_and_b32_e32 v87, 0xf0f0f0f, v73
	v_and_b32_e32 v81, 16, v81
	v_and_b32_e32 v82, 0x1000, v82
	v_lshlrev_b32_e32 v88, 18, v85
	v_lshlrev_b32_e32 v89, 25, v85
	v_or3_b32 v78, v79, v78, v83
	v_or3_b32 v79, v80, v86, v84
	;; [unrolled: 1-line block ×3, first 2 shown]
	v_and_b32_e32 v81, 0x100000, v88
	v_and_b32_e32 v82, 0x10000000, v89
	v_lshrrev_b32_e32 v83, 12, v85
	v_lshrrev_b32_e32 v84, 5, v85
	v_ashrrev_i32_e32 v86, v26, v108
	v_lshrrev_b32_e32 v73, 4, v73
	v_or3_b32 v80, v80, v81, v82
	v_and_b32_e32 v81, 16, v83
	v_and_b32_e32 v82, 0x1000, v84
	v_lshlrev_b32_e32 v83, 4, v86
	v_lshlrev_b32_e32 v84, 11, v86
	s_wait_loadcnt 0x5
	v_and_b32_e32 v88, 0xf0f0f0f, v20
	v_and_b32_e32 v73, 0xf0f0f0f, v73
	v_lshlrev_b32_e32 v87, 2, v85
	v_and_b32_e32 v83, 16, v83
	v_and_b32_e32 v84, 0x1000, v84
	v_lshlrev_b32_e32 v85, 9, v85
	v_or3_b32 v73, v81, v73, v82
	v_and_b32_e32 v81, 0x100000, v87
	v_lshrrev_b32_e32 v20, 4, v20
	v_or3_b32 v83, v83, v88, v84
	v_ashrrev_i32_e32 v88, v26, v107
	v_and_b32_e32 v82, 0x10000000, v85
	v_lshrrev_b32_e32 v85, 12, v86
	v_lshrrev_b32_e32 v87, 5, v86
	v_and_b32_e32 v20, 0xf0f0f0f, v20
	v_lshlrev_b32_e32 v90, 4, v88
	v_lshlrev_b32_e32 v91, 11, v88
	v_and_b32_e32 v85, 16, v85
	v_and_b32_e32 v87, 0x1000, v87
	s_wait_loadcnt 0x4
	v_and_b32_e32 v93, 0xf0f0f0f, v21
	v_and_b32_e32 v90, 16, v90
	v_and_b32_e32 v91, 0x1000, v91
	v_lshlrev_b32_e32 v89, 18, v86
	v_lshlrev_b32_e32 v92, 2, v86
	v_or3_b32 v20, v85, v20, v87
	v_lshrrev_b32_e32 v21, 4, v21
	v_or3_b32 v87, v90, v93, v91
	v_lshrrev_b32_e32 v90, 12, v88
	v_lshrrev_b32_e32 v91, 5, v88
	v_and_b32_e32 v84, 0x100000, v89
	v_lshlrev_b32_e32 v89, 25, v86
	v_lshlrev_b32_e32 v86, 9, v86
	v_and_b32_e32 v85, 0x100000, v92
	v_lshlrev_b32_e32 v92, 18, v88
	v_lshlrev_b32_e32 v93, 25, v88
	v_and_b32_e32 v21, 0xf0f0f0f, v21
	v_and_b32_e32 v90, 16, v90
	;; [unrolled: 1-line block ×3, first 2 shown]
	v_lshlrev_b32_e32 v94, 2, v88
	v_lshlrev_b32_e32 v88, 9, v88
	v_and_b32_e32 v89, 0x10000000, v89
	v_and_b32_e32 v86, 0x10000000, v86
	;; [unrolled: 1-line block ×4, first 2 shown]
	v_or3_b32 v21, v90, v21, v91
	v_and_b32_e32 v90, 0x100000, v94
	v_and_b32_e32 v88, 0x10000000, v88
	v_or3_b32 v73, v73, v81, v82
	v_or3_b32 v81, v83, v84, v89
	;; [unrolled: 1-line block ×5, first 2 shown]
	ds_store_2addr_b32 v12, v76, v77 offset1:1
	ds_store_2addr_b32 v13, v78, v79 offset1:1
	;; [unrolled: 1-line block ×5, first 2 shown]
	s_wait_loadcnt 0x3
	ds_store_b32 v67, v71
	s_wait_loadcnt 0x2
	ds_store_b32 v68, v72
	;; [unrolled: 2-line block ×4, first 2 shown]
	s_cbranch_scc0 .LBB224_4
; %bb.6:                                ;   in Loop: Header=BB224_5 Depth=1
	v_add_nc_u32_e32 v20, s16, v39
	s_delay_alu instid0(VALU_DEP_1)
	v_cmp_gt_i32_e64 s1, s6, v20
	s_and_b32 s19, s0, s1
	s_wait_alu 0xfffe
	s_and_saveexec_b32 s1, s19
	s_cbranch_execz .LBB224_8
; %bb.7:                                ;   in Loop: Header=BB224_5 Depth=1
	v_add_nc_u32_e32 v20, v57, v20
	s_delay_alu instid0(VALU_DEP_1)
	v_mad_co_i64_i32 v[20:21], null, v20, 36, v[18:19]
	global_load_b32 v20, v[20:21], off offset:4
	s_wait_loadcnt 0x0
	ds_store_b32 v53, v20
.LBB224_8:                              ;   in Loop: Header=BB224_5 Depth=1
	s_wait_alu 0xfffe
	s_or_b32 exec_lo, exec_lo, s1
	v_add_nc_u32_e32 v20, s16, v23
	s_delay_alu instid0(VALU_DEP_1)
	v_cmp_gt_i32_e64 s1, s6, v20
	s_and_b32 s19, s8, s1
	s_wait_alu 0xfffe
	s_and_saveexec_b32 s1, s19
	s_cbranch_execz .LBB224_10
; %bb.9:                                ;   in Loop: Header=BB224_5 Depth=1
	v_add_nc_u32_e32 v21, v57, v20
	s_delay_alu instid0(VALU_DEP_1)
	v_mad_co_i64_i32 v[71:72], null, v21, 36, s[2:3]
	global_load_b32 v21, v[71:72], off
	s_wait_loadcnt 0x0
	ds_store_b32 v54, v21
.LBB224_10:                             ;   in Loop: Header=BB224_5 Depth=1
	s_wait_alu 0xfffe
	s_or_b32 exec_lo, exec_lo, s1
	v_dual_mov_b32 v21, v51 :: v_dual_mov_b32 v72, v52
	v_dual_mov_b32 v71, v55 :: v_dual_mov_b32 v74, v60
	;; [unrolled: 1-line block ×3, first 2 shown]
	v_mov_b32_e32 v75, v59
	s_mov_b32 s1, -4
	s_wait_dscnt 0x0
	s_barrier_signal -1
	s_barrier_wait -1
	global_inv scope:SCOPE_SE
.LBB224_11:                             ;   Parent Loop BB224_5 Depth=1
                                        ; =>  This Inner Loop Header: Depth=2
	v_add_nc_u32_e32 v93, 0x2080, v71
	v_add_nc_u32_e32 v95, 0x2088, v71
	;; [unrolled: 1-line block ×3, first 2 shown]
	ds_load_2addr_b32 v[77:78], v21 offset0:3 offset1:4
	ds_load_2addr_b32 v[79:80], v21 offset0:5 offset1:6
	ds_load_2addr_b32 v[81:82], v71 offset1:1
	ds_load_2addr_b32 v[83:84], v21 offset0:1 offset1:2
	ds_load_2addr_b32 v[85:86], v21 offset1:7
	ds_load_b32 v117, v72
	ds_load_2addr_b32 v[87:88], v71 offset0:2 offset1:3
	ds_load_2addr_b32 v[89:90], v71 offset0:4 offset1:5
	;; [unrolled: 1-line block ×3, first 2 shown]
	v_add_nc_u32_e32 v99, 0x2098, v71
	v_add_nc_u32_e32 v101, 0x4100, v71
	;; [unrolled: 1-line block ×9, first 2 shown]
	ds_load_b32 v118, v73
	ds_load_b32 v119, v74
	ds_load_b32 v120, v75
	ds_load_b32 v121, v76
	ds_load_2addr_b32 v[93:94], v93 offset1:1
	ds_load_2addr_b32 v[95:96], v95 offset1:1
	;; [unrolled: 1-line block ×12, first 2 shown]
	s_wait_dscnt 0x18
	v_lshlrev_b32_e32 v122, 8, v78
	v_lshlrev_b32_e32 v129, 24, v78
	;; [unrolled: 1-line block ×3, first 2 shown]
	s_wait_dscnt 0x15
	v_lshlrev_b32_e32 v123, 8, v83
	v_lshlrev_b32_e32 v124, 8, v79
	;; [unrolled: 1-line block ×5, first 2 shown]
	s_wait_dscnt 0x14
	v_lshlrev_b32_e32 v128, 8, v86
	v_lshlrev_b32_e32 v131, 24, v83
	;; [unrolled: 1-line block ×12, first 2 shown]
	v_perm_b32 v146, v130, v129, 0xc0c0703
	v_perm_b32 v147, v78, v122, 0x7030c0c
	v_dot4_i32_iu8 v81, v85, v81, 0 neg_lo:[1,1,0]
	v_lshlrev_b32_e32 v142, 16, v86
	v_perm_b32 v143, v79, v83, 0x7030c0c
	v_perm_b32 v144, v80, v84, 0xc0c0703
	;; [unrolled: 1-line block ×3, first 2 shown]
	s_wait_dscnt 0xb
	v_dot4_i32_iu8 v93, v85, v93, 0 neg_lo:[1,1,0]
	s_wait_dscnt 0x7
	v_dot4_i32_iu8 v101, v85, v101, 0 neg_lo:[1,1,0]
	v_perm_b32 v148, v132, v131, 0xc0c0703
	v_perm_b32 v83, v83, v123, 0x7030c0c
	;; [unrolled: 1-line block ×11, first 2 shown]
	s_wait_dscnt 0x3
	v_perm_b32 v130, v109, v130, 0xc0c0503
	v_perm_b32 v132, v134, v132, 0x7030c0c
	s_wait_dscnt 0x2
	v_perm_b32 v134, v112, v111, 0x5010c0c
	v_perm_b32 v154, v85, v110, 0xc0c0501
	;; [unrolled: 1-line block ×13, first 2 shown]
	s_wait_dscnt 0x1
	v_perm_b32 v110, v114, v113, 0xc0c0602
	s_wait_dscnt 0x0
	v_perm_b32 v112, v116, v115, 0x6020c0c
	v_perm_b32 v123, v126, v125, 0xc0c0703
	v_perm_b32 v124, v128, v127, 0x7030c0c
	v_perm_b32 v125, v114, v113, 0xc0c0400
	v_perm_b32 v126, v116, v115, 0x4000c0c
	v_perm_b32 v127, v137, v135, 0xc0c0703
	v_perm_b32 v128, v141, v139, 0x7030c0c
	v_perm_b32 v137, v114, v113, 0xc0c0703
	v_perm_b32 v139, v116, v115, 0x7030c0c
	v_perm_b32 v113, v114, v113, 0xc0c0501
	v_perm_b32 v114, v116, v115, 0x5010c0c
	v_perm_b32 v115, v138, v136, 0xc0c0703
	v_or_b32_e32 v136, v147, v146
	v_or_b32_e32 v83, v83, v148
	;; [unrolled: 1-line block ×3, first 2 shown]
	v_perm_b32 v116, v142, v140, 0x7030c0c
	v_or_b32_e32 v84, v84, v150
	v_dot4_i32_iu8 v81, v136, v82, v81 neg_lo:[1,1,0]
	v_dot4_i32_iu8 v82, v136, v94, v93 neg_lo:[1,1,0]
	v_dot4_i32_iu8 v93, v136, v102, v101 neg_lo:[1,1,0]
	v_or_b32_e32 v130, v132, v130
	v_or_b32_e32 v132, v134, v154
	v_dot4_i32_iu8 v81, v83, v87, v81 neg_lo:[1,1,0]
	v_dot4_i32_iu8 v82, v83, v95, v82 neg_lo:[1,1,0]
	v_dot4_i32_iu8 v83, v83, v103, v93 neg_lo:[1,1,0]
	v_or_b32_e32 v134, v155, v156
	;; [unrolled: 5-line block ×3, first 2 shown]
	v_or_b32_e32 v80, v80, v151
	v_or_b32_e32 v129, v131, v129
	;; [unrolled: 1-line block ×9, first 2 shown]
	v_dot4_i32_iu8 v101, v130, v132, 0 neg_lo:[1,1,0]
	v_dot4_i32_iu8 v78, v78, v134, 0 neg_lo:[1,1,0]
	;; [unrolled: 1-line block ×5, first 2 shown]
	v_perm_b32 v153, v142, v141, 0xc0c0703
	v_or_b32_e32 v77, v77, v152
	v_or_b32_e32 v110, v112, v110
	v_or_b32_e32 v112, v126, v125
	v_or_b32_e32 v122, v128, v127
	v_dot4_i32_iu8 v85, v109, v85, 0 neg_lo:[1,1,0]
	v_dot4_i32_iu8 v83, v129, v131, 0 neg_lo:[1,1,0]
	;; [unrolled: 1-line block ×7, first 2 shown]
	v_or_b32_e32 v86, v86, v153
	v_dot4_i32_iu8 v85, v111, v110, v85 neg_lo:[1,1,0]
	v_dot4_i32_iu8 v80, v122, v112, v83 neg_lo:[1,1,0]
	v_add_nc_u32_e32 v78, v84, v78
	v_dot4_i32_iu8 v81, v77, v91, v81 neg_lo:[1,1,0]
	v_dot4_i32_iu8 v82, v77, v99, v82 neg_lo:[1,1,0]
	;; [unrolled: 1-line block ×3, first 2 shown]
	v_pk_mul_f16 v118, v117, v118
	v_add3_u32 v78, v80, v85, v78
	v_dot4_i32_iu8 v80, v86, v92, v81 neg_lo:[1,1,0]
	v_dot4_i32_iu8 v81, v86, v100, v82 neg_lo:[1,1,0]
	;; [unrolled: 1-line block ×3, first 2 shown]
	v_pk_mul_f16 v119, v117, v119
	v_pk_mul_f16 v79, v117, v120
	;; [unrolled: 1-line block ×3, first 2 shown]
	v_cvt_f32_i32_e32 v78, v78
	v_cvt_f32_i32_e32 v80, v80
	;; [unrolled: 1-line block ×4, first 2 shown]
	v_add_nc_u32_e32 v75, 4, v75
	v_fma_mix_f32 v78, v82, v78, v82 op_sel:[0,0,1] op_sel_hi:[1,0,1]
	v_fma_mix_f32 v80, v118, v80, v118 op_sel:[0,0,1] op_sel_hi:[1,0,1]
	;; [unrolled: 1-line block ×4, first 2 shown]
	v_add_nc_u32_e32 v76, 4, v76
	v_add_nc_u32_e32 v74, 4, v74
	;; [unrolled: 1-line block ×5, first 2 shown]
	v_dual_add_f32 v14, v14, v78 :: v_dual_add_nc_u32 v21, 32, v21
	v_dual_add_f32 v24, v24, v80 :: v_dual_add_f32 v49, v49, v81
	v_add_f32_e32 v46, v46, v77
	s_wait_alu 0xfffe
	s_add_co_i32 s1, s1, 4
	s_wait_alu 0xfffe
	s_cmp_lt_u32 s1, 12
	s_cbranch_scc1 .LBB224_11
; %bb.12:                               ;   in Loop: Header=BB224_5 Depth=1
	s_bitset1_b32 s18, 7
	s_wait_loadcnt 0x0
	s_wait_alu 0xfffe
	s_cmp_ge_i32 s18, s5
	s_barrier_signal -1
	s_barrier_wait -1
	global_inv scope:SCOPE_SE
	s_cbranch_scc1 .LBB224_4
; %bb.13:                               ;   in Loop: Header=BB224_5 Depth=1
	v_add_nc_u32_e32 v21, s16, v56
	s_delay_alu instid0(VALU_DEP_1)
	v_cmp_gt_i32_e64 s1, s6, v21
	s_and_b32 s18, s0, s1
	s_wait_alu 0xfffe
	s_and_saveexec_b32 s1, s18
	s_cbranch_execz .LBB224_15
; %bb.14:                               ;   in Loop: Header=BB224_5 Depth=1
	v_add_nc_u32_e32 v21, v57, v21
	s_delay_alu instid0(VALU_DEP_1)
	v_mad_co_i64_i32 v[71:72], null, v21, 36, v[18:19]
	global_load_b32 v21, v[71:72], off offset:4
	s_wait_loadcnt 0x0
	ds_store_b32 v53, v21
.LBB224_15:                             ;   in Loop: Header=BB224_5 Depth=1
	s_wait_alu 0xfffe
	s_or_b32 exec_lo, exec_lo, s1
	s_and_saveexec_b32 s18, vcc_lo
	s_cbranch_execz .LBB224_18
; %bb.16:                               ;   in Loop: Header=BB224_5 Depth=1
	v_or_b32_e32 v21, 4, v20
	s_delay_alu instid0(VALU_DEP_1)
	v_cmp_gt_i32_e64 s1, s6, v21
	s_and_b32 s1, s0, s1
	s_wait_alu 0xfffe
	s_and_b32 exec_lo, exec_lo, s1
	s_cbranch_execz .LBB224_18
; %bb.17:                               ;   in Loop: Header=BB224_5 Depth=1
	v_ashrrev_i32_e32 v21, 31, v20
	v_add_co_u32 v20, s1, v57, v20
	s_wait_alu 0xf1ff
	s_delay_alu instid0(VALU_DEP_2) | instskip(NEXT) | instid1(VALU_DEP_2)
	v_add_co_ci_u32_e64 v71, null, v0, v21, s1
	v_mad_co_u64_u32 v[20:21], null, v20, 36, s[2:3]
	s_delay_alu instid0(VALU_DEP_1)
	v_mad_i32_i24 v21, v71, 36, v21
	global_load_b32 v20, v[20:21], off offset:144
	s_wait_loadcnt 0x0
	ds_store_b32 v54, v20
.LBB224_18:                             ;   in Loop: Header=BB224_5 Depth=1
	s_wait_alu 0xfffe
	s_or_b32 exec_lo, exec_lo, s18
	v_dual_mov_b32 v20, v52 :: v_dual_mov_b32 v21, v51
	v_dual_mov_b32 v71, v66 :: v_dual_mov_b32 v72, v65
	;; [unrolled: 1-line block ×3, first 2 shown]
	v_mov_b32_e32 v75, v62
	s_mov_b32 s1, 12
	s_wait_loadcnt_dscnt 0x0
	s_barrier_signal -1
	s_barrier_wait -1
	global_inv scope:SCOPE_SE
.LBB224_19:                             ;   Parent Loop BB224_5 Depth=1
                                        ; =>  This Inner Loop Header: Depth=2
	v_add_nc_u32_e32 v92, 0x2080, v71
	v_add_nc_u32_e32 v94, 0x2088, v71
	ds_load_2addr_b32 v[76:77], v21 offset1:7
	ds_load_2addr_b32 v[78:79], v21 offset0:3 offset1:4
	ds_load_2addr_b32 v[80:81], v21 offset0:5 offset1:6
	;; [unrolled: 1-line block ×3, first 2 shown]
	ds_load_b32 v116, v20
	ds_load_2addr_b32 v[84:85], v71 offset1:1
	ds_load_2addr_b32 v[86:87], v71 offset0:2 offset1:3
	ds_load_2addr_b32 v[88:89], v71 offset0:4 offset1:5
	;; [unrolled: 1-line block ×3, first 2 shown]
	v_add_nc_u32_e32 v96, 0x2090, v71
	v_add_nc_u32_e32 v98, 0x2098, v71
	;; [unrolled: 1-line block ×10, first 2 shown]
	ds_load_b32 v117, v72
	ds_load_b32 v118, v73
	ds_load_b32 v119, v74
	ds_load_b32 v120, v75
	ds_load_2addr_b32 v[92:93], v92 offset1:1
	ds_load_2addr_b32 v[94:95], v94 offset1:1
	;; [unrolled: 1-line block ×12, first 2 shown]
	s_wait_dscnt 0x17
	v_lshlrev_b32_e32 v121, 8, v79
	v_lshlrev_b32_e32 v128, 24, v79
	v_lshlrev_b32_e32 v129, 16, v79
	s_wait_dscnt 0x15
	v_lshlrev_b32_e32 v122, 8, v82
	v_lshlrev_b32_e32 v123, 8, v80
	v_lshlrev_b32_e32 v124, 8, v83
	v_lshlrev_b32_e32 v125, 8, v81
	v_lshlrev_b32_e32 v126, 8, v78
	v_lshlrev_b32_e32 v127, 8, v77
	v_lshlrev_b32_e32 v130, 24, v82
	v_lshlrev_b32_e32 v131, 16, v82
	v_lshlrev_b32_e32 v132, 24, v80
	v_lshlrev_b32_e32 v133, 16, v80
	v_lshlrev_b32_e32 v134, 24, v83
	v_lshlrev_b32_e32 v135, 16, v83
	v_lshlrev_b32_e32 v136, 24, v81
	v_lshlrev_b32_e32 v137, 16, v81
	v_lshlrev_b32_e32 v138, 24, v78
	v_lshlrev_b32_e32 v139, 16, v78
	v_lshlrev_b32_e32 v140, 24, v77
	v_perm_b32 v145, v129, v128, 0xc0c0703
	v_perm_b32 v146, v79, v121, 0x7030c0c
	s_wait_dscnt 0x13
	v_dot4_i32_iu8 v84, v76, v84, 0 neg_lo:[1,1,0]
	v_lshlrev_b32_e32 v141, 16, v77
	v_perm_b32 v142, v80, v82, 0x7030c0c
	v_perm_b32 v143, v81, v83, 0xc0c0703
	;; [unrolled: 1-line block ×3, first 2 shown]
	s_wait_dscnt 0xb
	v_dot4_i32_iu8 v92, v76, v92, 0 neg_lo:[1,1,0]
	s_wait_dscnt 0x7
	v_dot4_i32_iu8 v100, v76, v100, 0 neg_lo:[1,1,0]
	v_perm_b32 v147, v131, v130, 0xc0c0703
	v_perm_b32 v82, v82, v122, 0x7030c0c
	;; [unrolled: 1-line block ×11, first 2 shown]
	s_wait_dscnt 0x3
	v_perm_b32 v129, v108, v129, 0xc0c0503
	v_perm_b32 v131, v133, v131, 0x7030c0c
	s_wait_dscnt 0x2
	v_perm_b32 v133, v111, v110, 0x5010c0c
	v_perm_b32 v153, v76, v109, 0xc0c0501
	;; [unrolled: 1-line block ×13, first 2 shown]
	s_wait_dscnt 0x1
	v_perm_b32 v109, v113, v112, 0xc0c0602
	s_wait_dscnt 0x0
	v_perm_b32 v111, v115, v114, 0x6020c0c
	v_perm_b32 v122, v125, v124, 0xc0c0703
	;; [unrolled: 1-line block ×12, first 2 shown]
	v_or_b32_e32 v135, v146, v145
	v_or_b32_e32 v82, v82, v147
	;; [unrolled: 1-line block ×3, first 2 shown]
	v_perm_b32 v115, v141, v139, 0x7030c0c
	v_or_b32_e32 v83, v83, v149
	v_dot4_i32_iu8 v84, v135, v85, v84 neg_lo:[1,1,0]
	v_dot4_i32_iu8 v85, v135, v93, v92 neg_lo:[1,1,0]
	v_dot4_i32_iu8 v92, v135, v101, v100 neg_lo:[1,1,0]
	v_or_b32_e32 v129, v131, v129
	v_or_b32_e32 v131, v133, v153
	v_dot4_i32_iu8 v84, v82, v86, v84 neg_lo:[1,1,0]
	v_dot4_i32_iu8 v85, v82, v94, v85 neg_lo:[1,1,0]
	v_dot4_i32_iu8 v82, v82, v102, v92 neg_lo:[1,1,0]
	v_or_b32_e32 v133, v154, v155
	;; [unrolled: 5-line block ×3, first 2 shown]
	v_or_b32_e32 v81, v81, v150
	v_or_b32_e32 v128, v130, v128
	;; [unrolled: 1-line block ×9, first 2 shown]
	v_dot4_i32_iu8 v100, v129, v131, 0 neg_lo:[1,1,0]
	v_dot4_i32_iu8 v79, v79, v133, 0 neg_lo:[1,1,0]
	;; [unrolled: 1-line block ×5, first 2 shown]
	v_perm_b32 v152, v141, v140, 0xc0c0703
	v_or_b32_e32 v78, v78, v151
	v_or_b32_e32 v109, v111, v109
	;; [unrolled: 1-line block ×4, first 2 shown]
	v_dot4_i32_iu8 v76, v108, v76, 0 neg_lo:[1,1,0]
	v_dot4_i32_iu8 v82, v128, v130, 0 neg_lo:[1,1,0]
	;; [unrolled: 1-line block ×7, first 2 shown]
	v_or_b32_e32 v77, v77, v152
	v_dot4_i32_iu8 v76, v110, v109, v76 neg_lo:[1,1,0]
	v_dot4_i32_iu8 v81, v121, v111, v82 neg_lo:[1,1,0]
	v_add_nc_u32_e32 v79, v83, v79
	v_dot4_i32_iu8 v82, v78, v90, v84 neg_lo:[1,1,0]
	v_dot4_i32_iu8 v83, v78, v98, v85 neg_lo:[1,1,0]
	;; [unrolled: 1-line block ×3, first 2 shown]
	v_pk_mul_f16 v117, v116, v117
	v_add3_u32 v76, v81, v76, v79
	v_dot4_i32_iu8 v79, v77, v91, v82 neg_lo:[1,1,0]
	v_dot4_i32_iu8 v81, v77, v99, v83 neg_lo:[1,1,0]
	;; [unrolled: 1-line block ×3, first 2 shown]
	v_pk_mul_f16 v118, v116, v118
	v_pk_mul_f16 v80, v116, v119
	;; [unrolled: 1-line block ×3, first 2 shown]
	v_cvt_f32_i32_e32 v76, v76
	v_cvt_f32_i32_e32 v79, v79
	v_cvt_f32_i32_e32 v81, v81
	v_cvt_f32_i32_e32 v77, v77
	v_add_nc_u32_e32 v72, 4, v72
	v_fma_mix_f32 v76, v78, v76, v78 op_sel:[0,0,1] op_sel_hi:[1,0,1]
	v_fma_mix_f32 v78, v117, v79, v117 op_sel:[0,0,1] op_sel_hi:[1,0,1]
	;; [unrolled: 1-line block ×4, first 2 shown]
	s_delay_alu instid0(VALU_DEP_4) | instskip(NEXT) | instid1(VALU_DEP_3)
	v_dual_add_f32 v14, v14, v76 :: v_dual_add_nc_u32 v75, 4, v75
	v_dual_add_f32 v49, v49, v79 :: v_dual_add_nc_u32 v74, 4, v74
	;; [unrolled: 1-line block ×3, first 2 shown]
	s_delay_alu instid0(VALU_DEP_4)
	v_dual_add_f32 v46, v46, v77 :: v_dual_add_nc_u32 v71, 32, v71
	v_add_nc_u32_e32 v21, 32, v21
	v_add_nc_u32_e32 v20, 4, v20
	s_wait_alu 0xfffe
	s_add_co_i32 s1, s1, 4
	s_wait_alu 0xfffe
	s_cmp_lt_u32 s1, 28
	s_cbranch_scc1 .LBB224_19
; %bb.20:                               ;   in Loop: Header=BB224_5 Depth=1
	s_wait_loadcnt 0x0
	s_barrier_signal -1
	s_barrier_wait -1
	global_inv scope:SCOPE_SE
	s_branch .LBB224_4
.LBB224_21:
	s_mul_i32 s0, s10, s7
	s_wait_loadcnt 0x0
	s_wait_alu 0xfffe
	v_cmp_gt_i32_e32 vcc_lo, s0, v22
	s_and_saveexec_b32 s0, vcc_lo
	s_cbranch_execz .LBB224_30
; %bb.22:
	v_mul_lo_u32 v0, v22, s9
	v_add_nc_u32_e32 v1, s11, v23
	s_mov_b32 s0, exec_lo
	s_delay_alu instid0(VALU_DEP_1)
	v_cmpx_gt_u32_e64 s9, v1
	s_cbranch_execz .LBB224_24
; %bb.23:
	v_bfe_u32 v3, v24, 16, 1
	s_delay_alu instid0(VALU_DEP_4) | instskip(SKIP_1) | instid1(VALU_DEP_3)
	v_add_nc_u32_e32 v2, v0, v1
	v_cmp_o_f32_e32 vcc_lo, v24, v24
	v_add3_u32 v4, v24, v3, 0x7fff
	v_mov_b32_e32 v3, 0
	s_delay_alu instid0(VALU_DEP_2) | instskip(NEXT) | instid1(VALU_DEP_2)
	v_lshrrev_b32_e32 v4, 16, v4
	v_lshlrev_b64_e32 v[2:3], 1, v[2:3]
	s_wait_alu 0xfffd
	s_delay_alu instid0(VALU_DEP_2) | instskip(NEXT) | instid1(VALU_DEP_2)
	v_cndmask_b32_e32 v4, 0x7fc0, v4, vcc_lo
	v_add_co_u32 v2, vcc_lo, s12, v2
	s_wait_alu 0xfffd
	s_delay_alu instid0(VALU_DEP_3)
	v_add_co_ci_u32_e64 v3, null, s13, v3, vcc_lo
	global_store_b16 v[2:3], v4, off
.LBB224_24:
	s_wait_alu 0xfffe
	s_or_b32 exec_lo, exec_lo, s0
	v_add_nc_u32_e32 v2, 32, v1
	s_mov_b32 s0, exec_lo
	s_delay_alu instid0(VALU_DEP_1)
	v_cmpx_gt_u32_e64 s9, v2
	s_cbranch_execz .LBB224_26
; %bb.25:
	v_bfe_u32 v3, v49, 16, 1
	v_add_nc_u32_e32 v2, v0, v2
	v_cmp_o_f32_e32 vcc_lo, v49, v49
	s_delay_alu instid0(VALU_DEP_3) | instskip(SKIP_1) | instid1(VALU_DEP_2)
	v_add3_u32 v4, v49, v3, 0x7fff
	v_mov_b32_e32 v3, 0
	v_lshrrev_b32_e32 v4, 16, v4
	s_delay_alu instid0(VALU_DEP_2) | instskip(SKIP_1) | instid1(VALU_DEP_2)
	v_lshlrev_b64_e32 v[2:3], 1, v[2:3]
	s_wait_alu 0xfffd
	v_cndmask_b32_e32 v4, 0x7fc0, v4, vcc_lo
	s_delay_alu instid0(VALU_DEP_2) | instskip(SKIP_1) | instid1(VALU_DEP_3)
	v_add_co_u32 v2, vcc_lo, s12, v2
	s_wait_alu 0xfffd
	v_add_co_ci_u32_e64 v3, null, s13, v3, vcc_lo
	global_store_b16 v[2:3], v4, off
.LBB224_26:
	s_wait_alu 0xfffe
	s_or_b32 exec_lo, exec_lo, s0
	v_add_nc_u32_e32 v2, 64, v1
	s_mov_b32 s0, exec_lo
	s_delay_alu instid0(VALU_DEP_1)
	v_cmpx_gt_u32_e64 s9, v2
	s_cbranch_execz .LBB224_28
; %bb.27:
	v_bfe_u32 v3, v46, 16, 1
	v_add_nc_u32_e32 v2, v0, v2
	v_cmp_o_f32_e32 vcc_lo, v46, v46
	s_delay_alu instid0(VALU_DEP_3) | instskip(SKIP_1) | instid1(VALU_DEP_2)
	v_add3_u32 v4, v46, v3, 0x7fff
	v_mov_b32_e32 v3, 0
	v_lshrrev_b32_e32 v4, 16, v4
	s_delay_alu instid0(VALU_DEP_2) | instskip(SKIP_1) | instid1(VALU_DEP_2)
	v_lshlrev_b64_e32 v[2:3], 1, v[2:3]
	s_wait_alu 0xfffd
	v_cndmask_b32_e32 v4, 0x7fc0, v4, vcc_lo
	s_delay_alu instid0(VALU_DEP_2) | instskip(SKIP_1) | instid1(VALU_DEP_3)
	v_add_co_u32 v2, vcc_lo, s12, v2
	s_wait_alu 0xfffd
	v_add_co_ci_u32_e64 v3, null, s13, v3, vcc_lo
	global_store_b16 v[2:3], v4, off
.LBB224_28:
	s_wait_alu 0xfffe
	s_or_b32 exec_lo, exec_lo, s0
	v_add_nc_u32_e32 v1, 0x60, v1
	s_delay_alu instid0(VALU_DEP_1)
	v_cmp_gt_u32_e32 vcc_lo, s9, v1
	s_and_b32 exec_lo, exec_lo, vcc_lo
	s_cbranch_execz .LBB224_30
; %bb.29:
	v_bfe_u32 v2, v14, 16, 1
	v_dual_mov_b32 v1, 0 :: v_dual_add_nc_u32 v0, v0, v1
	v_cmp_o_f32_e32 vcc_lo, v14, v14
	s_delay_alu instid0(VALU_DEP_3) | instskip(NEXT) | instid1(VALU_DEP_3)
	v_add3_u32 v2, v14, v2, 0x7fff
	v_lshlrev_b64_e32 v[0:1], 1, v[0:1]
	s_delay_alu instid0(VALU_DEP_2) | instskip(SKIP_1) | instid1(VALU_DEP_1)
	v_lshrrev_b32_e32 v2, 16, v2
	s_wait_alu 0xfffd
	v_cndmask_b32_e32 v2, 0x7fc0, v2, vcc_lo
	s_delay_alu instid0(VALU_DEP_3)
	v_add_co_u32 v0, vcc_lo, s12, v0
	s_wait_alu 0xfffd
	v_add_co_ci_u32_e64 v1, null, s13, v1, vcc_lo
	global_store_b16 v[0:1], v2, off
.LBB224_30:
	s_nop 0
	s_sendmsg sendmsg(MSG_DEALLOC_VGPRS)
	s_endpgm
	.section	.rodata,"a",@progbits
	.p2align	6, 0x0
	.amdhsa_kernel _ZL8moe_q5_1IN3c108BFloat16ELb1EEvPKvS3_PT_PKiS7_S7_iiiiiii
		.amdhsa_group_segment_fixed_size 38656
		.amdhsa_private_segment_fixed_size 0
		.amdhsa_kernarg_size 76
		.amdhsa_user_sgpr_count 2
		.amdhsa_user_sgpr_dispatch_ptr 0
		.amdhsa_user_sgpr_queue_ptr 0
		.amdhsa_user_sgpr_kernarg_segment_ptr 1
		.amdhsa_user_sgpr_dispatch_id 0
		.amdhsa_user_sgpr_private_segment_size 0
		.amdhsa_wavefront_size32 1
		.amdhsa_uses_dynamic_stack 0
		.amdhsa_enable_private_segment 0
		.amdhsa_system_sgpr_workgroup_id_x 1
		.amdhsa_system_sgpr_workgroup_id_y 1
		.amdhsa_system_sgpr_workgroup_id_z 0
		.amdhsa_system_sgpr_workgroup_info 0
		.amdhsa_system_vgpr_workitem_id 1
		.amdhsa_next_free_vgpr 217
		.amdhsa_next_free_sgpr 21
		.amdhsa_reserve_vcc 1
		.amdhsa_float_round_mode_32 0
		.amdhsa_float_round_mode_16_64 0
		.amdhsa_float_denorm_mode_32 3
		.amdhsa_float_denorm_mode_16_64 3
		.amdhsa_fp16_overflow 0
		.amdhsa_workgroup_processor_mode 1
		.amdhsa_memory_ordered 1
		.amdhsa_forward_progress 1
		.amdhsa_inst_pref_size 72
		.amdhsa_round_robin_scheduling 0
		.amdhsa_exception_fp_ieee_invalid_op 0
		.amdhsa_exception_fp_denorm_src 0
		.amdhsa_exception_fp_ieee_div_zero 0
		.amdhsa_exception_fp_ieee_overflow 0
		.amdhsa_exception_fp_ieee_underflow 0
		.amdhsa_exception_fp_ieee_inexact 0
		.amdhsa_exception_int_div_zero 0
	.end_amdhsa_kernel
	.section	.text._ZL8moe_q5_1IN3c108BFloat16ELb1EEvPKvS3_PT_PKiS7_S7_iiiiiii,"axG",@progbits,_ZL8moe_q5_1IN3c108BFloat16ELb1EEvPKvS3_PT_PKiS7_S7_iiiiiii,comdat
.Lfunc_end224:
	.size	_ZL8moe_q5_1IN3c108BFloat16ELb1EEvPKvS3_PT_PKiS7_S7_iiiiiii, .Lfunc_end224-_ZL8moe_q5_1IN3c108BFloat16ELb1EEvPKvS3_PT_PKiS7_S7_iiiiiii
                                        ; -- End function
	.set _ZL8moe_q5_1IN3c108BFloat16ELb1EEvPKvS3_PT_PKiS7_S7_iiiiiii.num_vgpr, 180
	.set _ZL8moe_q5_1IN3c108BFloat16ELb1EEvPKvS3_PT_PKiS7_S7_iiiiiii.num_agpr, 0
	.set _ZL8moe_q5_1IN3c108BFloat16ELb1EEvPKvS3_PT_PKiS7_S7_iiiiiii.numbered_sgpr, 21
	.set _ZL8moe_q5_1IN3c108BFloat16ELb1EEvPKvS3_PT_PKiS7_S7_iiiiiii.num_named_barrier, 0
	.set _ZL8moe_q5_1IN3c108BFloat16ELb1EEvPKvS3_PT_PKiS7_S7_iiiiiii.private_seg_size, 0
	.set _ZL8moe_q5_1IN3c108BFloat16ELb1EEvPKvS3_PT_PKiS7_S7_iiiiiii.uses_vcc, 1
	.set _ZL8moe_q5_1IN3c108BFloat16ELb1EEvPKvS3_PT_PKiS7_S7_iiiiiii.uses_flat_scratch, 0
	.set _ZL8moe_q5_1IN3c108BFloat16ELb1EEvPKvS3_PT_PKiS7_S7_iiiiiii.has_dyn_sized_stack, 0
	.set _ZL8moe_q5_1IN3c108BFloat16ELb1EEvPKvS3_PT_PKiS7_S7_iiiiiii.has_recursion, 0
	.set _ZL8moe_q5_1IN3c108BFloat16ELb1EEvPKvS3_PT_PKiS7_S7_iiiiiii.has_indirect_call, 0
	.section	.AMDGPU.csdata,"",@progbits
; Kernel info:
; codeLenInByte = 9100
; TotalNumSgprs: 23
; NumVgprs: 180
; ScratchSize: 0
; MemoryBound: 0
; FloatMode: 240
; IeeeMode: 1
; LDSByteSize: 38656 bytes/workgroup (compile time only)
; SGPRBlocks: 0
; VGPRBlocks: 27
; NumSGPRsForWavesPerEU: 23
; NumVGPRsForWavesPerEU: 217
; Occupancy: 6
; WaveLimiterHint : 1
; COMPUTE_PGM_RSRC2:SCRATCH_EN: 0
; COMPUTE_PGM_RSRC2:USER_SGPR: 2
; COMPUTE_PGM_RSRC2:TRAP_HANDLER: 0
; COMPUTE_PGM_RSRC2:TGID_X_EN: 1
; COMPUTE_PGM_RSRC2:TGID_Y_EN: 1
; COMPUTE_PGM_RSRC2:TGID_Z_EN: 0
; COMPUTE_PGM_RSRC2:TIDIG_COMP_CNT: 1
	.section	.text._ZL8moe_q8_0IN3c108BFloat16ELb0EEvPKvS3_PT_PKiS7_S7_iiiiiii,"axG",@progbits,_ZL8moe_q8_0IN3c108BFloat16ELb0EEvPKvS3_PT_PKiS7_S7_iiiiiii,comdat
	.globl	_ZL8moe_q8_0IN3c108BFloat16ELb0EEvPKvS3_PT_PKiS7_S7_iiiiiii ; -- Begin function _ZL8moe_q8_0IN3c108BFloat16ELb0EEvPKvS3_PT_PKiS7_S7_iiiiiii
	.p2align	8
	.type	_ZL8moe_q8_0IN3c108BFloat16ELb0EEvPKvS3_PT_PKiS7_S7_iiiiiii,@function
_ZL8moe_q8_0IN3c108BFloat16ELb0EEvPKvS3_PT_PKiS7_S7_iiiiiii: ; @_ZL8moe_q8_0IN3c108BFloat16ELb0EEvPKvS3_PT_PKiS7_S7_iiiiiii
; %bb.0:
	s_load_b128 s[4:7], s[0:1], 0x18
	s_mov_b32 s2, ttmp7
	s_mov_b32 s3, 0
	s_delay_alu instid0(SALU_CYCLE_1)
	s_lshl_b64 s[2:3], s[2:3], 2
	s_wait_kmcnt 0x0
	s_add_nc_u64 s[2:3], s[6:7], s[2:3]
	s_load_b32 s12, s[2:3], 0x0
	s_wait_kmcnt 0x0
	s_cmp_gt_u32 s12, 0xff
	s_cbranch_scc1 .LBB225_22
; %bb.1:
	s_load_b64 s[2:3], s[0:1], 0x28
	s_wait_kmcnt 0x0
	s_load_b32 s3, s[2:3], 0x0
	s_lshl_b32 s2, ttmp7, 3
	s_wait_kmcnt 0x0
	s_cmp_gt_u32 s2, s3
	s_cbranch_scc1 .LBB225_22
; %bb.2:
	v_bfe_u32 v40, v0, 10, 10
	v_mov_b32_e32 v2, 0
	s_lshl_b32 s18, ttmp9, 7
	s_delay_alu instid0(VALU_DEP_1) | instskip(SKIP_1) | instid1(VALU_DEP_2)
	v_dual_mov_b32 v12, v2 :: v_dual_add_nc_u32 v1, s2, v40
	v_dual_mov_b32 v26, v2 :: v_dual_mov_b32 v5, v2
	v_lshlrev_b64_e32 v[3:4], 2, v[1:2]
	s_delay_alu instid0(VALU_DEP_1) | instskip(NEXT) | instid1(VALU_DEP_1)
	v_add_co_u32 v3, vcc_lo, s4, v3
	v_add_co_ci_u32_e64 v4, null, s5, v4, vcc_lo
	global_load_b32 v3, v[3:4], off
	s_clause 0x2
	s_load_b64 s[10:11], s[0:1], 0x30
	s_load_b64 s[8:9], s[0:1], 0x10
	s_load_b128 s[4:7], s[0:1], 0x3c
	v_and_b32_e32 v4, 0x3ff, v0
	s_wait_kmcnt 0x0
	s_cmp_lt_i32 s11, 32
	s_cbranch_scc1 .LBB225_13
; %bb.3:
	s_ashr_i32 s13, s11, 31
	s_abs_i32 s16, s7
	s_lshr_b32 s13, s13, 27
	s_mul_i32 s12, s12, s10
	s_add_co_i32 s13, s11, s13
	s_ashr_i32 s14, s5, 31
	s_ashr_i32 s10, s13, 5
	s_cvt_f32_u32 s13, s16
	s_lshr_b32 s14, s14, 27
	s_wait_loadcnt 0x0
	v_sub_nc_u32_e32 v18, 0, v3
	s_add_co_i32 s5, s5, s14
	v_rcp_iflag_f32_e32 v15, s13
	s_sub_co_i32 s19, 0, s16
	v_bfe_u32 v12, v0, 2, 8
	v_max_i32_e32 v33, v3, v18
	v_xor_b32_e32 v17, s7, v3
	v_bfe_u32 v6, v0, 3, 7
	v_dual_mov_b32 v5, 0 :: v_dual_and_b32 v8, 3, v0
	v_mul_lo_u32 v7, s10, v40
	s_delay_alu instid0(VALU_DEP_4) | instskip(NEXT) | instid1(TRANS32_DEP_1)
	v_ashrrev_i32_e32 v41, 31, v17
	v_readfirstlane_b32 s14, v15
	s_lshl_b32 s17, s10, 3
	v_lshlrev_b32_e32 v45, 4, v4
	v_lshlrev_b32_e32 v48, 2, v6
	s_load_b128 s[0:3], s[0:1], 0x0
	s_mul_f32 s15, s14, 0x4f7ffffe
	v_add_nc_u32_e32 v9, s17, v7
	s_mul_i32 s14, s10, s18
	s_ashr_i32 s13, s12, 31
	s_cvt_u32_f32 s20, s15
	s_ashr_i32 s15, s14, 31
	s_ashr_i32 s5, s5, 5
	v_lshlrev_b32_e32 v50, 4, v40
	s_mul_i32 s19, s19, s20
	s_mul_u64 s[14:15], s[14:15], 34
	s_mul_hi_u32 s19, s20, s19
	s_delay_alu instid0(SALU_CYCLE_1) | instskip(NEXT) | instid1(SALU_CYCLE_1)
	s_add_co_i32 s20, s20, s19
	v_mul_hi_u32 v35, v33, s20
	s_wait_kmcnt 0x0
	s_wait_alu 0xfffe
	s_add_nc_u64 s[0:1], s[0:1], s[12:13]
	s_delay_alu instid0(SALU_CYCLE_1) | instskip(NEXT) | instid1(VALU_DEP_1)
	s_add_nc_u64 s[12:13], s[0:1], s[14:15]
	v_mul_lo_u32 v34, v35, s16
	v_add_nc_u32_e32 v38, 1, v35
	v_cmp_gt_u32_e64 s0, 4, v4
	s_mov_b32 s15, 0
	s_delay_alu instid0(SALU_CYCLE_1) | instskip(SKIP_1) | instid1(VALU_DEP_1)
	s_mov_b32 s14, s15
	v_sub_nc_u32_e32 v36, v33, v34
	v_subrev_nc_u32_e32 v39, s16, v36
	v_cmp_le_u32_e32 vcc_lo, s16, v36
	v_lshlrev_b32_e32 v1, 2, v4
	s_wait_alu 0xfffd
	s_delay_alu instid0(VALU_DEP_3) | instskip(SKIP_1) | instid1(VALU_DEP_2)
	v_dual_cndmask_b32 v39, v36, v39 :: v_dual_lshlrev_b32 v2, 3, v40
	v_cndmask_b32_e32 v38, v35, v38, vcc_lo
	v_add_nc_u32_e32 v26, v12, v2
	v_add_nc_u16 v2, v12, v2
	v_and_b32_e32 v13, 28, v1
	v_cmp_le_u32_e32 vcc_lo, s16, v39
	v_add_nc_u32_e32 v42, 1, v38
	v_and_b32_e32 v0, 31, v0
	v_mul_lo_u32 v30, s10, v26
	v_lshlrev_b32_e32 v47, 4, v26
	v_add_nc_u32_e32 v26, 64, v26
	s_wait_alu 0xfffd
	v_cndmask_b32_e32 v39, v38, v42, vcc_lo
	v_lshrrev_b16 v2, 1, v2
	v_lshl_add_u32 v38, v40, 7, 0x4a40
	v_mad_u32_u24 v14, 0x84, v40, v1
	v_lshrrev_b32_e32 v37, 1, v26
	v_xor_b32_e32 v42, v39, v41
	v_lshlrev_b32_e32 v12, 2, v8
	v_and_b32_e32 v2, 0x1ffc, v2
	v_add_nc_u32_e32 v49, 0x4e40, v1
	v_and_b32_e32 v43, 0x3ffc, v37
	v_lshl_add_u32 v39, v0, 2, v38
	v_sub_nc_u32_e32 v0, v42, v41
	v_add_nc_u32_e32 v1, 0x60, v4
	v_add_nc_u32_e32 v41, 64, v4
	;; [unrolled: 1-line block ×3, first 2 shown]
	v_add3_u32 v2, v2, v12, 0x4200
	v_add3_u32 v12, v43, v12, 0x4200
	v_lshrrev_b32_e32 v1, 1, v1
	v_lshrrev_b32_e32 v43, 1, v41
	;; [unrolled: 1-line block ×3, first 2 shown]
	v_lshlrev_b32_e32 v26, 4, v26
	v_mul_lo_u32 v41, v0, s5
	v_and_b32_e32 v44, 0xfc, v1
	v_and_b32_e32 v43, 0xfc, v43
	;; [unrolled: 1-line block ×3, first 2 shown]
	v_cmp_gt_i32_e32 vcc_lo, s4, v0
	v_add_nc_u32_e32 v47, v2, v47
	v_add3_u32 v42, v45, v44, 0x4800
	v_add3_u32 v43, v45, v43, 0x4600
	;; [unrolled: 1-line block ×4, first 2 shown]
	v_add_nc_u32_e32 v48, v12, v26
	v_mov_b32_e32 v26, 0
	v_add_nc_u32_e32 v10, s17, v9
	v_mov_b32_e32 v12, 0
	v_mov_b32_e32 v2, 0
	v_add_co_u32 v0, s1, s2, v13
	s_delay_alu instid0(VALU_DEP_4)
	v_add_nc_u32_e32 v11, s17, v10
	v_add_nc_u32_e32 v18, 0x2100, v14
	;; [unrolled: 1-line block ×11, first 2 shown]
	v_lshl_add_u32 v34, s10, 6, v30
	v_mul_u32_u24_e32 v40, 0x84, v4
	v_add_co_ci_u32_e64 v1, null, s3, 0, s1
	s_delay_alu instid0(VALU_DEP_4) | instskip(SKIP_3) | instid1(VALU_DEP_3)
	v_add_nc_u32_e32 v17, s17, v16
	v_add_nc_u32_e32 v46, 0x4e40, v50
	;; [unrolled: 1-line block ×3, first 2 shown]
	s_and_b32 s1, s0, vcc_lo
	v_add_nc_u32_e32 v19, s17, v17
	s_delay_alu instid0(VALU_DEP_1) | instskip(NEXT) | instid1(VALU_DEP_1)
	v_add_nc_u32_e32 v22, s17, v19
	v_add_nc_u32_e32 v27, s17, v22
	s_delay_alu instid0(VALU_DEP_1) | instskip(NEXT) | instid1(VALU_DEP_1)
	v_add_nc_u32_e32 v31, s17, v27
	;; [unrolled: 3-line block ×4, first 2 shown]
	v_add_nc_u32_e32 v37, s17, v36
	s_branch .LBB225_5
.LBB225_4:                              ;   in Loop: Header=BB225_5 Depth=1
	s_add_co_i32 s14, s14, 4
	s_wait_alu 0xfffe
	s_cmp_ge_i32 s14, s10
	s_cbranch_scc1 .LBB225_13
.LBB225_5:                              ; =>This Loop Header: Depth=1
                                        ;     Child Loop BB225_11 Depth 2
	s_mul_u64 s[16:17], s[14:15], 34
	s_wait_alu 0xfffe
	s_add_nc_u64 s[16:17], s[12:13], s[16:17]
	s_wait_alu 0xfffe
	v_mad_co_u64_u32 v[50:51], null, v6, 34, s[16:17]
	s_delay_alu instid0(VALU_DEP_1) | instskip(SKIP_3) | instid1(VALU_DEP_4)
	v_mad_co_u64_u32 v[52:53], null, v7, 34, v[50:51]
	v_mad_co_u64_u32 v[54:55], null, v9, 34, v[50:51]
	;; [unrolled: 1-line block ×4, first 2 shown]
	v_add_co_u32 v52, s0, v52, v13
	v_mad_co_u64_u32 v[60:61], null, v15, 34, v[50:51]
	s_wait_alu 0xf1ff
	v_add_co_ci_u32_e64 v53, null, 0, v53, s0
	v_add_co_u32 v54, s0, v54, v13
	v_mad_co_u64_u32 v[62:63], null, v16, 34, v[50:51]
	s_wait_alu 0xf1ff
	v_add_co_ci_u32_e64 v55, null, 0, v55, s0
	;; [unrolled: 4-line block ×4, first 2 shown]
	v_add_co_u32 v60, s0, v60, v13
	s_wait_alu 0xf1ff
	v_add_co_ci_u32_e64 v61, null, 0, v61, s0
	v_add_co_u32 v62, s0, v62, v13
	s_wait_alu 0xf1ff
	v_add_co_ci_u32_e64 v63, null, 0, v63, s0
	;; [unrolled: 3-line block ×3, first 2 shown]
	v_add_co_u32 v66, s0, v66, v13
	v_mad_co_u64_u32 v[68:69], null, v22, 34, v[50:51]
	s_wait_alu 0xf1ff
	v_add_co_ci_u32_e64 v67, null, 0, v67, s0
	s_clause 0x7
	global_load_b32 v70, v[52:53], off offset:2
	global_load_b32 v71, v[54:55], off offset:2
	;; [unrolled: 1-line block ×8, first 2 shown]
	v_mad_co_u64_u32 v[52:53], null, v27, 34, v[50:51]
	v_mad_co_u64_u32 v[56:57], null, v31, 34, v[50:51]
	v_mad_co_u64_u32 v[62:63], null, v8, 34, s[16:17]
	v_mad_co_u64_u32 v[58:59], null, v32, 34, v[50:51]
	v_add_co_u32 v54, s0, v68, v13
	v_mad_co_u64_u32 v[60:61], null, v33, 34, v[50:51]
	s_wait_alu 0xf1ff
	v_add_co_ci_u32_e64 v55, null, 0, v69, s0
	v_add_co_u32 v52, s0, v52, v13
	v_mad_co_u64_u32 v[64:65], null, v35, 34, v[50:51]
	s_wait_alu 0xf1ff
	v_add_co_ci_u32_e64 v53, null, 0, v53, s0
	v_add_co_u32 v56, s0, v56, v13
	v_mad_co_u64_u32 v[66:67], null, v36, 34, v[50:51]
	v_mad_co_u64_u32 v[68:69], null, v30, 34, v[62:63]
	;; [unrolled: 1-line block ×3, first 2 shown]
	s_wait_alu 0xf1ff
	v_add_co_ci_u32_e64 v57, null, 0, v57, s0
	v_add_co_u32 v58, s0, v58, v13
	v_mad_co_u64_u32 v[50:51], null, v37, 34, v[50:51]
	s_wait_alu 0xf1ff
	v_add_co_ci_u32_e64 v59, null, 0, v59, s0
	v_add_co_u32 v60, s0, v60, v13
	s_wait_alu 0xf1ff
	v_add_co_ci_u32_e64 v61, null, 0, v61, s0
	v_add_co_u32 v64, s0, v64, v13
	s_wait_alu 0xf1ff
	v_add_co_ci_u32_e64 v65, null, 0, v65, s0
	s_clause 0x1
	global_load_u16 v68, v[68:69], off
	global_load_u16 v69, v[62:63], off
	v_add_co_u32 v62, s0, v66, v13
	s_wait_alu 0xf1ff
	v_add_co_ci_u32_e64 v63, null, 0, v67, s0
	v_add_co_u32 v50, s0, v50, v13
	s_wait_alu 0xf1ff
	v_add_co_ci_u32_e64 v51, null, 0, v51, s0
	s_clause 0x7
	global_load_b32 v54, v[54:55], off offset:2
	global_load_b32 v52, v[52:53], off offset:2
	;; [unrolled: 1-line block ×8, first 2 shown]
	s_lshl_b32 s0, s14, 5
	v_add_nc_u32_e32 v51, 0x420, v14
	v_add_nc_u32_e32 v59, 0x840, v14
	;; [unrolled: 1-line block ×3, first 2 shown]
	s_wait_alu 0xfffe
	s_cmp_ge_i32 s0, s11
	v_add_nc_u32_e32 v61, 0x1080, v14
	v_add_nc_u32_e32 v62, 0x14a0, v14
	;; [unrolled: 1-line block ×4, first 2 shown]
	s_wait_loadcnt 0x9
	v_cvt_f32_f16_e32 v65, v68
	s_wait_loadcnt 0x8
	v_cvt_f32_f16_e32 v66, v69
	ds_store_b32 v14, v70
	ds_store_b32 v51, v71
	;; [unrolled: 1-line block ×8, first 2 shown]
	s_wait_loadcnt 0x7
	ds_store_b32 v18, v54
	s_wait_loadcnt 0x6
	ds_store_b32 v20, v52
	;; [unrolled: 2-line block ×8, first 2 shown]
	ds_store_b32 v47, v65
	ds_store_b32 v48, v66
	s_cbranch_scc1 .LBB225_4
; %bb.6:                                ;   in Loop: Header=BB225_5 Depth=1
	v_add_nc_u32_e32 v50, s14, v6
	s_delay_alu instid0(VALU_DEP_1)
	v_cmp_gt_i32_e64 s0, s5, v50
	s_and_b32 s16, vcc_lo, s0
	s_wait_alu 0xfffe
	s_and_saveexec_b32 s0, s16
	s_cbranch_execz .LBB225_8
; %bb.7:                                ;   in Loop: Header=BB225_5 Depth=1
	v_add_nc_u32_e32 v50, v41, v50
	s_delay_alu instid0(VALU_DEP_1)
	v_mad_co_i64_i32 v[50:51], null, v50, 36, v[0:1]
	global_load_b32 v50, v[50:51], off offset:4
	s_wait_loadcnt 0x0
	ds_store_b32 v39, v50
.LBB225_8:                              ;   in Loop: Header=BB225_5 Depth=1
	s_wait_alu 0xfffe
	s_or_b32 exec_lo, exec_lo, s0
	v_or_b32_e32 v50, s14, v4
	s_delay_alu instid0(VALU_DEP_1)
	v_cmp_gt_i32_e64 s0, s5, v50
	s_and_b32 s16, s1, s0
	s_wait_alu 0xfffe
	s_and_saveexec_b32 s0, s16
	s_cbranch_execz .LBB225_10
; %bb.9:                                ;   in Loop: Header=BB225_5 Depth=1
	v_add_nc_u32_e32 v50, v41, v50
	s_delay_alu instid0(VALU_DEP_1)
	v_mad_co_i64_i32 v[50:51], null, v50, 36, s[2:3]
	global_load_b32 v50, v[50:51], off
	s_wait_loadcnt 0x0
	v_cvt_f32_f16_e32 v50, v50
	ds_store_b32 v49, v50
.LBB225_10:                             ;   in Loop: Header=BB225_5 Depth=1
	s_wait_alu 0xfffe
	s_or_b32 exec_lo, exec_lo, s0
	v_dual_mov_b32 v50, v38 :: v_dual_mov_b32 v51, v46
	v_dual_mov_b32 v52, v45 :: v_dual_mov_b32 v53, v44
	;; [unrolled: 1-line block ×3, first 2 shown]
	v_mov_b32_e32 v56, v40
	s_mov_b32 s0, -8
	s_wait_dscnt 0x0
	s_barrier_signal -1
	s_barrier_wait -1
	global_inv scope:SCOPE_SE
.LBB225_11:                             ;   Parent Loop BB225_5 Depth=1
                                        ; =>  This Inner Loop Header: Depth=2
	ds_load_2addr_b32 v[65:66], v56 offset0:2 offset1:3
	ds_load_2addr_b32 v[67:68], v56 offset0:4 offset1:5
	;; [unrolled: 1-line block ×3, first 2 shown]
	ds_load_b32 v97, v51
	ds_load_b32 v98, v52
	ds_load_2addr_b32 v[71:72], v56 offset1:1
	ds_load_b32 v99, v53
	ds_load_b32 v100, v54
	;; [unrolled: 1-line block ×3, first 2 shown]
	ds_load_b128 v[57:60], v50
	ds_load_b128 v[61:64], v50 offset:16
	v_add_nc_u32_e32 v73, 0x1080, v56
	v_add_nc_u32_e32 v75, 0x1088, v56
	;; [unrolled: 1-line block ×13, first 2 shown]
	s_wait_dscnt 0x6
	v_mul_f32_e32 v98, v97, v98
	ds_load_2addr_b32 v[73:74], v73 offset1:1
	ds_load_2addr_b32 v[75:76], v75 offset1:1
	;; [unrolled: 1-line block ×12, first 2 shown]
	v_add_nc_u32_e32 v55, 4, v55
	s_wait_dscnt 0x10
	v_dual_mul_f32 v99, v97, v99 :: v_dual_add_nc_u32 v54, 4, v54
	s_wait_dscnt 0xd
	v_dot4_i32_iu8 v71, v57, v71, 0 neg_lo:[1,1,0]
	v_perm_b32 v102, v57, v58, 0xc0c0501
	v_perm_b32 v103, v60, v59, 0x5010c0c
	;; [unrolled: 1-line block ×6, first 2 shown]
	s_wait_dscnt 0xb
	v_dot4_i32_iu8 v73, v57, v73, 0 neg_lo:[1,1,0]
	v_dot4_i32_iu8 v71, v58, v72, v71 neg_lo:[1,1,0]
	s_wait_dscnt 0x7
	v_dot4_i32_iu8 v57, v57, v81, 0 neg_lo:[1,1,0]
	v_or_b32_e32 v72, v103, v102
	v_or_b32_e32 v103, v105, v104
	v_dot4_i32_iu8 v73, v58, v74, v73 neg_lo:[1,1,0]
	s_wait_dscnt 0x3
	v_perm_b32 v81, v89, v90, 0xc0c0501
	s_wait_dscnt 0x2
	v_perm_b32 v102, v92, v91, 0x5010c0c
	v_perm_b32 v104, v89, v90, 0xc0c0703
	;; [unrolled: 1-line block ×3, first 2 shown]
	v_dot4_i32_iu8 v57, v58, v82, v57 neg_lo:[1,1,0]
	v_perm_b32 v107, v60, v59, 0x4000c0c
	v_perm_b32 v109, v60, v59, 0x6020c0c
	;; [unrolled: 1-line block ×8, first 2 shown]
	v_dot4_i32_iu8 v58, v59, v65, v71 neg_lo:[1,1,0]
	v_or_b32_e32 v65, v102, v81
	v_or_b32_e32 v71, v105, v104
	v_dot4_i32_iu8 v73, v59, v75, v73 neg_lo:[1,1,0]
	v_dot4_i32_iu8 v57, v59, v83, v57 neg_lo:[1,1,0]
	v_perm_b32 v116, v62, v61, 0xc0c0501
	v_perm_b32 v117, v64, v63, 0x5010c0c
	v_or_b32_e32 v106, v107, v106
	v_perm_b32 v107, v89, v90, 0xc0c0400
	v_perm_b32 v118, v92, v91, 0x4000c0c
	v_or_b32_e32 v108, v109, v108
	;; [unrolled: 3-line block ×3, first 2 shown]
	s_wait_dscnt 0x1
	v_perm_b32 v92, v94, v93, 0xc0c0602
	s_wait_dscnt 0x0
	v_perm_b32 v109, v96, v95, 0x6020c0c
	v_or_b32_e32 v110, v113, v112
	v_perm_b32 v111, v94, v93, 0xc0c0400
	v_or_b32_e32 v113, v115, v114
	v_perm_b32 v114, v94, v93, 0xc0c0703
	v_perm_b32 v115, v96, v95, 0x7030c0c
	;; [unrolled: 1-line block ×4, first 2 shown]
	v_dot4_i32_iu8 v58, v60, v66, v58 neg_lo:[1,1,0]
	v_dot4_i32_iu8 v59, v65, v72, 0 neg_lo:[1,1,0]
	v_dot4_i32_iu8 v65, v71, v103, 0 neg_lo:[1,1,0]
	v_dot4_i32_iu8 v71, v60, v76, v73 neg_lo:[1,1,0]
	v_dot4_i32_iu8 v57, v60, v84, v57 neg_lo:[1,1,0]
	v_perm_b32 v112, v96, v95, 0x4000c0c
	v_or_b32_e32 v116, v117, v116
	v_or_b32_e32 v74, v118, v107
	;; [unrolled: 1-line block ×6, first 2 shown]
	v_dot4_i32_iu8 v58, v61, v67, v58 neg_lo:[1,1,0]
	v_dot4_i32_iu8 v67, v61, v77, v71 neg_lo:[1,1,0]
	;; [unrolled: 1-line block ×3, first 2 shown]
	v_or_b32_e32 v89, v112, v111
	v_dot4_i32_iu8 v66, v81, v108, 0 neg_lo:[1,1,0]
	v_dot4_i32_iu8 v60, v74, v106, 0 neg_lo:[1,1,0]
	;; [unrolled: 1-line block ×9, first 2 shown]
	v_add_nc_u32_e32 v59, v59, v61
	v_dot4_i32_iu8 v58, v63, v69, v58 neg_lo:[1,1,0]
	v_dot4_i32_iu8 v61, v63, v79, v65 neg_lo:[1,1,0]
	;; [unrolled: 1-line block ×3, first 2 shown]
	v_mul_f32_e32 v62, v97, v100
	v_add3_u32 v59, v60, v66, v59
	v_dot4_i32_iu8 v58, v64, v70, v58 neg_lo:[1,1,0]
	v_dot4_i32_iu8 v60, v64, v80, v61 neg_lo:[1,1,0]
	;; [unrolled: 1-line block ×3, first 2 shown]
	v_mul_f32_e32 v61, v97, v101
	v_cvt_f32_i32_e32 v59, v59
	v_cvt_f32_i32_e32 v58, v58
	;; [unrolled: 1-line block ×4, first 2 shown]
	v_add_nc_u32_e32 v53, 4, v53
	s_delay_alu instid0(VALU_DEP_4)
	v_dual_fmac_f32 v5, v98, v58 :: v_dual_add_nc_u32 v52, 4, v52
	v_add_nc_u32_e32 v51, 4, v51
	v_add_nc_u32_e32 v50, 32, v50
	v_fmac_f32_e32 v2, v61, v59
	v_fmac_f32_e32 v26, v99, v60
	;; [unrolled: 1-line block ×3, first 2 shown]
	s_wait_alu 0xfffe
	s_add_co_i32 s0, s0, 8
	s_wait_alu 0xfffe
	s_cmp_lt_u32 s0, 24
	s_cbranch_scc1 .LBB225_11
; %bb.12:                               ;   in Loop: Header=BB225_5 Depth=1
	s_wait_loadcnt 0x0
	s_barrier_signal -1
	s_barrier_wait -1
	global_inv scope:SCOPE_SE
	s_branch .LBB225_4
.LBB225_13:
	s_mul_i32 s0, s7, s4
	s_wait_loadcnt 0x0
	s_wait_alu 0xfffe
	v_cmp_gt_i32_e32 vcc_lo, s0, v3
	s_and_saveexec_b32 s0, vcc_lo
	s_cbranch_execz .LBB225_22
; %bb.14:
	v_mul_lo_u32 v0, v3, s6
	v_add_nc_u32_e32 v1, s18, v4
	s_mov_b32 s0, exec_lo
	s_delay_alu instid0(VALU_DEP_1)
	v_cmpx_gt_u32_e64 s6, v1
	s_cbranch_execz .LBB225_16
; %bb.15:
	v_bfe_u32 v4, v5, 16, 1
	s_delay_alu instid0(VALU_DEP_4) | instskip(SKIP_1) | instid1(VALU_DEP_3)
	v_add_nc_u32_e32 v3, v0, v1
	v_cmp_o_f32_e32 vcc_lo, v5, v5
	v_add3_u32 v6, v5, v4, 0x7fff
	v_mov_b32_e32 v4, 0
	s_delay_alu instid0(VALU_DEP_2) | instskip(NEXT) | instid1(VALU_DEP_2)
	v_lshrrev_b32_e32 v6, 16, v6
	v_lshlrev_b64_e32 v[3:4], 1, v[3:4]
	s_wait_alu 0xfffd
	s_delay_alu instid0(VALU_DEP_2) | instskip(NEXT) | instid1(VALU_DEP_2)
	v_cndmask_b32_e32 v5, 0x7fc0, v6, vcc_lo
	v_add_co_u32 v3, vcc_lo, s8, v3
	s_wait_alu 0xfffd
	s_delay_alu instid0(VALU_DEP_3)
	v_add_co_ci_u32_e64 v4, null, s9, v4, vcc_lo
	global_store_b16 v[3:4], v5, off
.LBB225_16:
	s_wait_alu 0xfffe
	s_or_b32 exec_lo, exec_lo, s0
	v_add_nc_u32_e32 v3, 32, v1
	s_mov_b32 s0, exec_lo
	s_delay_alu instid0(VALU_DEP_1)
	v_cmpx_gt_u32_e64 s6, v3
	s_cbranch_execz .LBB225_18
; %bb.17:
	v_bfe_u32 v4, v26, 16, 1
	v_add_nc_u32_e32 v3, v0, v3
	v_cmp_o_f32_e32 vcc_lo, v26, v26
	s_delay_alu instid0(VALU_DEP_3) | instskip(SKIP_1) | instid1(VALU_DEP_2)
	v_add3_u32 v5, v26, v4, 0x7fff
	v_mov_b32_e32 v4, 0
	v_lshrrev_b32_e32 v5, 16, v5
	s_delay_alu instid0(VALU_DEP_2) | instskip(SKIP_1) | instid1(VALU_DEP_2)
	v_lshlrev_b64_e32 v[3:4], 1, v[3:4]
	s_wait_alu 0xfffd
	v_cndmask_b32_e32 v5, 0x7fc0, v5, vcc_lo
	s_delay_alu instid0(VALU_DEP_2) | instskip(SKIP_1) | instid1(VALU_DEP_3)
	v_add_co_u32 v3, vcc_lo, s8, v3
	s_wait_alu 0xfffd
	v_add_co_ci_u32_e64 v4, null, s9, v4, vcc_lo
	global_store_b16 v[3:4], v5, off
.LBB225_18:
	s_wait_alu 0xfffe
	s_or_b32 exec_lo, exec_lo, s0
	v_add_nc_u32_e32 v3, 64, v1
	s_mov_b32 s0, exec_lo
	s_delay_alu instid0(VALU_DEP_1)
	v_cmpx_gt_u32_e64 s6, v3
	s_cbranch_execz .LBB225_20
; %bb.19:
	v_bfe_u32 v4, v12, 16, 1
	v_add_nc_u32_e32 v3, v0, v3
	v_cmp_o_f32_e32 vcc_lo, v12, v12
	s_delay_alu instid0(VALU_DEP_3) | instskip(SKIP_1) | instid1(VALU_DEP_2)
	v_add3_u32 v5, v12, v4, 0x7fff
	v_mov_b32_e32 v4, 0
	v_lshrrev_b32_e32 v5, 16, v5
	s_delay_alu instid0(VALU_DEP_2) | instskip(SKIP_1) | instid1(VALU_DEP_2)
	v_lshlrev_b64_e32 v[3:4], 1, v[3:4]
	s_wait_alu 0xfffd
	v_cndmask_b32_e32 v5, 0x7fc0, v5, vcc_lo
	s_delay_alu instid0(VALU_DEP_2) | instskip(SKIP_1) | instid1(VALU_DEP_3)
	v_add_co_u32 v3, vcc_lo, s8, v3
	s_wait_alu 0xfffd
	v_add_co_ci_u32_e64 v4, null, s9, v4, vcc_lo
	global_store_b16 v[3:4], v5, off
.LBB225_20:
	s_wait_alu 0xfffe
	s_or_b32 exec_lo, exec_lo, s0
	v_add_nc_u32_e32 v1, 0x60, v1
	s_delay_alu instid0(VALU_DEP_1)
	v_cmp_gt_u32_e32 vcc_lo, s6, v1
	s_and_b32 exec_lo, exec_lo, vcc_lo
	s_cbranch_execz .LBB225_22
; %bb.21:
	v_bfe_u32 v3, v2, 16, 1
	v_dual_mov_b32 v1, 0 :: v_dual_add_nc_u32 v0, v0, v1
	v_cmp_o_f32_e32 vcc_lo, v2, v2
	s_delay_alu instid0(VALU_DEP_3) | instskip(NEXT) | instid1(VALU_DEP_3)
	v_add3_u32 v3, v2, v3, 0x7fff
	v_lshlrev_b64_e32 v[0:1], 1, v[0:1]
	s_delay_alu instid0(VALU_DEP_2) | instskip(SKIP_1) | instid1(VALU_DEP_1)
	v_lshrrev_b32_e32 v3, 16, v3
	s_wait_alu 0xfffd
	v_cndmask_b32_e32 v2, 0x7fc0, v3, vcc_lo
	s_delay_alu instid0(VALU_DEP_3)
	v_add_co_u32 v0, vcc_lo, s8, v0
	s_wait_alu 0xfffd
	v_add_co_ci_u32_e64 v1, null, s9, v1, vcc_lo
	global_store_b16 v[0:1], v2, off
.LBB225_22:
	s_nop 0
	s_sendmsg sendmsg(MSG_DEALLOC_VGPRS)
	s_endpgm
	.section	.rodata,"a",@progbits
	.p2align	6, 0x0
	.amdhsa_kernel _ZL8moe_q8_0IN3c108BFloat16ELb0EEvPKvS3_PT_PKiS7_S7_iiiiiii
		.amdhsa_group_segment_fixed_size 20160
		.amdhsa_private_segment_fixed_size 0
		.amdhsa_kernarg_size 76
		.amdhsa_user_sgpr_count 2
		.amdhsa_user_sgpr_dispatch_ptr 0
		.amdhsa_user_sgpr_queue_ptr 0
		.amdhsa_user_sgpr_kernarg_segment_ptr 1
		.amdhsa_user_sgpr_dispatch_id 0
		.amdhsa_user_sgpr_private_segment_size 0
		.amdhsa_wavefront_size32 1
		.amdhsa_uses_dynamic_stack 0
		.amdhsa_enable_private_segment 0
		.amdhsa_system_sgpr_workgroup_id_x 1
		.amdhsa_system_sgpr_workgroup_id_y 1
		.amdhsa_system_sgpr_workgroup_id_z 0
		.amdhsa_system_sgpr_workgroup_info 0
		.amdhsa_system_vgpr_workitem_id 1
		.amdhsa_next_free_vgpr 119
		.amdhsa_next_free_sgpr 21
		.amdhsa_reserve_vcc 1
		.amdhsa_float_round_mode_32 0
		.amdhsa_float_round_mode_16_64 0
		.amdhsa_float_denorm_mode_32 3
		.amdhsa_float_denorm_mode_16_64 3
		.amdhsa_fp16_overflow 0
		.amdhsa_workgroup_processor_mode 1
		.amdhsa_memory_ordered 1
		.amdhsa_forward_progress 1
		.amdhsa_inst_pref_size 31
		.amdhsa_round_robin_scheduling 0
		.amdhsa_exception_fp_ieee_invalid_op 0
		.amdhsa_exception_fp_denorm_src 0
		.amdhsa_exception_fp_ieee_div_zero 0
		.amdhsa_exception_fp_ieee_overflow 0
		.amdhsa_exception_fp_ieee_underflow 0
		.amdhsa_exception_fp_ieee_inexact 0
		.amdhsa_exception_int_div_zero 0
	.end_amdhsa_kernel
	.section	.text._ZL8moe_q8_0IN3c108BFloat16ELb0EEvPKvS3_PT_PKiS7_S7_iiiiiii,"axG",@progbits,_ZL8moe_q8_0IN3c108BFloat16ELb0EEvPKvS3_PT_PKiS7_S7_iiiiiii,comdat
.Lfunc_end225:
	.size	_ZL8moe_q8_0IN3c108BFloat16ELb0EEvPKvS3_PT_PKiS7_S7_iiiiiii, .Lfunc_end225-_ZL8moe_q8_0IN3c108BFloat16ELb0EEvPKvS3_PT_PKiS7_S7_iiiiiii
                                        ; -- End function
	.set _ZL8moe_q8_0IN3c108BFloat16ELb0EEvPKvS3_PT_PKiS7_S7_iiiiiii.num_vgpr, 119
	.set _ZL8moe_q8_0IN3c108BFloat16ELb0EEvPKvS3_PT_PKiS7_S7_iiiiiii.num_agpr, 0
	.set _ZL8moe_q8_0IN3c108BFloat16ELb0EEvPKvS3_PT_PKiS7_S7_iiiiiii.numbered_sgpr, 21
	.set _ZL8moe_q8_0IN3c108BFloat16ELb0EEvPKvS3_PT_PKiS7_S7_iiiiiii.num_named_barrier, 0
	.set _ZL8moe_q8_0IN3c108BFloat16ELb0EEvPKvS3_PT_PKiS7_S7_iiiiiii.private_seg_size, 0
	.set _ZL8moe_q8_0IN3c108BFloat16ELb0EEvPKvS3_PT_PKiS7_S7_iiiiiii.uses_vcc, 1
	.set _ZL8moe_q8_0IN3c108BFloat16ELb0EEvPKvS3_PT_PKiS7_S7_iiiiiii.uses_flat_scratch, 0
	.set _ZL8moe_q8_0IN3c108BFloat16ELb0EEvPKvS3_PT_PKiS7_S7_iiiiiii.has_dyn_sized_stack, 0
	.set _ZL8moe_q8_0IN3c108BFloat16ELb0EEvPKvS3_PT_PKiS7_S7_iiiiiii.has_recursion, 0
	.set _ZL8moe_q8_0IN3c108BFloat16ELb0EEvPKvS3_PT_PKiS7_S7_iiiiiii.has_indirect_call, 0
	.section	.AMDGPU.csdata,"",@progbits
; Kernel info:
; codeLenInByte = 3920
; TotalNumSgprs: 23
; NumVgprs: 119
; ScratchSize: 0
; MemoryBound: 0
; FloatMode: 240
; IeeeMode: 1
; LDSByteSize: 20160 bytes/workgroup (compile time only)
; SGPRBlocks: 0
; VGPRBlocks: 14
; NumSGPRsForWavesPerEU: 23
; NumVGPRsForWavesPerEU: 119
; Occupancy: 12
; WaveLimiterHint : 1
; COMPUTE_PGM_RSRC2:SCRATCH_EN: 0
; COMPUTE_PGM_RSRC2:USER_SGPR: 2
; COMPUTE_PGM_RSRC2:TRAP_HANDLER: 0
; COMPUTE_PGM_RSRC2:TGID_X_EN: 1
; COMPUTE_PGM_RSRC2:TGID_Y_EN: 1
; COMPUTE_PGM_RSRC2:TGID_Z_EN: 0
; COMPUTE_PGM_RSRC2:TIDIG_COMP_CNT: 1
	.section	.text._ZL8moe_q8_0IN3c108BFloat16ELb1EEvPKvS3_PT_PKiS7_S7_iiiiiii,"axG",@progbits,_ZL8moe_q8_0IN3c108BFloat16ELb1EEvPKvS3_PT_PKiS7_S7_iiiiiii,comdat
	.globl	_ZL8moe_q8_0IN3c108BFloat16ELb1EEvPKvS3_PT_PKiS7_S7_iiiiiii ; -- Begin function _ZL8moe_q8_0IN3c108BFloat16ELb1EEvPKvS3_PT_PKiS7_S7_iiiiiii
	.p2align	8
	.type	_ZL8moe_q8_0IN3c108BFloat16ELb1EEvPKvS3_PT_PKiS7_S7_iiiiiii,@function
_ZL8moe_q8_0IN3c108BFloat16ELb1EEvPKvS3_PT_PKiS7_S7_iiiiiii: ; @_ZL8moe_q8_0IN3c108BFloat16ELb1EEvPKvS3_PT_PKiS7_S7_iiiiiii
; %bb.0:
	s_load_b128 s[4:7], s[0:1], 0x18
	s_mov_b32 s2, ttmp7
	s_mov_b32 s3, 0
	s_delay_alu instid0(SALU_CYCLE_1)
	s_lshl_b64 s[2:3], s[2:3], 2
	s_wait_kmcnt 0x0
	s_add_nc_u64 s[2:3], s[6:7], s[2:3]
	s_load_b32 s14, s[2:3], 0x0
	s_wait_kmcnt 0x0
	s_cmp_gt_u32 s14, 0xff
	s_cbranch_scc1 .LBB226_22
; %bb.1:
	s_load_b64 s[2:3], s[0:1], 0x28
	s_wait_kmcnt 0x0
	s_load_b32 s3, s[2:3], 0x0
	s_lshl_b32 s2, ttmp7, 3
	s_wait_kmcnt 0x0
	s_cmp_gt_u32 s2, s3
	s_cbranch_scc1 .LBB226_22
; %bb.2:
	v_bfe_u32 v19, v0, 10, 10
	v_mov_b32_e32 v11, 0
	s_lshl_b32 s11, ttmp9, 7
	s_delay_alu instid0(VALU_DEP_2) | instskip(NEXT) | instid1(VALU_DEP_2)
	v_add_nc_u32_e32 v10, s2, v19
	v_dual_mov_b32 v22, v11 :: v_dual_and_b32 v21, 0x3ff, v0
	v_mov_b32_e32 v37, v11
	v_mov_b32_e32 v41, v11
	s_delay_alu instid0(VALU_DEP_4) | instskip(NEXT) | instid1(VALU_DEP_1)
	v_lshlrev_b64_e32 v[1:2], 2, v[10:11]
	v_add_co_u32 v1, vcc_lo, s4, v1
	s_delay_alu instid0(VALU_DEP_1)
	v_add_co_ci_u32_e64 v2, null, s5, v2, vcc_lo
	global_load_b32 v20, v[1:2], off
	s_clause 0x2
	s_load_b128 s[4:7], s[0:1], 0x30
	s_load_b64 s[12:13], s[0:1], 0x10
	s_load_b96 s[8:10], s[0:1], 0x40
	s_wait_kmcnt 0x0
	s_cmp_lt_i32 s5, 32
	s_cbranch_scc1 .LBB226_13
; %bb.3:
	s_load_b128 s[0:3], s[0:1], 0x0
	s_not_b32 s18, s11
	v_add_nc_u32_e32 v1, 8, v19
	s_ashr_i32 s15, s5, 31
	v_add_nc_u32_e32 v4, 16, v19
	s_add_co_i32 s6, s6, s18
	v_add_nc_u32_e32 v5, 24, v19
	s_mul_i32 s14, s14, s4
	s_lshr_b32 s4, s15, 27
	v_add_nc_u32_e32 v6, 32, v19
	s_ashr_i32 s16, s8, 31
	v_dual_mov_b32 v22, 0 :: v_dual_lshlrev_b32 v37, 2, v21
	v_min_i32_e32 v2, s6, v19
	v_add_nc_u32_e32 v7, 40, v19
	s_wait_alu 0xfffe
	s_add_co_i32 s4, s5, s4
	v_min_i32_e32 v3, s6, v1
	v_add_nc_u32_e32 v8, 48, v19
	s_lshr_b32 s19, s16, 27
	s_ashr_i32 s15, s14, 31
	v_min_i32_e32 v4, s6, v4
	v_add_nc_u32_e32 v9, 56, v19
	s_wait_alu 0xfffe
	s_ashr_i32 s4, s4, 5
	v_min_i32_e32 v5, s6, v5
	v_add_nc_u32_e32 v10, 64, v19
	s_add_co_i32 s8, s8, s19
	s_wait_kmcnt 0x0
	s_add_nc_u64 s[14:15], s[0:1], s[14:15]
	v_min_i32_e32 v6, s6, v6
	v_add_nc_u32_e32 v11, 0x48, v19
	s_abs_i32 s0, s10
	s_wait_alu 0xfffe
	v_mul_lo_u32 v25, v2, s4
	v_mad_co_u64_u32 v[1:2], null, 0x84, v2, v[37:38]
	v_min_i32_e32 v7, s6, v7
	s_ashr_i32 s1, s8, 5
	v_mul_lo_u32 v26, v3, s4
	v_mad_co_u64_u32 v[2:3], null, 0x84, v3, v[37:38]
	v_min_i32_e32 v8, s6, v8
	s_cvt_f32_u32 s8, s0
	v_mul_lo_u32 v27, v4, s4
	v_mad_co_u64_u32 v[3:4], null, 0x84, v4, v[37:38]
	v_min_i32_e32 v9, s6, v9
	v_mul_lo_u32 v28, v5, s4
	v_mad_co_u64_u32 v[4:5], null, 0x84, v5, v[37:38]
	v_min_i32_e32 v10, s6, v10
	v_mul_lo_u32 v29, v6, s4
	v_mad_co_u64_u32 v[5:6], null, 0x84, v6, v[37:38]
	v_add_nc_u32_e32 v12, 0x50, v19
	v_min_i32_e32 v11, s6, v11
	v_mul_lo_u32 v30, v7, s4
	v_mad_co_u64_u32 v[6:7], null, 0x84, v7, v[37:38]
	v_add_nc_u32_e32 v13, 0x58, v19
	v_add_nc_u32_e32 v14, 0x60, v19
	v_rcp_iflag_f32_e32 v15, s8
	v_mul_lo_u32 v31, v8, s4
	v_mad_co_u64_u32 v[7:8], null, 0x84, v8, v[37:38]
	v_mul_lo_u32 v32, v9, s4
	v_mad_co_u64_u32 v[8:9], null, 0x84, v9, v[37:38]
	;; [unrolled: 2-line block ×3, first 2 shown]
	v_min_i32_e32 v12, s6, v12
	v_mul_lo_u32 v34, v11, s4
	v_mad_co_u64_u32 v[10:11], null, 0x84, v11, v[37:38]
	v_min_i32_e32 v11, s6, v13
	v_min_i32_e32 v16, s6, v14
	v_mul_lo_u32 v35, v12, s4
	v_mad_co_u64_u32 v[12:13], null, 0x84, v12, v[37:38]
	v_add_nc_u32_e32 v17, 0x68, v19
	v_bfe_u32 v18, v0, 2, 8
	v_mad_co_u64_u32 v[13:14], null, 0x84, v11, v[37:38]
	v_mul_lo_u32 v38, v16, s4
	v_readfirstlane_b32 s8, v15
	v_mul_lo_u32 v36, v11, s4
	v_min_i32_e32 v11, s6, v17
	s_mul_i32 s16, s4, s11
	v_lshl_add_u32 v18, v19, 3, v18
	s_mul_f32 s8, s8, 0x4f7ffffe
	s_ashr_i32 s17, s16, 31
	v_mad_co_u64_u32 v[14:15], null, 0x84, v16, v[37:38]
	s_mul_u64 s[16:17], s[16:17], 34
	v_mul_lo_u32 v39, v11, s4
	v_mad_co_u64_u32 v[15:16], null, 0x84, v11, v[37:38]
	s_wait_loadcnt 0x0
	v_sub_nc_u32_e32 v11, 0, v20
	s_wait_alu 0xfffe
	s_cvt_u32_f32 s8, s8
	v_min_i32_e32 v41, s6, v18
	s_add_nc_u64 s[14:15], s[14:15], s[16:17]
	s_sub_co_i32 s16, 0, s0
	v_max_i32_e32 v11, v20, v11
	s_wait_alu 0xfffe
	s_mul_i32 s16, s16, s8
	v_ashrrev_i32_e32 v16, 31, v41
	s_mul_hi_u32 s16, s8, s16
	v_add_nc_u32_e32 v18, 64, v18
	s_add_co_i32 s8, s8, s16
	v_add_nc_u32_e32 v17, 0x70, v19
	s_wait_alu 0xfffe
	v_mul_hi_u32 v45, v11, s8
	v_lshrrev_b32_e32 v16, 29, v16
	v_add_nc_u32_e32 v42, 0x78, v19
	v_min_i32_e32 v46, s6, v18
	v_min_i32_e32 v17, s6, v17
	v_xor_b32_e32 v50, s10, v20
	v_add_nc_u32_e32 v43, v41, v16
	v_min_i32_e32 v44, s6, v42
	v_mul_lo_u32 v48, v45, s0
	v_ashrrev_i32_e32 v49, 31, v46
	v_mul_lo_u32 v40, v17, s4
	v_ashrrev_i32_e32 v47, 3, v43
	v_and_b32_e32 v43, 3, v0
	v_mad_co_u64_u32 v[16:17], null, 0x84, v17, v[37:38]
	v_mad_co_u64_u32 v[17:18], null, 0x84, v44, v[37:38]
	s_delay_alu instid0(VALU_DEP_4) | instskip(NEXT) | instid1(VALU_DEP_4)
	v_lshlrev_b32_e32 v18, 2, v47
	v_lshlrev_b32_e32 v47, 2, v43
	v_lshrrev_b32_e32 v49, 29, v49
	v_sub_nc_u32_e32 v11, v11, v48
	v_add_nc_u32_e32 v48, 1, v45
	v_bfe_u32 v23, v0, 3, 7
	v_add3_u32 v54, v18, v47, 0x4200
	v_add_nc_u32_e32 v18, v46, v49
	v_subrev_nc_u32_e32 v49, s0, v11
	v_cmp_le_u32_e32 vcc_lo, s0, v11
	v_ashrrev_i32_e32 v50, 31, v50
	v_lshlrev_b32_e32 v56, 4, v46
	v_ashrrev_i32_e32 v18, 3, v18
	s_wait_alu 0xfffd
	v_dual_cndmask_b32 v48, v45, v48 :: v_dual_lshlrev_b32 v57, 4, v19
	v_cndmask_b32_e32 v11, v11, v49, vcc_lo
	v_mul_lo_u32 v45, v46, s4
	v_lshlrev_b32_e32 v18, 2, v18
	v_and_b32_e32 v24, 28, v37
	v_add_nc_u32_e32 v49, 1, v48
	v_cmp_le_u32_e32 vcc_lo, s0, v11
	v_mul_lo_u32 v42, v44, s4
	v_add3_u32 v55, v18, v47, 0x4200
	v_add_nc_u32_e32 v18, 0x60, v21
	v_mul_lo_u32 v44, v41, s4
	s_wait_alu 0xfffd
	v_dual_cndmask_b32 v11, v48, v49 :: v_dual_and_b32 v48, 31, v0
	v_lshl_add_u32 v0, v19, 7, 0x4a40
	v_add_nc_u32_e32 v19, 64, v21
	v_lshrrev_b32_e32 v18, 1, v18
	s_delay_alu instid0(VALU_DEP_4)
	v_xor_b32_e32 v11, v11, v50
	v_lshlrev_b32_e32 v41, 4, v41
	v_lshl_add_u32 v46, v48, 2, v0
	v_add_nc_u32_e32 v48, 32, v21
	v_lshrrev_b32_e32 v19, 1, v19
	v_sub_nc_u32_e32 v11, v11, v50
	v_add_nc_u32_e32 v37, 0x4e40, v37
	v_and_b32_e32 v50, 0xfc, v18
	v_lshrrev_b32_e32 v49, 1, v48
	v_and_b32_e32 v51, 0xfc, v19
	v_cmp_gt_i32_e32 vcc_lo, s7, v11
	v_mul_lo_u32 v48, v11, s1
	v_lshlrev_b32_e32 v11, 4, v21
	v_and_b32_e32 v52, 0xfc, v49
	v_lshlrev_b32_e32 v53, 2, v23
	v_cmp_gt_u32_e64 s0, 4, v21
	v_dual_mov_b32 v41, 0 :: v_dual_add_nc_u32 v54, v54, v41
	v_add_co_u32 v18, s6, s2, v24
	v_mul_u32_u24_e32 v47, 0x84, v21
	s_wait_alu 0xf1ff
	v_add_co_ci_u32_e64 v19, null, s3, 0, s6
	v_add3_u32 v49, v11, v50, 0x4800
	v_add3_u32 v50, v11, v51, 0x4600
	;; [unrolled: 1-line block ×4, first 2 shown]
	v_add_nc_u32_e32 v53, 0x4e40, v57
	v_add_nc_u32_e32 v55, v55, v56
	v_dual_mov_b32 v37, 0 :: v_dual_add_nc_u32 v56, v37, v57
	v_mov_b32_e32 v11, 0
	s_mov_b32 s17, 0
	s_and_b32 s6, s0, vcc_lo
	s_mov_b32 s16, s17
	s_branch .LBB226_5
.LBB226_4:                              ;   in Loop: Header=BB226_5 Depth=1
	s_add_co_i32 s16, s16, 4
	s_wait_alu 0xfffe
	s_cmp_ge_i32 s16, s4
	s_cbranch_scc1 .LBB226_13
.LBB226_5:                              ; =>This Loop Header: Depth=1
                                        ;     Child Loop BB226_11 Depth 2
	s_mul_u64 s[18:19], s[16:17], 34
	s_wait_alu 0xfffe
	s_add_nc_u64 s[18:19], s[14:15], s[18:19]
	s_wait_alu 0xfffe
	v_mad_co_u64_u32 v[57:58], null, v23, 34, s[18:19]
	s_delay_alu instid0(VALU_DEP_1) | instskip(SKIP_3) | instid1(VALU_DEP_4)
	v_mad_co_i64_i32 v[59:60], null, v25, 34, v[57:58]
	v_mad_co_i64_i32 v[61:62], null, v26, 34, v[57:58]
	;; [unrolled: 1-line block ×4, first 2 shown]
	v_add_co_u32 v59, s0, v59, v24
	v_mad_co_i64_i32 v[67:68], null, v29, 34, v[57:58]
	s_wait_alu 0xf1ff
	v_add_co_ci_u32_e64 v60, null, 0, v60, s0
	v_add_co_u32 v61, s0, v61, v24
	v_mad_co_i64_i32 v[69:70], null, v30, 34, v[57:58]
	s_wait_alu 0xf1ff
	v_add_co_ci_u32_e64 v62, null, 0, v62, s0
	v_add_co_u32 v63, s0, v63, v24
	v_mad_co_i64_i32 v[71:72], null, v31, 34, v[57:58]
	s_wait_alu 0xf1ff
	v_add_co_ci_u32_e64 v64, null, 0, v64, s0
	v_add_co_u32 v65, s0, v65, v24
	v_mad_co_i64_i32 v[73:74], null, v32, 34, v[57:58]
	s_wait_alu 0xf1ff
	v_add_co_ci_u32_e64 v66, null, 0, v66, s0
	v_add_co_u32 v67, s0, v67, v24
	s_wait_alu 0xf1ff
	v_add_co_ci_u32_e64 v68, null, 0, v68, s0
	v_add_co_u32 v69, s0, v69, v24
	s_wait_alu 0xf1ff
	v_add_co_ci_u32_e64 v70, null, 0, v70, s0
	;; [unrolled: 3-line block ×3, first 2 shown]
	v_add_co_u32 v73, s0, v73, v24
	v_mad_co_i64_i32 v[75:76], null, v33, 34, v[57:58]
	s_wait_alu 0xf1ff
	v_add_co_ci_u32_e64 v74, null, 0, v74, s0
	s_clause 0x7
	global_load_b32 v77, v[59:60], off offset:2
	global_load_b32 v78, v[61:62], off offset:2
	;; [unrolled: 1-line block ×8, first 2 shown]
	v_mad_co_i64_i32 v[59:60], null, v34, 34, v[57:58]
	v_mad_co_u64_u32 v[69:70], null, v43, 34, s[18:19]
	v_mad_co_i64_i32 v[63:64], null, v35, 34, v[57:58]
	v_mad_co_i64_i32 v[65:66], null, v36, 34, v[57:58]
	v_add_co_u32 v61, s0, v75, v24
	v_mad_co_i64_i32 v[67:68], null, v38, 34, v[57:58]
	s_wait_alu 0xf1ff
	v_add_co_ci_u32_e64 v62, null, 0, v76, s0
	v_add_co_u32 v59, s0, v59, v24
	v_mad_co_i64_i32 v[71:72], null, v44, 34, v[69:70]
	v_mad_co_i64_i32 v[73:74], null, v39, 34, v[57:58]
	;; [unrolled: 1-line block ×3, first 2 shown]
	s_wait_alu 0xf1ff
	v_add_co_ci_u32_e64 v60, null, 0, v60, s0
	v_add_co_u32 v63, s0, v63, v24
	v_mad_co_i64_i32 v[75:76], null, v40, 34, v[57:58]
	s_wait_alu 0xf1ff
	v_add_co_ci_u32_e64 v64, null, 0, v64, s0
	v_add_co_u32 v65, s0, v65, v24
	v_mad_co_i64_i32 v[57:58], null, v42, 34, v[57:58]
	s_wait_alu 0xf1ff
	v_add_co_ci_u32_e64 v66, null, 0, v66, s0
	v_add_co_u32 v67, s0, v67, v24
	s_wait_alu 0xf1ff
	v_add_co_ci_u32_e64 v68, null, 0, v68, s0
	s_clause 0x1
	global_load_u16 v85, v[71:72], off
	global_load_u16 v86, v[69:70], off
	v_add_co_u32 v69, s0, v73, v24
	s_wait_alu 0xf1ff
	v_add_co_ci_u32_e64 v70, null, 0, v74, s0
	v_add_co_u32 v71, s0, v75, v24
	s_wait_alu 0xf1ff
	v_add_co_ci_u32_e64 v72, null, 0, v76, s0
	;; [unrolled: 3-line block ×3, first 2 shown]
	s_clause 0x7
	global_load_b32 v61, v[61:62], off offset:2
	global_load_b32 v59, v[59:60], off offset:2
	;; [unrolled: 1-line block ×8, first 2 shown]
	s_lshl_b32 s0, s16, 5
	s_wait_alu 0xfffe
	s_cmp_ge_i32 s0, s5
	s_wait_loadcnt 0x9
	v_cvt_f32_f16_e32 v58, v85
	s_wait_loadcnt 0x8
	v_cvt_f32_f16_e32 v66, v86
	ds_store_b32 v1, v77
	ds_store_b32 v54, v58
	;; [unrolled: 1-line block ×9, first 2 shown]
	s_wait_loadcnt 0x7
	ds_store_b32 v9, v61
	s_wait_loadcnt 0x6
	ds_store_b32 v10, v59
	;; [unrolled: 2-line block ×8, first 2 shown]
	ds_store_b32 v55, v66
	s_cbranch_scc1 .LBB226_4
; %bb.6:                                ;   in Loop: Header=BB226_5 Depth=1
	v_add_nc_u32_e32 v57, s16, v23
	s_delay_alu instid0(VALU_DEP_1)
	v_cmp_gt_i32_e64 s0, s1, v57
	s_and_b32 s8, vcc_lo, s0
	s_wait_alu 0xfffe
	s_and_saveexec_b32 s0, s8
	s_cbranch_execz .LBB226_8
; %bb.7:                                ;   in Loop: Header=BB226_5 Depth=1
	v_add_nc_u32_e32 v57, v48, v57
	s_delay_alu instid0(VALU_DEP_1)
	v_mad_co_i64_i32 v[57:58], null, v57, 36, v[18:19]
	global_load_b32 v57, v[57:58], off offset:4
	s_wait_loadcnt 0x0
	ds_store_b32 v46, v57
.LBB226_8:                              ;   in Loop: Header=BB226_5 Depth=1
	s_wait_alu 0xfffe
	s_or_b32 exec_lo, exec_lo, s0
	v_or_b32_e32 v57, s16, v21
	s_delay_alu instid0(VALU_DEP_1)
	v_cmp_gt_i32_e64 s0, s1, v57
	s_and_b32 s8, s6, s0
	s_wait_alu 0xfffe
	s_and_saveexec_b32 s0, s8
	s_cbranch_execz .LBB226_10
; %bb.9:                                ;   in Loop: Header=BB226_5 Depth=1
	v_add_nc_u32_e32 v57, v48, v57
	s_delay_alu instid0(VALU_DEP_1)
	v_mad_co_i64_i32 v[57:58], null, v57, 36, s[2:3]
	global_load_b32 v57, v[57:58], off
	s_wait_loadcnt 0x0
	v_cvt_f32_f16_e32 v57, v57
	ds_store_b32 v56, v57
.LBB226_10:                             ;   in Loop: Header=BB226_5 Depth=1
	s_wait_alu 0xfffe
	s_or_b32 exec_lo, exec_lo, s0
	v_dual_mov_b32 v57, v0 :: v_dual_mov_b32 v58, v53
	v_dual_mov_b32 v59, v52 :: v_dual_mov_b32 v60, v51
	;; [unrolled: 1-line block ×3, first 2 shown]
	v_mov_b32_e32 v63, v47
	s_mov_b32 s0, -8
	s_wait_dscnt 0x0
	s_barrier_signal -1
	s_barrier_wait -1
	global_inv scope:SCOPE_SE
.LBB226_11:                             ;   Parent Loop BB226_5 Depth=1
                                        ; =>  This Inner Loop Header: Depth=2
	ds_load_2addr_b32 v[72:73], v63 offset0:2 offset1:3
	ds_load_2addr_b32 v[74:75], v63 offset0:4 offset1:5
	;; [unrolled: 1-line block ×3, first 2 shown]
	ds_load_b32 v104, v58
	ds_load_b32 v105, v59
	ds_load_2addr_b32 v[78:79], v63 offset1:1
	ds_load_b32 v106, v60
	ds_load_b32 v107, v61
	;; [unrolled: 1-line block ×3, first 2 shown]
	ds_load_b128 v[64:67], v57
	ds_load_b128 v[68:71], v57 offset:16
	v_add_nc_u32_e32 v80, 0x1080, v63
	v_add_nc_u32_e32 v82, 0x1088, v63
	;; [unrolled: 1-line block ×13, first 2 shown]
	s_wait_dscnt 0x6
	v_mul_f32_e32 v105, v104, v105
	ds_load_2addr_b32 v[80:81], v80 offset1:1
	ds_load_2addr_b32 v[82:83], v82 offset1:1
	;; [unrolled: 1-line block ×12, first 2 shown]
	v_add_nc_u32_e32 v62, 4, v62
	s_wait_dscnt 0x10
	v_dual_mul_f32 v106, v104, v106 :: v_dual_add_nc_u32 v61, 4, v61
	s_wait_dscnt 0xd
	v_dot4_i32_iu8 v78, v64, v78, 0 neg_lo:[1,1,0]
	v_perm_b32 v109, v64, v65, 0xc0c0501
	v_perm_b32 v110, v67, v66, 0x5010c0c
	;; [unrolled: 1-line block ×6, first 2 shown]
	s_wait_dscnt 0xb
	v_dot4_i32_iu8 v80, v64, v80, 0 neg_lo:[1,1,0]
	v_dot4_i32_iu8 v78, v65, v79, v78 neg_lo:[1,1,0]
	s_wait_dscnt 0x7
	v_dot4_i32_iu8 v64, v64, v88, 0 neg_lo:[1,1,0]
	v_or_b32_e32 v79, v110, v109
	v_or_b32_e32 v110, v112, v111
	v_dot4_i32_iu8 v80, v65, v81, v80 neg_lo:[1,1,0]
	s_wait_dscnt 0x3
	v_perm_b32 v88, v96, v97, 0xc0c0501
	s_wait_dscnt 0x2
	v_perm_b32 v109, v99, v98, 0x5010c0c
	v_perm_b32 v111, v96, v97, 0xc0c0703
	;; [unrolled: 1-line block ×3, first 2 shown]
	v_dot4_i32_iu8 v64, v65, v89, v64 neg_lo:[1,1,0]
	v_perm_b32 v114, v67, v66, 0x4000c0c
	v_perm_b32 v116, v67, v66, 0x6020c0c
	;; [unrolled: 1-line block ×8, first 2 shown]
	v_dot4_i32_iu8 v65, v66, v72, v78 neg_lo:[1,1,0]
	v_or_b32_e32 v72, v109, v88
	v_or_b32_e32 v78, v112, v111
	v_dot4_i32_iu8 v80, v66, v82, v80 neg_lo:[1,1,0]
	v_dot4_i32_iu8 v64, v66, v90, v64 neg_lo:[1,1,0]
	v_perm_b32 v123, v69, v68, 0xc0c0501
	v_perm_b32 v124, v71, v70, 0x5010c0c
	v_or_b32_e32 v113, v114, v113
	v_perm_b32 v114, v96, v97, 0xc0c0400
	v_perm_b32 v125, v99, v98, 0x4000c0c
	v_or_b32_e32 v115, v116, v115
	;; [unrolled: 3-line block ×3, first 2 shown]
	s_wait_dscnt 0x1
	v_perm_b32 v99, v101, v100, 0xc0c0602
	s_wait_dscnt 0x0
	v_perm_b32 v116, v103, v102, 0x6020c0c
	v_or_b32_e32 v117, v120, v119
	v_perm_b32 v118, v101, v100, 0xc0c0400
	v_or_b32_e32 v120, v122, v121
	v_perm_b32 v121, v101, v100, 0xc0c0703
	v_perm_b32 v122, v103, v102, 0x7030c0c
	;; [unrolled: 1-line block ×4, first 2 shown]
	v_dot4_i32_iu8 v65, v67, v73, v65 neg_lo:[1,1,0]
	v_dot4_i32_iu8 v66, v72, v79, 0 neg_lo:[1,1,0]
	;; [unrolled: 1-line block ×5, first 2 shown]
	v_perm_b32 v119, v103, v102, 0x4000c0c
	v_or_b32_e32 v123, v124, v123
	v_or_b32_e32 v81, v125, v114
	;; [unrolled: 1-line block ×6, first 2 shown]
	v_dot4_i32_iu8 v65, v68, v74, v65 neg_lo:[1,1,0]
	v_dot4_i32_iu8 v74, v68, v84, v78 neg_lo:[1,1,0]
	;; [unrolled: 1-line block ×3, first 2 shown]
	v_or_b32_e32 v96, v119, v118
	v_dot4_i32_iu8 v73, v88, v115, 0 neg_lo:[1,1,0]
	v_dot4_i32_iu8 v67, v81, v113, 0 neg_lo:[1,1,0]
	;; [unrolled: 1-line block ×9, first 2 shown]
	v_add_nc_u32_e32 v66, v66, v68
	v_dot4_i32_iu8 v65, v70, v76, v65 neg_lo:[1,1,0]
	v_dot4_i32_iu8 v68, v70, v86, v72 neg_lo:[1,1,0]
	v_dot4_i32_iu8 v64, v70, v94, v64 neg_lo:[1,1,0]
	v_mul_f32_e32 v69, v104, v107
	v_add3_u32 v66, v67, v73, v66
	v_dot4_i32_iu8 v65, v71, v77, v65 neg_lo:[1,1,0]
	v_dot4_i32_iu8 v67, v71, v87, v68 neg_lo:[1,1,0]
	;; [unrolled: 1-line block ×3, first 2 shown]
	v_mul_f32_e32 v68, v104, v108
	v_cvt_f32_i32_e32 v66, v66
	v_cvt_f32_i32_e32 v65, v65
	;; [unrolled: 1-line block ×4, first 2 shown]
	v_add_nc_u32_e32 v60, 4, v60
	s_delay_alu instid0(VALU_DEP_4)
	v_dual_fmac_f32 v22, v105, v65 :: v_dual_add_nc_u32 v59, 4, v59
	v_add_nc_u32_e32 v58, 4, v58
	v_add_nc_u32_e32 v57, 32, v57
	v_fmac_f32_e32 v11, v68, v66
	v_fmac_f32_e32 v41, v106, v67
	;; [unrolled: 1-line block ×3, first 2 shown]
	s_wait_alu 0xfffe
	s_add_co_i32 s0, s0, 8
	s_wait_alu 0xfffe
	s_cmp_lt_u32 s0, 24
	s_cbranch_scc1 .LBB226_11
; %bb.12:                               ;   in Loop: Header=BB226_5 Depth=1
	s_wait_loadcnt 0x0
	s_barrier_signal -1
	s_barrier_wait -1
	global_inv scope:SCOPE_SE
	s_branch .LBB226_4
.LBB226_13:
	s_mul_i32 s0, s10, s7
	s_wait_loadcnt 0x0
	s_wait_alu 0xfffe
	v_cmp_gt_i32_e32 vcc_lo, s0, v20
	s_and_saveexec_b32 s0, vcc_lo
	s_cbranch_execz .LBB226_22
; %bb.14:
	v_mul_lo_u32 v0, v20, s9
	v_add_nc_u32_e32 v1, s11, v21
	s_mov_b32 s0, exec_lo
	s_delay_alu instid0(VALU_DEP_1)
	v_cmpx_gt_u32_e64 s9, v1
	s_cbranch_execz .LBB226_16
; %bb.15:
	v_bfe_u32 v3, v22, 16, 1
	s_delay_alu instid0(VALU_DEP_4) | instskip(SKIP_1) | instid1(VALU_DEP_3)
	v_add_nc_u32_e32 v2, v0, v1
	v_cmp_o_f32_e32 vcc_lo, v22, v22
	v_add3_u32 v4, v22, v3, 0x7fff
	v_mov_b32_e32 v3, 0
	s_delay_alu instid0(VALU_DEP_2) | instskip(NEXT) | instid1(VALU_DEP_2)
	v_lshrrev_b32_e32 v4, 16, v4
	v_lshlrev_b64_e32 v[2:3], 1, v[2:3]
	s_wait_alu 0xfffd
	s_delay_alu instid0(VALU_DEP_2) | instskip(NEXT) | instid1(VALU_DEP_2)
	v_cndmask_b32_e32 v4, 0x7fc0, v4, vcc_lo
	v_add_co_u32 v2, vcc_lo, s12, v2
	s_wait_alu 0xfffd
	s_delay_alu instid0(VALU_DEP_3)
	v_add_co_ci_u32_e64 v3, null, s13, v3, vcc_lo
	global_store_b16 v[2:3], v4, off
.LBB226_16:
	s_wait_alu 0xfffe
	s_or_b32 exec_lo, exec_lo, s0
	v_add_nc_u32_e32 v2, 32, v1
	s_mov_b32 s0, exec_lo
	s_delay_alu instid0(VALU_DEP_1)
	v_cmpx_gt_u32_e64 s9, v2
	s_cbranch_execz .LBB226_18
; %bb.17:
	v_bfe_u32 v3, v41, 16, 1
	v_add_nc_u32_e32 v2, v0, v2
	v_cmp_o_f32_e32 vcc_lo, v41, v41
	s_delay_alu instid0(VALU_DEP_3) | instskip(SKIP_1) | instid1(VALU_DEP_2)
	v_add3_u32 v4, v41, v3, 0x7fff
	v_mov_b32_e32 v3, 0
	v_lshrrev_b32_e32 v4, 16, v4
	s_delay_alu instid0(VALU_DEP_2) | instskip(SKIP_1) | instid1(VALU_DEP_2)
	v_lshlrev_b64_e32 v[2:3], 1, v[2:3]
	s_wait_alu 0xfffd
	v_cndmask_b32_e32 v4, 0x7fc0, v4, vcc_lo
	s_delay_alu instid0(VALU_DEP_2) | instskip(SKIP_1) | instid1(VALU_DEP_3)
	v_add_co_u32 v2, vcc_lo, s12, v2
	s_wait_alu 0xfffd
	v_add_co_ci_u32_e64 v3, null, s13, v3, vcc_lo
	global_store_b16 v[2:3], v4, off
.LBB226_18:
	s_wait_alu 0xfffe
	s_or_b32 exec_lo, exec_lo, s0
	v_add_nc_u32_e32 v2, 64, v1
	s_mov_b32 s0, exec_lo
	s_delay_alu instid0(VALU_DEP_1)
	v_cmpx_gt_u32_e64 s9, v2
	s_cbranch_execz .LBB226_20
; %bb.19:
	v_bfe_u32 v3, v37, 16, 1
	v_add_nc_u32_e32 v2, v0, v2
	v_cmp_o_f32_e32 vcc_lo, v37, v37
	s_delay_alu instid0(VALU_DEP_3) | instskip(SKIP_1) | instid1(VALU_DEP_2)
	v_add3_u32 v4, v37, v3, 0x7fff
	v_mov_b32_e32 v3, 0
	v_lshrrev_b32_e32 v4, 16, v4
	s_delay_alu instid0(VALU_DEP_2) | instskip(SKIP_1) | instid1(VALU_DEP_2)
	v_lshlrev_b64_e32 v[2:3], 1, v[2:3]
	s_wait_alu 0xfffd
	v_cndmask_b32_e32 v4, 0x7fc0, v4, vcc_lo
	s_delay_alu instid0(VALU_DEP_2) | instskip(SKIP_1) | instid1(VALU_DEP_3)
	v_add_co_u32 v2, vcc_lo, s12, v2
	s_wait_alu 0xfffd
	v_add_co_ci_u32_e64 v3, null, s13, v3, vcc_lo
	global_store_b16 v[2:3], v4, off
.LBB226_20:
	s_wait_alu 0xfffe
	s_or_b32 exec_lo, exec_lo, s0
	v_add_nc_u32_e32 v1, 0x60, v1
	s_delay_alu instid0(VALU_DEP_1)
	v_cmp_gt_u32_e32 vcc_lo, s9, v1
	s_and_b32 exec_lo, exec_lo, vcc_lo
	s_cbranch_execz .LBB226_22
; %bb.21:
	v_bfe_u32 v2, v11, 16, 1
	v_dual_mov_b32 v1, 0 :: v_dual_add_nc_u32 v0, v0, v1
	v_cmp_o_f32_e32 vcc_lo, v11, v11
	s_delay_alu instid0(VALU_DEP_3) | instskip(NEXT) | instid1(VALU_DEP_3)
	v_add3_u32 v2, v11, v2, 0x7fff
	v_lshlrev_b64_e32 v[0:1], 1, v[0:1]
	s_delay_alu instid0(VALU_DEP_2) | instskip(SKIP_1) | instid1(VALU_DEP_1)
	v_lshrrev_b32_e32 v2, 16, v2
	s_wait_alu 0xfffd
	v_cndmask_b32_e32 v2, 0x7fc0, v2, vcc_lo
	s_delay_alu instid0(VALU_DEP_3)
	v_add_co_u32 v0, vcc_lo, s12, v0
	s_wait_alu 0xfffd
	v_add_co_ci_u32_e64 v1, null, s13, v1, vcc_lo
	global_store_b16 v[0:1], v2, off
.LBB226_22:
	s_nop 0
	s_sendmsg sendmsg(MSG_DEALLOC_VGPRS)
	s_endpgm
	.section	.rodata,"a",@progbits
	.p2align	6, 0x0
	.amdhsa_kernel _ZL8moe_q8_0IN3c108BFloat16ELb1EEvPKvS3_PT_PKiS7_S7_iiiiiii
		.amdhsa_group_segment_fixed_size 20160
		.amdhsa_private_segment_fixed_size 0
		.amdhsa_kernarg_size 76
		.amdhsa_user_sgpr_count 2
		.amdhsa_user_sgpr_dispatch_ptr 0
		.amdhsa_user_sgpr_queue_ptr 0
		.amdhsa_user_sgpr_kernarg_segment_ptr 1
		.amdhsa_user_sgpr_dispatch_id 0
		.amdhsa_user_sgpr_private_segment_size 0
		.amdhsa_wavefront_size32 1
		.amdhsa_uses_dynamic_stack 0
		.amdhsa_enable_private_segment 0
		.amdhsa_system_sgpr_workgroup_id_x 1
		.amdhsa_system_sgpr_workgroup_id_y 1
		.amdhsa_system_sgpr_workgroup_id_z 0
		.amdhsa_system_sgpr_workgroup_info 0
		.amdhsa_system_vgpr_workitem_id 1
		.amdhsa_next_free_vgpr 126
		.amdhsa_next_free_sgpr 20
		.amdhsa_reserve_vcc 1
		.amdhsa_float_round_mode_32 0
		.amdhsa_float_round_mode_16_64 0
		.amdhsa_float_denorm_mode_32 3
		.amdhsa_float_denorm_mode_16_64 3
		.amdhsa_fp16_overflow 0
		.amdhsa_workgroup_processor_mode 1
		.amdhsa_memory_ordered 1
		.amdhsa_forward_progress 1
		.amdhsa_inst_pref_size 33
		.amdhsa_round_robin_scheduling 0
		.amdhsa_exception_fp_ieee_invalid_op 0
		.amdhsa_exception_fp_denorm_src 0
		.amdhsa_exception_fp_ieee_div_zero 0
		.amdhsa_exception_fp_ieee_overflow 0
		.amdhsa_exception_fp_ieee_underflow 0
		.amdhsa_exception_fp_ieee_inexact 0
		.amdhsa_exception_int_div_zero 0
	.end_amdhsa_kernel
	.section	.text._ZL8moe_q8_0IN3c108BFloat16ELb1EEvPKvS3_PT_PKiS7_S7_iiiiiii,"axG",@progbits,_ZL8moe_q8_0IN3c108BFloat16ELb1EEvPKvS3_PT_PKiS7_S7_iiiiiii,comdat
.Lfunc_end226:
	.size	_ZL8moe_q8_0IN3c108BFloat16ELb1EEvPKvS3_PT_PKiS7_S7_iiiiiii, .Lfunc_end226-_ZL8moe_q8_0IN3c108BFloat16ELb1EEvPKvS3_PT_PKiS7_S7_iiiiiii
                                        ; -- End function
	.set _ZL8moe_q8_0IN3c108BFloat16ELb1EEvPKvS3_PT_PKiS7_S7_iiiiiii.num_vgpr, 126
	.set _ZL8moe_q8_0IN3c108BFloat16ELb1EEvPKvS3_PT_PKiS7_S7_iiiiiii.num_agpr, 0
	.set _ZL8moe_q8_0IN3c108BFloat16ELb1EEvPKvS3_PT_PKiS7_S7_iiiiiii.numbered_sgpr, 20
	.set _ZL8moe_q8_0IN3c108BFloat16ELb1EEvPKvS3_PT_PKiS7_S7_iiiiiii.num_named_barrier, 0
	.set _ZL8moe_q8_0IN3c108BFloat16ELb1EEvPKvS3_PT_PKiS7_S7_iiiiiii.private_seg_size, 0
	.set _ZL8moe_q8_0IN3c108BFloat16ELb1EEvPKvS3_PT_PKiS7_S7_iiiiiii.uses_vcc, 1
	.set _ZL8moe_q8_0IN3c108BFloat16ELb1EEvPKvS3_PT_PKiS7_S7_iiiiiii.uses_flat_scratch, 0
	.set _ZL8moe_q8_0IN3c108BFloat16ELb1EEvPKvS3_PT_PKiS7_S7_iiiiiii.has_dyn_sized_stack, 0
	.set _ZL8moe_q8_0IN3c108BFloat16ELb1EEvPKvS3_PT_PKiS7_S7_iiiiiii.has_recursion, 0
	.set _ZL8moe_q8_0IN3c108BFloat16ELb1EEvPKvS3_PT_PKiS7_S7_iiiiiii.has_indirect_call, 0
	.section	.AMDGPU.csdata,"",@progbits
; Kernel info:
; codeLenInByte = 4200
; TotalNumSgprs: 22
; NumVgprs: 126
; ScratchSize: 0
; MemoryBound: 0
; FloatMode: 240
; IeeeMode: 1
; LDSByteSize: 20160 bytes/workgroup (compile time only)
; SGPRBlocks: 0
; VGPRBlocks: 15
; NumSGPRsForWavesPerEU: 22
; NumVGPRsForWavesPerEU: 126
; Occupancy: 10
; WaveLimiterHint : 1
; COMPUTE_PGM_RSRC2:SCRATCH_EN: 0
; COMPUTE_PGM_RSRC2:USER_SGPR: 2
; COMPUTE_PGM_RSRC2:TRAP_HANDLER: 0
; COMPUTE_PGM_RSRC2:TGID_X_EN: 1
; COMPUTE_PGM_RSRC2:TGID_Y_EN: 1
; COMPUTE_PGM_RSRC2:TGID_Z_EN: 0
; COMPUTE_PGM_RSRC2:TIDIG_COMP_CNT: 1
	.section	.text._ZL8moe_q2_KIN3c108BFloat16ELb0EEvPKvS3_PT_PKiS7_S7_iiiiiii,"axG",@progbits,_ZL8moe_q2_KIN3c108BFloat16ELb0EEvPKvS3_PT_PKiS7_S7_iiiiiii,comdat
	.globl	_ZL8moe_q2_KIN3c108BFloat16ELb0EEvPKvS3_PT_PKiS7_S7_iiiiiii ; -- Begin function _ZL8moe_q2_KIN3c108BFloat16ELb0EEvPKvS3_PT_PKiS7_S7_iiiiiii
	.p2align	8
	.type	_ZL8moe_q2_KIN3c108BFloat16ELb0EEvPKvS3_PT_PKiS7_S7_iiiiiii,@function
_ZL8moe_q2_KIN3c108BFloat16ELb0EEvPKvS3_PT_PKiS7_S7_iiiiiii: ; @_ZL8moe_q2_KIN3c108BFloat16ELb0EEvPKvS3_PT_PKiS7_S7_iiiiiii
; %bb.0:
	s_load_b128 s[4:7], s[0:1], 0x18
	s_mov_b32 s2, ttmp7
	s_mov_b32 s3, 0
	s_delay_alu instid0(SALU_CYCLE_1)
	s_lshl_b64 s[2:3], s[2:3], 2
	s_wait_kmcnt 0x0
	s_add_nc_u64 s[2:3], s[6:7], s[2:3]
	s_load_b32 s12, s[2:3], 0x0
	s_wait_kmcnt 0x0
	s_cmp_gt_u32 s12, 0xff
	s_cbranch_scc1 .LBB227_46
; %bb.1:
	s_load_b64 s[2:3], s[0:1], 0x28
	s_wait_kmcnt 0x0
	s_load_b32 s3, s[2:3], 0x0
	s_lshl_b32 s2, ttmp7, 3
	s_wait_kmcnt 0x0
	s_cmp_gt_u32 s2, s3
	s_cbranch_scc1 .LBB227_46
; %bb.2:
	v_bfe_u32 v3, v0, 10, 10
	v_mov_b32_e32 v2, 0
	s_lshl_b32 s18, ttmp9, 7
	s_delay_alu instid0(VALU_DEP_2) | instskip(NEXT) | instid1(VALU_DEP_2)
	v_add_nc_u32_e32 v1, s2, v3
	v_dual_mov_b32 v47, v2 :: v_dual_and_b32 v12, 0x3ff, v0
	v_dual_mov_b32 v38, v2 :: v_dual_mov_b32 v13, v2
	s_delay_alu instid0(VALU_DEP_3) | instskip(NEXT) | instid1(VALU_DEP_1)
	v_lshlrev_b64_e32 v[4:5], 2, v[1:2]
	v_add_co_u32 v4, vcc_lo, s4, v4
	s_delay_alu instid0(VALU_DEP_1)
	v_add_co_ci_u32_e64 v5, null, s5, v5, vcc_lo
	global_load_b32 v11, v[4:5], off
	s_clause 0x2
	s_load_b64 s[10:11], s[0:1], 0x30
	s_load_b64 s[8:9], s[0:1], 0x10
	s_load_b128 s[4:7], s[0:1], 0x3c
	s_wait_kmcnt 0x0
	s_cmp_lt_i32 s11, 0x100
	s_cbranch_scc1 .LBB227_37
; %bb.3:
	s_abs_i32 s19, s7
	s_wait_loadcnt 0x0
	v_sub_nc_u32_e32 v6, 0, v11
	s_cvt_f32_u32 s16, s19
	s_sub_co_i32 s20, 0, s19
	s_ashr_i32 s13, s11, 31
	v_lshlrev_b32_e32 v2, 4, v3
	v_rcp_iflag_f32_e32 v9, s16
	v_max_i32_e32 v6, v11, v6
	v_bfe_u32 v4, v0, 1, 9
	v_bfe_u32 v18, v0, 3, 7
	s_lshr_b32 s13, s13, 24
	s_load_b128 s[0:3], s[0:1], 0x0
	s_ashr_i32 s15, s5, 31
	s_add_co_i32 s13, s11, s13
	v_dual_mov_b32 v13, 0 :: v_dual_and_b32 v16, 1, v0
	s_delay_alu instid0(TRANS32_DEP_1)
	v_readfirstlane_b32 s21, v9
	v_add_nc_u32_e32 v4, v4, v2
	v_lshl_add_u32 v8, v3, 2, v18
	s_mul_i32 s12, s12, s10
	s_ashr_i32 s10, s13, 8
	s_mul_f32 s21, s21, 0x4f7ffffe
	s_lshr_b32 s15, s15, 27
	v_and_b32_e32 v5, 7, v0
	s_add_co_i32 s5, s5, s15
	s_cvt_u32_f32 s21, s21
	s_lshl_b32 s15, s10, 5
	v_lshlrev_b32_e32 v7, 2, v16
	v_and_b32_e32 v10, 0x7f, v4
	s_mul_i32 s20, s20, s21
	v_lshrrev_b32_e32 v4, 2, v4
	s_mul_hi_u32 s20, s21, s20
	v_mul_i32_i24_e32 v30, s10, v8
	s_add_co_i32 s21, s21, s20
	v_and_b32_e32 v37, 0x1ffc, v8
	v_mul_hi_u32 v47, v6, s21
	v_lshlrev_b32_e32 v38, 5, v8
	v_add_nc_u32_e32 v42, 32, v8
	v_add_nc_u32_e32 v9, 64, v8
	v_mad_i32_i24 v33, s10, v8, s15
	v_add_nc_u32_e32 v8, 0x60, v8
	v_cmp_lt_u32_e32 vcc_lo, 3, v5
	v_lshlrev_b32_e32 v5, 2, v5
	v_mul_lo_u32 v45, v47, s19
	v_lshl_or_b32 v7, v10, 3, v7
	v_and_b32_e32 v4, 28, v4
	v_and_b32_e32 v41, 0x3ffc, v42
	;; [unrolled: 1-line block ×4, first 2 shown]
	s_mul_i32 s16, s10, s18
	v_mul_i32_i24_e32 v35, s10, v10
	v_add3_u32 v10, v37, v5, 0x4200
	v_add3_u32 v40, v7, v4, 0x5280
	;; [unrolled: 1-line block ×5, first 2 shown]
	v_and_b32_e32 v46, 31, v0
	v_lshl_add_u32 v44, v3, 7, 0x56a0
	v_sub_nc_u32_e32 v6, v6, v45
	s_ashr_i32 s13, s12, 31
	s_wait_alu 0xfffe
	s_ashr_i32 s17, s16, 31
	s_wait_kmcnt 0x0
	s_add_nc_u64 s[0:1], s[0:1], s[12:13]
	s_wait_alu 0xfffe
	s_mul_u64 s[16:17], s[16:17], 0x54
	v_add_nc_u32_e32 v48, 1, v47
	s_wait_alu 0xfffe
	s_add_nc_u64 s[12:13], s[0:1], s[16:17]
	v_lshl_add_u32 v45, v46, 2, v44
	v_add_nc_u32_e32 v46, 0x5aa0, v2
	v_subrev_nc_u32_e32 v2, s19, v6
	v_cmp_le_u32_e64 s0, s19, v6
	v_lshlrev_b32_e32 v1, 2, v12
	s_lshl_b32 s14, s10, 3
	v_mul_i32_i24_e32 v28, s10, v3
	s_wait_alu 0xfffe
	v_mad_i32_i24 v15, s10, v3, s14
	v_cndmask_b32_e64 v47, v47, v48, s0
	v_cndmask_b32_e64 v2, v6, v2, s0
	v_dual_mov_b32 v38, 0 :: v_dual_add_nc_u32 v59, v10, v38
	v_and_b32_e32 v21, 60, v1
	v_mad_u32_u24 v22, 0x84, v3, v1
	v_and_b32_e32 v26, 12, v1
	v_lshlrev_b32_e32 v3, 5, v8
	v_and_b32_e32 v8, 28, v1
	v_add_nc_u32_e32 v48, v46, v1
	v_xor_b32_e32 v1, s7, v11
	v_add_nc_u32_e32 v6, 1, v47
	v_cmp_le_u32_e64 s0, s19, v2
	v_add_nc_u32_e32 v55, 0x60, v12
	v_add_nc_u32_e32 v17, s14, v15
	v_ashrrev_i32_e32 v1, 31, v1
	s_ashr_i32 s5, s5, 5
	v_cndmask_b32_e64 v2, v47, v6, s0
	v_add_nc_u32_e32 v54, 32, v12
	v_add_nc_u32_e32 v47, 64, v12
	v_bfe_u32 v14, v0, 4, 6
	v_lshlrev_b32_e32 v7, 5, v42
	v_xor_b32_e32 v2, v2, v1
	v_add_nc_u32_e32 v42, s15, v33
	v_lshlrev_b32_e32 v9, 5, v9
	v_mul_u32_u24_e32 v53, 33, v12
	v_lshlrev_b32_e32 v6, 1, v12
	v_sub_nc_u32_e32 v1, v2, v1
	v_lshrrev_b32_e32 v2, 4, v55
	v_lshlrev_b32_e32 v66, 1, v54
	v_lshrrev_b32_e32 v65, 4, v54
	v_lshlrev_b32_e32 v68, 1, v47
	s_wait_alu 0xfffe
	v_mul_lo_u32 v52, v1, s5
	v_dual_mov_b32 v2, 0 :: v_dual_lshlrev_b32 v69, 2, v2
	v_add_nc_u32_e32 v19, s14, v17
	v_lshrrev_b32_e32 v67, 4, v47
	v_lshlrev_b32_e32 v70, 1, v55
	v_lshrrev_b32_e32 v50, 3, v47
	v_lshlrev_b32_e32 v58, 5, v12
	v_add_nc_u32_e32 v20, s14, v19
	v_and_b32_e32 v56, 0xfc, v0
	v_add_co_u32 v0, s1, s2, v8
	v_and_b32_e32 v8, 0x1fc, v55
	s_delay_alu instid0(VALU_DEP_4)
	v_add_nc_u32_e32 v23, s14, v20
	v_and_b32_e32 v57, 0x1fc, v54
	v_and_b32_e32 v47, 0x1fc, v47
	s_wait_alu 0xfffd
	v_cndmask_b32_e64 v24, 0, 1, vcc_lo
	v_cmp_gt_u32_e32 vcc_lo, 4, v12
	v_add_nc_u32_e32 v25, s14, v23
	v_cmp_gt_i32_e64 s0, s4, v1
	v_add_nc_u32_e32 v43, s15, v42
	v_lshrrev_b32_e32 v49, 3, v54
	v_lshrrev_b32_e32 v51, 3, v55
	v_add_nc_u32_e32 v27, s14, v25
	s_wait_alu 0xf1ff
	v_add_co_ci_u32_e64 v1, null, s3, 0, s1
	v_lshlrev_b32_e32 v53, 2, v53
	v_add_nc_u32_e32 v54, v58, v56
	v_add_nc_u32_e32 v29, s14, v27
	v_ashrrev_i32_e32 v55, 31, v52
	v_add_nc_u32_e32 v56, v58, v8
	v_add_nc_u32_e32 v57, v58, v57
	v_add_nc_u32_e32 v58, v58, v47
	v_add_nc_u32_e32 v31, s14, v29
	v_add_nc_u32_e32 v60, v4, v7
	v_add_nc_u32_e32 v61, v61, v9
	v_add_nc_u32_e32 v62, v5, v3
	v_lshlrev_b32_e32 v63, 2, v14
	v_add_nc_u32_e32 v32, s14, v31
	v_lshlrev_b32_e32 v64, 2, v6
	v_lshlrev_b32_e32 v65, 2, v65
	;; [unrolled: 1-line block ×4, first 2 shown]
	v_add_nc_u32_e32 v34, s14, v32
	v_lshlrev_b32_e32 v68, 2, v68
	v_dual_mov_b32 v47, 0 :: v_dual_lshlrev_b32 v70, 2, v70
	s_mov_b32 s15, 0
	s_delay_alu instid0(VALU_DEP_3) | instskip(SKIP_1) | instid1(VALU_DEP_1)
	v_add_nc_u32_e32 v36, s14, v34
	s_and_b32 s19, vcc_lo, s0
	v_add_nc_u32_e32 v37, s14, v36
	s_delay_alu instid0(VALU_DEP_1) | instskip(NEXT) | instid1(VALU_DEP_1)
	v_add_nc_u32_e32 v39, s14, v37
	v_add_nc_u32_e32 v41, s14, v39
	s_wait_alu 0xfffe
	s_mov_b32 s14, s15
	s_branch .LBB227_5
.LBB227_4:                              ;   in Loop: Header=BB227_5 Depth=1
	s_add_co_i32 s14, s14, 2
	s_wait_alu 0xfffe
	s_cmp_ge_i32 s14, s10
	s_cbranch_scc1 .LBB227_37
.LBB227_5:                              ; =>This Loop Header: Depth=1
                                        ;     Child Loop BB227_11 Depth 2
                                        ;     Child Loop BB227_19 Depth 2
	;; [unrolled: 1-line block ×4, first 2 shown]
	s_wait_alu 0xfffe
	s_mul_u64 s[16:17], s[14:15], 0x54
	v_add_nc_u32_e32 v97, 0x39c0, v22
	s_wait_alu 0xfffe
	s_add_nc_u64 s[16:17], s[12:13], s[16:17]
	v_add_nc_u32_e32 v98, 0x3de0, v22
	s_wait_alu 0xfffe
	v_mad_co_u64_u32 v[3:4], null, 0x54, v14, s[16:17]
	s_delay_alu instid0(VALU_DEP_1) | instskip(SKIP_3) | instid1(VALU_DEP_4)
	v_mad_co_u64_u32 v[5:6], null, 0x54, v28, v[3:4]
	v_mad_co_u64_u32 v[7:8], null, 0x54, v15, v[3:4]
	;; [unrolled: 1-line block ×4, first 2 shown]
	v_add_co_u32 v5, s1, v5, v21
	v_mad_co_u64_u32 v[73:74], null, 0x54, v20, v[3:4]
	s_wait_alu 0xf1ff
	v_add_co_ci_u32_e64 v6, null, 0, v6, s1
	v_add_co_u32 v7, s1, v7, v21
	v_mad_co_u64_u32 v[75:76], null, 0x54, v23, v[3:4]
	s_wait_alu 0xf1ff
	v_add_co_ci_u32_e64 v8, null, 0, v8, s1
	v_add_co_u32 v9, s1, v9, v21
	v_mad_co_u64_u32 v[77:78], null, 0x54, v25, v[3:4]
	s_wait_alu 0xf1ff
	v_add_co_ci_u32_e64 v10, null, 0, v10, s1
	v_add_co_u32 v71, s1, v71, v21
	v_mad_co_u64_u32 v[79:80], null, 0x54, v27, v[3:4]
	s_wait_alu 0xf1ff
	v_add_co_ci_u32_e64 v72, null, 0, v72, s1
	v_add_co_u32 v73, s1, v73, v21
	s_wait_alu 0xf1ff
	v_add_co_ci_u32_e64 v74, null, 0, v74, s1
	v_add_co_u32 v75, s1, v75, v21
	s_wait_alu 0xf1ff
	v_add_co_ci_u32_e64 v76, null, 0, v76, s1
	;; [unrolled: 3-line block ×3, first 2 shown]
	v_add_co_u32 v79, s1, v79, v21
	v_mad_co_u64_u32 v[81:82], null, 0x54, v29, v[3:4]
	s_wait_alu 0xf1ff
	v_add_co_ci_u32_e64 v80, null, 0, v80, s1
	s_clause 0x7
	global_load_b32 v89, v[5:6], off offset:16
	global_load_b32 v90, v[7:8], off offset:16
	;; [unrolled: 1-line block ×8, first 2 shown]
	v_mad_co_u64_u32 v[5:6], null, 0x54, v31, v[3:4]
	v_mad_co_u64_u32 v[9:10], null, 0x54, v32, v[3:4]
	;; [unrolled: 1-line block ×3, first 2 shown]
	v_add_co_u32 v7, s1, v81, v21
	v_mad_co_u64_u32 v[73:74], null, 0x54, v36, v[3:4]
	s_wait_alu 0xf1ff
	v_add_co_ci_u32_e64 v8, null, 0, v82, s1
	v_add_co_u32 v5, s1, v5, v21
	v_mad_co_u64_u32 v[75:76], null, 0x54, v37, v[3:4]
	s_wait_alu 0xf1ff
	v_add_co_ci_u32_e64 v6, null, 0, v6, s1
	;; [unrolled: 4-line block ×4, first 2 shown]
	v_add_co_u32 v73, s1, v73, v21
	s_wait_alu 0xf1ff
	v_add_co_ci_u32_e64 v74, null, 0, v74, s1
	v_add_co_u32 v75, s1, v75, v21
	v_mad_co_u64_u32 v[3:4], null, 0x54, v41, v[3:4]
	s_wait_alu 0xf1ff
	v_add_co_ci_u32_e64 v76, null, 0, v76, s1
	v_add_co_u32 v77, s1, v77, v21
	v_mad_co_u64_u32 v[81:82], null, 0x54, v35, s[16:17]
	s_wait_alu 0xf1ff
	v_add_co_ci_u32_e64 v78, null, 0, v78, s1
	v_add_co_u32 v79, s1, v79, v26
	s_wait_alu 0xf1ff
	v_add_co_ci_u32_e64 v80, null, 0, v80, s1
	v_add_co_u32 v3, s1, v3, v21
	s_wait_alu 0xf1ff
	v_add_co_ci_u32_e64 v4, null, 0, v4, s1
	v_mad_co_u64_u32 v[81:82], null, 0x54, v16, v[81:82]
	v_mad_co_u64_u32 v[83:84], null, 0x54, v30, v[79:80]
	;; [unrolled: 1-line block ×5, first 2 shown]
	s_clause 0xc
	global_load_b32 v7, v[7:8], off offset:16
	global_load_b32 v5, v[5:6], off offset:16
	;; [unrolled: 1-line block ×9, first 2 shown]
	global_load_b32 v72, v[83:84], off
	global_load_b32 v73, v[85:86], off
	;; [unrolled: 1-line block ×4, first 2 shown]
	s_lshl_b32 s16, s14, 8
	v_add_nc_u32_e32 v76, 0x420, v22
	v_add_nc_u32_e32 v77, 0x840, v22
	;; [unrolled: 1-line block ×3, first 2 shown]
	s_wait_alu 0xfffe
	s_cmp_lt_i32 s16, s11
	v_add_nc_u32_e32 v79, 0x1080, v22
	v_add_nc_u32_e32 v80, 0x14a0, v22
	;; [unrolled: 1-line block ×10, first 2 shown]
	s_wait_loadcnt 0x14
	ds_store_b32 v22, v89
	s_wait_loadcnt 0x13
	ds_store_b32 v76, v90
	;; [unrolled: 2-line block ×21, first 2 shown]
	s_cbranch_scc0 .LBB227_4
; %bb.6:                                ;   in Loop: Header=BB227_5 Depth=1
	s_lshl_b32 s17, s14, 3
	s_wait_alu 0xfffe
	v_add_nc_u32_e32 v3, s17, v18
	s_delay_alu instid0(VALU_DEP_1)
	v_cmp_gt_i32_e64 s1, s5, v3
	s_and_b32 s20, s0, s1
	s_wait_alu 0xfffe
	s_and_saveexec_b32 s1, s20
	s_cbranch_execz .LBB227_8
; %bb.7:                                ;   in Loop: Header=BB227_5 Depth=1
	v_add_nc_u32_e32 v3, v52, v3
	s_delay_alu instid0(VALU_DEP_1)
	v_mad_co_i64_i32 v[3:4], null, v3, 36, v[0:1]
	global_load_b32 v3, v[3:4], off offset:4
	s_wait_loadcnt 0x0
	ds_store_b32 v45, v3
.LBB227_8:                              ;   in Loop: Header=BB227_5 Depth=1
	s_wait_alu 0xfffe
	s_or_b32 exec_lo, exec_lo, s1
	v_add_nc_u32_e32 v71, s17, v12
	s_delay_alu instid0(VALU_DEP_1)
	v_cmp_gt_i32_e64 s1, s5, v71
	s_and_b32 s20, s19, s1
	s_wait_alu 0xfffe
	s_and_saveexec_b32 s1, s20
	s_cbranch_execz .LBB227_10
; %bb.9:                                ;   in Loop: Header=BB227_5 Depth=1
	v_add_nc_u32_e32 v3, v52, v71
	s_delay_alu instid0(VALU_DEP_1)
	v_mad_co_i64_i32 v[3:4], null, v3, 36, s[2:3]
	global_load_b32 v3, v[3:4], off
	s_wait_loadcnt 0x0
	v_cvt_f32_f16_e32 v3, v3
	ds_store_b32 v48, v3
.LBB227_10:                             ;   in Loop: Header=BB227_5 Depth=1
	s_wait_alu 0xfffe
	s_or_b32 exec_lo, exec_lo, s1
	v_dual_mov_b32 v72, v46 :: v_dual_mov_b32 v73, v44
	s_mov_b32 s1, 0
	s_wait_dscnt 0x0
	s_barrier_signal -1
	s_barrier_wait -1
	global_inv scope:SCOPE_SE
.LBB227_11:                             ;   Parent Loop BB227_5 Depth=1
                                        ; =>  This Inner Loop Header: Depth=2
	ds_load_b128 v[3:6], v73 offset:16
	ds_load_b128 v[7:10], v73
	s_wait_alu 0xfffe
	s_and_b32 s20, s1, 0x3ffffff8
	v_add_nc_u32_e32 v73, 32, v73
	s_wait_alu 0xfffe
	v_lshl_add_u32 v104, s20, 2, v53
	s_and_b32 s20, s1, -16
	s_wait_alu 0xfffe
	s_add_co_i32 s20, s1, s20
	s_delay_alu instid0(VALU_DEP_1)
	v_add_nc_u32_e32 v111, 0x2108, v104
	v_add_nc_u32_e32 v113, 0x2110, v104
	;; [unrolled: 1-line block ×4, first 2 shown]
	s_wait_dscnt 0x1
	v_lshrrev_b16 v106, 8, v3
	s_wait_dscnt 0x0
	v_ashrrev_i32_e32 v85, 24, v7
	v_bfe_i32 v97, v8, 8, 8
	v_bfe_i32 v99, v7, 0, 8
	;; [unrolled: 1-line block ×3, first 2 shown]
	v_ashrrev_i32_e32 v96, 24, v8
	v_bfe_i32 v93, v7, 8, 8
	v_bfe_i32 v101, v8, 0, 8
	v_bfe_i32 v98, v8, 16, 8
	v_lshrrev_b16 v100, 8, v9
	v_ashrrev_i32_e32 v81, 24, v9
	v_bfe_i32 v82, v9, 16, 8
	v_bfe_i32 v103, v9, 0, 8
	v_lshrrev_b16 v102, 8, v10
	v_ashrrev_i32_e32 v74, 24, v10
	v_bfe_i32 v75, v10, 16, 8
	v_bfe_i32 v78, v10, 0, 8
	v_ashrrev_i32_e32 v90, 24, v3
	v_bfe_i32 v94, v3, 0, 8
	v_bfe_i32 v88, v3, 16, 8
	v_lshrrev_b16 v105, 8, v4
	v_ashrrev_i32_e32 v91, 24, v4
	v_bfe_i32 v95, v4, 0, 8
	v_bfe_i32 v89, v4, 16, 8
	v_ashrrev_i32_e32 v83, 24, v5
	v_bfe_i32 v84, v5, 16, 8
	v_bfe_i32 v87, v5, 0, 8
	;; [unrolled: 1-line block ×3, first 2 shown]
	v_ashrrev_i32_e32 v76, 24, v6
	v_bfe_i32 v77, v6, 16, 8
	v_bfe_i32 v80, v6, 0, 8
	;; [unrolled: 1-line block ×3, first 2 shown]
	ds_load_2addr_b32 v[9:10], v104 offset1:1
	ds_load_2addr_b32 v[5:6], v104 offset0:2 offset1:3
	ds_load_2addr_b32 v[7:8], v104 offset0:4 offset1:5
	;; [unrolled: 1-line block ×3, first 2 shown]
	v_bfe_i32 v123, v106, 0, 8
	v_bfe_i32 v127, v105, 0, 8
	;; [unrolled: 1-line block ×4, first 2 shown]
	s_wait_dscnt 0x3
	v_ashrrev_i32_e32 v10, s1, v10
	v_ashrrev_i32_e32 v124, s1, v9
	s_wait_dscnt 0x1
	v_ashrrev_i32_e32 v7, s1, v7
	v_ashrrev_i32_e32 v5, s1, v5
	;; [unrolled: 1-line block ×3, first 2 shown]
	v_and_b32_e32 v107, 3, v10
	v_bfe_u32 v108, v10, 8, 2
	v_and_b32_e32 v106, 3, v7
	v_and_b32_e32 v9, 3, v124
	;; [unrolled: 1-line block ×3, first 2 shown]
	v_mul_i32_i24_e32 v107, v107, v101
	s_wait_dscnt 0x0
	v_ashrrev_i32_e32 v3, s1, v3
	v_mul_i32_i24_e32 v106, v106, v94
	v_mul_i32_i24_e32 v9, v99, v9
	;; [unrolled: 1-line block ×3, first 2 shown]
	v_mad_i32_i24 v107, v108, v97, v107
	v_bfe_u32 v108, v10, 16, 2
	v_bfe_u32 v10, v10, 24, 2
	v_ashrrev_i32_e32 v6, s1, v6
	v_ashrrev_i32_e32 v4, s1, v4
	s_delay_alu instid0(VALU_DEP_4) | instskip(NEXT) | instid1(VALU_DEP_4)
	v_mul_i32_i24_e32 v108, v108, v98
	v_mul_i32_i24_e32 v10, v10, v96
	s_delay_alu instid0(VALU_DEP_1) | instskip(SKIP_1) | instid1(VALU_DEP_1)
	v_add3_u32 v10, v107, v108, v10
	v_bfe_u32 v107, v7, 8, 2
	v_mad_i32_i24 v106, v107, v123, v106
	v_bfe_u32 v107, v7, 16, 2
	v_bfe_u32 v7, v7, 24, 2
	s_delay_alu instid0(VALU_DEP_2) | instskip(NEXT) | instid1(VALU_DEP_2)
	v_mul_i32_i24_e32 v107, v107, v88
	v_mul_i32_i24_e32 v7, v7, v90
	s_delay_alu instid0(VALU_DEP_1) | instskip(SKIP_2) | instid1(VALU_DEP_2)
	v_add3_u32 v7, v106, v107, v7
	v_and_b32_e32 v106, 3, v5
	v_add_nc_u32_e32 v107, 0x1098, v104
	v_mul_i32_i24_e32 v106, v106, v103
	s_delay_alu instid0(VALU_DEP_1) | instskip(SKIP_1) | instid1(VALU_DEP_1)
	v_add3_u32 v125, v10, v106, v9
	v_bfe_u32 v9, v126, 8, 2
	v_mul_i32_i24_e32 v9, v9, v127
	s_delay_alu instid0(VALU_DEP_1)
	v_add3_u32 v128, v7, v8, v9
	v_add_nc_u32_e32 v7, 0x1080, v104
	v_add_nc_u32_e32 v9, 0x1088, v104
	ds_load_2addr_b32 v[7:8], v7 offset1:1
	ds_load_2addr_b32 v[9:10], v9 offset1:1
	s_wait_dscnt 0x1
	v_ashrrev_i32_e32 v8, s1, v8
	v_ashrrev_i32_e32 v7, s1, v7
	s_wait_dscnt 0x0
	v_ashrrev_i32_e32 v9, s1, v9
	s_delay_alu instid0(VALU_DEP_3) | instskip(SKIP_1) | instid1(VALU_DEP_2)
	v_and_b32_e32 v105, 3, v8
	v_bfe_u32 v106, v8, 8, 2
	v_mul_i32_i24_e32 v105, v105, v101
	s_delay_alu instid0(VALU_DEP_1) | instskip(SKIP_2) | instid1(VALU_DEP_2)
	v_mad_i32_i24 v105, v106, v97, v105
	v_bfe_u32 v106, v8, 16, 2
	v_bfe_u32 v8, v8, 24, 2
	v_mul_i32_i24_e32 v106, v106, v98
	s_delay_alu instid0(VALU_DEP_2) | instskip(NEXT) | instid1(VALU_DEP_1)
	v_mul_i32_i24_e32 v8, v8, v96
	v_add3_u32 v8, v105, v106, v8
	s_wait_alu 0xfffe
	v_add_nc_u32_e32 v105, s20, v57
	ds_load_u16 v129, v105 offset:17920
	v_add_nc_u32_e32 v105, 0x1090, v104
	ds_load_2addr_b32 v[105:106], v105 offset1:1
	ds_load_2addr_b32 v[107:108], v107 offset1:1
	s_wait_dscnt 0x1
	v_ashrrev_i32_e32 v105, s1, v105
	v_ashrrev_i32_e32 v106, s1, v106
	s_delay_alu instid0(VALU_DEP_2) | instskip(SKIP_1) | instid1(VALU_DEP_2)
	v_and_b32_e32 v109, 3, v105
	v_bfe_u32 v110, v105, 8, 2
	v_mul_i32_i24_e32 v109, v109, v94
	s_delay_alu instid0(VALU_DEP_1) | instskip(SKIP_2) | instid1(VALU_DEP_2)
	v_mad_i32_i24 v109, v110, v123, v109
	v_bfe_u32 v110, v105, 16, 2
	v_bfe_u32 v105, v105, 24, 2
	v_mul_i32_i24_e32 v110, v110, v88
	s_delay_alu instid0(VALU_DEP_2) | instskip(NEXT) | instid1(VALU_DEP_1)
	v_mul_i32_i24_e32 v105, v105, v90
	v_add3_u32 v130, v109, v110, v105
	v_add_nc_u32_e32 v105, 0x2100, v104
	ds_load_2addr_b32 v[109:110], v105 offset1:1
	ds_load_2addr_b32 v[111:112], v111 offset1:1
	;; [unrolled: 1-line block ×4, first 2 shown]
	s_wait_dscnt 0x3
	v_ashrrev_i32_e32 v105, s1, v110
	v_ashrrev_i32_e32 v109, s1, v109
	s_wait_dscnt 0x2
	v_ashrrev_i32_e32 v111, s1, v111
	s_wait_dscnt 0x1
	v_ashrrev_i32_e32 v114, s1, v114
	v_and_b32_e32 v110, 3, v105
	v_bfe_u32 v117, v105, 8, 2
	s_delay_alu instid0(VALU_DEP_2) | instskip(NEXT) | instid1(VALU_DEP_1)
	v_mul_i32_i24_e32 v110, v110, v101
	v_mad_i32_i24 v110, v117, v97, v110
	v_bfe_u32 v117, v105, 16, 2
	v_bfe_u32 v105, v105, 24, 2
	s_delay_alu instid0(VALU_DEP_2) | instskip(NEXT) | instid1(VALU_DEP_2)
	v_mul_i32_i24_e32 v117, v117, v98
	v_mul_i32_i24_e32 v105, v105, v96
	s_delay_alu instid0(VALU_DEP_1) | instskip(SKIP_1) | instid1(VALU_DEP_1)
	v_add3_u32 v110, v110, v117, v105
	v_ashrrev_i32_e32 v105, s1, v113
	v_and_b32_e32 v113, 3, v105
	v_bfe_u32 v117, v105, 8, 2
	s_delay_alu instid0(VALU_DEP_2) | instskip(NEXT) | instid1(VALU_DEP_1)
	v_mul_i32_i24_e32 v113, v113, v94
	v_mad_i32_i24 v113, v117, v123, v113
	v_bfe_u32 v117, v105, 16, 2
	v_bfe_u32 v105, v105, 24, 2
	s_delay_alu instid0(VALU_DEP_2) | instskip(NEXT) | instid1(VALU_DEP_2)
	v_mul_i32_i24_e32 v117, v117, v88
	v_mul_i32_i24_e32 v105, v105, v90
	s_delay_alu instid0(VALU_DEP_1)
	v_add3_u32 v113, v113, v117, v105
	v_add_nc_u32_e32 v105, 0x3180, v104
	ds_load_2addr_b32 v[117:118], v105 offset1:1
	ds_load_2addr_b32 v[119:120], v119 offset1:1
	s_wait_dscnt 0x1
	v_ashrrev_i32_e32 v105, s1, v118
	v_ashrrev_i32_e32 v117, s1, v117
	s_wait_dscnt 0x0
	v_ashrrev_i32_e32 v119, s1, v119
	s_delay_alu instid0(VALU_DEP_3) | instskip(SKIP_1) | instid1(VALU_DEP_2)
	v_and_b32_e32 v118, 3, v105
	v_bfe_u32 v121, v105, 8, 2
	v_mul_i32_i24_e32 v118, v118, v101
	s_delay_alu instid0(VALU_DEP_1) | instskip(SKIP_3) | instid1(VALU_DEP_3)
	v_mad_i32_i24 v118, v121, v97, v118
	v_bfe_u32 v121, v105, 16, 2
	v_bfe_u32 v105, v105, 24, 2
	v_add_nc_u32_e32 v97, v93, v97
	v_mul_i32_i24_e32 v121, v121, v98
	s_delay_alu instid0(VALU_DEP_3) | instskip(NEXT) | instid1(VALU_DEP_3)
	v_mul_i32_i24_e32 v105, v105, v96
	v_add3_u32 v97, v97, v100, v102
	v_add_nc_u32_e32 v96, v96, v85
	v_add_nc_u32_e32 v98, v98, v92
	s_delay_alu instid0(VALU_DEP_4)
	v_add3_u32 v118, v118, v121, v105
	v_add_nc_u32_e32 v105, 0x3190, v104
	v_add_nc_u32_e32 v121, 0x3198, v104
	;; [unrolled: 1-line block ×3, first 2 shown]
	ds_load_u16 v131, v104 offset:19968
	ds_load_2addr_b32 v[104:105], v105 offset1:1
	ds_load_2addr_b32 v[121:122], v121 offset1:1
	v_add3_u32 v96, v96, v81, v74
	v_add3_u32 v98, v98, v82, v75
	s_wait_dscnt 0x1
	v_ashrrev_i32_e32 v104, s1, v104
	v_ashrrev_i32_e32 v105, s1, v105
	s_delay_alu instid0(VALU_DEP_2) | instskip(SKIP_1) | instid1(VALU_DEP_2)
	v_and_b32_e32 v132, 3, v104
	v_bfe_u32 v133, v104, 8, 2
	v_mul_i32_i24_e32 v132, v132, v94
	v_add_nc_u32_e32 v94, v95, v94
	s_delay_alu instid0(VALU_DEP_2) | instskip(SKIP_2) | instid1(VALU_DEP_4)
	v_mad_i32_i24 v132, v133, v123, v132
	v_bfe_u32 v133, v104, 16, 2
	v_bfe_u32 v104, v104, 24, 2
	v_add3_u32 v94, v94, v87, v80
	s_delay_alu instid0(VALU_DEP_3) | instskip(NEXT) | instid1(VALU_DEP_3)
	v_mul_i32_i24_e32 v133, v133, v88
	v_mul_i32_i24_e32 v104, v104, v90
	v_add_nc_u32_e32 v90, v91, v90
	v_add_nc_u32_e32 v88, v89, v88
	s_delay_alu instid0(VALU_DEP_3)
	v_add3_u32 v104, v132, v133, v104
	v_bfe_u32 v132, v124, 8, 2
	v_bfe_u32 v133, v124, 16, 2
	;; [unrolled: 1-line block ×3, first 2 shown]
	v_add3_u32 v90, v90, v83, v76
	v_add3_u32 v88, v88, v84, v77
	v_mul_i32_i24_e32 v132, v93, v132
	v_mul_i32_i24_e32 v133, v92, v133
	;; [unrolled: 1-line block ×3, first 2 shown]
	s_delay_alu instid0(VALU_DEP_2) | instskip(SKIP_2) | instid1(VALU_DEP_2)
	v_add3_u32 v125, v125, v132, v133
	v_bfe_u32 v132, v126, 16, 2
	v_bfe_u32 v126, v126, 24, 2
	v_mul_i32_i24_e32 v132, v132, v89
	s_delay_alu instid0(VALU_DEP_2) | instskip(NEXT) | instid1(VALU_DEP_1)
	v_mul_i32_i24_e32 v126, v126, v91
	v_add3_u32 v126, v128, v132, v126
	v_and_b32_e32 v128, 3, v7
	v_and_b32_e32 v132, 3, v9
	s_delay_alu instid0(VALU_DEP_2) | instskip(NEXT) | instid1(VALU_DEP_2)
	v_mul_i32_i24_e32 v128, v99, v128
	v_mul_i32_i24_e32 v132, v132, v103
	s_delay_alu instid0(VALU_DEP_1) | instskip(SKIP_2) | instid1(VALU_DEP_2)
	v_add3_u32 v8, v8, v132, v128
	v_and_b32_e32 v128, 3, v106
	v_bfe_u32 v132, v106, 8, 2
	v_mul_i32_i24_e32 v128, v128, v95
	s_delay_alu instid0(VALU_DEP_2) | instskip(NEXT) | instid1(VALU_DEP_1)
	v_mul_i32_i24_e32 v132, v132, v127
	v_add3_u32 v128, v130, v128, v132
	v_and_b32_e32 v130, 3, v109
	v_and_b32_e32 v132, 3, v111
	s_delay_alu instid0(VALU_DEP_2) | instskip(NEXT) | instid1(VALU_DEP_2)
	v_mul_i32_i24_e32 v130, v99, v130
	v_mul_i32_i24_e32 v132, v132, v103
	s_delay_alu instid0(VALU_DEP_1) | instskip(SKIP_2) | instid1(VALU_DEP_2)
	v_add3_u32 v110, v110, v132, v130
	v_and_b32_e32 v130, 3, v114
	v_bfe_u32 v132, v114, 8, 2
	v_mul_i32_i24_e32 v130, v130, v95
	s_delay_alu instid0(VALU_DEP_2) | instskip(NEXT) | instid1(VALU_DEP_1)
	v_mul_i32_i24_e32 v132, v132, v127
	v_add3_u32 v113, v113, v130, v132
	v_and_b32_e32 v130, 3, v117
	v_and_b32_e32 v132, 3, v119
	s_delay_alu instid0(VALU_DEP_2) | instskip(SKIP_2) | instid1(VALU_DEP_4)
	v_mul_i32_i24_e32 v130, v99, v130
	v_add_nc_u32_e32 v99, v101, v99
	v_add_nc_u32_e32 v101, 0x4200, v54
	v_mul_i32_i24_e32 v132, v132, v103
	s_delay_alu instid0(VALU_DEP_3) | instskip(NEXT) | instid1(VALU_DEP_3)
	v_add3_u32 v99, v99, v103, v78
	v_add_nc_u32_e32 v101, s20, v101
	s_delay_alu instid0(VALU_DEP_3)
	v_add3_u32 v118, v118, v132, v130
	v_and_b32_e32 v130, 3, v105
	v_bfe_u32 v132, v105, 8, 2
	ds_load_u16 v101, v101
	v_mul_i32_i24_e32 v130, v130, v95
	v_mul_i32_i24_e32 v132, v132, v127
	v_add_nc_u32_e32 v95, v127, v123
	s_delay_alu instid0(VALU_DEP_2) | instskip(NEXT) | instid1(VALU_DEP_2)
	v_add3_u32 v104, v104, v130, v132
	v_add3_u32 v95, v95, v86, v79
	s_wait_dscnt 0x0
	v_bfe_u32 v103, v101, 4, 4
	s_delay_alu instid0(VALU_DEP_1) | instskip(NEXT) | instid1(VALU_DEP_1)
	v_mul_lo_u32 v103, 0x1010101, v103
	v_bfe_i32 v130, v103, 0, 8
	v_bfe_i32 v132, v103, 8, 8
	s_delay_alu instid0(VALU_DEP_2) | instskip(NEXT) | instid1(VALU_DEP_1)
	v_mul_i32_i24_e32 v130, v99, v130
	v_mad_i32_i24 v130, v97, v132, v130
	v_lshrrev_b32_e32 v132, 24, v103
	v_bfe_i32 v103, v103, 16, 8
	s_delay_alu instid0(VALU_DEP_2) | instskip(NEXT) | instid1(VALU_DEP_2)
	v_mul_i32_i24_e32 v132, v96, v132
	v_mul_i32_i24_e32 v103, v98, v103
	s_delay_alu instid0(VALU_DEP_1) | instskip(SKIP_1) | instid1(VALU_DEP_1)
	v_add3_u32 v103, v130, v103, v132
	v_bfe_u32 v130, v129, 4, 4
	v_mul_lo_u32 v130, 0x1010101, v130
	s_delay_alu instid0(VALU_DEP_1) | instskip(SKIP_1) | instid1(VALU_DEP_2)
	v_bfe_i32 v132, v130, 0, 8
	v_bfe_i32 v133, v130, 8, 8
	v_mul_i32_i24_e32 v132, v99, v132
	s_delay_alu instid0(VALU_DEP_1) | instskip(SKIP_2) | instid1(VALU_DEP_2)
	v_mad_i32_i24 v132, v97, v133, v132
	v_lshrrev_b32_e32 v133, 24, v130
	v_bfe_i32 v130, v130, 16, 8
	v_mul_i32_i24_e32 v133, v96, v133
	s_delay_alu instid0(VALU_DEP_2) | instskip(NEXT) | instid1(VALU_DEP_1)
	v_mul_i32_i24_e32 v130, v98, v130
	v_add3_u32 v130, v132, v130, v133
	v_add_nc_u32_e32 v132, s20, v58
	s_lshr_b32 s20, s1, 2
	s_wait_alu 0xfffe
	s_and_b32 s20, s20, 0x3ffffffc
	ds_load_u16 v132, v132 offset:18944
	s_wait_alu 0xfffe
	s_addk_co_i32 s20, 0x5280
	s_wait_dscnt 0x0
	v_bfe_u32 v133, v132, 4, 4
	s_delay_alu instid0(VALU_DEP_1) | instskip(NEXT) | instid1(VALU_DEP_1)
	v_mul_lo_u32 v133, 0x1010101, v133
	v_bfe_i32 v134, v133, 0, 8
	v_bfe_i32 v135, v133, 8, 8
	s_delay_alu instid0(VALU_DEP_2) | instskip(NEXT) | instid1(VALU_DEP_1)
	v_mul_i32_i24_e32 v134, v99, v134
	v_mad_i32_i24 v134, v97, v135, v134
	v_lshrrev_b32_e32 v135, 24, v133
	v_bfe_i32 v133, v133, 16, 8
	s_delay_alu instid0(VALU_DEP_2) | instskip(NEXT) | instid1(VALU_DEP_2)
	v_mul_i32_i24_e32 v135, v96, v135
	v_mul_i32_i24_e32 v133, v98, v133
	s_delay_alu instid0(VALU_DEP_1) | instskip(SKIP_1) | instid1(VALU_DEP_1)
	v_add3_u32 v133, v134, v133, v135
	v_bfe_u32 v134, v5, 8, 2
	v_mul_i32_i24_e32 v134, v134, v100
	s_delay_alu instid0(VALU_DEP_1) | instskip(SKIP_2) | instid1(VALU_DEP_2)
	v_add3_u32 v124, v125, v124, v134
	v_and_b32_e32 v125, 3, v3
	v_bfe_u32 v134, v3, 8, 2
	v_mul_i32_i24_e32 v125, v125, v87
	s_delay_alu instid0(VALU_DEP_2) | instskip(NEXT) | instid1(VALU_DEP_1)
	v_mul_i32_i24_e32 v134, v134, v86
	v_add3_u32 v125, v126, v125, v134
	v_bfe_u32 v126, v7, 8, 2
	v_bfe_u32 v134, v7, 16, 2
	;; [unrolled: 1-line block ×3, first 2 shown]
	s_delay_alu instid0(VALU_DEP_3) | instskip(NEXT) | instid1(VALU_DEP_3)
	v_mul_i32_i24_e32 v126, v93, v126
	v_mul_i32_i24_e32 v134, v92, v134
	s_delay_alu instid0(VALU_DEP_3) | instskip(NEXT) | instid1(VALU_DEP_2)
	v_mul_i32_i24_e32 v7, v85, v7
	v_add3_u32 v8, v8, v126, v134
	v_bfe_u32 v126, v106, 16, 2
	v_bfe_u32 v106, v106, 24, 2
	s_delay_alu instid0(VALU_DEP_2) | instskip(NEXT) | instid1(VALU_DEP_2)
	v_mul_i32_i24_e32 v126, v126, v89
	v_mul_i32_i24_e32 v106, v106, v91
	s_delay_alu instid0(VALU_DEP_1) | instskip(SKIP_2) | instid1(VALU_DEP_2)
	v_add3_u32 v106, v128, v126, v106
	v_bfe_u32 v126, v109, 8, 2
	v_bfe_u32 v128, v109, 16, 2
	v_mul_i32_i24_e32 v126, v93, v126
	s_delay_alu instid0(VALU_DEP_2) | instskip(NEXT) | instid1(VALU_DEP_1)
	v_mul_i32_i24_e32 v128, v92, v128
	v_add3_u32 v110, v110, v126, v128
	v_bfe_u32 v126, v114, 16, 2
	v_bfe_u32 v114, v114, 24, 2
	s_delay_alu instid0(VALU_DEP_2) | instskip(NEXT) | instid1(VALU_DEP_2)
	v_mul_i32_i24_e32 v126, v126, v89
	v_mul_i32_i24_e32 v114, v114, v91
	s_delay_alu instid0(VALU_DEP_1) | instskip(SKIP_1) | instid1(VALU_DEP_1)
	v_add3_u32 v113, v113, v126, v114
	v_bfe_u32 v114, v117, 8, 2
	v_mul_i32_i24_e32 v93, v93, v114
	v_bfe_u32 v114, v117, 16, 2
	s_delay_alu instid0(VALU_DEP_1) | instskip(NEXT) | instid1(VALU_DEP_1)
	v_mul_i32_i24_e32 v92, v92, v114
	v_add3_u32 v92, v118, v93, v92
	v_bfe_u32 v93, v105, 16, 2
	v_bfe_u32 v105, v105, 24, 2
	s_delay_alu instid0(VALU_DEP_2) | instskip(NEXT) | instid1(VALU_DEP_2)
	v_mul_i32_i24_e32 v93, v93, v89
	v_mul_i32_i24_e32 v105, v105, v91
	v_lshrrev_b16 v91, 8, v131
	s_delay_alu instid0(VALU_DEP_2) | instskip(SKIP_1) | instid1(VALU_DEP_3)
	v_add3_u32 v93, v104, v93, v105
	v_lshrrev_b16 v104, 8, v101
	v_and_b32_e32 v91, 0xffff, v91
	s_delay_alu instid0(VALU_DEP_2) | instskip(NEXT) | instid1(VALU_DEP_1)
	v_and_b32_e32 v104, 0xffff, v104
	v_lshrrev_b32_e32 v105, 4, v104
	s_delay_alu instid0(VALU_DEP_1) | instskip(NEXT) | instid1(VALU_DEP_1)
	v_mul_lo_u32 v105, 0x1010101, v105
	v_bfe_i32 v114, v105, 0, 8
	v_bfe_i32 v118, v105, 8, 8
	s_delay_alu instid0(VALU_DEP_2) | instskip(NEXT) | instid1(VALU_DEP_2)
	v_mul_i32_i24_e32 v114, v94, v114
	v_mul_i32_i24_e32 v118, v95, v118
	s_delay_alu instid0(VALU_DEP_1) | instskip(SKIP_1) | instid1(VALU_DEP_1)
	v_add3_u32 v103, v103, v114, v118
	v_lshrrev_b16 v114, 8, v129
	v_and_b32_e32 v114, 0xffff, v114
	s_delay_alu instid0(VALU_DEP_1) | instskip(NEXT) | instid1(VALU_DEP_1)
	v_lshrrev_b32_e32 v118, 4, v114
	v_mul_lo_u32 v118, 0x1010101, v118
	s_delay_alu instid0(VALU_DEP_1) | instskip(SKIP_1) | instid1(VALU_DEP_2)
	v_bfe_i32 v123, v118, 0, 8
	v_bfe_i32 v126, v118, 8, 8
	v_mul_i32_i24_e32 v123, v94, v123
	s_delay_alu instid0(VALU_DEP_2) | instskip(NEXT) | instid1(VALU_DEP_1)
	v_mul_i32_i24_e32 v126, v95, v126
	v_add3_u32 v123, v130, v123, v126
	v_lshrrev_b16 v126, 8, v132
	s_delay_alu instid0(VALU_DEP_1) | instskip(NEXT) | instid1(VALU_DEP_1)
	v_and_b32_e32 v126, 0xffff, v126
	v_lshrrev_b32_e32 v127, 4, v126
	s_delay_alu instid0(VALU_DEP_1) | instskip(NEXT) | instid1(VALU_DEP_1)
	v_mul_lo_u32 v127, 0x1010101, v127
	v_bfe_i32 v128, v127, 0, 8
	v_bfe_i32 v130, v127, 8, 8
	s_delay_alu instid0(VALU_DEP_2) | instskip(NEXT) | instid1(VALU_DEP_2)
	v_mul_i32_i24_e32 v128, v94, v128
	v_mul_i32_i24_e32 v130, v95, v130
	s_delay_alu instid0(VALU_DEP_1) | instskip(SKIP_2) | instid1(VALU_DEP_2)
	v_add3_u32 v128, v133, v128, v130
	v_lshrrev_b32_e32 v133, 4, v91
	v_bfe_u32 v130, v131, 4, 4
	v_mul_lo_u32 v133, 0x1010101, v133
	s_delay_alu instid0(VALU_DEP_2) | instskip(NEXT) | instid1(VALU_DEP_2)
	v_mul_lo_u32 v130, 0x1010101, v130
	v_lshrrev_b32_e32 v134, 24, v133
	s_delay_alu instid0(VALU_DEP_2) | instskip(SKIP_1) | instid1(VALU_DEP_3)
	v_lshrrev_b32_e32 v135, 24, v130
	v_bfe_i32 v89, v133, 16, 8
	v_mul_i32_i24_e32 v134, v90, v134
	s_delay_alu instid0(VALU_DEP_2) | instskip(NEXT) | instid1(VALU_DEP_2)
	v_mul_i32_i24_e32 v89, v88, v89
	v_mad_i32_i24 v96, v96, v135, v134
	v_bfe_i32 v134, v130, 16, 8
	s_delay_alu instid0(VALU_DEP_1) | instskip(SKIP_1) | instid1(VALU_DEP_1)
	v_mad_i32_i24 v89, v98, v134, v89
	v_bfe_i32 v98, v133, 0, 8
	v_mul_i32_i24_e32 v94, v94, v98
	v_bfe_i32 v98, v130, 0, 8
	s_delay_alu instid0(VALU_DEP_1) | instskip(SKIP_2) | instid1(VALU_DEP_2)
	v_mad_i32_i24 v94, v99, v98, v94
	v_bfe_u32 v98, v5, 16, 2
	v_bfe_u32 v5, v5, 24, 2
	v_mul_i32_i24_e32 v98, v98, v82
	s_delay_alu instid0(VALU_DEP_2) | instskip(NEXT) | instid1(VALU_DEP_1)
	v_mul_i32_i24_e32 v5, v5, v81
	v_add3_u32 v5, v124, v98, v5
	v_bfe_u32 v98, v3, 16, 2
	v_bfe_u32 v3, v3, 24, 2
	s_delay_alu instid0(VALU_DEP_2) | instskip(NEXT) | instid1(VALU_DEP_2)
	v_mul_i32_i24_e32 v98, v98, v84
	v_mul_i32_i24_e32 v3, v3, v83
	s_delay_alu instid0(VALU_DEP_1) | instskip(SKIP_1) | instid1(VALU_DEP_1)
	v_add3_u32 v3, v125, v98, v3
	v_bfe_u32 v98, v9, 8, 2
	v_mul_i32_i24_e32 v98, v98, v100
	s_delay_alu instid0(VALU_DEP_1) | instskip(SKIP_1) | instid1(VALU_DEP_1)
	v_add3_u32 v7, v8, v7, v98
	v_ashrrev_i32_e32 v8, s1, v107
	v_and_b32_e32 v98, 3, v8
	v_bfe_u32 v99, v8, 8, 2
	s_delay_alu instid0(VALU_DEP_2) | instskip(NEXT) | instid1(VALU_DEP_2)
	v_mul_i32_i24_e32 v98, v98, v87
	v_mul_i32_i24_e32 v99, v99, v86
	s_delay_alu instid0(VALU_DEP_1) | instskip(SKIP_2) | instid1(VALU_DEP_2)
	v_add3_u32 v98, v106, v98, v99
	v_bfe_u32 v99, v109, 24, 2
	v_bfe_u32 v106, v111, 8, 2
	v_mul_i32_i24_e32 v99, v85, v99
	s_delay_alu instid0(VALU_DEP_2) | instskip(NEXT) | instid1(VALU_DEP_1)
	v_mul_i32_i24_e32 v106, v106, v100
	v_add3_u32 v99, v110, v99, v106
	v_ashrrev_i32_e32 v106, s1, v115
	s_delay_alu instid0(VALU_DEP_1) | instskip(SKIP_1) | instid1(VALU_DEP_2)
	v_and_b32_e32 v107, 3, v106
	v_bfe_u32 v109, v106, 8, 2
	v_mul_i32_i24_e32 v107, v107, v87
	s_delay_alu instid0(VALU_DEP_2) | instskip(NEXT) | instid1(VALU_DEP_1)
	v_mul_i32_i24_e32 v109, v109, v86
	v_add3_u32 v107, v113, v107, v109
	v_bfe_u32 v109, v117, 24, 2
	s_delay_alu instid0(VALU_DEP_1) | instskip(SKIP_1) | instid1(VALU_DEP_1)
	v_mul_i32_i24_e32 v85, v85, v109
	v_bfe_u32 v109, v119, 8, 2
	v_mul_i32_i24_e32 v100, v109, v100
	s_delay_alu instid0(VALU_DEP_1) | instskip(SKIP_1) | instid1(VALU_DEP_1)
	v_add3_u32 v85, v92, v85, v100
	v_ashrrev_i32_e32 v92, s1, v121
	v_and_b32_e32 v100, 3, v92
	s_delay_alu instid0(VALU_DEP_1) | instskip(SKIP_1) | instid1(VALU_DEP_1)
	v_mul_i32_i24_e32 v87, v100, v87
	v_bfe_u32 v100, v92, 8, 2
	v_mul_i32_i24_e32 v86, v100, v86
	v_lshrrev_b32_e32 v100, 24, v118
	s_delay_alu instid0(VALU_DEP_2) | instskip(SKIP_2) | instid1(VALU_DEP_4)
	v_add3_u32 v86, v93, v87, v86
	v_bfe_i32 v87, v105, 16, 8
	v_lshrrev_b32_e32 v93, 24, v105
	v_mul_i32_i24_e32 v100, v90, v100
	s_delay_alu instid0(VALU_DEP_3) | instskip(NEXT) | instid1(VALU_DEP_3)
	v_mul_i32_i24_e32 v87, v88, v87
	v_mul_i32_i24_e32 v93, v90, v93
	s_delay_alu instid0(VALU_DEP_1) | instskip(SKIP_1) | instid1(VALU_DEP_1)
	v_add3_u32 v87, v103, v87, v93
	v_bfe_i32 v93, v118, 16, 8
	v_mul_i32_i24_e32 v93, v88, v93
	s_delay_alu instid0(VALU_DEP_1) | instskip(SKIP_1) | instid1(VALU_DEP_1)
	v_add3_u32 v93, v123, v93, v100
	v_bfe_i32 v100, v127, 16, 8
	v_mul_i32_i24_e32 v88, v88, v100
	v_lshrrev_b32_e32 v100, 24, v127
	s_delay_alu instid0(VALU_DEP_1) | instskip(NEXT) | instid1(VALU_DEP_1)
	v_mul_i32_i24_e32 v90, v90, v100
	v_add3_u32 v88, v128, v88, v90
	v_lshrrev_b16 v90, 8, v130
	s_delay_alu instid0(VALU_DEP_1) | instskip(NEXT) | instid1(VALU_DEP_1)
	v_bfe_i32 v90, v90, 0, 8
	v_mul_i32_i24_e32 v90, v97, v90
	v_bfe_i32 v97, v133, 8, 8
	s_delay_alu instid0(VALU_DEP_1) | instskip(NEXT) | instid1(VALU_DEP_1)
	v_mul_i32_i24_e32 v95, v95, v97
	v_add3_u32 v90, v90, v95, v96
	v_and_b32_e32 v95, 3, v6
	v_bfe_u32 v96, v6, 8, 2
	s_delay_alu instid0(VALU_DEP_2) | instskip(NEXT) | instid1(VALU_DEP_2)
	v_mul_i32_i24_e32 v95, v95, v78
	v_mul_i32_i24_e32 v96, v96, v102
	s_delay_alu instid0(VALU_DEP_1) | instskip(SKIP_2) | instid1(VALU_DEP_2)
	v_add3_u32 v5, v5, v95, v96
	v_and_b32_e32 v95, 3, v4
	v_bfe_u32 v96, v4, 8, 2
	v_mul_i32_i24_e32 v95, v95, v80
	s_delay_alu instid0(VALU_DEP_2) | instskip(NEXT) | instid1(VALU_DEP_1)
	v_mul_i32_i24_e32 v96, v96, v79
	v_add3_u32 v3, v3, v95, v96
	v_bfe_u32 v95, v9, 16, 2
	v_bfe_u32 v9, v9, 24, 2
	;; [unrolled: 1-line block ×3, first 2 shown]
	s_delay_alu instid0(VALU_DEP_3) | instskip(NEXT) | instid1(VALU_DEP_3)
	v_mul_i32_i24_e32 v95, v95, v82
	v_mul_i32_i24_e32 v9, v9, v81
	s_delay_alu instid0(VALU_DEP_3) | instskip(NEXT) | instid1(VALU_DEP_2)
	v_mul_i32_i24_e32 v96, v96, v83
	v_add3_u32 v7, v7, v95, v9
	v_bfe_u32 v9, v8, 16, 2
	v_bfe_u32 v8, v8, 24, 2
	;; [unrolled: 1-line block ×3, first 2 shown]
	s_delay_alu instid0(VALU_DEP_3) | instskip(NEXT) | instid1(VALU_DEP_3)
	v_mul_i32_i24_e32 v9, v9, v84
	v_mul_i32_i24_e32 v8, v8, v83
	s_delay_alu instid0(VALU_DEP_3) | instskip(NEXT) | instid1(VALU_DEP_2)
	v_mul_i32_i24_e32 v95, v95, v81
	v_add3_u32 v8, v98, v9, v8
	v_bfe_u32 v9, v111, 16, 2
	s_delay_alu instid0(VALU_DEP_1) | instskip(NEXT) | instid1(VALU_DEP_1)
	v_mul_i32_i24_e32 v9, v9, v82
	v_add3_u32 v9, v99, v9, v95
	v_bfe_u32 v95, v106, 16, 2
	s_delay_alu instid0(VALU_DEP_1) | instskip(NEXT) | instid1(VALU_DEP_1)
	v_mul_i32_i24_e32 v95, v95, v84
	v_add3_u32 v95, v107, v95, v96
	v_bfe_u32 v96, v119, 16, 2
	s_delay_alu instid0(VALU_DEP_1) | instskip(SKIP_1) | instid1(VALU_DEP_1)
	v_mul_i32_i24_e32 v82, v96, v82
	v_bfe_u32 v96, v119, 24, 2
	v_mul_i32_i24_e32 v81, v96, v81
	s_delay_alu instid0(VALU_DEP_1) | instskip(SKIP_1) | instid1(VALU_DEP_1)
	v_add3_u32 v81, v85, v82, v81
	v_bfe_u32 v82, v92, 16, 2
	v_mul_i32_i24_e32 v82, v82, v84
	v_bfe_u32 v84, v92, 24, 2
	s_delay_alu instid0(VALU_DEP_1) | instskip(SKIP_2) | instid1(VALU_DEP_3)
	v_mul_i32_i24_e32 v83, v84, v83
	v_bfe_u32 v84, v6, 16, 2
	v_bfe_u32 v6, v6, 24, 2
	v_add3_u32 v82, v86, v82, v83
	s_delay_alu instid0(VALU_DEP_3) | instskip(NEXT) | instid1(VALU_DEP_3)
	v_mul_i32_i24_e32 v84, v84, v75
	v_mul_i32_i24_e32 v6, v6, v74
	v_add3_u32 v83, v94, v89, v90
	s_delay_alu instid0(VALU_DEP_2) | instskip(SKIP_2) | instid1(VALU_DEP_4)
	v_add3_u32 v5, v5, v84, v6
	v_bfe_u32 v6, v4, 16, 2
	v_bfe_u32 v4, v4, 24, 2
	v_cvt_f32_i32_e32 v83, v83
	s_delay_alu instid0(VALU_DEP_3) | instskip(NEXT) | instid1(VALU_DEP_3)
	v_mul_i32_i24_e32 v6, v6, v77
	v_mul_i32_i24_e32 v4, v4, v76
	s_delay_alu instid0(VALU_DEP_1) | instskip(SKIP_1) | instid1(VALU_DEP_1)
	v_add3_u32 v4, v3, v6, v4
	v_ashrrev_i32_e32 v3, s1, v10
	v_and_b32_e32 v6, 3, v3
	v_bfe_u32 v10, v3, 8, 2
	s_delay_alu instid0(VALU_DEP_2) | instskip(NEXT) | instid1(VALU_DEP_2)
	v_mul_i32_i24_e32 v6, v6, v78
	v_mul_i32_i24_e32 v10, v10, v102
	s_delay_alu instid0(VALU_DEP_1) | instskip(SKIP_1) | instid1(VALU_DEP_1)
	v_add3_u32 v6, v7, v6, v10
	v_ashrrev_i32_e32 v7, s1, v108
	v_and_b32_e32 v10, 3, v7
	v_bfe_u32 v84, v7, 8, 2
	s_delay_alu instid0(VALU_DEP_2) | instskip(NEXT) | instid1(VALU_DEP_2)
	;; [unrolled: 8-line block ×4, first 2 shown]
	v_mul_i32_i24_e32 v85, v85, v80
	v_mul_i32_i24_e32 v86, v86, v79
	s_delay_alu instid0(VALU_DEP_1) | instskip(SKIP_1) | instid1(VALU_DEP_1)
	v_add3_u32 v85, v95, v85, v86
	v_ashrrev_i32_e32 v86, s1, v120
	v_and_b32_e32 v89, 3, v86
	s_delay_alu instid0(VALU_DEP_1) | instskip(SKIP_1) | instid1(VALU_DEP_1)
	v_mul_i32_i24_e32 v78, v89, v78
	v_bfe_u32 v89, v86, 8, 2
	v_mul_i32_i24_e32 v89, v89, v102
	s_delay_alu instid0(VALU_DEP_1) | instskip(SKIP_1) | instid1(VALU_DEP_1)
	v_add3_u32 v78, v81, v78, v89
	v_ashrrev_i32_e32 v81, s1, v122
	v_and_b32_e32 v89, 3, v81
	s_delay_alu instid0(VALU_DEP_1) | instskip(SKIP_1) | instid1(VALU_DEP_1)
	v_mul_i32_i24_e32 v80, v89, v80
	v_bfe_u32 v89, v81, 8, 2
	v_mul_i32_i24_e32 v79, v89, v79
	s_delay_alu instid0(VALU_DEP_1) | instskip(SKIP_3) | instid1(VALU_DEP_3)
	v_add3_u32 v79, v82, v80, v79
	v_bfe_u32 v80, v3, 16, 2
	v_bfe_u32 v3, v3, 24, 2
	v_and_b32_e32 v82, 15, v131
	v_mul_i32_i24_e32 v80, v80, v75
	s_delay_alu instid0(VALU_DEP_3) | instskip(NEXT) | instid1(VALU_DEP_1)
	v_mul_i32_i24_e32 v3, v3, v74
	v_add3_u32 v6, v6, v80, v3
	v_bfe_u32 v3, v7, 16, 2
	v_bfe_u32 v7, v7, 24, 2
	s_delay_alu instid0(VALU_DEP_2) | instskip(NEXT) | instid1(VALU_DEP_2)
	v_mul_i32_i24_e32 v3, v3, v77
	v_mul_i32_i24_e32 v7, v7, v76
	s_delay_alu instid0(VALU_DEP_1) | instskip(SKIP_3) | instid1(VALU_DEP_3)
	v_add3_u32 v7, v8, v3, v7
	v_bfe_u32 v3, v10, 16, 2
	v_bfe_u32 v8, v10, 24, 2
	;; [unrolled: 1-line block ×3, first 2 shown]
	v_mul_i32_i24_e32 v3, v3, v75
	s_delay_alu instid0(VALU_DEP_3) | instskip(NEXT) | instid1(VALU_DEP_3)
	v_mul_i32_i24_e32 v8, v8, v74
	v_mul_i32_i24_e32 v10, v10, v74
	s_wait_alu 0xfffe
	v_add3_u32 v74, s20, v67, v68
	s_delay_alu instid0(VALU_DEP_3) | instskip(SKIP_3) | instid1(VALU_DEP_3)
	v_add3_u32 v8, v9, v3, v8
	v_bfe_u32 v3, v84, 16, 2
	v_bfe_u32 v9, v84, 24, 2
	v_cvt_f32_i32_e32 v84, v88
	v_mul_i32_i24_e32 v3, v3, v77
	s_delay_alu instid0(VALU_DEP_3) | instskip(NEXT) | instid1(VALU_DEP_1)
	v_mul_i32_i24_e32 v9, v9, v76
	v_add3_u32 v9, v85, v3, v9
	v_bfe_u32 v3, v86, 16, 2
	s_delay_alu instid0(VALU_DEP_1) | instskip(SKIP_1) | instid1(VALU_DEP_2)
	v_mul_i32_i24_e32 v3, v3, v75
	v_bfe_u32 v75, v81, 24, 2
	v_add3_u32 v10, v78, v3, v10
	v_bfe_u32 v3, v81, 16, 2
	s_delay_alu instid0(VALU_DEP_3)
	v_mul_i32_i24_e32 v75, v75, v76
	v_add3_u32 v78, s20, v69, v70
	v_add3_u32 v76, s20, v63, v64
	ds_load_b32 v74, v74
	ds_load_b32 v76, v76
	v_mul_i32_i24_e32 v3, v3, v77
	ds_load_b32 v77, v72
	v_add_nc_u32_e32 v72, 4, v72
	v_add3_u32 v75, v79, v3, v75
	v_and_b32_e32 v3, 15, v101
	v_and_b32_e32 v79, 15, v104
	s_delay_alu instid0(VALU_DEP_2) | instskip(SKIP_3) | instid1(VALU_DEP_3)
	v_mul_lo_u32 v3, v5, v3
	v_and_b32_e32 v5, 15, v114
	s_wait_dscnt 0x2
	v_lshrrev_b32_e32 v81, 16, v74
	v_mad_co_u64_u32 v[3:4], null, v4, v79, v[3:4]
	v_add3_u32 v4, s20, v65, v66
	ds_load_b32 v78, v78
	ds_load_b32 v79, v4
	v_and_b32_e32 v4, 15, v129
	s_wait_dscnt 0x3
	v_lshrrev_b32_e32 v80, 16, v76
	v_cvt_f32_f16_e32 v81, v81
	v_cvt_f32_i32_e32 v3, v3
	s_add_co_i32 s20, s1, 2
	v_mul_lo_u32 v4, v6, v4
	v_and_b32_e32 v6, 15, v126
	s_cmp_lt_u32 s1, 6
	s_wait_alu 0xfffe
	s_mov_b32 s1, s20
	s_delay_alu instid0(VALU_DEP_2) | instskip(SKIP_3) | instid1(VALU_DEP_2)
	v_mad_co_u64_u32 v[4:5], null, v7, v5, v[4:5]
	v_and_b32_e32 v5, 15, v132
	s_wait_dscnt 0x0
	v_lshrrev_b32_e32 v7, 16, v79
	v_mul_lo_u32 v5, v8, v5
	v_lshrrev_b32_e32 v8, 16, v78
	v_cvt_f32_i32_e32 v4, v4
	s_delay_alu instid0(VALU_DEP_2) | instskip(NEXT) | instid1(VALU_DEP_4)
	v_cvt_f32_f16_e32 v8, v8
	v_mad_co_u64_u32 v[5:6], null, v9, v6, v[5:6]
	v_mul_lo_u32 v6, v10, v82
	v_cvt_f32_f16_e32 v9, v80
	v_cvt_f32_f16_e32 v80, v7
	v_and_b32_e32 v7, 15, v91
	v_cvt_f32_i32_e32 v10, v87
	v_cvt_f32_i32_e32 v82, v93
	v_mul_f32_e32 v8, v8, v83
	v_cvt_f32_i32_e32 v5, v5
	v_mad_co_u64_u32 v[6:7], null, v75, v7, v[6:7]
	v_mul_f32_e32 v7, v9, v10
	v_dual_mul_f32 v9, v80, v82 :: v_dual_mul_f32 v10, v81, v84
	s_delay_alu instid0(VALU_DEP_2) | instskip(NEXT) | instid1(VALU_DEP_4)
	v_fma_mix_f32 v3, v76, v3, -v7 op_sel_hi:[1,0,0]
	v_cvt_f32_i32_e32 v6, v6
	s_delay_alu instid0(VALU_DEP_3) | instskip(NEXT) | instid1(VALU_DEP_4)
	v_fma_mix_f32 v4, v79, v4, -v9 op_sel_hi:[1,0,0]
	v_fma_mix_f32 v5, v74, v5, -v10 op_sel_hi:[1,0,0]
	s_delay_alu instid0(VALU_DEP_4) | instskip(NEXT) | instid1(VALU_DEP_4)
	v_fmac_f32_e32 v13, v77, v3
	v_fma_mix_f32 v6, v78, v6, -v8 op_sel_hi:[1,0,0]
	s_delay_alu instid0(VALU_DEP_4) | instskip(NEXT) | instid1(VALU_DEP_4)
	v_fmac_f32_e32 v47, v77, v4
	v_fmac_f32_e32 v38, v77, v5
	s_delay_alu instid0(VALU_DEP_3)
	v_fmac_f32_e32 v2, v77, v6
	s_cbranch_scc1 .LBB227_11
; %bb.12:                               ;   in Loop: Header=BB227_5 Depth=1
	s_or_b32 s1, s16, 0x80
	s_wait_loadcnt 0x0
	s_wait_alu 0xfffe
	s_cmp_ge_i32 s1, s11
	s_barrier_signal -1
	s_barrier_wait -1
	global_inv scope:SCOPE_SE
	s_cbranch_scc1 .LBB227_4
; %bb.13:                               ;   in Loop: Header=BB227_5 Depth=1
	v_add_nc_u32_e32 v3, s17, v49
	s_delay_alu instid0(VALU_DEP_1)
	v_cmp_gt_i32_e64 s1, s5, v3
	s_and_b32 s20, s0, s1
	s_wait_alu 0xfffe
	s_and_saveexec_b32 s1, s20
	s_cbranch_execz .LBB227_15
; %bb.14:                               ;   in Loop: Header=BB227_5 Depth=1
	v_add_nc_u32_e32 v3, v52, v3
	s_delay_alu instid0(VALU_DEP_1)
	v_mad_co_i64_i32 v[3:4], null, v3, 36, v[0:1]
	global_load_b32 v3, v[3:4], off offset:4
	s_wait_loadcnt 0x0
	ds_store_b32 v45, v3
.LBB227_15:                             ;   in Loop: Header=BB227_5 Depth=1
	s_wait_alu 0xfffe
	s_or_b32 exec_lo, exec_lo, s1
	s_and_saveexec_b32 s20, vcc_lo
	s_cbranch_execz .LBB227_18
; %bb.16:                               ;   in Loop: Header=BB227_5 Depth=1
	v_or_b32_e32 v3, 4, v71
	s_delay_alu instid0(VALU_DEP_1)
	v_cmp_gt_i32_e64 s1, s5, v3
	s_and_b32 s1, s0, s1
	s_wait_alu 0xfffe
	s_and_b32 exec_lo, exec_lo, s1
	s_cbranch_execz .LBB227_18
; %bb.17:                               ;   in Loop: Header=BB227_5 Depth=1
	v_ashrrev_i32_e32 v3, 31, v71
	v_add_co_u32 v4, s1, v52, v71
	s_wait_alu 0xf1ff
	s_delay_alu instid0(VALU_DEP_2) | instskip(NEXT) | instid1(VALU_DEP_2)
	v_add_co_ci_u32_e64 v5, null, v55, v3, s1
	v_mad_co_u64_u32 v[3:4], null, v4, 36, s[2:3]
	s_delay_alu instid0(VALU_DEP_1)
	v_mad_i32_i24 v4, v5, 36, v4
	global_load_b32 v3, v[3:4], off offset:144
	s_wait_loadcnt 0x0
	v_cvt_f32_f16_e32 v3, v3
	ds_store_b32 v48, v3
.LBB227_18:                             ;   in Loop: Header=BB227_5 Depth=1
	s_wait_alu 0xfffe
	s_or_b32 exec_lo, exec_lo, s20
	v_dual_mov_b32 v7, v44 :: v_dual_mov_b32 v8, v46
	s_mov_b32 s1, 8
	s_wait_loadcnt_dscnt 0x0
	s_barrier_signal -1
	s_barrier_wait -1
	global_inv scope:SCOPE_SE
.LBB227_19:                             ;   Parent Loop BB227_5 Depth=1
                                        ; =>  This Inner Loop Header: Depth=2
	ds_load_b128 v[3:6], v7
	ds_load_b128 v[102:105], v7 offset:16
	s_wait_alu 0xfffe
	s_and_b32 s21, s1, 0x3ffffff8
	s_add_co_i32 s20, s1, -8
	s_wait_alu 0xfffe
	v_lshl_add_u32 v84, s21, 2, v53
	s_and_b32 s21, s1, -16
	s_wait_alu 0xfffe
	s_add_co_i32 s21, s1, s21
	s_delay_alu instid0(VALU_DEP_1)
	v_add_nc_u32_e32 v109, 0x1098, v84
	v_add_nc_u32_e32 v113, 0x2108, v84
	;; [unrolled: 1-line block ×3, first 2 shown]
	s_wait_dscnt 0x1
	v_ashrrev_i32_e32 v81, 24, v3
	v_bfe_i32 v95, v4, 8, 8
	v_bfe_i32 v96, v3, 0, 8
	;; [unrolled: 1-line block ×3, first 2 shown]
	v_ashrrev_i32_e32 v93, 24, v4
	v_bfe_i32 v90, v3, 8, 8
	v_bfe_i32 v98, v4, 0, 8
	;; [unrolled: 1-line block ×3, first 2 shown]
	v_lshrrev_b16 v97, 8, v5
	v_ashrrev_i32_e32 v77, 24, v5
	v_bfe_i32 v78, v5, 16, 8
	v_bfe_i32 v100, v5, 0, 8
	v_lshrrev_b16 v99, 8, v6
	v_ashrrev_i32_e32 v9, 24, v6
	v_bfe_i32 v10, v6, 16, 8
	v_bfe_i32 v74, v6, 0, 8
	s_wait_dscnt 0x0
	v_ashrrev_i32_e32 v79, 24, v104
	v_bfe_i32 v80, v104, 16, 8
	v_bfe_i32 v83, v104, 0, 8
	;; [unrolled: 1-line block ×3, first 2 shown]
	v_ashrrev_i32_e32 v72, 24, v105
	v_bfe_i32 v73, v105, 16, 8
	v_bfe_i32 v76, v105, 0, 8
	;; [unrolled: 1-line block ×3, first 2 shown]
	ds_load_2addr_b32 v[5:6], v84 offset1:1
	ds_load_2addr_b32 v[3:4], v84 offset0:2 offset1:3
	ds_load_2addr_b32 v[104:105], v84 offset0:4 offset1:5
	v_lshrrev_b16 v101, 8, v102
	v_ashrrev_i32_e32 v87, 24, v102
	v_bfe_i32 v91, v102, 0, 8
	v_bfe_i32 v85, v102, 16, 8
	v_lshrrev_b16 v102, 8, v103
	v_ashrrev_i32_e32 v88, 24, v103
	v_bfe_i32 v92, v103, 0, 8
	v_bfe_i32 v86, v103, 16, 8
	;; [unrolled: 1-line block ×4, first 2 shown]
	s_wait_dscnt 0x2
	v_ashrrev_i32_e32 v6, s20, v6
	s_wait_dscnt 0x1
	v_ashrrev_i32_e32 v3, s20, v3
	v_ashrrev_i32_e32 v4, s20, v4
	s_delay_alu instid0(VALU_DEP_3) | instskip(SKIP_1) | instid1(VALU_DEP_2)
	v_and_b32_e32 v103, 3, v6
	v_bfe_u32 v106, v6, 8, 2
	v_mul_i32_i24_e32 v103, v103, v98
	s_delay_alu instid0(VALU_DEP_1) | instskip(SKIP_2) | instid1(VALU_DEP_2)
	v_mad_i32_i24 v103, v106, v95, v103
	v_bfe_u32 v106, v6, 16, 2
	v_bfe_u32 v6, v6, 24, 2
	v_mul_i32_i24_e32 v106, v106, v94
	s_delay_alu instid0(VALU_DEP_2) | instskip(NEXT) | instid1(VALU_DEP_1)
	v_mul_i32_i24_e32 v6, v6, v93
	v_add3_u32 v103, v103, v106, v6
	v_bfe_i32 v6, v101, 0, 8
	s_wait_dscnt 0x0
	v_ashrrev_i32_e32 v101, s20, v104
	s_delay_alu instid0(VALU_DEP_1) | instskip(SKIP_1) | instid1(VALU_DEP_2)
	v_and_b32_e32 v104, 3, v101
	v_bfe_u32 v106, v101, 8, 2
	v_mul_i32_i24_e32 v104, v104, v91
	s_delay_alu instid0(VALU_DEP_1) | instskip(SKIP_2) | instid1(VALU_DEP_2)
	v_mad_i32_i24 v104, v106, v6, v104
	v_bfe_u32 v106, v101, 16, 2
	v_bfe_u32 v101, v101, 24, 2
	v_mul_i32_i24_e32 v106, v106, v85
	s_delay_alu instid0(VALU_DEP_2) | instskip(NEXT) | instid1(VALU_DEP_1)
	v_mul_i32_i24_e32 v101, v101, v87
	v_add3_u32 v106, v104, v106, v101
	v_ashrrev_i32_e32 v101, s20, v5
	v_and_b32_e32 v104, 3, v3
	s_delay_alu instid0(VALU_DEP_2) | instskip(NEXT) | instid1(VALU_DEP_2)
	v_and_b32_e32 v5, 3, v101
	v_mul_i32_i24_e32 v104, v104, v100
	s_delay_alu instid0(VALU_DEP_2) | instskip(NEXT) | instid1(VALU_DEP_1)
	v_mul_i32_i24_e32 v5, v96, v5
	v_add3_u32 v104, v103, v104, v5
	v_ashrrev_i32_e32 v103, s20, v105
	v_bfe_i32 v5, v102, 0, 8
	s_delay_alu instid0(VALU_DEP_2) | instskip(SKIP_1) | instid1(VALU_DEP_2)
	v_and_b32_e32 v102, 3, v103
	v_bfe_u32 v105, v103, 8, 2
	v_mul_i32_i24_e32 v102, v102, v92
	s_delay_alu instid0(VALU_DEP_2) | instskip(NEXT) | instid1(VALU_DEP_1)
	v_mul_i32_i24_e32 v105, v105, v5
	v_add3_u32 v102, v106, v102, v105
	v_add_nc_u32_e32 v105, 0x1080, v84
	ds_load_2addr_b32 v[106:107], v105 offset1:1
	s_wait_dscnt 0x0
	v_ashrrev_i32_e32 v105, s20, v107
	s_delay_alu instid0(VALU_DEP_1) | instskip(SKIP_1) | instid1(VALU_DEP_2)
	v_and_b32_e32 v107, 3, v105
	v_bfe_u32 v108, v105, 8, 2
	v_mul_i32_i24_e32 v107, v107, v98
	s_delay_alu instid0(VALU_DEP_1) | instskip(SKIP_2) | instid1(VALU_DEP_2)
	v_mad_i32_i24 v107, v108, v95, v107
	v_bfe_u32 v108, v105, 16, 2
	v_bfe_u32 v105, v105, 24, 2
	v_mul_i32_i24_e32 v108, v108, v94
	s_delay_alu instid0(VALU_DEP_2) | instskip(NEXT) | instid1(VALU_DEP_1)
	v_mul_i32_i24_e32 v105, v105, v93
	v_add3_u32 v122, v107, v108, v105
	s_wait_alu 0xfffe
	v_add_nc_u32_e32 v105, s21, v57
	v_add_nc_u32_e32 v107, 0x1090, v84
	ds_load_u16 v105, v105 offset:17920
	ds_load_2addr_b32 v[107:108], v107 offset1:1
	ds_load_2addr_b32 v[109:110], v109 offset1:1
	s_wait_dscnt 0x1
	v_ashrrev_i32_e32 v107, s20, v107
	v_ashrrev_i32_e32 v108, s20, v108
	s_delay_alu instid0(VALU_DEP_2) | instskip(SKIP_1) | instid1(VALU_DEP_2)
	v_and_b32_e32 v111, 3, v107
	v_bfe_u32 v112, v107, 8, 2
	v_mul_i32_i24_e32 v111, v111, v91
	s_delay_alu instid0(VALU_DEP_1) | instskip(SKIP_2) | instid1(VALU_DEP_2)
	v_mad_i32_i24 v111, v112, v6, v111
	v_bfe_u32 v112, v107, 16, 2
	v_bfe_u32 v107, v107, 24, 2
	v_mul_i32_i24_e32 v112, v112, v85
	s_delay_alu instid0(VALU_DEP_2) | instskip(NEXT) | instid1(VALU_DEP_1)
	v_mul_i32_i24_e32 v107, v107, v87
	v_add3_u32 v107, v111, v112, v107
	v_add_nc_u32_e32 v111, 0x2100, v84
	ds_load_2addr_b32 v[111:112], v111 offset1:1
	ds_load_2addr_b32 v[113:114], v113 offset1:1
	;; [unrolled: 1-line block ×3, first 2 shown]
	s_wait_dscnt 0x2
	v_ashrrev_i32_e32 v112, s20, v112
	v_ashrrev_i32_e32 v111, s20, v111
	s_wait_dscnt 0x0
	v_ashrrev_i32_e32 v115, s20, v115
	v_ashrrev_i32_e32 v113, s20, v113
	;; [unrolled: 1-line block ×3, first 2 shown]
	v_and_b32_e32 v117, 3, v112
	v_bfe_u32 v118, v112, 8, 2
	s_delay_alu instid0(VALU_DEP_2) | instskip(NEXT) | instid1(VALU_DEP_1)
	v_mul_i32_i24_e32 v117, v117, v98
	v_mad_i32_i24 v117, v118, v95, v117
	v_bfe_u32 v118, v112, 16, 2
	v_bfe_u32 v112, v112, 24, 2
	s_delay_alu instid0(VALU_DEP_2) | instskip(NEXT) | instid1(VALU_DEP_2)
	v_mul_i32_i24_e32 v118, v118, v94
	v_mul_i32_i24_e32 v112, v112, v93
	s_delay_alu instid0(VALU_DEP_1) | instskip(SKIP_2) | instid1(VALU_DEP_2)
	v_add3_u32 v112, v117, v118, v112
	v_and_b32_e32 v117, 3, v115
	v_bfe_u32 v118, v115, 8, 2
	v_mul_i32_i24_e32 v117, v117, v91
	s_delay_alu instid0(VALU_DEP_1) | instskip(SKIP_2) | instid1(VALU_DEP_2)
	v_mad_i32_i24 v117, v118, v6, v117
	v_bfe_u32 v118, v115, 16, 2
	v_bfe_u32 v115, v115, 24, 2
	v_mul_i32_i24_e32 v118, v118, v85
	s_delay_alu instid0(VALU_DEP_2) | instskip(NEXT) | instid1(VALU_DEP_1)
	v_mul_i32_i24_e32 v115, v115, v87
	v_add3_u32 v115, v117, v118, v115
	v_add_nc_u32_e32 v117, 0x3180, v84
	ds_load_2addr_b32 v[117:118], v117 offset1:1
	s_wait_dscnt 0x0
	v_ashrrev_i32_e32 v118, s20, v118
	v_ashrrev_i32_e32 v117, s20, v117
	s_delay_alu instid0(VALU_DEP_2) | instskip(SKIP_1) | instid1(VALU_DEP_2)
	v_and_b32_e32 v119, 3, v118
	v_bfe_u32 v120, v118, 8, 2
	v_mul_i32_i24_e32 v119, v119, v98
	s_delay_alu instid0(VALU_DEP_1) | instskip(SKIP_3) | instid1(VALU_DEP_3)
	v_mad_i32_i24 v119, v120, v95, v119
	v_bfe_u32 v120, v118, 16, 2
	v_bfe_u32 v118, v118, 24, 2
	v_add_nc_u32_e32 v95, v90, v95
	v_mul_i32_i24_e32 v120, v120, v94
	s_delay_alu instid0(VALU_DEP_3) | instskip(NEXT) | instid1(VALU_DEP_3)
	v_mul_i32_i24_e32 v118, v118, v93
	v_add3_u32 v95, v95, v97, v99
	v_add_nc_u32_e32 v93, v93, v81
	v_add_nc_u32_e32 v94, v94, v89
	s_delay_alu instid0(VALU_DEP_4) | instskip(SKIP_2) | instid1(VALU_DEP_4)
	v_add3_u32 v123, v119, v120, v118
	v_add_nc_u32_e32 v118, s21, v56
	v_add_nc_u32_e32 v120, 0x3198, v84
	v_add3_u32 v130, v94, v78, v10
	ds_load_u16 v124, v118 offset:19968
	v_add_nc_u32_e32 v118, 0x3190, v84
	ds_load_2addr_b32 v[118:119], v118 offset1:1
	ds_load_2addr_b32 v[120:121], v120 offset1:1
	s_wait_dscnt 0x1
	v_ashrrev_i32_e32 v118, s20, v118
	v_ashrrev_i32_e32 v119, s20, v119
	s_delay_alu instid0(VALU_DEP_2) | instskip(SKIP_1) | instid1(VALU_DEP_2)
	v_and_b32_e32 v125, 3, v118
	v_bfe_u32 v126, v118, 8, 2
	v_mul_i32_i24_e32 v125, v125, v91
	v_add_nc_u32_e32 v91, v92, v91
	s_delay_alu instid0(VALU_DEP_2) | instskip(SKIP_2) | instid1(VALU_DEP_2)
	v_mad_i32_i24 v125, v126, v6, v125
	v_bfe_u32 v126, v118, 16, 2
	v_bfe_u32 v118, v118, 24, 2
	v_mul_i32_i24_e32 v126, v126, v85
	s_delay_alu instid0(VALU_DEP_2) | instskip(NEXT) | instid1(VALU_DEP_1)
	v_mul_i32_i24_e32 v118, v118, v87
	v_add3_u32 v118, v125, v126, v118
	v_bfe_u32 v125, v101, 8, 2
	v_bfe_u32 v126, v101, 16, 2
	s_delay_alu instid0(VALU_DEP_2) | instskip(NEXT) | instid1(VALU_DEP_2)
	v_mul_i32_i24_e32 v125, v90, v125
	v_mul_i32_i24_e32 v126, v89, v126
	s_delay_alu instid0(VALU_DEP_1) | instskip(SKIP_3) | instid1(VALU_DEP_3)
	v_add3_u32 v104, v104, v125, v126
	v_bfe_u32 v125, v103, 16, 2
	v_bfe_u32 v103, v103, 24, 2
	v_ashrrev_i32_e32 v126, s20, v106
	v_mul_i32_i24_e32 v125, v125, v86
	s_delay_alu instid0(VALU_DEP_3) | instskip(NEXT) | instid1(VALU_DEP_1)
	v_mul_i32_i24_e32 v103, v103, v88
	v_add3_u32 v125, v102, v125, v103
	s_delay_alu instid0(VALU_DEP_4) | instskip(NEXT) | instid1(VALU_DEP_1)
	v_and_b32_e32 v102, 3, v126
	v_mul_i32_i24_e32 v106, v96, v102
	v_add_nc_u32_e32 v102, 0x1088, v84
	ds_load_2addr_b32 v[102:103], v102 offset1:1
	s_wait_dscnt 0x0
	v_ashrrev_i32_e32 v102, s20, v102
	s_delay_alu instid0(VALU_DEP_1) | instskip(NEXT) | instid1(VALU_DEP_1)
	v_and_b32_e32 v127, 3, v102
	v_mul_i32_i24_e32 v127, v127, v100
	s_delay_alu instid0(VALU_DEP_1) | instskip(SKIP_2) | instid1(VALU_DEP_2)
	v_add3_u32 v122, v122, v127, v106
	v_and_b32_e32 v106, 3, v108
	v_bfe_u32 v127, v108, 8, 2
	v_mul_i32_i24_e32 v106, v106, v92
	s_delay_alu instid0(VALU_DEP_2) | instskip(NEXT) | instid1(VALU_DEP_1)
	v_mul_i32_i24_e32 v127, v127, v5
	v_add3_u32 v127, v107, v106, v127
	v_and_b32_e32 v106, 3, v111
	v_and_b32_e32 v107, 3, v113
	s_delay_alu instid0(VALU_DEP_2) | instskip(NEXT) | instid1(VALU_DEP_2)
	v_mul_i32_i24_e32 v106, v96, v106
	v_mul_i32_i24_e32 v107, v107, v100
	s_delay_alu instid0(VALU_DEP_1) | instskip(SKIP_2) | instid1(VALU_DEP_2)
	v_add3_u32 v112, v112, v107, v106
	v_and_b32_e32 v106, 3, v116
	v_bfe_u32 v107, v116, 8, 2
	v_mul_i32_i24_e32 v106, v106, v92
	s_delay_alu instid0(VALU_DEP_2) | instskip(NEXT) | instid1(VALU_DEP_1)
	v_mul_i32_i24_e32 v107, v107, v5
	v_add3_u32 v115, v115, v106, v107
	v_and_b32_e32 v106, 3, v117
	s_delay_alu instid0(VALU_DEP_1)
	v_mul_i32_i24_e32 v128, v96, v106
	v_add_nc_u32_e32 v106, 0x3188, v84
	v_add_nc_u32_e32 v96, v98, v96
	;; [unrolled: 1-line block ×3, first 2 shown]
	ds_load_2addr_b32 v[106:107], v106 offset1:1
	v_add3_u32 v96, v96, v100, v74
	ds_load_u16 v98, v98 offset:16896
	s_wait_dscnt 0x1
	v_ashrrev_i32_e32 v106, s20, v106
	s_delay_alu instid0(VALU_DEP_1) | instskip(NEXT) | instid1(VALU_DEP_1)
	v_and_b32_e32 v129, 3, v106
	v_mul_i32_i24_e32 v129, v129, v100
	s_wait_dscnt 0x0
	v_bfe_u32 v100, v98, 4, 4
	s_delay_alu instid0(VALU_DEP_2) | instskip(SKIP_2) | instid1(VALU_DEP_4)
	v_add3_u32 v123, v123, v129, v128
	v_and_b32_e32 v128, 3, v119
	v_bfe_u32 v129, v119, 8, 2
	v_mul_lo_u32 v100, 0x1010101, v100
	s_delay_alu instid0(VALU_DEP_3) | instskip(NEXT) | instid1(VALU_DEP_3)
	v_mul_i32_i24_e32 v128, v128, v92
	v_mul_i32_i24_e32 v129, v129, v5
	v_add_nc_u32_e32 v5, v5, v6
	v_add3_u32 v6, v91, v83, v76
	v_bfe_i32 v94, v100, 16, 8
	s_delay_alu instid0(VALU_DEP_4)
	v_add3_u32 v118, v118, v128, v129
	v_bfe_i32 v128, v100, 0, 8
	v_bfe_i32 v129, v100, 8, 8
	v_add3_u32 v91, v5, v82, v75
	v_mul_i32_i24_e32 v94, v130, v94
	v_lshrrev_b16 v5, 8, v98
	v_mul_i32_i24_e32 v128, v96, v128
	s_delay_alu instid0(VALU_DEP_2) | instskip(NEXT) | instid1(VALU_DEP_2)
	v_and_b32_e32 v92, 0xffff, v5
	v_mad_i32_i24 v128, v95, v129, v128
	v_add3_u32 v129, v93, v77, v9
	v_lshrrev_b32_e32 v93, 24, v100
	s_delay_alu instid0(VALU_DEP_4) | instskip(NEXT) | instid1(VALU_DEP_2)
	v_lshrrev_b32_e32 v5, 4, v92
	v_mul_i32_i24_e32 v93, v129, v93
	s_delay_alu instid0(VALU_DEP_1) | instskip(SKIP_1) | instid1(VALU_DEP_1)
	v_add3_u32 v100, v128, v94, v93
	v_bfe_u32 v93, v105, 4, 4
	v_mul_lo_u32 v93, 0x1010101, v93
	s_delay_alu instid0(VALU_DEP_1) | instskip(SKIP_1) | instid1(VALU_DEP_2)
	v_bfe_i32 v94, v93, 0, 8
	v_bfe_i32 v128, v93, 8, 8
	v_mul_i32_i24_e32 v94, v96, v94
	s_delay_alu instid0(VALU_DEP_1) | instskip(SKIP_2) | instid1(VALU_DEP_2)
	v_mad_i32_i24 v94, v95, v128, v94
	v_lshrrev_b32_e32 v128, 24, v93
	v_bfe_i32 v93, v93, 16, 8
	v_mul_i32_i24_e32 v128, v129, v128
	s_delay_alu instid0(VALU_DEP_2) | instskip(NEXT) | instid1(VALU_DEP_1)
	v_mul_i32_i24_e32 v93, v130, v93
	v_add3_u32 v128, v94, v93, v128
	v_add_nc_u32_e32 v93, s21, v58
	ds_load_u16 v131, v93 offset:18944
	s_wait_dscnt 0x0
	v_bfe_u32 v93, v131, 4, 4
	s_delay_alu instid0(VALU_DEP_1) | instskip(NEXT) | instid1(VALU_DEP_1)
	v_mul_lo_u32 v93, 0x1010101, v93
	v_bfe_i32 v94, v93, 0, 8
	v_bfe_i32 v132, v93, 8, 8
	s_delay_alu instid0(VALU_DEP_2) | instskip(NEXT) | instid1(VALU_DEP_1)
	v_mul_i32_i24_e32 v94, v96, v94
	v_mad_i32_i24 v94, v95, v132, v94
	v_lshrrev_b32_e32 v132, 24, v93
	v_bfe_i32 v93, v93, 16, 8
	s_delay_alu instid0(VALU_DEP_2) | instskip(NEXT) | instid1(VALU_DEP_2)
	v_mul_i32_i24_e32 v132, v129, v132
	v_mul_i32_i24_e32 v93, v130, v93
	s_delay_alu instid0(VALU_DEP_1) | instskip(SKIP_2) | instid1(VALU_DEP_2)
	v_add3_u32 v132, v94, v93, v132
	v_bfe_u32 v93, v101, 24, 2
	v_bfe_u32 v94, v3, 8, 2
	v_mul_i32_i24_e32 v93, v81, v93
	s_delay_alu instid0(VALU_DEP_2) | instskip(NEXT) | instid1(VALU_DEP_1)
	v_mul_i32_i24_e32 v94, v94, v97
	v_add3_u32 v101, v104, v93, v94
	ds_load_2addr_b32 v[93:94], v84 offset0:6 offset1:7
	s_wait_dscnt 0x0
	v_ashrrev_i32_e32 v93, s20, v93
	s_delay_alu instid0(VALU_DEP_1) | instskip(SKIP_1) | instid1(VALU_DEP_2)
	v_and_b32_e32 v104, 3, v93
	v_bfe_u32 v133, v93, 8, 2
	v_mul_i32_i24_e32 v104, v104, v83
	s_delay_alu instid0(VALU_DEP_2) | instskip(NEXT) | instid1(VALU_DEP_1)
	v_mul_i32_i24_e32 v133, v133, v82
	v_add3_u32 v104, v125, v104, v133
	v_bfe_u32 v125, v126, 8, 2
	v_bfe_u32 v133, v126, 16, 2
	s_delay_alu instid0(VALU_DEP_2) | instskip(NEXT) | instid1(VALU_DEP_2)
	v_mul_i32_i24_e32 v125, v90, v125
	v_mul_i32_i24_e32 v133, v89, v133
	s_delay_alu instid0(VALU_DEP_1) | instskip(SKIP_2) | instid1(VALU_DEP_2)
	v_add3_u32 v122, v122, v125, v133
	v_bfe_u32 v125, v108, 16, 2
	v_bfe_u32 v108, v108, 24, 2
	v_mul_i32_i24_e32 v125, v125, v86
	s_delay_alu instid0(VALU_DEP_2) | instskip(NEXT) | instid1(VALU_DEP_1)
	v_mul_i32_i24_e32 v108, v108, v88
	v_add3_u32 v108, v127, v125, v108
	v_bfe_u32 v125, v111, 8, 2
	v_bfe_u32 v127, v111, 16, 2
	s_delay_alu instid0(VALU_DEP_2) | instskip(NEXT) | instid1(VALU_DEP_2)
	v_mul_i32_i24_e32 v125, v90, v125
	v_mul_i32_i24_e32 v127, v89, v127
	s_delay_alu instid0(VALU_DEP_1) | instskip(SKIP_2) | instid1(VALU_DEP_2)
	v_add3_u32 v112, v112, v125, v127
	v_bfe_u32 v125, v116, 16, 2
	v_bfe_u32 v116, v116, 24, 2
	v_mul_i32_i24_e32 v125, v125, v86
	s_delay_alu instid0(VALU_DEP_2) | instskip(NEXT) | instid1(VALU_DEP_1)
	v_mul_i32_i24_e32 v116, v116, v88
	v_add3_u32 v115, v115, v125, v116
	v_bfe_u32 v116, v117, 8, 2
	s_delay_alu instid0(VALU_DEP_1) | instskip(SKIP_1) | instid1(VALU_DEP_1)
	v_mul_i32_i24_e32 v90, v90, v116
	v_bfe_u32 v116, v117, 16, 2
	v_mul_i32_i24_e32 v89, v89, v116
	v_bfe_u32 v116, v119, 24, 2
	s_delay_alu instid0(VALU_DEP_2) | instskip(SKIP_1) | instid1(VALU_DEP_3)
	v_add3_u32 v89, v123, v90, v89
	v_bfe_u32 v90, v119, 16, 2
	v_mul_i32_i24_e32 v116, v116, v88
	s_delay_alu instid0(VALU_DEP_2) | instskip(NEXT) | instid1(VALU_DEP_1)
	v_mul_i32_i24_e32 v90, v90, v86
	v_add3_u32 v90, v118, v90, v116
	v_mul_lo_u32 v116, 0x1010101, v5
	s_delay_alu instid0(VALU_DEP_1) | instskip(SKIP_1) | instid1(VALU_DEP_2)
	v_bfe_i32 v5, v116, 0, 8
	v_bfe_i32 v118, v116, 8, 8
	v_mul_i32_i24_e32 v5, v6, v5
	s_delay_alu instid0(VALU_DEP_2) | instskip(NEXT) | instid1(VALU_DEP_1)
	v_mul_i32_i24_e32 v118, v91, v118
	v_add3_u32 v100, v100, v5, v118
	v_lshrrev_b16 v5, 8, v105
	s_delay_alu instid0(VALU_DEP_1) | instskip(NEXT) | instid1(VALU_DEP_1)
	v_and_b32_e32 v118, 0xffff, v5
	v_lshrrev_b32_e32 v5, 4, v118
	s_delay_alu instid0(VALU_DEP_1) | instskip(NEXT) | instid1(VALU_DEP_1)
	v_mul_lo_u32 v119, 0x1010101, v5
	v_bfe_i32 v5, v119, 0, 8
	v_bfe_i32 v123, v119, 8, 8
	s_delay_alu instid0(VALU_DEP_2) | instskip(NEXT) | instid1(VALU_DEP_2)
	v_mul_i32_i24_e32 v5, v6, v5
	v_mul_i32_i24_e32 v123, v91, v123
	s_delay_alu instid0(VALU_DEP_1) | instskip(SKIP_1) | instid1(VALU_DEP_1)
	v_add3_u32 v123, v128, v5, v123
	v_lshrrev_b16 v5, 8, v131
	v_and_b32_e32 v125, 0xffff, v5
	s_delay_alu instid0(VALU_DEP_1) | instskip(NEXT) | instid1(VALU_DEP_1)
	v_lshrrev_b32_e32 v5, 4, v125
	v_mul_lo_u32 v127, 0x1010101, v5
	s_delay_alu instid0(VALU_DEP_1) | instskip(SKIP_1) | instid1(VALU_DEP_2)
	v_bfe_i32 v5, v127, 0, 8
	v_bfe_i32 v128, v127, 8, 8
	v_mul_i32_i24_e32 v5, v6, v5
	s_delay_alu instid0(VALU_DEP_2) | instskip(NEXT) | instid1(VALU_DEP_1)
	v_mul_i32_i24_e32 v128, v91, v128
	v_add3_u32 v128, v132, v5, v128
	v_add_nc_u32_e32 v5, v88, v87
	s_delay_alu instid0(VALU_DEP_1) | instskip(SKIP_1) | instid1(VALU_DEP_1)
	v_add3_u32 v87, v5, v79, v72
	v_lshrrev_b16 v5, 8, v124
	v_and_b32_e32 v88, 0xffff, v5
	v_bfe_u32 v5, v124, 4, 4
	s_delay_alu instid0(VALU_DEP_1) | instskip(NEXT) | instid1(VALU_DEP_3)
	v_mul_lo_u32 v132, 0x1010101, v5
	v_lshrrev_b32_e32 v5, 4, v88
	s_delay_alu instid0(VALU_DEP_1) | instskip(NEXT) | instid1(VALU_DEP_3)
	v_mul_lo_u32 v133, 0x1010101, v5
	v_lshrrev_b32_e32 v134, 24, v132
	s_delay_alu instid0(VALU_DEP_2) | instskip(NEXT) | instid1(VALU_DEP_1)
	v_lshrrev_b32_e32 v5, 24, v133
	v_mul_i32_i24_e32 v5, v87, v5
	s_delay_alu instid0(VALU_DEP_1) | instskip(SKIP_2) | instid1(VALU_DEP_2)
	v_mad_i32_i24 v129, v129, v134, v5
	v_add_nc_u32_e32 v5, v86, v85
	v_bfe_i32 v86, v132, 16, 8
	v_add3_u32 v85, v5, v80, v73
	v_bfe_i32 v5, v133, 16, 8
	s_delay_alu instid0(VALU_DEP_1) | instskip(NEXT) | instid1(VALU_DEP_1)
	v_mul_i32_i24_e32 v5, v85, v5
	v_mad_i32_i24 v86, v130, v86, v5
	v_bfe_i32 v5, v133, 0, 8
	s_delay_alu instid0(VALU_DEP_1) | instskip(SKIP_1) | instid1(VALU_DEP_1)
	v_mul_i32_i24_e32 v5, v6, v5
	v_bfe_i32 v6, v132, 0, 8
	v_mad_i32_i24 v96, v96, v6, v5
	v_bfe_u32 v5, v3, 16, 2
	v_bfe_u32 v3, v3, 24, 2
	;; [unrolled: 1-line block ×3, first 2 shown]
	s_delay_alu instid0(VALU_DEP_3) | instskip(NEXT) | instid1(VALU_DEP_3)
	v_mul_i32_i24_e32 v5, v5, v78
	v_mul_i32_i24_e32 v3, v3, v77
	s_delay_alu instid0(VALU_DEP_3) | instskip(NEXT) | instid1(VALU_DEP_2)
	v_mul_i32_i24_e32 v6, v6, v79
	v_add3_u32 v3, v101, v5, v3
	v_bfe_u32 v5, v93, 16, 2
	s_delay_alu instid0(VALU_DEP_1) | instskip(NEXT) | instid1(VALU_DEP_1)
	v_mul_i32_i24_e32 v5, v5, v80
	v_add3_u32 v93, v104, v5, v6
	v_bfe_u32 v5, v126, 24, 2
	v_bfe_u32 v6, v102, 8, 2
	v_ashrrev_i32_e32 v104, s20, v109
	s_delay_alu instid0(VALU_DEP_3) | instskip(NEXT) | instid1(VALU_DEP_3)
	v_mul_i32_i24_e32 v5, v81, v5
	v_mul_i32_i24_e32 v6, v6, v97
	s_delay_alu instid0(VALU_DEP_1) | instskip(NEXT) | instid1(VALU_DEP_4)
	v_add3_u32 v101, v122, v5, v6
	v_and_b32_e32 v5, 3, v104
	v_bfe_u32 v6, v104, 8, 2
	s_delay_alu instid0(VALU_DEP_2) | instskip(NEXT) | instid1(VALU_DEP_2)
	v_mul_i32_i24_e32 v5, v5, v83
	v_mul_i32_i24_e32 v6, v6, v82
	s_delay_alu instid0(VALU_DEP_1) | instskip(SKIP_2) | instid1(VALU_DEP_2)
	v_add3_u32 v108, v108, v5, v6
	v_bfe_u32 v5, v111, 24, 2
	v_bfe_u32 v6, v113, 8, 2
	v_mul_i32_i24_e32 v5, v81, v5
	s_delay_alu instid0(VALU_DEP_2) | instskip(NEXT) | instid1(VALU_DEP_1)
	v_mul_i32_i24_e32 v6, v6, v97
	v_add3_u32 v109, v112, v5, v6
	v_add_nc_u32_e32 v5, 0x2118, v84
	ds_load_2addr_b32 v[5:6], v5 offset1:1
	s_wait_dscnt 0x0
	v_ashrrev_i32_e32 v5, s20, v5
	v_ashrrev_i32_e32 v6, s20, v6
	s_delay_alu instid0(VALU_DEP_2) | instskip(SKIP_1) | instid1(VALU_DEP_2)
	v_and_b32_e32 v84, 3, v5
	v_bfe_u32 v111, v5, 8, 2
	v_mul_i32_i24_e32 v84, v84, v83
	s_delay_alu instid0(VALU_DEP_2) | instskip(NEXT) | instid1(VALU_DEP_1)
	v_mul_i32_i24_e32 v111, v111, v82
	v_add3_u32 v84, v115, v84, v111
	v_bfe_u32 v111, v117, 24, 2
	s_delay_alu instid0(VALU_DEP_1) | instskip(SKIP_1) | instid1(VALU_DEP_1)
	v_mul_i32_i24_e32 v81, v81, v111
	v_bfe_u32 v111, v106, 8, 2
	v_mul_i32_i24_e32 v97, v111, v97
	s_delay_alu instid0(VALU_DEP_1) | instskip(SKIP_1) | instid1(VALU_DEP_1)
	v_add3_u32 v81, v89, v81, v97
	v_ashrrev_i32_e32 v89, s20, v120
	v_and_b32_e32 v97, 3, v89
	s_delay_alu instid0(VALU_DEP_1) | instskip(SKIP_1) | instid1(VALU_DEP_1)
	v_mul_i32_i24_e32 v83, v97, v83
	v_bfe_u32 v97, v89, 8, 2
	v_mul_i32_i24_e32 v82, v97, v82
	v_bfe_i32 v97, v119, 16, 8
	s_delay_alu instid0(VALU_DEP_2) | instskip(SKIP_2) | instid1(VALU_DEP_4)
	v_add3_u32 v82, v90, v83, v82
	v_lshrrev_b32_e32 v83, 24, v116
	v_bfe_i32 v90, v116, 16, 8
	v_mul_i32_i24_e32 v97, v85, v97
	s_delay_alu instid0(VALU_DEP_3) | instskip(NEXT) | instid1(VALU_DEP_3)
	v_mul_i32_i24_e32 v83, v87, v83
	v_mul_i32_i24_e32 v90, v85, v90
	s_delay_alu instid0(VALU_DEP_1) | instskip(SKIP_2) | instid1(VALU_DEP_2)
	v_add3_u32 v83, v100, v90, v83
	v_lshrrev_b32_e32 v90, 24, v119
	v_bfe_u32 v100, v113, 24, 2
	v_mul_i32_i24_e32 v90, v87, v90
	s_delay_alu instid0(VALU_DEP_2) | instskip(NEXT) | instid1(VALU_DEP_2)
	v_mul_i32_i24_e32 v100, v100, v77
	v_add3_u32 v90, v123, v97, v90
	v_lshrrev_b32_e32 v97, 24, v127
	s_delay_alu instid0(VALU_DEP_1) | instskip(SKIP_1) | instid1(VALU_DEP_1)
	v_mul_i32_i24_e32 v87, v87, v97
	v_bfe_i32 v97, v127, 16, 8
	v_mul_i32_i24_e32 v85, v85, v97
	v_bfe_u32 v97, v104, 24, 2
	s_delay_alu instid0(VALU_DEP_2) | instskip(SKIP_1) | instid1(VALU_DEP_3)
	v_add3_u32 v85, v128, v85, v87
	v_lshrrev_b16 v87, 8, v132
	v_mul_i32_i24_e32 v97, v97, v79
	s_delay_alu instid0(VALU_DEP_2) | instskip(NEXT) | instid1(VALU_DEP_1)
	v_bfe_i32 v87, v87, 0, 8
	v_mul_i32_i24_e32 v87, v95, v87
	v_bfe_i32 v95, v133, 8, 8
	s_delay_alu instid0(VALU_DEP_1) | instskip(SKIP_1) | instid1(VALU_DEP_2)
	v_mul_i32_i24_e32 v91, v91, v95
	v_bfe_u32 v95, v4, 8, 2
	v_add3_u32 v87, v87, v91, v129
	v_and_b32_e32 v91, 3, v4
	s_delay_alu instid0(VALU_DEP_3) | instskip(NEXT) | instid1(VALU_DEP_2)
	v_mul_i32_i24_e32 v95, v95, v99
	v_mul_i32_i24_e32 v91, v91, v74
	s_delay_alu instid0(VALU_DEP_1) | instskip(SKIP_1) | instid1(VALU_DEP_1)
	v_add3_u32 v3, v3, v91, v95
	v_ashrrev_i32_e32 v91, s20, v94
	v_and_b32_e32 v94, 3, v91
	v_bfe_u32 v95, v91, 8, 2
	s_delay_alu instid0(VALU_DEP_2) | instskip(NEXT) | instid1(VALU_DEP_2)
	v_mul_i32_i24_e32 v94, v94, v76
	v_mul_i32_i24_e32 v95, v95, v75
	s_delay_alu instid0(VALU_DEP_1) | instskip(SKIP_2) | instid1(VALU_DEP_2)
	v_add3_u32 v93, v93, v94, v95
	v_bfe_u32 v94, v102, 16, 2
	v_bfe_u32 v95, v102, 24, 2
	v_mul_i32_i24_e32 v94, v94, v78
	s_delay_alu instid0(VALU_DEP_2) | instskip(NEXT) | instid1(VALU_DEP_1)
	v_mul_i32_i24_e32 v95, v95, v77
	v_add3_u32 v94, v101, v94, v95
	v_bfe_u32 v95, v104, 16, 2
	s_delay_alu instid0(VALU_DEP_1) | instskip(NEXT) | instid1(VALU_DEP_1)
	v_mul_i32_i24_e32 v95, v95, v80
	v_add3_u32 v95, v108, v95, v97
	v_bfe_u32 v97, v113, 16, 2
	s_delay_alu instid0(VALU_DEP_1) | instskip(NEXT) | instid1(VALU_DEP_1)
	v_mul_i32_i24_e32 v97, v97, v78
	v_add3_u32 v97, v109, v97, v100
	v_bfe_u32 v100, v5, 16, 2
	v_bfe_u32 v5, v5, 24, 2
	s_delay_alu instid0(VALU_DEP_2) | instskip(NEXT) | instid1(VALU_DEP_2)
	v_mul_i32_i24_e32 v100, v100, v80
	v_mul_i32_i24_e32 v5, v5, v79
	s_delay_alu instid0(VALU_DEP_1) | instskip(SKIP_1) | instid1(VALU_DEP_1)
	v_add3_u32 v5, v84, v100, v5
	v_bfe_u32 v84, v106, 16, 2
	v_mul_i32_i24_e32 v78, v84, v78
	v_bfe_u32 v84, v106, 24, 2
	s_delay_alu instid0(VALU_DEP_1) | instskip(NEXT) | instid1(VALU_DEP_1)
	v_mul_i32_i24_e32 v77, v84, v77
	v_add3_u32 v77, v81, v78, v77
	v_bfe_u32 v78, v89, 16, 2
	s_delay_alu instid0(VALU_DEP_1) | instskip(SKIP_1) | instid1(VALU_DEP_1)
	v_mul_i32_i24_e32 v78, v78, v80
	v_bfe_u32 v80, v89, 24, 2
	v_mul_i32_i24_e32 v79, v80, v79
	v_bfe_u32 v80, v4, 16, 2
	v_bfe_u32 v4, v4, 24, 2
	s_delay_alu instid0(VALU_DEP_3) | instskip(NEXT) | instid1(VALU_DEP_3)
	v_add3_u32 v78, v82, v78, v79
	v_mul_i32_i24_e32 v80, v80, v10
	s_delay_alu instid0(VALU_DEP_3) | instskip(SKIP_1) | instid1(VALU_DEP_2)
	v_mul_i32_i24_e32 v4, v4, v9
	v_add3_u32 v79, v96, v86, v87
	v_add3_u32 v3, v3, v80, v4
	v_bfe_u32 v4, v91, 16, 2
	v_bfe_u32 v80, v91, 24, 2
	;; [unrolled: 1-line block ×3, first 2 shown]
	v_cvt_f32_i32_e32 v79, v79
	s_delay_alu instid0(VALU_DEP_4) | instskip(NEXT) | instid1(VALU_DEP_4)
	v_mul_i32_i24_e32 v4, v4, v73
	v_mul_i32_i24_e32 v80, v80, v72
	s_delay_alu instid0(VALU_DEP_4) | instskip(NEXT) | instid1(VALU_DEP_2)
	v_mul_i32_i24_e32 v91, v91, v75
	v_add3_u32 v4, v93, v4, v80
	v_ashrrev_i32_e32 v80, s20, v103
	s_delay_alu instid0(VALU_DEP_1) | instskip(SKIP_1) | instid1(VALU_DEP_2)
	v_and_b32_e32 v81, 3, v80
	v_bfe_u32 v82, v80, 8, 2
	v_mul_i32_i24_e32 v81, v81, v74
	s_delay_alu instid0(VALU_DEP_2) | instskip(NEXT) | instid1(VALU_DEP_1)
	v_mul_i32_i24_e32 v82, v82, v99
	v_add3_u32 v81, v94, v81, v82
	v_ashrrev_i32_e32 v82, s20, v110
	s_delay_alu instid0(VALU_DEP_1) | instskip(SKIP_1) | instid1(VALU_DEP_2)
	v_and_b32_e32 v84, 3, v82
	v_bfe_u32 v86, v82, 8, 2
	v_mul_i32_i24_e32 v84, v84, v76
	s_delay_alu instid0(VALU_DEP_2) | instskip(NEXT) | instid1(VALU_DEP_1)
	;; [unrolled: 8-line block ×3, first 2 shown]
	v_mul_i32_i24_e32 v89, v89, v99
	v_add3_u32 v87, v97, v87, v89
	v_and_b32_e32 v89, 3, v6
	s_delay_alu instid0(VALU_DEP_1) | instskip(NEXT) | instid1(VALU_DEP_1)
	v_mul_i32_i24_e32 v89, v89, v76
	v_add3_u32 v5, v5, v89, v91
	v_ashrrev_i32_e32 v89, s20, v107
	s_delay_alu instid0(VALU_DEP_1) | instskip(NEXT) | instid1(VALU_DEP_1)
	v_and_b32_e32 v91, 3, v89
	v_mul_i32_i24_e32 v74, v91, v74
	v_bfe_u32 v91, v89, 8, 2
	s_delay_alu instid0(VALU_DEP_1) | instskip(NEXT) | instid1(VALU_DEP_1)
	v_mul_i32_i24_e32 v91, v91, v99
	v_add3_u32 v74, v77, v74, v91
	v_ashrrev_i32_e32 v77, s20, v121
	s_lshr_b32 s20, s1, 2
	s_wait_alu 0xfffe
	s_and_b32 s20, s20, 0x3ffffffc
	s_delay_alu instid0(VALU_DEP_1) | instskip(SKIP_2) | instid1(VALU_DEP_1)
	v_and_b32_e32 v91, 3, v77
	s_wait_alu 0xfffe
	s_addk_co_i32 s20, 0x5280
	v_mul_i32_i24_e32 v76, v91, v76
	v_bfe_u32 v91, v77, 8, 2
	s_delay_alu instid0(VALU_DEP_1) | instskip(NEXT) | instid1(VALU_DEP_1)
	v_mul_i32_i24_e32 v75, v91, v75
	v_add3_u32 v75, v78, v76, v75
	v_bfe_u32 v76, v80, 16, 2
	v_bfe_u32 v78, v80, 24, 2
	;; [unrolled: 1-line block ×3, first 2 shown]
	s_delay_alu instid0(VALU_DEP_3) | instskip(NEXT) | instid1(VALU_DEP_3)
	v_mul_i32_i24_e32 v76, v76, v10
	v_mul_i32_i24_e32 v78, v78, v9
	s_delay_alu instid0(VALU_DEP_3) | instskip(NEXT) | instid1(VALU_DEP_2)
	v_mul_i32_i24_e32 v80, v80, v72
	v_add3_u32 v76, v81, v76, v78
	v_bfe_u32 v78, v82, 16, 2
	v_bfe_u32 v81, v86, 24, 2
	v_and_b32_e32 v82, 15, v124
	s_delay_alu instid0(VALU_DEP_3) | instskip(NEXT) | instid1(VALU_DEP_3)
	v_mul_i32_i24_e32 v78, v78, v73
	v_mul_i32_i24_e32 v81, v81, v9
	s_delay_alu instid0(VALU_DEP_2) | instskip(SKIP_2) | instid1(VALU_DEP_2)
	v_add3_u32 v78, v84, v78, v80
	v_bfe_u32 v80, v86, 16, 2
	v_and_b32_e32 v84, 15, v125
	v_mul_i32_i24_e32 v80, v80, v10
	s_delay_alu instid0(VALU_DEP_1) | instskip(SKIP_2) | instid1(VALU_DEP_2)
	v_add3_u32 v80, v87, v80, v81
	v_bfe_u32 v81, v6, 16, 2
	v_bfe_u32 v6, v6, 24, 2
	v_mul_i32_i24_e32 v81, v81, v73
	s_delay_alu instid0(VALU_DEP_2) | instskip(NEXT) | instid1(VALU_DEP_1)
	v_mul_i32_i24_e32 v6, v6, v72
	v_add3_u32 v6, v5, v81, v6
	v_bfe_u32 v5, v89, 16, 2
	s_delay_alu instid0(VALU_DEP_1) | instskip(SKIP_1) | instid1(VALU_DEP_1)
	v_mul_i32_i24_e32 v5, v5, v10
	v_bfe_u32 v10, v89, 24, 2
	v_mul_i32_i24_e32 v9, v10, v9
	s_wait_alu 0xfffe
	v_add3_u32 v10, s20, v63, v64
	s_delay_alu instid0(VALU_DEP_2) | instskip(SKIP_1) | instid1(VALU_DEP_1)
	v_add3_u32 v9, v74, v5, v9
	v_bfe_u32 v5, v77, 16, 2
	v_mul_i32_i24_e32 v5, v5, v73
	v_bfe_u32 v73, v77, 24, 2
	v_and_b32_e32 v77, 15, v92
	s_delay_alu instid0(VALU_DEP_2)
	v_mul_i32_i24_e32 v72, v73, v72
	v_add3_u32 v73, s20, v67, v68
	ds_load_b32 v74, v10
	ds_load_b32 v73, v73
	v_add3_u32 v10, v75, v5, v72
	v_add3_u32 v5, s20, v69, v70
	;; [unrolled: 1-line block ×3, first 2 shown]
	ds_load_b32 v75, v5
	ds_load_b32 v72, v72
	v_and_b32_e32 v5, 15, v98
	s_add_co_i32 s20, s1, 2
	s_cmp_lt_u32 s1, 14
	s_wait_alu 0xfffe
	s_mov_b32 s1, s20
	v_mul_lo_u32 v3, v3, v5
	v_and_b32_e32 v5, 15, v118
	s_delay_alu instid0(VALU_DEP_2)
	v_mad_co_u64_u32 v[3:4], null, v4, v77, v[3:4]
	v_and_b32_e32 v4, 15, v105
	ds_load_b32 v77, v8
	v_add_nc_u32_e32 v8, 4, v8
	s_wait_dscnt 0x1
	v_lshrrev_b32_e32 v81, 16, v72
	v_mul_lo_u32 v4, v76, v4
	v_lshrrev_b32_e32 v76, 16, v75
	v_cvt_f32_i32_e32 v3, v3
	s_delay_alu instid0(VALU_DEP_4) | instskip(NEXT) | instid1(VALU_DEP_3)
	v_cvt_f32_f16_e32 v81, v81
	v_cvt_f32_f16_e32 v76, v76
	v_mad_co_u64_u32 v[4:5], null, v78, v5, v[4:5]
	v_and_b32_e32 v5, 15, v131
	v_lshrrev_b32_e32 v78, 16, v74
	s_delay_alu instid0(VALU_DEP_4) | instskip(NEXT) | instid1(VALU_DEP_3)
	v_mul_f32_e32 v76, v76, v79
	v_mul_lo_u32 v5, v80, v5
	v_lshrrev_b32_e32 v80, 16, v73
	s_delay_alu instid0(VALU_DEP_4) | instskip(SKIP_1) | instid1(VALU_DEP_3)
	v_cvt_f32_f16_e32 v78, v78
	v_cvt_f32_i32_e32 v4, v4
	v_cvt_f32_f16_e32 v80, v80
	v_mad_co_u64_u32 v[5:6], null, v6, v84, v[5:6]
	v_mul_lo_u32 v6, v9, v82
	v_and_b32_e32 v9, 15, v88
	v_cvt_f32_i32_e32 v82, v83
	v_cvt_f32_i32_e32 v83, v90
	;; [unrolled: 1-line block ×4, first 2 shown]
	v_mad_co_u64_u32 v[9:10], null, v10, v9, v[6:7]
	v_mul_f32_e32 v6, v78, v82
	v_mul_f32_e32 v10, v81, v83
	v_dual_mul_f32 v78, v80, v84 :: v_dual_add_nc_u32 v7, 32, v7
	s_delay_alu instid0(VALU_DEP_3) | instskip(SKIP_1) | instid1(VALU_DEP_4)
	v_fma_mix_f32 v3, v74, v3, -v6 op_sel_hi:[1,0,0]
	v_cvt_f32_i32_e32 v9, v9
	v_fma_mix_f32 v4, v72, v4, -v10 op_sel_hi:[1,0,0]
	s_delay_alu instid0(VALU_DEP_4)
	v_fma_mix_f32 v5, v73, v5, -v78 op_sel_hi:[1,0,0]
	s_wait_dscnt 0x0
	v_fmac_f32_e32 v13, v77, v3
	v_fma_mix_f32 v6, v75, v9, -v76 op_sel_hi:[1,0,0]
	v_fmac_f32_e32 v47, v77, v4
	v_fmac_f32_e32 v38, v77, v5
	s_delay_alu instid0(VALU_DEP_3)
	v_fmac_f32_e32 v2, v77, v6
	s_cbranch_scc1 .LBB227_19
; %bb.20:                               ;   in Loop: Header=BB227_5 Depth=1
	s_or_b32 s1, s16, 0x100
	s_wait_loadcnt 0x0
	s_wait_alu 0xfffe
	s_cmp_ge_i32 s1, s11
	s_barrier_signal -1
	s_barrier_wait -1
	global_inv scope:SCOPE_SE
	s_cbranch_scc1 .LBB227_4
; %bb.21:                               ;   in Loop: Header=BB227_5 Depth=1
	v_add_nc_u32_e32 v3, s17, v50
	s_delay_alu instid0(VALU_DEP_1)
	v_cmp_gt_i32_e64 s1, s5, v3
	s_and_b32 s20, s0, s1
	s_wait_alu 0xfffe
	s_and_saveexec_b32 s1, s20
	s_cbranch_execz .LBB227_23
; %bb.22:                               ;   in Loop: Header=BB227_5 Depth=1
	v_add_nc_u32_e32 v3, v52, v3
	s_delay_alu instid0(VALU_DEP_1)
	v_mad_co_i64_i32 v[3:4], null, v3, 36, v[0:1]
	global_load_b32 v3, v[3:4], off offset:4
	s_wait_loadcnt 0x0
	ds_store_b32 v45, v3
.LBB227_23:                             ;   in Loop: Header=BB227_5 Depth=1
	s_wait_alu 0xfffe
	s_or_b32 exec_lo, exec_lo, s1
	s_and_saveexec_b32 s20, vcc_lo
	s_cbranch_execz .LBB227_26
; %bb.24:                               ;   in Loop: Header=BB227_5 Depth=1
	v_or_b32_e32 v3, 8, v71
	s_delay_alu instid0(VALU_DEP_1)
	v_cmp_gt_i32_e64 s1, s5, v3
	s_and_b32 s1, s0, s1
	s_wait_alu 0xfffe
	s_and_b32 exec_lo, exec_lo, s1
	s_cbranch_execz .LBB227_26
; %bb.25:                               ;   in Loop: Header=BB227_5 Depth=1
	v_ashrrev_i32_e32 v3, 31, v71
	v_add_co_u32 v4, s1, v52, v71
	s_wait_alu 0xf1ff
	s_delay_alu instid0(VALU_DEP_2) | instskip(NEXT) | instid1(VALU_DEP_2)
	v_add_co_ci_u32_e64 v5, null, v55, v3, s1
	v_mad_co_u64_u32 v[3:4], null, v4, 36, s[2:3]
	s_delay_alu instid0(VALU_DEP_1)
	v_mad_i32_i24 v4, v5, 36, v4
	global_load_b32 v3, v[3:4], off offset:288
	s_wait_loadcnt 0x0
	v_cvt_f32_f16_e32 v3, v3
	ds_store_b32 v48, v3
.LBB227_26:                             ;   in Loop: Header=BB227_5 Depth=1
	s_wait_alu 0xfffe
	s_or_b32 exec_lo, exec_lo, s20
	v_dual_mov_b32 v7, v44 :: v_dual_mov_b32 v8, v46
	s_mov_b32 s1, 16
	s_wait_loadcnt_dscnt 0x0
	s_barrier_signal -1
	s_barrier_wait -1
	global_inv scope:SCOPE_SE
.LBB227_27:                             ;   Parent Loop BB227_5 Depth=1
                                        ; =>  This Inner Loop Header: Depth=2
	ds_load_b128 v[3:6], v7
	ds_load_b128 v[102:105], v7 offset:16
	s_wait_alu 0xfffe
	s_and_b32 s21, s1, 0x3ffffff8
	s_add_co_i32 s20, s1, -16
	s_wait_alu 0xfffe
	v_lshl_add_u32 v84, s21, 2, v53
	s_and_b32 s21, s1, -16
	s_wait_alu 0xfffe
	s_add_co_i32 s21, s1, s21
	s_delay_alu instid0(VALU_DEP_1)
	v_add_nc_u32_e32 v109, 0x1098, v84
	v_add_nc_u32_e32 v113, 0x2108, v84
	;; [unrolled: 1-line block ×3, first 2 shown]
	s_wait_dscnt 0x1
	v_ashrrev_i32_e32 v81, 24, v3
	v_bfe_i32 v95, v4, 8, 8
	v_bfe_i32 v96, v3, 0, 8
	;; [unrolled: 1-line block ×3, first 2 shown]
	v_ashrrev_i32_e32 v93, 24, v4
	v_bfe_i32 v90, v3, 8, 8
	v_bfe_i32 v98, v4, 0, 8
	;; [unrolled: 1-line block ×3, first 2 shown]
	v_lshrrev_b16 v97, 8, v5
	v_ashrrev_i32_e32 v77, 24, v5
	v_bfe_i32 v78, v5, 16, 8
	v_bfe_i32 v100, v5, 0, 8
	v_lshrrev_b16 v99, 8, v6
	v_ashrrev_i32_e32 v9, 24, v6
	v_bfe_i32 v10, v6, 16, 8
	v_bfe_i32 v74, v6, 0, 8
	s_wait_dscnt 0x0
	v_ashrrev_i32_e32 v79, 24, v104
	v_bfe_i32 v80, v104, 16, 8
	v_bfe_i32 v83, v104, 0, 8
	;; [unrolled: 1-line block ×3, first 2 shown]
	v_ashrrev_i32_e32 v72, 24, v105
	v_bfe_i32 v73, v105, 16, 8
	v_bfe_i32 v76, v105, 0, 8
	;; [unrolled: 1-line block ×3, first 2 shown]
	ds_load_2addr_b32 v[5:6], v84 offset1:1
	ds_load_2addr_b32 v[3:4], v84 offset0:2 offset1:3
	ds_load_2addr_b32 v[104:105], v84 offset0:4 offset1:5
	v_lshrrev_b16 v101, 8, v102
	v_ashrrev_i32_e32 v87, 24, v102
	v_bfe_i32 v91, v102, 0, 8
	v_bfe_i32 v85, v102, 16, 8
	v_lshrrev_b16 v102, 8, v103
	v_ashrrev_i32_e32 v88, 24, v103
	v_bfe_i32 v92, v103, 0, 8
	v_bfe_i32 v86, v103, 16, 8
	;; [unrolled: 1-line block ×4, first 2 shown]
	s_wait_dscnt 0x2
	v_ashrrev_i32_e32 v6, s20, v6
	s_wait_dscnt 0x1
	v_ashrrev_i32_e32 v3, s20, v3
	v_ashrrev_i32_e32 v4, s20, v4
	s_delay_alu instid0(VALU_DEP_3) | instskip(SKIP_1) | instid1(VALU_DEP_2)
	v_and_b32_e32 v103, 3, v6
	v_bfe_u32 v106, v6, 8, 2
	v_mul_i32_i24_e32 v103, v103, v98
	s_delay_alu instid0(VALU_DEP_1) | instskip(SKIP_2) | instid1(VALU_DEP_2)
	v_mad_i32_i24 v103, v106, v95, v103
	v_bfe_u32 v106, v6, 16, 2
	v_bfe_u32 v6, v6, 24, 2
	v_mul_i32_i24_e32 v106, v106, v94
	s_delay_alu instid0(VALU_DEP_2) | instskip(NEXT) | instid1(VALU_DEP_1)
	v_mul_i32_i24_e32 v6, v6, v93
	v_add3_u32 v103, v103, v106, v6
	v_bfe_i32 v6, v101, 0, 8
	s_wait_dscnt 0x0
	v_ashrrev_i32_e32 v101, s20, v104
	s_delay_alu instid0(VALU_DEP_1) | instskip(SKIP_1) | instid1(VALU_DEP_2)
	v_and_b32_e32 v104, 3, v101
	v_bfe_u32 v106, v101, 8, 2
	v_mul_i32_i24_e32 v104, v104, v91
	s_delay_alu instid0(VALU_DEP_1) | instskip(SKIP_2) | instid1(VALU_DEP_2)
	v_mad_i32_i24 v104, v106, v6, v104
	v_bfe_u32 v106, v101, 16, 2
	v_bfe_u32 v101, v101, 24, 2
	v_mul_i32_i24_e32 v106, v106, v85
	s_delay_alu instid0(VALU_DEP_2) | instskip(NEXT) | instid1(VALU_DEP_1)
	v_mul_i32_i24_e32 v101, v101, v87
	v_add3_u32 v106, v104, v106, v101
	v_ashrrev_i32_e32 v101, s20, v5
	v_and_b32_e32 v104, 3, v3
	s_delay_alu instid0(VALU_DEP_2) | instskip(NEXT) | instid1(VALU_DEP_2)
	v_and_b32_e32 v5, 3, v101
	v_mul_i32_i24_e32 v104, v104, v100
	s_delay_alu instid0(VALU_DEP_2) | instskip(NEXT) | instid1(VALU_DEP_1)
	v_mul_i32_i24_e32 v5, v96, v5
	v_add3_u32 v104, v103, v104, v5
	v_ashrrev_i32_e32 v103, s20, v105
	v_bfe_i32 v5, v102, 0, 8
	s_delay_alu instid0(VALU_DEP_2) | instskip(SKIP_1) | instid1(VALU_DEP_2)
	v_and_b32_e32 v102, 3, v103
	v_bfe_u32 v105, v103, 8, 2
	v_mul_i32_i24_e32 v102, v102, v92
	s_delay_alu instid0(VALU_DEP_2) | instskip(NEXT) | instid1(VALU_DEP_1)
	v_mul_i32_i24_e32 v105, v105, v5
	v_add3_u32 v102, v106, v102, v105
	v_add_nc_u32_e32 v105, 0x1080, v84
	ds_load_2addr_b32 v[106:107], v105 offset1:1
	s_wait_dscnt 0x0
	v_ashrrev_i32_e32 v105, s20, v107
	s_delay_alu instid0(VALU_DEP_1) | instskip(SKIP_1) | instid1(VALU_DEP_2)
	v_and_b32_e32 v107, 3, v105
	v_bfe_u32 v108, v105, 8, 2
	v_mul_i32_i24_e32 v107, v107, v98
	s_delay_alu instid0(VALU_DEP_1) | instskip(SKIP_2) | instid1(VALU_DEP_2)
	v_mad_i32_i24 v107, v108, v95, v107
	v_bfe_u32 v108, v105, 16, 2
	v_bfe_u32 v105, v105, 24, 2
	v_mul_i32_i24_e32 v108, v108, v94
	s_delay_alu instid0(VALU_DEP_2) | instskip(NEXT) | instid1(VALU_DEP_1)
	v_mul_i32_i24_e32 v105, v105, v93
	v_add3_u32 v122, v107, v108, v105
	s_wait_alu 0xfffe
	v_add_nc_u32_e32 v105, s21, v57
	v_add_nc_u32_e32 v107, 0x1090, v84
	ds_load_u16 v105, v105 offset:17904
	ds_load_2addr_b32 v[107:108], v107 offset1:1
	ds_load_2addr_b32 v[109:110], v109 offset1:1
	s_wait_dscnt 0x1
	v_ashrrev_i32_e32 v107, s20, v107
	v_ashrrev_i32_e32 v108, s20, v108
	s_delay_alu instid0(VALU_DEP_2) | instskip(SKIP_1) | instid1(VALU_DEP_2)
	v_and_b32_e32 v111, 3, v107
	v_bfe_u32 v112, v107, 8, 2
	v_mul_i32_i24_e32 v111, v111, v91
	s_delay_alu instid0(VALU_DEP_1) | instskip(SKIP_2) | instid1(VALU_DEP_2)
	v_mad_i32_i24 v111, v112, v6, v111
	v_bfe_u32 v112, v107, 16, 2
	v_bfe_u32 v107, v107, 24, 2
	v_mul_i32_i24_e32 v112, v112, v85
	s_delay_alu instid0(VALU_DEP_2) | instskip(NEXT) | instid1(VALU_DEP_1)
	v_mul_i32_i24_e32 v107, v107, v87
	v_add3_u32 v107, v111, v112, v107
	v_add_nc_u32_e32 v111, 0x2100, v84
	ds_load_2addr_b32 v[111:112], v111 offset1:1
	ds_load_2addr_b32 v[113:114], v113 offset1:1
	;; [unrolled: 1-line block ×3, first 2 shown]
	s_wait_dscnt 0x2
	v_ashrrev_i32_e32 v112, s20, v112
	v_ashrrev_i32_e32 v111, s20, v111
	s_wait_dscnt 0x0
	v_ashrrev_i32_e32 v115, s20, v115
	v_ashrrev_i32_e32 v113, s20, v113
	;; [unrolled: 1-line block ×3, first 2 shown]
	v_and_b32_e32 v117, 3, v112
	v_bfe_u32 v118, v112, 8, 2
	s_delay_alu instid0(VALU_DEP_2) | instskip(NEXT) | instid1(VALU_DEP_1)
	v_mul_i32_i24_e32 v117, v117, v98
	v_mad_i32_i24 v117, v118, v95, v117
	v_bfe_u32 v118, v112, 16, 2
	v_bfe_u32 v112, v112, 24, 2
	s_delay_alu instid0(VALU_DEP_2) | instskip(NEXT) | instid1(VALU_DEP_2)
	v_mul_i32_i24_e32 v118, v118, v94
	v_mul_i32_i24_e32 v112, v112, v93
	s_delay_alu instid0(VALU_DEP_1) | instskip(SKIP_2) | instid1(VALU_DEP_2)
	v_add3_u32 v112, v117, v118, v112
	v_and_b32_e32 v117, 3, v115
	v_bfe_u32 v118, v115, 8, 2
	v_mul_i32_i24_e32 v117, v117, v91
	s_delay_alu instid0(VALU_DEP_1) | instskip(SKIP_2) | instid1(VALU_DEP_2)
	v_mad_i32_i24 v117, v118, v6, v117
	v_bfe_u32 v118, v115, 16, 2
	v_bfe_u32 v115, v115, 24, 2
	v_mul_i32_i24_e32 v118, v118, v85
	s_delay_alu instid0(VALU_DEP_2) | instskip(NEXT) | instid1(VALU_DEP_1)
	v_mul_i32_i24_e32 v115, v115, v87
	v_add3_u32 v115, v117, v118, v115
	v_add_nc_u32_e32 v117, 0x3180, v84
	ds_load_2addr_b32 v[117:118], v117 offset1:1
	s_wait_dscnt 0x0
	v_ashrrev_i32_e32 v118, s20, v118
	v_ashrrev_i32_e32 v117, s20, v117
	s_delay_alu instid0(VALU_DEP_2) | instskip(SKIP_1) | instid1(VALU_DEP_2)
	v_and_b32_e32 v119, 3, v118
	v_bfe_u32 v120, v118, 8, 2
	v_mul_i32_i24_e32 v119, v119, v98
	s_delay_alu instid0(VALU_DEP_1) | instskip(SKIP_3) | instid1(VALU_DEP_3)
	v_mad_i32_i24 v119, v120, v95, v119
	v_bfe_u32 v120, v118, 16, 2
	v_bfe_u32 v118, v118, 24, 2
	v_add_nc_u32_e32 v95, v90, v95
	v_mul_i32_i24_e32 v120, v120, v94
	s_delay_alu instid0(VALU_DEP_3) | instskip(NEXT) | instid1(VALU_DEP_3)
	v_mul_i32_i24_e32 v118, v118, v93
	v_add3_u32 v95, v95, v97, v99
	v_add_nc_u32_e32 v93, v93, v81
	v_add_nc_u32_e32 v94, v94, v89
	s_delay_alu instid0(VALU_DEP_4) | instskip(SKIP_2) | instid1(VALU_DEP_4)
	v_add3_u32 v123, v119, v120, v118
	v_add_nc_u32_e32 v118, s21, v56
	v_add_nc_u32_e32 v120, 0x3198, v84
	v_add3_u32 v130, v94, v78, v10
	ds_load_u16 v124, v118 offset:19952
	v_add_nc_u32_e32 v118, 0x3190, v84
	ds_load_2addr_b32 v[118:119], v118 offset1:1
	ds_load_2addr_b32 v[120:121], v120 offset1:1
	s_wait_dscnt 0x1
	v_ashrrev_i32_e32 v118, s20, v118
	v_ashrrev_i32_e32 v119, s20, v119
	s_delay_alu instid0(VALU_DEP_2) | instskip(SKIP_1) | instid1(VALU_DEP_2)
	v_and_b32_e32 v125, 3, v118
	v_bfe_u32 v126, v118, 8, 2
	v_mul_i32_i24_e32 v125, v125, v91
	v_add_nc_u32_e32 v91, v92, v91
	s_delay_alu instid0(VALU_DEP_2) | instskip(SKIP_2) | instid1(VALU_DEP_2)
	v_mad_i32_i24 v125, v126, v6, v125
	v_bfe_u32 v126, v118, 16, 2
	v_bfe_u32 v118, v118, 24, 2
	v_mul_i32_i24_e32 v126, v126, v85
	s_delay_alu instid0(VALU_DEP_2) | instskip(NEXT) | instid1(VALU_DEP_1)
	v_mul_i32_i24_e32 v118, v118, v87
	v_add3_u32 v118, v125, v126, v118
	v_bfe_u32 v125, v101, 8, 2
	v_bfe_u32 v126, v101, 16, 2
	s_delay_alu instid0(VALU_DEP_2) | instskip(NEXT) | instid1(VALU_DEP_2)
	v_mul_i32_i24_e32 v125, v90, v125
	v_mul_i32_i24_e32 v126, v89, v126
	s_delay_alu instid0(VALU_DEP_1) | instskip(SKIP_3) | instid1(VALU_DEP_3)
	v_add3_u32 v104, v104, v125, v126
	v_bfe_u32 v125, v103, 16, 2
	v_bfe_u32 v103, v103, 24, 2
	v_ashrrev_i32_e32 v126, s20, v106
	v_mul_i32_i24_e32 v125, v125, v86
	s_delay_alu instid0(VALU_DEP_3) | instskip(NEXT) | instid1(VALU_DEP_1)
	v_mul_i32_i24_e32 v103, v103, v88
	v_add3_u32 v125, v102, v125, v103
	s_delay_alu instid0(VALU_DEP_4) | instskip(NEXT) | instid1(VALU_DEP_1)
	v_and_b32_e32 v102, 3, v126
	v_mul_i32_i24_e32 v106, v96, v102
	v_add_nc_u32_e32 v102, 0x1088, v84
	ds_load_2addr_b32 v[102:103], v102 offset1:1
	s_wait_dscnt 0x0
	v_ashrrev_i32_e32 v102, s20, v102
	s_delay_alu instid0(VALU_DEP_1) | instskip(NEXT) | instid1(VALU_DEP_1)
	v_and_b32_e32 v127, 3, v102
	v_mul_i32_i24_e32 v127, v127, v100
	s_delay_alu instid0(VALU_DEP_1) | instskip(SKIP_2) | instid1(VALU_DEP_2)
	v_add3_u32 v122, v122, v127, v106
	v_and_b32_e32 v106, 3, v108
	v_bfe_u32 v127, v108, 8, 2
	v_mul_i32_i24_e32 v106, v106, v92
	s_delay_alu instid0(VALU_DEP_2) | instskip(NEXT) | instid1(VALU_DEP_1)
	v_mul_i32_i24_e32 v127, v127, v5
	v_add3_u32 v127, v107, v106, v127
	v_and_b32_e32 v106, 3, v111
	v_and_b32_e32 v107, 3, v113
	s_delay_alu instid0(VALU_DEP_2) | instskip(NEXT) | instid1(VALU_DEP_2)
	v_mul_i32_i24_e32 v106, v96, v106
	v_mul_i32_i24_e32 v107, v107, v100
	s_delay_alu instid0(VALU_DEP_1) | instskip(SKIP_2) | instid1(VALU_DEP_2)
	v_add3_u32 v112, v112, v107, v106
	v_and_b32_e32 v106, 3, v116
	v_bfe_u32 v107, v116, 8, 2
	v_mul_i32_i24_e32 v106, v106, v92
	s_delay_alu instid0(VALU_DEP_2) | instskip(NEXT) | instid1(VALU_DEP_1)
	v_mul_i32_i24_e32 v107, v107, v5
	v_add3_u32 v115, v115, v106, v107
	v_and_b32_e32 v106, 3, v117
	s_delay_alu instid0(VALU_DEP_1)
	v_mul_i32_i24_e32 v128, v96, v106
	v_add_nc_u32_e32 v106, 0x3188, v84
	v_add_nc_u32_e32 v96, v98, v96
	;; [unrolled: 1-line block ×3, first 2 shown]
	ds_load_2addr_b32 v[106:107], v106 offset1:1
	v_add3_u32 v96, v96, v100, v74
	ds_load_u16 v98, v98 offset:16880
	s_wait_dscnt 0x1
	v_ashrrev_i32_e32 v106, s20, v106
	s_delay_alu instid0(VALU_DEP_1) | instskip(NEXT) | instid1(VALU_DEP_1)
	v_and_b32_e32 v129, 3, v106
	v_mul_i32_i24_e32 v129, v129, v100
	s_wait_dscnt 0x0
	v_bfe_u32 v100, v98, 4, 4
	s_delay_alu instid0(VALU_DEP_2) | instskip(SKIP_2) | instid1(VALU_DEP_4)
	v_add3_u32 v123, v123, v129, v128
	v_and_b32_e32 v128, 3, v119
	v_bfe_u32 v129, v119, 8, 2
	v_mul_lo_u32 v100, 0x1010101, v100
	s_delay_alu instid0(VALU_DEP_3) | instskip(NEXT) | instid1(VALU_DEP_3)
	v_mul_i32_i24_e32 v128, v128, v92
	v_mul_i32_i24_e32 v129, v129, v5
	v_add_nc_u32_e32 v5, v5, v6
	v_add3_u32 v6, v91, v83, v76
	v_bfe_i32 v94, v100, 16, 8
	s_delay_alu instid0(VALU_DEP_4)
	v_add3_u32 v118, v118, v128, v129
	v_bfe_i32 v128, v100, 0, 8
	v_bfe_i32 v129, v100, 8, 8
	v_add3_u32 v91, v5, v82, v75
	v_mul_i32_i24_e32 v94, v130, v94
	v_lshrrev_b16 v5, 8, v98
	v_mul_i32_i24_e32 v128, v96, v128
	s_delay_alu instid0(VALU_DEP_2) | instskip(NEXT) | instid1(VALU_DEP_2)
	v_and_b32_e32 v92, 0xffff, v5
	v_mad_i32_i24 v128, v95, v129, v128
	v_add3_u32 v129, v93, v77, v9
	v_lshrrev_b32_e32 v93, 24, v100
	s_delay_alu instid0(VALU_DEP_4) | instskip(NEXT) | instid1(VALU_DEP_2)
	v_lshrrev_b32_e32 v5, 4, v92
	v_mul_i32_i24_e32 v93, v129, v93
	s_delay_alu instid0(VALU_DEP_1) | instskip(SKIP_1) | instid1(VALU_DEP_1)
	v_add3_u32 v100, v128, v94, v93
	v_bfe_u32 v93, v105, 4, 4
	v_mul_lo_u32 v93, 0x1010101, v93
	s_delay_alu instid0(VALU_DEP_1) | instskip(SKIP_1) | instid1(VALU_DEP_2)
	v_bfe_i32 v94, v93, 0, 8
	v_bfe_i32 v128, v93, 8, 8
	v_mul_i32_i24_e32 v94, v96, v94
	s_delay_alu instid0(VALU_DEP_1) | instskip(SKIP_2) | instid1(VALU_DEP_2)
	v_mad_i32_i24 v94, v95, v128, v94
	v_lshrrev_b32_e32 v128, 24, v93
	v_bfe_i32 v93, v93, 16, 8
	v_mul_i32_i24_e32 v128, v129, v128
	s_delay_alu instid0(VALU_DEP_2) | instskip(NEXT) | instid1(VALU_DEP_1)
	v_mul_i32_i24_e32 v93, v130, v93
	v_add3_u32 v128, v94, v93, v128
	v_add_nc_u32_e32 v93, s21, v58
	ds_load_u16 v131, v93 offset:18928
	s_wait_dscnt 0x0
	v_bfe_u32 v93, v131, 4, 4
	s_delay_alu instid0(VALU_DEP_1) | instskip(NEXT) | instid1(VALU_DEP_1)
	v_mul_lo_u32 v93, 0x1010101, v93
	v_bfe_i32 v94, v93, 0, 8
	v_bfe_i32 v132, v93, 8, 8
	s_delay_alu instid0(VALU_DEP_2) | instskip(NEXT) | instid1(VALU_DEP_1)
	v_mul_i32_i24_e32 v94, v96, v94
	v_mad_i32_i24 v94, v95, v132, v94
	v_lshrrev_b32_e32 v132, 24, v93
	v_bfe_i32 v93, v93, 16, 8
	s_delay_alu instid0(VALU_DEP_2) | instskip(NEXT) | instid1(VALU_DEP_2)
	v_mul_i32_i24_e32 v132, v129, v132
	v_mul_i32_i24_e32 v93, v130, v93
	s_delay_alu instid0(VALU_DEP_1) | instskip(SKIP_2) | instid1(VALU_DEP_2)
	v_add3_u32 v132, v94, v93, v132
	v_bfe_u32 v93, v101, 24, 2
	v_bfe_u32 v94, v3, 8, 2
	v_mul_i32_i24_e32 v93, v81, v93
	s_delay_alu instid0(VALU_DEP_2) | instskip(NEXT) | instid1(VALU_DEP_1)
	v_mul_i32_i24_e32 v94, v94, v97
	v_add3_u32 v101, v104, v93, v94
	ds_load_2addr_b32 v[93:94], v84 offset0:6 offset1:7
	s_wait_dscnt 0x0
	v_ashrrev_i32_e32 v93, s20, v93
	s_delay_alu instid0(VALU_DEP_1) | instskip(SKIP_1) | instid1(VALU_DEP_2)
	v_and_b32_e32 v104, 3, v93
	v_bfe_u32 v133, v93, 8, 2
	v_mul_i32_i24_e32 v104, v104, v83
	s_delay_alu instid0(VALU_DEP_2) | instskip(NEXT) | instid1(VALU_DEP_1)
	v_mul_i32_i24_e32 v133, v133, v82
	v_add3_u32 v104, v125, v104, v133
	v_bfe_u32 v125, v126, 8, 2
	v_bfe_u32 v133, v126, 16, 2
	s_delay_alu instid0(VALU_DEP_2) | instskip(NEXT) | instid1(VALU_DEP_2)
	v_mul_i32_i24_e32 v125, v90, v125
	v_mul_i32_i24_e32 v133, v89, v133
	s_delay_alu instid0(VALU_DEP_1) | instskip(SKIP_2) | instid1(VALU_DEP_2)
	v_add3_u32 v122, v122, v125, v133
	v_bfe_u32 v125, v108, 16, 2
	v_bfe_u32 v108, v108, 24, 2
	v_mul_i32_i24_e32 v125, v125, v86
	s_delay_alu instid0(VALU_DEP_2) | instskip(NEXT) | instid1(VALU_DEP_1)
	v_mul_i32_i24_e32 v108, v108, v88
	v_add3_u32 v108, v127, v125, v108
	v_bfe_u32 v125, v111, 8, 2
	v_bfe_u32 v127, v111, 16, 2
	s_delay_alu instid0(VALU_DEP_2) | instskip(NEXT) | instid1(VALU_DEP_2)
	v_mul_i32_i24_e32 v125, v90, v125
	v_mul_i32_i24_e32 v127, v89, v127
	s_delay_alu instid0(VALU_DEP_1) | instskip(SKIP_2) | instid1(VALU_DEP_2)
	v_add3_u32 v112, v112, v125, v127
	v_bfe_u32 v125, v116, 16, 2
	v_bfe_u32 v116, v116, 24, 2
	v_mul_i32_i24_e32 v125, v125, v86
	s_delay_alu instid0(VALU_DEP_2) | instskip(NEXT) | instid1(VALU_DEP_1)
	v_mul_i32_i24_e32 v116, v116, v88
	v_add3_u32 v115, v115, v125, v116
	v_bfe_u32 v116, v117, 8, 2
	s_delay_alu instid0(VALU_DEP_1) | instskip(SKIP_1) | instid1(VALU_DEP_1)
	v_mul_i32_i24_e32 v90, v90, v116
	v_bfe_u32 v116, v117, 16, 2
	v_mul_i32_i24_e32 v89, v89, v116
	v_bfe_u32 v116, v119, 24, 2
	s_delay_alu instid0(VALU_DEP_2) | instskip(SKIP_1) | instid1(VALU_DEP_3)
	v_add3_u32 v89, v123, v90, v89
	v_bfe_u32 v90, v119, 16, 2
	v_mul_i32_i24_e32 v116, v116, v88
	s_delay_alu instid0(VALU_DEP_2) | instskip(NEXT) | instid1(VALU_DEP_1)
	v_mul_i32_i24_e32 v90, v90, v86
	v_add3_u32 v90, v118, v90, v116
	v_mul_lo_u32 v116, 0x1010101, v5
	s_delay_alu instid0(VALU_DEP_1) | instskip(SKIP_1) | instid1(VALU_DEP_2)
	v_bfe_i32 v5, v116, 0, 8
	v_bfe_i32 v118, v116, 8, 8
	v_mul_i32_i24_e32 v5, v6, v5
	s_delay_alu instid0(VALU_DEP_2) | instskip(NEXT) | instid1(VALU_DEP_1)
	v_mul_i32_i24_e32 v118, v91, v118
	v_add3_u32 v100, v100, v5, v118
	v_lshrrev_b16 v5, 8, v105
	s_delay_alu instid0(VALU_DEP_1) | instskip(NEXT) | instid1(VALU_DEP_1)
	v_and_b32_e32 v118, 0xffff, v5
	v_lshrrev_b32_e32 v5, 4, v118
	s_delay_alu instid0(VALU_DEP_1) | instskip(NEXT) | instid1(VALU_DEP_1)
	v_mul_lo_u32 v119, 0x1010101, v5
	v_bfe_i32 v5, v119, 0, 8
	v_bfe_i32 v123, v119, 8, 8
	s_delay_alu instid0(VALU_DEP_2) | instskip(NEXT) | instid1(VALU_DEP_2)
	v_mul_i32_i24_e32 v5, v6, v5
	v_mul_i32_i24_e32 v123, v91, v123
	s_delay_alu instid0(VALU_DEP_1) | instskip(SKIP_1) | instid1(VALU_DEP_1)
	v_add3_u32 v123, v128, v5, v123
	v_lshrrev_b16 v5, 8, v131
	v_and_b32_e32 v125, 0xffff, v5
	s_delay_alu instid0(VALU_DEP_1) | instskip(NEXT) | instid1(VALU_DEP_1)
	v_lshrrev_b32_e32 v5, 4, v125
	v_mul_lo_u32 v127, 0x1010101, v5
	s_delay_alu instid0(VALU_DEP_1) | instskip(SKIP_1) | instid1(VALU_DEP_2)
	v_bfe_i32 v5, v127, 0, 8
	v_bfe_i32 v128, v127, 8, 8
	v_mul_i32_i24_e32 v5, v6, v5
	s_delay_alu instid0(VALU_DEP_2) | instskip(NEXT) | instid1(VALU_DEP_1)
	v_mul_i32_i24_e32 v128, v91, v128
	v_add3_u32 v128, v132, v5, v128
	v_add_nc_u32_e32 v5, v88, v87
	s_delay_alu instid0(VALU_DEP_1) | instskip(SKIP_1) | instid1(VALU_DEP_1)
	v_add3_u32 v87, v5, v79, v72
	v_lshrrev_b16 v5, 8, v124
	v_and_b32_e32 v88, 0xffff, v5
	v_bfe_u32 v5, v124, 4, 4
	s_delay_alu instid0(VALU_DEP_1) | instskip(NEXT) | instid1(VALU_DEP_3)
	v_mul_lo_u32 v132, 0x1010101, v5
	v_lshrrev_b32_e32 v5, 4, v88
	s_delay_alu instid0(VALU_DEP_1) | instskip(NEXT) | instid1(VALU_DEP_3)
	v_mul_lo_u32 v133, 0x1010101, v5
	v_lshrrev_b32_e32 v134, 24, v132
	s_delay_alu instid0(VALU_DEP_2) | instskip(NEXT) | instid1(VALU_DEP_1)
	v_lshrrev_b32_e32 v5, 24, v133
	v_mul_i32_i24_e32 v5, v87, v5
	s_delay_alu instid0(VALU_DEP_1) | instskip(SKIP_2) | instid1(VALU_DEP_2)
	v_mad_i32_i24 v129, v129, v134, v5
	v_add_nc_u32_e32 v5, v86, v85
	v_bfe_i32 v86, v132, 16, 8
	v_add3_u32 v85, v5, v80, v73
	v_bfe_i32 v5, v133, 16, 8
	s_delay_alu instid0(VALU_DEP_1) | instskip(NEXT) | instid1(VALU_DEP_1)
	v_mul_i32_i24_e32 v5, v85, v5
	v_mad_i32_i24 v86, v130, v86, v5
	v_bfe_i32 v5, v133, 0, 8
	s_delay_alu instid0(VALU_DEP_1) | instskip(SKIP_1) | instid1(VALU_DEP_1)
	v_mul_i32_i24_e32 v5, v6, v5
	v_bfe_i32 v6, v132, 0, 8
	v_mad_i32_i24 v96, v96, v6, v5
	v_bfe_u32 v5, v3, 16, 2
	v_bfe_u32 v3, v3, 24, 2
	;; [unrolled: 1-line block ×3, first 2 shown]
	s_delay_alu instid0(VALU_DEP_3) | instskip(NEXT) | instid1(VALU_DEP_3)
	v_mul_i32_i24_e32 v5, v5, v78
	v_mul_i32_i24_e32 v3, v3, v77
	s_delay_alu instid0(VALU_DEP_3) | instskip(NEXT) | instid1(VALU_DEP_2)
	v_mul_i32_i24_e32 v6, v6, v79
	v_add3_u32 v3, v101, v5, v3
	v_bfe_u32 v5, v93, 16, 2
	s_delay_alu instid0(VALU_DEP_1) | instskip(NEXT) | instid1(VALU_DEP_1)
	v_mul_i32_i24_e32 v5, v5, v80
	v_add3_u32 v93, v104, v5, v6
	v_bfe_u32 v5, v126, 24, 2
	v_bfe_u32 v6, v102, 8, 2
	v_ashrrev_i32_e32 v104, s20, v109
	s_delay_alu instid0(VALU_DEP_3) | instskip(NEXT) | instid1(VALU_DEP_3)
	v_mul_i32_i24_e32 v5, v81, v5
	v_mul_i32_i24_e32 v6, v6, v97
	s_delay_alu instid0(VALU_DEP_1) | instskip(NEXT) | instid1(VALU_DEP_4)
	v_add3_u32 v101, v122, v5, v6
	v_and_b32_e32 v5, 3, v104
	v_bfe_u32 v6, v104, 8, 2
	s_delay_alu instid0(VALU_DEP_2) | instskip(NEXT) | instid1(VALU_DEP_2)
	v_mul_i32_i24_e32 v5, v5, v83
	v_mul_i32_i24_e32 v6, v6, v82
	s_delay_alu instid0(VALU_DEP_1) | instskip(SKIP_2) | instid1(VALU_DEP_2)
	v_add3_u32 v108, v108, v5, v6
	v_bfe_u32 v5, v111, 24, 2
	v_bfe_u32 v6, v113, 8, 2
	v_mul_i32_i24_e32 v5, v81, v5
	s_delay_alu instid0(VALU_DEP_2) | instskip(NEXT) | instid1(VALU_DEP_1)
	v_mul_i32_i24_e32 v6, v6, v97
	v_add3_u32 v109, v112, v5, v6
	v_add_nc_u32_e32 v5, 0x2118, v84
	ds_load_2addr_b32 v[5:6], v5 offset1:1
	s_wait_dscnt 0x0
	v_ashrrev_i32_e32 v5, s20, v5
	v_ashrrev_i32_e32 v6, s20, v6
	s_delay_alu instid0(VALU_DEP_2) | instskip(SKIP_1) | instid1(VALU_DEP_2)
	v_and_b32_e32 v84, 3, v5
	v_bfe_u32 v111, v5, 8, 2
	v_mul_i32_i24_e32 v84, v84, v83
	s_delay_alu instid0(VALU_DEP_2) | instskip(NEXT) | instid1(VALU_DEP_1)
	v_mul_i32_i24_e32 v111, v111, v82
	v_add3_u32 v84, v115, v84, v111
	v_bfe_u32 v111, v117, 24, 2
	s_delay_alu instid0(VALU_DEP_1) | instskip(SKIP_1) | instid1(VALU_DEP_1)
	v_mul_i32_i24_e32 v81, v81, v111
	v_bfe_u32 v111, v106, 8, 2
	v_mul_i32_i24_e32 v97, v111, v97
	s_delay_alu instid0(VALU_DEP_1) | instskip(SKIP_1) | instid1(VALU_DEP_1)
	v_add3_u32 v81, v89, v81, v97
	v_ashrrev_i32_e32 v89, s20, v120
	v_and_b32_e32 v97, 3, v89
	s_delay_alu instid0(VALU_DEP_1) | instskip(SKIP_1) | instid1(VALU_DEP_1)
	v_mul_i32_i24_e32 v83, v97, v83
	v_bfe_u32 v97, v89, 8, 2
	v_mul_i32_i24_e32 v82, v97, v82
	v_bfe_i32 v97, v119, 16, 8
	s_delay_alu instid0(VALU_DEP_2) | instskip(SKIP_2) | instid1(VALU_DEP_4)
	v_add3_u32 v82, v90, v83, v82
	v_lshrrev_b32_e32 v83, 24, v116
	v_bfe_i32 v90, v116, 16, 8
	v_mul_i32_i24_e32 v97, v85, v97
	s_delay_alu instid0(VALU_DEP_3) | instskip(NEXT) | instid1(VALU_DEP_3)
	v_mul_i32_i24_e32 v83, v87, v83
	v_mul_i32_i24_e32 v90, v85, v90
	s_delay_alu instid0(VALU_DEP_1) | instskip(SKIP_2) | instid1(VALU_DEP_2)
	v_add3_u32 v83, v100, v90, v83
	v_lshrrev_b32_e32 v90, 24, v119
	v_bfe_u32 v100, v113, 24, 2
	v_mul_i32_i24_e32 v90, v87, v90
	s_delay_alu instid0(VALU_DEP_2) | instskip(NEXT) | instid1(VALU_DEP_2)
	v_mul_i32_i24_e32 v100, v100, v77
	v_add3_u32 v90, v123, v97, v90
	v_lshrrev_b32_e32 v97, 24, v127
	s_delay_alu instid0(VALU_DEP_1) | instskip(SKIP_1) | instid1(VALU_DEP_1)
	v_mul_i32_i24_e32 v87, v87, v97
	v_bfe_i32 v97, v127, 16, 8
	v_mul_i32_i24_e32 v85, v85, v97
	v_bfe_u32 v97, v104, 24, 2
	s_delay_alu instid0(VALU_DEP_2) | instskip(SKIP_1) | instid1(VALU_DEP_3)
	v_add3_u32 v85, v128, v85, v87
	v_lshrrev_b16 v87, 8, v132
	v_mul_i32_i24_e32 v97, v97, v79
	s_delay_alu instid0(VALU_DEP_2) | instskip(NEXT) | instid1(VALU_DEP_1)
	v_bfe_i32 v87, v87, 0, 8
	v_mul_i32_i24_e32 v87, v95, v87
	v_bfe_i32 v95, v133, 8, 8
	s_delay_alu instid0(VALU_DEP_1) | instskip(SKIP_1) | instid1(VALU_DEP_2)
	v_mul_i32_i24_e32 v91, v91, v95
	v_bfe_u32 v95, v4, 8, 2
	v_add3_u32 v87, v87, v91, v129
	v_and_b32_e32 v91, 3, v4
	s_delay_alu instid0(VALU_DEP_3) | instskip(NEXT) | instid1(VALU_DEP_2)
	v_mul_i32_i24_e32 v95, v95, v99
	v_mul_i32_i24_e32 v91, v91, v74
	s_delay_alu instid0(VALU_DEP_1) | instskip(SKIP_1) | instid1(VALU_DEP_1)
	v_add3_u32 v3, v3, v91, v95
	v_ashrrev_i32_e32 v91, s20, v94
	v_and_b32_e32 v94, 3, v91
	v_bfe_u32 v95, v91, 8, 2
	s_delay_alu instid0(VALU_DEP_2) | instskip(NEXT) | instid1(VALU_DEP_2)
	v_mul_i32_i24_e32 v94, v94, v76
	v_mul_i32_i24_e32 v95, v95, v75
	s_delay_alu instid0(VALU_DEP_1) | instskip(SKIP_2) | instid1(VALU_DEP_2)
	v_add3_u32 v93, v93, v94, v95
	v_bfe_u32 v94, v102, 16, 2
	v_bfe_u32 v95, v102, 24, 2
	v_mul_i32_i24_e32 v94, v94, v78
	s_delay_alu instid0(VALU_DEP_2) | instskip(NEXT) | instid1(VALU_DEP_1)
	v_mul_i32_i24_e32 v95, v95, v77
	v_add3_u32 v94, v101, v94, v95
	v_bfe_u32 v95, v104, 16, 2
	s_delay_alu instid0(VALU_DEP_1) | instskip(NEXT) | instid1(VALU_DEP_1)
	v_mul_i32_i24_e32 v95, v95, v80
	v_add3_u32 v95, v108, v95, v97
	v_bfe_u32 v97, v113, 16, 2
	s_delay_alu instid0(VALU_DEP_1) | instskip(NEXT) | instid1(VALU_DEP_1)
	v_mul_i32_i24_e32 v97, v97, v78
	v_add3_u32 v97, v109, v97, v100
	v_bfe_u32 v100, v5, 16, 2
	v_bfe_u32 v5, v5, 24, 2
	s_delay_alu instid0(VALU_DEP_2) | instskip(NEXT) | instid1(VALU_DEP_2)
	v_mul_i32_i24_e32 v100, v100, v80
	v_mul_i32_i24_e32 v5, v5, v79
	s_delay_alu instid0(VALU_DEP_1) | instskip(SKIP_1) | instid1(VALU_DEP_1)
	v_add3_u32 v5, v84, v100, v5
	v_bfe_u32 v84, v106, 16, 2
	v_mul_i32_i24_e32 v78, v84, v78
	v_bfe_u32 v84, v106, 24, 2
	s_delay_alu instid0(VALU_DEP_1) | instskip(NEXT) | instid1(VALU_DEP_1)
	v_mul_i32_i24_e32 v77, v84, v77
	v_add3_u32 v77, v81, v78, v77
	v_bfe_u32 v78, v89, 16, 2
	s_delay_alu instid0(VALU_DEP_1) | instskip(SKIP_1) | instid1(VALU_DEP_1)
	v_mul_i32_i24_e32 v78, v78, v80
	v_bfe_u32 v80, v89, 24, 2
	v_mul_i32_i24_e32 v79, v80, v79
	v_bfe_u32 v80, v4, 16, 2
	v_bfe_u32 v4, v4, 24, 2
	s_delay_alu instid0(VALU_DEP_3) | instskip(NEXT) | instid1(VALU_DEP_3)
	v_add3_u32 v78, v82, v78, v79
	v_mul_i32_i24_e32 v80, v80, v10
	s_delay_alu instid0(VALU_DEP_3) | instskip(SKIP_1) | instid1(VALU_DEP_2)
	v_mul_i32_i24_e32 v4, v4, v9
	v_add3_u32 v79, v96, v86, v87
	v_add3_u32 v3, v3, v80, v4
	v_bfe_u32 v4, v91, 16, 2
	v_bfe_u32 v80, v91, 24, 2
	;; [unrolled: 1-line block ×3, first 2 shown]
	v_cvt_f32_i32_e32 v79, v79
	s_delay_alu instid0(VALU_DEP_4) | instskip(NEXT) | instid1(VALU_DEP_4)
	v_mul_i32_i24_e32 v4, v4, v73
	v_mul_i32_i24_e32 v80, v80, v72
	s_delay_alu instid0(VALU_DEP_4) | instskip(NEXT) | instid1(VALU_DEP_2)
	v_mul_i32_i24_e32 v91, v91, v75
	v_add3_u32 v4, v93, v4, v80
	v_ashrrev_i32_e32 v80, s20, v103
	s_delay_alu instid0(VALU_DEP_1) | instskip(SKIP_1) | instid1(VALU_DEP_2)
	v_and_b32_e32 v81, 3, v80
	v_bfe_u32 v82, v80, 8, 2
	v_mul_i32_i24_e32 v81, v81, v74
	s_delay_alu instid0(VALU_DEP_2) | instskip(NEXT) | instid1(VALU_DEP_1)
	v_mul_i32_i24_e32 v82, v82, v99
	v_add3_u32 v81, v94, v81, v82
	v_ashrrev_i32_e32 v82, s20, v110
	s_delay_alu instid0(VALU_DEP_1) | instskip(SKIP_1) | instid1(VALU_DEP_2)
	v_and_b32_e32 v84, 3, v82
	v_bfe_u32 v86, v82, 8, 2
	v_mul_i32_i24_e32 v84, v84, v76
	s_delay_alu instid0(VALU_DEP_2) | instskip(NEXT) | instid1(VALU_DEP_1)
	;; [unrolled: 8-line block ×3, first 2 shown]
	v_mul_i32_i24_e32 v89, v89, v99
	v_add3_u32 v87, v97, v87, v89
	v_and_b32_e32 v89, 3, v6
	s_delay_alu instid0(VALU_DEP_1) | instskip(NEXT) | instid1(VALU_DEP_1)
	v_mul_i32_i24_e32 v89, v89, v76
	v_add3_u32 v5, v5, v89, v91
	v_ashrrev_i32_e32 v89, s20, v107
	s_delay_alu instid0(VALU_DEP_1) | instskip(NEXT) | instid1(VALU_DEP_1)
	v_and_b32_e32 v91, 3, v89
	v_mul_i32_i24_e32 v74, v91, v74
	v_bfe_u32 v91, v89, 8, 2
	s_delay_alu instid0(VALU_DEP_1) | instskip(NEXT) | instid1(VALU_DEP_1)
	v_mul_i32_i24_e32 v91, v91, v99
	v_add3_u32 v74, v77, v74, v91
	v_ashrrev_i32_e32 v77, s20, v121
	s_lshr_b32 s20, s1, 2
	s_wait_alu 0xfffe
	s_and_b32 s20, s20, 0x3ffffffc
	s_delay_alu instid0(VALU_DEP_1) | instskip(SKIP_2) | instid1(VALU_DEP_1)
	v_and_b32_e32 v91, 3, v77
	s_wait_alu 0xfffe
	s_addk_co_i32 s20, 0x5280
	v_mul_i32_i24_e32 v76, v91, v76
	v_bfe_u32 v91, v77, 8, 2
	s_delay_alu instid0(VALU_DEP_1) | instskip(NEXT) | instid1(VALU_DEP_1)
	v_mul_i32_i24_e32 v75, v91, v75
	v_add3_u32 v75, v78, v76, v75
	v_bfe_u32 v76, v80, 16, 2
	v_bfe_u32 v78, v80, 24, 2
	;; [unrolled: 1-line block ×3, first 2 shown]
	s_delay_alu instid0(VALU_DEP_3) | instskip(NEXT) | instid1(VALU_DEP_3)
	v_mul_i32_i24_e32 v76, v76, v10
	v_mul_i32_i24_e32 v78, v78, v9
	s_delay_alu instid0(VALU_DEP_3) | instskip(NEXT) | instid1(VALU_DEP_2)
	v_mul_i32_i24_e32 v80, v80, v72
	v_add3_u32 v76, v81, v76, v78
	v_bfe_u32 v78, v82, 16, 2
	v_bfe_u32 v81, v86, 24, 2
	v_and_b32_e32 v82, 15, v124
	s_delay_alu instid0(VALU_DEP_3) | instskip(NEXT) | instid1(VALU_DEP_3)
	v_mul_i32_i24_e32 v78, v78, v73
	v_mul_i32_i24_e32 v81, v81, v9
	s_delay_alu instid0(VALU_DEP_2) | instskip(SKIP_2) | instid1(VALU_DEP_2)
	v_add3_u32 v78, v84, v78, v80
	v_bfe_u32 v80, v86, 16, 2
	v_and_b32_e32 v84, 15, v125
	v_mul_i32_i24_e32 v80, v80, v10
	s_delay_alu instid0(VALU_DEP_1) | instskip(SKIP_2) | instid1(VALU_DEP_2)
	v_add3_u32 v80, v87, v80, v81
	v_bfe_u32 v81, v6, 16, 2
	v_bfe_u32 v6, v6, 24, 2
	v_mul_i32_i24_e32 v81, v81, v73
	s_delay_alu instid0(VALU_DEP_2) | instskip(NEXT) | instid1(VALU_DEP_1)
	v_mul_i32_i24_e32 v6, v6, v72
	v_add3_u32 v6, v5, v81, v6
	v_bfe_u32 v5, v89, 16, 2
	s_delay_alu instid0(VALU_DEP_1) | instskip(SKIP_1) | instid1(VALU_DEP_1)
	v_mul_i32_i24_e32 v5, v5, v10
	v_bfe_u32 v10, v89, 24, 2
	v_mul_i32_i24_e32 v9, v10, v9
	s_wait_alu 0xfffe
	v_add3_u32 v10, s20, v63, v64
	s_delay_alu instid0(VALU_DEP_2) | instskip(SKIP_1) | instid1(VALU_DEP_1)
	v_add3_u32 v9, v74, v5, v9
	v_bfe_u32 v5, v77, 16, 2
	v_mul_i32_i24_e32 v5, v5, v73
	v_bfe_u32 v73, v77, 24, 2
	v_and_b32_e32 v77, 15, v92
	s_delay_alu instid0(VALU_DEP_2)
	v_mul_i32_i24_e32 v72, v73, v72
	v_add3_u32 v73, s20, v67, v68
	ds_load_b32 v74, v10
	ds_load_b32 v73, v73
	v_add3_u32 v10, v75, v5, v72
	v_add3_u32 v5, s20, v69, v70
	;; [unrolled: 1-line block ×3, first 2 shown]
	ds_load_b32 v75, v5
	ds_load_b32 v72, v72
	v_and_b32_e32 v5, 15, v98
	s_add_co_i32 s20, s1, 2
	s_cmp_lt_u32 s1, 22
	s_wait_alu 0xfffe
	s_mov_b32 s1, s20
	v_mul_lo_u32 v3, v3, v5
	v_and_b32_e32 v5, 15, v118
	s_delay_alu instid0(VALU_DEP_2)
	v_mad_co_u64_u32 v[3:4], null, v4, v77, v[3:4]
	v_and_b32_e32 v4, 15, v105
	ds_load_b32 v77, v8
	v_add_nc_u32_e32 v8, 4, v8
	s_wait_dscnt 0x1
	v_lshrrev_b32_e32 v81, 16, v72
	v_mul_lo_u32 v4, v76, v4
	v_lshrrev_b32_e32 v76, 16, v75
	v_cvt_f32_i32_e32 v3, v3
	s_delay_alu instid0(VALU_DEP_4) | instskip(NEXT) | instid1(VALU_DEP_3)
	v_cvt_f32_f16_e32 v81, v81
	v_cvt_f32_f16_e32 v76, v76
	v_mad_co_u64_u32 v[4:5], null, v78, v5, v[4:5]
	v_and_b32_e32 v5, 15, v131
	v_lshrrev_b32_e32 v78, 16, v74
	s_delay_alu instid0(VALU_DEP_4) | instskip(NEXT) | instid1(VALU_DEP_3)
	v_mul_f32_e32 v76, v76, v79
	v_mul_lo_u32 v5, v80, v5
	v_lshrrev_b32_e32 v80, 16, v73
	s_delay_alu instid0(VALU_DEP_4) | instskip(SKIP_1) | instid1(VALU_DEP_3)
	v_cvt_f32_f16_e32 v78, v78
	v_cvt_f32_i32_e32 v4, v4
	v_cvt_f32_f16_e32 v80, v80
	v_mad_co_u64_u32 v[5:6], null, v6, v84, v[5:6]
	v_mul_lo_u32 v6, v9, v82
	v_and_b32_e32 v9, 15, v88
	v_cvt_f32_i32_e32 v82, v83
	v_cvt_f32_i32_e32 v83, v90
	;; [unrolled: 1-line block ×4, first 2 shown]
	v_mad_co_u64_u32 v[9:10], null, v10, v9, v[6:7]
	v_mul_f32_e32 v6, v78, v82
	v_mul_f32_e32 v10, v81, v83
	v_dual_mul_f32 v78, v80, v84 :: v_dual_add_nc_u32 v7, 32, v7
	s_delay_alu instid0(VALU_DEP_3) | instskip(SKIP_1) | instid1(VALU_DEP_4)
	v_fma_mix_f32 v3, v74, v3, -v6 op_sel_hi:[1,0,0]
	v_cvt_f32_i32_e32 v9, v9
	v_fma_mix_f32 v4, v72, v4, -v10 op_sel_hi:[1,0,0]
	s_delay_alu instid0(VALU_DEP_4)
	v_fma_mix_f32 v5, v73, v5, -v78 op_sel_hi:[1,0,0]
	s_wait_dscnt 0x0
	v_fmac_f32_e32 v13, v77, v3
	v_fma_mix_f32 v6, v75, v9, -v76 op_sel_hi:[1,0,0]
	v_fmac_f32_e32 v47, v77, v4
	v_fmac_f32_e32 v38, v77, v5
	s_delay_alu instid0(VALU_DEP_3)
	v_fmac_f32_e32 v2, v77, v6
	s_cbranch_scc1 .LBB227_27
; %bb.28:                               ;   in Loop: Header=BB227_5 Depth=1
	s_or_b32 s1, s16, 0x180
	s_wait_loadcnt 0x0
	s_wait_alu 0xfffe
	s_cmp_ge_i32 s1, s11
	s_barrier_signal -1
	s_barrier_wait -1
	global_inv scope:SCOPE_SE
	s_cbranch_scc1 .LBB227_4
; %bb.29:                               ;   in Loop: Header=BB227_5 Depth=1
	v_add_nc_u32_e32 v3, s17, v51
	s_delay_alu instid0(VALU_DEP_1)
	v_cmp_gt_i32_e64 s1, s5, v3
	s_and_b32 s16, s0, s1
	s_wait_alu 0xfffe
	s_and_saveexec_b32 s1, s16
	s_cbranch_execz .LBB227_31
; %bb.30:                               ;   in Loop: Header=BB227_5 Depth=1
	v_add_nc_u32_e32 v3, v52, v3
	s_delay_alu instid0(VALU_DEP_1)
	v_mad_co_i64_i32 v[3:4], null, v3, 36, v[0:1]
	global_load_b32 v3, v[3:4], off offset:4
	s_wait_loadcnt 0x0
	ds_store_b32 v45, v3
.LBB227_31:                             ;   in Loop: Header=BB227_5 Depth=1
	s_wait_alu 0xfffe
	s_or_b32 exec_lo, exec_lo, s1
	s_and_saveexec_b32 s16, vcc_lo
	s_cbranch_execz .LBB227_34
; %bb.32:                               ;   in Loop: Header=BB227_5 Depth=1
	v_or_b32_e32 v3, 12, v71
	s_delay_alu instid0(VALU_DEP_1)
	v_cmp_gt_i32_e64 s1, s5, v3
	s_and_b32 s1, s0, s1
	s_wait_alu 0xfffe
	s_and_b32 exec_lo, exec_lo, s1
	s_cbranch_execz .LBB227_34
; %bb.33:                               ;   in Loop: Header=BB227_5 Depth=1
	v_ashrrev_i32_e32 v3, 31, v71
	v_add_co_u32 v4, s1, v52, v71
	s_wait_alu 0xf1ff
	s_delay_alu instid0(VALU_DEP_2) | instskip(NEXT) | instid1(VALU_DEP_2)
	v_add_co_ci_u32_e64 v5, null, v55, v3, s1
	v_mad_co_u64_u32 v[3:4], null, v4, 36, s[2:3]
	s_delay_alu instid0(VALU_DEP_1)
	v_mad_i32_i24 v4, v5, 36, v4
	global_load_b32 v3, v[3:4], off offset:432
	s_wait_loadcnt 0x0
	v_cvt_f32_f16_e32 v3, v3
	ds_store_b32 v48, v3
.LBB227_34:                             ;   in Loop: Header=BB227_5 Depth=1
	s_wait_alu 0xfffe
	s_or_b32 exec_lo, exec_lo, s16
	v_dual_mov_b32 v7, v44 :: v_dual_mov_b32 v8, v46
	s_mov_b32 s1, 24
	s_wait_loadcnt_dscnt 0x0
	s_barrier_signal -1
	s_barrier_wait -1
	global_inv scope:SCOPE_SE
.LBB227_35:                             ;   Parent Loop BB227_5 Depth=1
                                        ; =>  This Inner Loop Header: Depth=2
	ds_load_b128 v[3:6], v7
	ds_load_b128 v[101:104], v7 offset:16
	s_wait_alu 0xfffe
	s_and_b32 s17, s1, 0x3ffffff8
	s_sub_co_i32 s16, s1, 24
	s_wait_alu 0xfffe
	v_lshl_add_u32 v83, s17, 2, v53
	s_and_b32 s17, s1, -16
	s_wait_alu 0xfffe
	s_add_co_i32 s17, s1, s17
	s_delay_alu instid0(VALU_DEP_1)
	v_add_nc_u32_e32 v108, 0x1098, v83
	v_add_nc_u32_e32 v112, 0x2108, v83
	;; [unrolled: 1-line block ×3, first 2 shown]
	s_wait_dscnt 0x1
	v_ashrrev_i32_e32 v80, 24, v3
	v_bfe_i32 v94, v4, 8, 8
	v_bfe_i32 v95, v3, 0, 8
	;; [unrolled: 1-line block ×3, first 2 shown]
	v_ashrrev_i32_e32 v92, 24, v4
	v_bfe_i32 v89, v3, 8, 8
	v_bfe_i32 v97, v4, 0, 8
	;; [unrolled: 1-line block ×3, first 2 shown]
	v_lshrrev_b16 v96, 8, v5
	v_ashrrev_i32_e32 v76, 24, v5
	v_bfe_i32 v77, v5, 16, 8
	v_bfe_i32 v99, v5, 0, 8
	v_lshrrev_b16 v98, 8, v6
	v_ashrrev_i32_e32 v9, 24, v6
	v_bfe_i32 v10, v6, 16, 8
	v_bfe_i32 v73, v6, 0, 8
	s_wait_dscnt 0x0
	v_ashrrev_i32_e32 v78, 24, v103
	v_bfe_i32 v79, v103, 16, 8
	v_bfe_i32 v82, v103, 0, 8
	;; [unrolled: 1-line block ×3, first 2 shown]
	v_ashrrev_i32_e32 v71, 24, v104
	v_bfe_i32 v72, v104, 16, 8
	v_bfe_i32 v75, v104, 0, 8
	;; [unrolled: 1-line block ×3, first 2 shown]
	ds_load_2addr_b32 v[5:6], v83 offset1:1
	ds_load_2addr_b32 v[3:4], v83 offset0:2 offset1:3
	ds_load_2addr_b32 v[103:104], v83 offset0:4 offset1:5
	v_lshrrev_b16 v100, 8, v101
	v_ashrrev_i32_e32 v86, 24, v101
	v_bfe_i32 v90, v101, 0, 8
	v_bfe_i32 v84, v101, 16, 8
	v_lshrrev_b16 v101, 8, v102
	v_ashrrev_i32_e32 v87, 24, v102
	v_bfe_i32 v91, v102, 0, 8
	v_bfe_i32 v85, v102, 16, 8
	;; [unrolled: 1-line block ×4, first 2 shown]
	s_wait_dscnt 0x2
	v_ashrrev_i32_e32 v6, s16, v6
	s_wait_dscnt 0x1
	v_ashrrev_i32_e32 v3, s16, v3
	v_ashrrev_i32_e32 v4, s16, v4
	s_delay_alu instid0(VALU_DEP_3) | instskip(SKIP_1) | instid1(VALU_DEP_2)
	v_and_b32_e32 v102, 3, v6
	v_bfe_u32 v105, v6, 8, 2
	v_mul_i32_i24_e32 v102, v102, v97
	s_delay_alu instid0(VALU_DEP_1) | instskip(SKIP_2) | instid1(VALU_DEP_2)
	v_mad_i32_i24 v102, v105, v94, v102
	v_bfe_u32 v105, v6, 16, 2
	v_bfe_u32 v6, v6, 24, 2
	v_mul_i32_i24_e32 v105, v105, v93
	s_delay_alu instid0(VALU_DEP_2) | instskip(NEXT) | instid1(VALU_DEP_1)
	v_mul_i32_i24_e32 v6, v6, v92
	v_add3_u32 v102, v102, v105, v6
	v_bfe_i32 v6, v100, 0, 8
	s_wait_dscnt 0x0
	v_ashrrev_i32_e32 v100, s16, v103
	s_delay_alu instid0(VALU_DEP_1) | instskip(SKIP_1) | instid1(VALU_DEP_2)
	v_and_b32_e32 v103, 3, v100
	v_bfe_u32 v105, v100, 8, 2
	v_mul_i32_i24_e32 v103, v103, v90
	s_delay_alu instid0(VALU_DEP_1) | instskip(SKIP_2) | instid1(VALU_DEP_2)
	v_mad_i32_i24 v103, v105, v6, v103
	v_bfe_u32 v105, v100, 16, 2
	v_bfe_u32 v100, v100, 24, 2
	v_mul_i32_i24_e32 v105, v105, v84
	s_delay_alu instid0(VALU_DEP_2) | instskip(NEXT) | instid1(VALU_DEP_1)
	v_mul_i32_i24_e32 v100, v100, v86
	v_add3_u32 v105, v103, v105, v100
	v_ashrrev_i32_e32 v100, s16, v5
	v_and_b32_e32 v103, 3, v3
	s_delay_alu instid0(VALU_DEP_2) | instskip(NEXT) | instid1(VALU_DEP_2)
	v_and_b32_e32 v5, 3, v100
	v_mul_i32_i24_e32 v103, v103, v99
	s_delay_alu instid0(VALU_DEP_2) | instskip(NEXT) | instid1(VALU_DEP_1)
	v_mul_i32_i24_e32 v5, v95, v5
	v_add3_u32 v103, v102, v103, v5
	v_ashrrev_i32_e32 v102, s16, v104
	v_bfe_i32 v5, v101, 0, 8
	s_delay_alu instid0(VALU_DEP_2) | instskip(SKIP_1) | instid1(VALU_DEP_2)
	v_and_b32_e32 v101, 3, v102
	v_bfe_u32 v104, v102, 8, 2
	v_mul_i32_i24_e32 v101, v101, v91
	s_delay_alu instid0(VALU_DEP_2) | instskip(NEXT) | instid1(VALU_DEP_1)
	v_mul_i32_i24_e32 v104, v104, v5
	v_add3_u32 v101, v105, v101, v104
	v_add_nc_u32_e32 v104, 0x1080, v83
	ds_load_2addr_b32 v[105:106], v104 offset1:1
	s_wait_dscnt 0x0
	v_ashrrev_i32_e32 v104, s16, v106
	s_delay_alu instid0(VALU_DEP_1) | instskip(SKIP_1) | instid1(VALU_DEP_2)
	v_and_b32_e32 v106, 3, v104
	v_bfe_u32 v107, v104, 8, 2
	v_mul_i32_i24_e32 v106, v106, v97
	s_delay_alu instid0(VALU_DEP_1) | instskip(SKIP_2) | instid1(VALU_DEP_2)
	v_mad_i32_i24 v106, v107, v94, v106
	v_bfe_u32 v107, v104, 16, 2
	v_bfe_u32 v104, v104, 24, 2
	v_mul_i32_i24_e32 v107, v107, v93
	s_delay_alu instid0(VALU_DEP_2) | instskip(NEXT) | instid1(VALU_DEP_1)
	v_mul_i32_i24_e32 v104, v104, v92
	v_add3_u32 v121, v106, v107, v104
	s_wait_alu 0xfffe
	v_add_nc_u32_e32 v104, s17, v57
	v_add_nc_u32_e32 v106, 0x1090, v83
	ds_load_u16 v104, v104 offset:17904
	ds_load_2addr_b32 v[106:107], v106 offset1:1
	ds_load_2addr_b32 v[108:109], v108 offset1:1
	s_wait_dscnt 0x1
	v_ashrrev_i32_e32 v106, s16, v106
	v_ashrrev_i32_e32 v107, s16, v107
	s_delay_alu instid0(VALU_DEP_2) | instskip(SKIP_1) | instid1(VALU_DEP_2)
	v_and_b32_e32 v110, 3, v106
	v_bfe_u32 v111, v106, 8, 2
	v_mul_i32_i24_e32 v110, v110, v90
	s_delay_alu instid0(VALU_DEP_1) | instskip(SKIP_2) | instid1(VALU_DEP_2)
	v_mad_i32_i24 v110, v111, v6, v110
	v_bfe_u32 v111, v106, 16, 2
	v_bfe_u32 v106, v106, 24, 2
	v_mul_i32_i24_e32 v111, v111, v84
	s_delay_alu instid0(VALU_DEP_2) | instskip(NEXT) | instid1(VALU_DEP_1)
	v_mul_i32_i24_e32 v106, v106, v86
	v_add3_u32 v106, v110, v111, v106
	v_add_nc_u32_e32 v110, 0x2100, v83
	ds_load_2addr_b32 v[110:111], v110 offset1:1
	ds_load_2addr_b32 v[112:113], v112 offset1:1
	;; [unrolled: 1-line block ×3, first 2 shown]
	s_wait_dscnt 0x2
	v_ashrrev_i32_e32 v111, s16, v111
	v_ashrrev_i32_e32 v110, s16, v110
	s_wait_dscnt 0x0
	v_ashrrev_i32_e32 v114, s16, v114
	v_ashrrev_i32_e32 v112, s16, v112
	;; [unrolled: 1-line block ×3, first 2 shown]
	v_and_b32_e32 v116, 3, v111
	v_bfe_u32 v117, v111, 8, 2
	s_delay_alu instid0(VALU_DEP_2) | instskip(NEXT) | instid1(VALU_DEP_1)
	v_mul_i32_i24_e32 v116, v116, v97
	v_mad_i32_i24 v116, v117, v94, v116
	v_bfe_u32 v117, v111, 16, 2
	v_bfe_u32 v111, v111, 24, 2
	s_delay_alu instid0(VALU_DEP_2) | instskip(NEXT) | instid1(VALU_DEP_2)
	v_mul_i32_i24_e32 v117, v117, v93
	v_mul_i32_i24_e32 v111, v111, v92
	s_delay_alu instid0(VALU_DEP_1) | instskip(SKIP_2) | instid1(VALU_DEP_2)
	v_add3_u32 v111, v116, v117, v111
	v_and_b32_e32 v116, 3, v114
	v_bfe_u32 v117, v114, 8, 2
	v_mul_i32_i24_e32 v116, v116, v90
	s_delay_alu instid0(VALU_DEP_1) | instskip(SKIP_2) | instid1(VALU_DEP_2)
	v_mad_i32_i24 v116, v117, v6, v116
	v_bfe_u32 v117, v114, 16, 2
	v_bfe_u32 v114, v114, 24, 2
	v_mul_i32_i24_e32 v117, v117, v84
	s_delay_alu instid0(VALU_DEP_2) | instskip(NEXT) | instid1(VALU_DEP_1)
	v_mul_i32_i24_e32 v114, v114, v86
	v_add3_u32 v114, v116, v117, v114
	v_add_nc_u32_e32 v116, 0x3180, v83
	ds_load_2addr_b32 v[116:117], v116 offset1:1
	s_wait_dscnt 0x0
	v_ashrrev_i32_e32 v117, s16, v117
	v_ashrrev_i32_e32 v116, s16, v116
	s_delay_alu instid0(VALU_DEP_2) | instskip(SKIP_1) | instid1(VALU_DEP_2)
	v_and_b32_e32 v118, 3, v117
	v_bfe_u32 v119, v117, 8, 2
	v_mul_i32_i24_e32 v118, v118, v97
	s_delay_alu instid0(VALU_DEP_1) | instskip(SKIP_3) | instid1(VALU_DEP_3)
	v_mad_i32_i24 v118, v119, v94, v118
	v_bfe_u32 v119, v117, 16, 2
	v_bfe_u32 v117, v117, 24, 2
	v_add_nc_u32_e32 v94, v89, v94
	v_mul_i32_i24_e32 v119, v119, v93
	s_delay_alu instid0(VALU_DEP_3) | instskip(NEXT) | instid1(VALU_DEP_3)
	v_mul_i32_i24_e32 v117, v117, v92
	v_add3_u32 v94, v94, v96, v98
	v_add_nc_u32_e32 v92, v92, v80
	v_add_nc_u32_e32 v93, v93, v88
	s_delay_alu instid0(VALU_DEP_4) | instskip(SKIP_2) | instid1(VALU_DEP_4)
	v_add3_u32 v122, v118, v119, v117
	v_add_nc_u32_e32 v117, s17, v56
	v_add_nc_u32_e32 v119, 0x3198, v83
	v_add3_u32 v129, v93, v77, v10
	ds_load_u16 v123, v117 offset:19952
	v_add_nc_u32_e32 v117, 0x3190, v83
	ds_load_2addr_b32 v[117:118], v117 offset1:1
	ds_load_2addr_b32 v[119:120], v119 offset1:1
	s_wait_dscnt 0x1
	v_ashrrev_i32_e32 v117, s16, v117
	v_ashrrev_i32_e32 v118, s16, v118
	s_delay_alu instid0(VALU_DEP_2) | instskip(SKIP_1) | instid1(VALU_DEP_2)
	v_and_b32_e32 v124, 3, v117
	v_bfe_u32 v125, v117, 8, 2
	v_mul_i32_i24_e32 v124, v124, v90
	v_add_nc_u32_e32 v90, v91, v90
	s_delay_alu instid0(VALU_DEP_2) | instskip(SKIP_2) | instid1(VALU_DEP_2)
	v_mad_i32_i24 v124, v125, v6, v124
	v_bfe_u32 v125, v117, 16, 2
	v_bfe_u32 v117, v117, 24, 2
	v_mul_i32_i24_e32 v125, v125, v84
	s_delay_alu instid0(VALU_DEP_2) | instskip(NEXT) | instid1(VALU_DEP_1)
	v_mul_i32_i24_e32 v117, v117, v86
	v_add3_u32 v117, v124, v125, v117
	v_bfe_u32 v124, v100, 8, 2
	v_bfe_u32 v125, v100, 16, 2
	s_delay_alu instid0(VALU_DEP_2) | instskip(NEXT) | instid1(VALU_DEP_2)
	v_mul_i32_i24_e32 v124, v89, v124
	v_mul_i32_i24_e32 v125, v88, v125
	s_delay_alu instid0(VALU_DEP_1) | instskip(SKIP_3) | instid1(VALU_DEP_3)
	v_add3_u32 v103, v103, v124, v125
	v_bfe_u32 v124, v102, 16, 2
	v_bfe_u32 v102, v102, 24, 2
	v_ashrrev_i32_e32 v125, s16, v105
	v_mul_i32_i24_e32 v124, v124, v85
	s_delay_alu instid0(VALU_DEP_3) | instskip(NEXT) | instid1(VALU_DEP_1)
	v_mul_i32_i24_e32 v102, v102, v87
	v_add3_u32 v124, v101, v124, v102
	s_delay_alu instid0(VALU_DEP_4) | instskip(NEXT) | instid1(VALU_DEP_1)
	v_and_b32_e32 v101, 3, v125
	v_mul_i32_i24_e32 v105, v95, v101
	v_add_nc_u32_e32 v101, 0x1088, v83
	ds_load_2addr_b32 v[101:102], v101 offset1:1
	s_wait_dscnt 0x0
	v_ashrrev_i32_e32 v101, s16, v101
	s_delay_alu instid0(VALU_DEP_1) | instskip(NEXT) | instid1(VALU_DEP_1)
	v_and_b32_e32 v126, 3, v101
	v_mul_i32_i24_e32 v126, v126, v99
	s_delay_alu instid0(VALU_DEP_1) | instskip(SKIP_2) | instid1(VALU_DEP_2)
	v_add3_u32 v121, v121, v126, v105
	v_and_b32_e32 v105, 3, v107
	v_bfe_u32 v126, v107, 8, 2
	v_mul_i32_i24_e32 v105, v105, v91
	s_delay_alu instid0(VALU_DEP_2) | instskip(NEXT) | instid1(VALU_DEP_1)
	v_mul_i32_i24_e32 v126, v126, v5
	v_add3_u32 v126, v106, v105, v126
	v_and_b32_e32 v105, 3, v110
	v_and_b32_e32 v106, 3, v112
	s_delay_alu instid0(VALU_DEP_2) | instskip(NEXT) | instid1(VALU_DEP_2)
	v_mul_i32_i24_e32 v105, v95, v105
	v_mul_i32_i24_e32 v106, v106, v99
	s_delay_alu instid0(VALU_DEP_1) | instskip(SKIP_2) | instid1(VALU_DEP_2)
	v_add3_u32 v111, v111, v106, v105
	v_and_b32_e32 v105, 3, v115
	v_bfe_u32 v106, v115, 8, 2
	v_mul_i32_i24_e32 v105, v105, v91
	s_delay_alu instid0(VALU_DEP_2) | instskip(NEXT) | instid1(VALU_DEP_1)
	v_mul_i32_i24_e32 v106, v106, v5
	v_add3_u32 v114, v114, v105, v106
	v_and_b32_e32 v105, 3, v116
	s_delay_alu instid0(VALU_DEP_1)
	v_mul_i32_i24_e32 v127, v95, v105
	v_add_nc_u32_e32 v105, 0x3188, v83
	v_add_nc_u32_e32 v95, v97, v95
	;; [unrolled: 1-line block ×3, first 2 shown]
	ds_load_2addr_b32 v[105:106], v105 offset1:1
	v_add3_u32 v95, v95, v99, v73
	ds_load_u16 v97, v97 offset:16880
	s_wait_dscnt 0x1
	v_ashrrev_i32_e32 v105, s16, v105
	s_delay_alu instid0(VALU_DEP_1) | instskip(NEXT) | instid1(VALU_DEP_1)
	v_and_b32_e32 v128, 3, v105
	v_mul_i32_i24_e32 v128, v128, v99
	s_wait_dscnt 0x0
	v_bfe_u32 v99, v97, 4, 4
	s_delay_alu instid0(VALU_DEP_2) | instskip(SKIP_2) | instid1(VALU_DEP_4)
	v_add3_u32 v122, v122, v128, v127
	v_and_b32_e32 v127, 3, v118
	v_bfe_u32 v128, v118, 8, 2
	v_mul_lo_u32 v99, 0x1010101, v99
	s_delay_alu instid0(VALU_DEP_3) | instskip(NEXT) | instid1(VALU_DEP_3)
	v_mul_i32_i24_e32 v127, v127, v91
	v_mul_i32_i24_e32 v128, v128, v5
	v_add_nc_u32_e32 v5, v5, v6
	v_add3_u32 v6, v90, v82, v75
	v_bfe_i32 v93, v99, 16, 8
	s_delay_alu instid0(VALU_DEP_4)
	v_add3_u32 v117, v117, v127, v128
	v_bfe_i32 v127, v99, 0, 8
	v_bfe_i32 v128, v99, 8, 8
	v_add3_u32 v90, v5, v81, v74
	v_mul_i32_i24_e32 v93, v129, v93
	v_lshrrev_b16 v5, 8, v97
	v_mul_i32_i24_e32 v127, v95, v127
	s_delay_alu instid0(VALU_DEP_2) | instskip(NEXT) | instid1(VALU_DEP_2)
	v_and_b32_e32 v91, 0xffff, v5
	v_mad_i32_i24 v127, v94, v128, v127
	v_add3_u32 v128, v92, v76, v9
	v_lshrrev_b32_e32 v92, 24, v99
	s_delay_alu instid0(VALU_DEP_4) | instskip(NEXT) | instid1(VALU_DEP_2)
	v_lshrrev_b32_e32 v5, 4, v91
	v_mul_i32_i24_e32 v92, v128, v92
	s_delay_alu instid0(VALU_DEP_1) | instskip(SKIP_1) | instid1(VALU_DEP_1)
	v_add3_u32 v99, v127, v93, v92
	v_bfe_u32 v92, v104, 4, 4
	v_mul_lo_u32 v92, 0x1010101, v92
	s_delay_alu instid0(VALU_DEP_1) | instskip(SKIP_1) | instid1(VALU_DEP_2)
	v_bfe_i32 v93, v92, 0, 8
	v_bfe_i32 v127, v92, 8, 8
	v_mul_i32_i24_e32 v93, v95, v93
	s_delay_alu instid0(VALU_DEP_1) | instskip(SKIP_2) | instid1(VALU_DEP_2)
	v_mad_i32_i24 v93, v94, v127, v93
	v_lshrrev_b32_e32 v127, 24, v92
	v_bfe_i32 v92, v92, 16, 8
	v_mul_i32_i24_e32 v127, v128, v127
	s_delay_alu instid0(VALU_DEP_2) | instskip(NEXT) | instid1(VALU_DEP_1)
	v_mul_i32_i24_e32 v92, v129, v92
	v_add3_u32 v127, v93, v92, v127
	v_add_nc_u32_e32 v92, s17, v58
	ds_load_u16 v130, v92 offset:18928
	s_wait_dscnt 0x0
	v_bfe_u32 v92, v130, 4, 4
	s_delay_alu instid0(VALU_DEP_1) | instskip(NEXT) | instid1(VALU_DEP_1)
	v_mul_lo_u32 v92, 0x1010101, v92
	v_bfe_i32 v93, v92, 0, 8
	v_bfe_i32 v131, v92, 8, 8
	s_delay_alu instid0(VALU_DEP_2) | instskip(NEXT) | instid1(VALU_DEP_1)
	v_mul_i32_i24_e32 v93, v95, v93
	v_mad_i32_i24 v93, v94, v131, v93
	v_lshrrev_b32_e32 v131, 24, v92
	v_bfe_i32 v92, v92, 16, 8
	s_delay_alu instid0(VALU_DEP_2) | instskip(NEXT) | instid1(VALU_DEP_2)
	v_mul_i32_i24_e32 v131, v128, v131
	v_mul_i32_i24_e32 v92, v129, v92
	s_delay_alu instid0(VALU_DEP_1) | instskip(SKIP_2) | instid1(VALU_DEP_2)
	v_add3_u32 v131, v93, v92, v131
	v_bfe_u32 v92, v100, 24, 2
	v_bfe_u32 v93, v3, 8, 2
	v_mul_i32_i24_e32 v92, v80, v92
	s_delay_alu instid0(VALU_DEP_2) | instskip(NEXT) | instid1(VALU_DEP_1)
	v_mul_i32_i24_e32 v93, v93, v96
	v_add3_u32 v100, v103, v92, v93
	ds_load_2addr_b32 v[92:93], v83 offset0:6 offset1:7
	s_wait_dscnt 0x0
	v_ashrrev_i32_e32 v92, s16, v92
	s_delay_alu instid0(VALU_DEP_1) | instskip(SKIP_1) | instid1(VALU_DEP_2)
	v_and_b32_e32 v103, 3, v92
	v_bfe_u32 v132, v92, 8, 2
	v_mul_i32_i24_e32 v103, v103, v82
	s_delay_alu instid0(VALU_DEP_2) | instskip(NEXT) | instid1(VALU_DEP_1)
	v_mul_i32_i24_e32 v132, v132, v81
	v_add3_u32 v103, v124, v103, v132
	v_bfe_u32 v124, v125, 8, 2
	v_bfe_u32 v132, v125, 16, 2
	s_delay_alu instid0(VALU_DEP_2) | instskip(NEXT) | instid1(VALU_DEP_2)
	v_mul_i32_i24_e32 v124, v89, v124
	v_mul_i32_i24_e32 v132, v88, v132
	s_delay_alu instid0(VALU_DEP_1) | instskip(SKIP_2) | instid1(VALU_DEP_2)
	v_add3_u32 v121, v121, v124, v132
	v_bfe_u32 v124, v107, 16, 2
	v_bfe_u32 v107, v107, 24, 2
	v_mul_i32_i24_e32 v124, v124, v85
	s_delay_alu instid0(VALU_DEP_2) | instskip(NEXT) | instid1(VALU_DEP_1)
	v_mul_i32_i24_e32 v107, v107, v87
	v_add3_u32 v107, v126, v124, v107
	v_bfe_u32 v124, v110, 8, 2
	v_bfe_u32 v126, v110, 16, 2
	s_delay_alu instid0(VALU_DEP_2) | instskip(NEXT) | instid1(VALU_DEP_2)
	v_mul_i32_i24_e32 v124, v89, v124
	v_mul_i32_i24_e32 v126, v88, v126
	s_delay_alu instid0(VALU_DEP_1) | instskip(SKIP_2) | instid1(VALU_DEP_2)
	v_add3_u32 v111, v111, v124, v126
	v_bfe_u32 v124, v115, 16, 2
	v_bfe_u32 v115, v115, 24, 2
	v_mul_i32_i24_e32 v124, v124, v85
	s_delay_alu instid0(VALU_DEP_2) | instskip(NEXT) | instid1(VALU_DEP_1)
	v_mul_i32_i24_e32 v115, v115, v87
	v_add3_u32 v114, v114, v124, v115
	v_bfe_u32 v115, v116, 8, 2
	s_delay_alu instid0(VALU_DEP_1) | instskip(SKIP_1) | instid1(VALU_DEP_1)
	v_mul_i32_i24_e32 v89, v89, v115
	v_bfe_u32 v115, v116, 16, 2
	v_mul_i32_i24_e32 v88, v88, v115
	v_bfe_u32 v115, v118, 24, 2
	s_delay_alu instid0(VALU_DEP_2) | instskip(SKIP_1) | instid1(VALU_DEP_3)
	v_add3_u32 v88, v122, v89, v88
	v_bfe_u32 v89, v118, 16, 2
	v_mul_i32_i24_e32 v115, v115, v87
	s_delay_alu instid0(VALU_DEP_2) | instskip(NEXT) | instid1(VALU_DEP_1)
	v_mul_i32_i24_e32 v89, v89, v85
	v_add3_u32 v89, v117, v89, v115
	v_mul_lo_u32 v115, 0x1010101, v5
	s_delay_alu instid0(VALU_DEP_1) | instskip(SKIP_1) | instid1(VALU_DEP_2)
	v_bfe_i32 v5, v115, 0, 8
	v_bfe_i32 v117, v115, 8, 8
	v_mul_i32_i24_e32 v5, v6, v5
	s_delay_alu instid0(VALU_DEP_2) | instskip(NEXT) | instid1(VALU_DEP_1)
	v_mul_i32_i24_e32 v117, v90, v117
	v_add3_u32 v99, v99, v5, v117
	v_lshrrev_b16 v5, 8, v104
	s_delay_alu instid0(VALU_DEP_1) | instskip(NEXT) | instid1(VALU_DEP_1)
	v_and_b32_e32 v117, 0xffff, v5
	v_lshrrev_b32_e32 v5, 4, v117
	s_delay_alu instid0(VALU_DEP_1) | instskip(NEXT) | instid1(VALU_DEP_1)
	v_mul_lo_u32 v118, 0x1010101, v5
	v_bfe_i32 v5, v118, 0, 8
	v_bfe_i32 v122, v118, 8, 8
	s_delay_alu instid0(VALU_DEP_2) | instskip(NEXT) | instid1(VALU_DEP_2)
	v_mul_i32_i24_e32 v5, v6, v5
	v_mul_i32_i24_e32 v122, v90, v122
	s_delay_alu instid0(VALU_DEP_1) | instskip(SKIP_1) | instid1(VALU_DEP_1)
	v_add3_u32 v122, v127, v5, v122
	v_lshrrev_b16 v5, 8, v130
	v_and_b32_e32 v124, 0xffff, v5
	s_delay_alu instid0(VALU_DEP_1) | instskip(NEXT) | instid1(VALU_DEP_1)
	v_lshrrev_b32_e32 v5, 4, v124
	v_mul_lo_u32 v126, 0x1010101, v5
	s_delay_alu instid0(VALU_DEP_1) | instskip(SKIP_1) | instid1(VALU_DEP_2)
	v_bfe_i32 v5, v126, 0, 8
	v_bfe_i32 v127, v126, 8, 8
	v_mul_i32_i24_e32 v5, v6, v5
	s_delay_alu instid0(VALU_DEP_2) | instskip(NEXT) | instid1(VALU_DEP_1)
	v_mul_i32_i24_e32 v127, v90, v127
	v_add3_u32 v127, v131, v5, v127
	v_add_nc_u32_e32 v5, v87, v86
	s_delay_alu instid0(VALU_DEP_1) | instskip(SKIP_1) | instid1(VALU_DEP_1)
	v_add3_u32 v86, v5, v78, v71
	v_lshrrev_b16 v5, 8, v123
	v_and_b32_e32 v87, 0xffff, v5
	v_bfe_u32 v5, v123, 4, 4
	s_delay_alu instid0(VALU_DEP_1) | instskip(NEXT) | instid1(VALU_DEP_3)
	v_mul_lo_u32 v131, 0x1010101, v5
	v_lshrrev_b32_e32 v5, 4, v87
	s_delay_alu instid0(VALU_DEP_1) | instskip(NEXT) | instid1(VALU_DEP_3)
	v_mul_lo_u32 v132, 0x1010101, v5
	v_lshrrev_b32_e32 v133, 24, v131
	s_delay_alu instid0(VALU_DEP_2) | instskip(NEXT) | instid1(VALU_DEP_1)
	v_lshrrev_b32_e32 v5, 24, v132
	v_mul_i32_i24_e32 v5, v86, v5
	s_delay_alu instid0(VALU_DEP_1) | instskip(SKIP_2) | instid1(VALU_DEP_2)
	v_mad_i32_i24 v128, v128, v133, v5
	v_add_nc_u32_e32 v5, v85, v84
	v_bfe_i32 v85, v131, 16, 8
	v_add3_u32 v84, v5, v79, v72
	v_bfe_i32 v5, v132, 16, 8
	s_delay_alu instid0(VALU_DEP_1) | instskip(NEXT) | instid1(VALU_DEP_1)
	v_mul_i32_i24_e32 v5, v84, v5
	v_mad_i32_i24 v85, v129, v85, v5
	v_bfe_i32 v5, v132, 0, 8
	s_delay_alu instid0(VALU_DEP_1) | instskip(SKIP_1) | instid1(VALU_DEP_1)
	v_mul_i32_i24_e32 v5, v6, v5
	v_bfe_i32 v6, v131, 0, 8
	v_mad_i32_i24 v95, v95, v6, v5
	v_bfe_u32 v5, v3, 16, 2
	v_bfe_u32 v3, v3, 24, 2
	;; [unrolled: 1-line block ×3, first 2 shown]
	s_delay_alu instid0(VALU_DEP_3) | instskip(NEXT) | instid1(VALU_DEP_3)
	v_mul_i32_i24_e32 v5, v5, v77
	v_mul_i32_i24_e32 v3, v3, v76
	s_delay_alu instid0(VALU_DEP_3) | instskip(NEXT) | instid1(VALU_DEP_2)
	v_mul_i32_i24_e32 v6, v6, v78
	v_add3_u32 v3, v100, v5, v3
	v_bfe_u32 v5, v92, 16, 2
	s_delay_alu instid0(VALU_DEP_1) | instskip(NEXT) | instid1(VALU_DEP_1)
	v_mul_i32_i24_e32 v5, v5, v79
	v_add3_u32 v92, v103, v5, v6
	v_bfe_u32 v5, v125, 24, 2
	v_bfe_u32 v6, v101, 8, 2
	v_ashrrev_i32_e32 v103, s16, v108
	s_delay_alu instid0(VALU_DEP_3) | instskip(NEXT) | instid1(VALU_DEP_3)
	v_mul_i32_i24_e32 v5, v80, v5
	v_mul_i32_i24_e32 v6, v6, v96
	s_delay_alu instid0(VALU_DEP_1) | instskip(NEXT) | instid1(VALU_DEP_4)
	v_add3_u32 v100, v121, v5, v6
	v_and_b32_e32 v5, 3, v103
	v_bfe_u32 v6, v103, 8, 2
	s_delay_alu instid0(VALU_DEP_2) | instskip(NEXT) | instid1(VALU_DEP_2)
	v_mul_i32_i24_e32 v5, v5, v82
	v_mul_i32_i24_e32 v6, v6, v81
	s_delay_alu instid0(VALU_DEP_1) | instskip(SKIP_2) | instid1(VALU_DEP_2)
	v_add3_u32 v107, v107, v5, v6
	v_bfe_u32 v5, v110, 24, 2
	v_bfe_u32 v6, v112, 8, 2
	v_mul_i32_i24_e32 v5, v80, v5
	s_delay_alu instid0(VALU_DEP_2) | instskip(NEXT) | instid1(VALU_DEP_1)
	v_mul_i32_i24_e32 v6, v6, v96
	v_add3_u32 v108, v111, v5, v6
	v_add_nc_u32_e32 v5, 0x2118, v83
	ds_load_2addr_b32 v[5:6], v5 offset1:1
	s_wait_dscnt 0x0
	v_ashrrev_i32_e32 v5, s16, v5
	v_ashrrev_i32_e32 v6, s16, v6
	s_delay_alu instid0(VALU_DEP_2) | instskip(SKIP_1) | instid1(VALU_DEP_2)
	v_and_b32_e32 v83, 3, v5
	v_bfe_u32 v110, v5, 8, 2
	v_mul_i32_i24_e32 v83, v83, v82
	s_delay_alu instid0(VALU_DEP_2) | instskip(NEXT) | instid1(VALU_DEP_1)
	v_mul_i32_i24_e32 v110, v110, v81
	v_add3_u32 v83, v114, v83, v110
	v_bfe_u32 v110, v116, 24, 2
	s_delay_alu instid0(VALU_DEP_1) | instskip(SKIP_1) | instid1(VALU_DEP_1)
	v_mul_i32_i24_e32 v80, v80, v110
	v_bfe_u32 v110, v105, 8, 2
	v_mul_i32_i24_e32 v96, v110, v96
	s_delay_alu instid0(VALU_DEP_1) | instskip(SKIP_1) | instid1(VALU_DEP_1)
	v_add3_u32 v80, v88, v80, v96
	v_ashrrev_i32_e32 v88, s16, v119
	v_and_b32_e32 v96, 3, v88
	s_delay_alu instid0(VALU_DEP_1) | instskip(SKIP_1) | instid1(VALU_DEP_1)
	v_mul_i32_i24_e32 v82, v96, v82
	v_bfe_u32 v96, v88, 8, 2
	v_mul_i32_i24_e32 v81, v96, v81
	v_bfe_i32 v96, v118, 16, 8
	s_delay_alu instid0(VALU_DEP_2) | instskip(SKIP_2) | instid1(VALU_DEP_4)
	v_add3_u32 v81, v89, v82, v81
	v_lshrrev_b32_e32 v82, 24, v115
	v_bfe_i32 v89, v115, 16, 8
	v_mul_i32_i24_e32 v96, v84, v96
	s_delay_alu instid0(VALU_DEP_3) | instskip(NEXT) | instid1(VALU_DEP_3)
	v_mul_i32_i24_e32 v82, v86, v82
	v_mul_i32_i24_e32 v89, v84, v89
	s_delay_alu instid0(VALU_DEP_1) | instskip(SKIP_2) | instid1(VALU_DEP_2)
	v_add3_u32 v82, v99, v89, v82
	v_lshrrev_b32_e32 v89, 24, v118
	v_bfe_u32 v99, v112, 24, 2
	v_mul_i32_i24_e32 v89, v86, v89
	s_delay_alu instid0(VALU_DEP_2) | instskip(NEXT) | instid1(VALU_DEP_2)
	v_mul_i32_i24_e32 v99, v99, v76
	v_add3_u32 v89, v122, v96, v89
	v_lshrrev_b32_e32 v96, 24, v126
	s_delay_alu instid0(VALU_DEP_1) | instskip(SKIP_1) | instid1(VALU_DEP_1)
	v_mul_i32_i24_e32 v86, v86, v96
	v_bfe_i32 v96, v126, 16, 8
	v_mul_i32_i24_e32 v84, v84, v96
	v_bfe_u32 v96, v103, 24, 2
	s_delay_alu instid0(VALU_DEP_2) | instskip(SKIP_1) | instid1(VALU_DEP_3)
	v_add3_u32 v84, v127, v84, v86
	v_lshrrev_b16 v86, 8, v131
	v_mul_i32_i24_e32 v96, v96, v78
	s_delay_alu instid0(VALU_DEP_2) | instskip(NEXT) | instid1(VALU_DEP_1)
	v_bfe_i32 v86, v86, 0, 8
	v_mul_i32_i24_e32 v86, v94, v86
	v_bfe_i32 v94, v132, 8, 8
	s_delay_alu instid0(VALU_DEP_1) | instskip(SKIP_1) | instid1(VALU_DEP_2)
	v_mul_i32_i24_e32 v90, v90, v94
	v_bfe_u32 v94, v4, 8, 2
	v_add3_u32 v86, v86, v90, v128
	v_and_b32_e32 v90, 3, v4
	s_delay_alu instid0(VALU_DEP_3) | instskip(NEXT) | instid1(VALU_DEP_2)
	v_mul_i32_i24_e32 v94, v94, v98
	v_mul_i32_i24_e32 v90, v90, v73
	s_delay_alu instid0(VALU_DEP_1) | instskip(SKIP_1) | instid1(VALU_DEP_1)
	v_add3_u32 v3, v3, v90, v94
	v_ashrrev_i32_e32 v90, s16, v93
	v_and_b32_e32 v93, 3, v90
	v_bfe_u32 v94, v90, 8, 2
	s_delay_alu instid0(VALU_DEP_2) | instskip(NEXT) | instid1(VALU_DEP_2)
	v_mul_i32_i24_e32 v93, v93, v75
	v_mul_i32_i24_e32 v94, v94, v74
	s_delay_alu instid0(VALU_DEP_1) | instskip(SKIP_2) | instid1(VALU_DEP_2)
	v_add3_u32 v92, v92, v93, v94
	v_bfe_u32 v93, v101, 16, 2
	v_bfe_u32 v94, v101, 24, 2
	v_mul_i32_i24_e32 v93, v93, v77
	s_delay_alu instid0(VALU_DEP_2) | instskip(NEXT) | instid1(VALU_DEP_1)
	v_mul_i32_i24_e32 v94, v94, v76
	v_add3_u32 v93, v100, v93, v94
	v_bfe_u32 v94, v103, 16, 2
	s_delay_alu instid0(VALU_DEP_1) | instskip(NEXT) | instid1(VALU_DEP_1)
	v_mul_i32_i24_e32 v94, v94, v79
	v_add3_u32 v94, v107, v94, v96
	v_bfe_u32 v96, v112, 16, 2
	s_delay_alu instid0(VALU_DEP_1) | instskip(NEXT) | instid1(VALU_DEP_1)
	v_mul_i32_i24_e32 v96, v96, v77
	v_add3_u32 v96, v108, v96, v99
	v_bfe_u32 v99, v5, 16, 2
	v_bfe_u32 v5, v5, 24, 2
	s_delay_alu instid0(VALU_DEP_2) | instskip(NEXT) | instid1(VALU_DEP_2)
	v_mul_i32_i24_e32 v99, v99, v79
	v_mul_i32_i24_e32 v5, v5, v78
	s_delay_alu instid0(VALU_DEP_1) | instskip(SKIP_1) | instid1(VALU_DEP_1)
	v_add3_u32 v5, v83, v99, v5
	v_bfe_u32 v83, v105, 16, 2
	v_mul_i32_i24_e32 v77, v83, v77
	v_bfe_u32 v83, v105, 24, 2
	s_delay_alu instid0(VALU_DEP_1) | instskip(NEXT) | instid1(VALU_DEP_1)
	v_mul_i32_i24_e32 v76, v83, v76
	v_add3_u32 v76, v80, v77, v76
	v_bfe_u32 v77, v88, 16, 2
	s_delay_alu instid0(VALU_DEP_1) | instskip(SKIP_1) | instid1(VALU_DEP_1)
	v_mul_i32_i24_e32 v77, v77, v79
	v_bfe_u32 v79, v88, 24, 2
	v_mul_i32_i24_e32 v78, v79, v78
	v_bfe_u32 v79, v4, 16, 2
	v_bfe_u32 v4, v4, 24, 2
	s_delay_alu instid0(VALU_DEP_3) | instskip(NEXT) | instid1(VALU_DEP_3)
	v_add3_u32 v77, v81, v77, v78
	v_mul_i32_i24_e32 v79, v79, v10
	s_delay_alu instid0(VALU_DEP_3) | instskip(SKIP_1) | instid1(VALU_DEP_2)
	v_mul_i32_i24_e32 v4, v4, v9
	v_add3_u32 v78, v95, v85, v86
	v_add3_u32 v3, v3, v79, v4
	v_bfe_u32 v4, v90, 16, 2
	v_bfe_u32 v79, v90, 24, 2
	;; [unrolled: 1-line block ×3, first 2 shown]
	v_cvt_f32_i32_e32 v78, v78
	s_delay_alu instid0(VALU_DEP_4) | instskip(NEXT) | instid1(VALU_DEP_4)
	v_mul_i32_i24_e32 v4, v4, v72
	v_mul_i32_i24_e32 v79, v79, v71
	s_delay_alu instid0(VALU_DEP_4) | instskip(NEXT) | instid1(VALU_DEP_2)
	v_mul_i32_i24_e32 v90, v90, v74
	v_add3_u32 v4, v92, v4, v79
	v_ashrrev_i32_e32 v79, s16, v102
	s_delay_alu instid0(VALU_DEP_1) | instskip(SKIP_1) | instid1(VALU_DEP_2)
	v_and_b32_e32 v80, 3, v79
	v_bfe_u32 v81, v79, 8, 2
	v_mul_i32_i24_e32 v80, v80, v73
	s_delay_alu instid0(VALU_DEP_2) | instskip(NEXT) | instid1(VALU_DEP_1)
	v_mul_i32_i24_e32 v81, v81, v98
	v_add3_u32 v80, v93, v80, v81
	v_ashrrev_i32_e32 v81, s16, v109
	s_delay_alu instid0(VALU_DEP_1) | instskip(SKIP_1) | instid1(VALU_DEP_2)
	v_and_b32_e32 v83, 3, v81
	v_bfe_u32 v85, v81, 8, 2
	v_mul_i32_i24_e32 v83, v83, v75
	s_delay_alu instid0(VALU_DEP_2) | instskip(NEXT) | instid1(VALU_DEP_1)
	;; [unrolled: 8-line block ×3, first 2 shown]
	v_mul_i32_i24_e32 v88, v88, v98
	v_add3_u32 v86, v96, v86, v88
	v_and_b32_e32 v88, 3, v6
	s_delay_alu instid0(VALU_DEP_1) | instskip(NEXT) | instid1(VALU_DEP_1)
	v_mul_i32_i24_e32 v88, v88, v75
	v_add3_u32 v5, v5, v88, v90
	v_ashrrev_i32_e32 v88, s16, v106
	s_delay_alu instid0(VALU_DEP_1) | instskip(NEXT) | instid1(VALU_DEP_1)
	v_and_b32_e32 v90, 3, v88
	v_mul_i32_i24_e32 v73, v90, v73
	v_bfe_u32 v90, v88, 8, 2
	s_delay_alu instid0(VALU_DEP_1) | instskip(NEXT) | instid1(VALU_DEP_1)
	v_mul_i32_i24_e32 v90, v90, v98
	v_add3_u32 v73, v76, v73, v90
	v_ashrrev_i32_e32 v76, s16, v120
	s_lshr_b32 s16, s1, 2
	s_wait_alu 0xfffe
	s_and_b32 s16, s16, 0x3ffffffc
	s_delay_alu instid0(VALU_DEP_1) | instskip(SKIP_2) | instid1(VALU_DEP_1)
	v_and_b32_e32 v90, 3, v76
	s_wait_alu 0xfffe
	s_addk_co_i32 s16, 0x5280
	v_mul_i32_i24_e32 v75, v90, v75
	v_bfe_u32 v90, v76, 8, 2
	s_delay_alu instid0(VALU_DEP_1) | instskip(NEXT) | instid1(VALU_DEP_1)
	v_mul_i32_i24_e32 v74, v90, v74
	v_add3_u32 v74, v77, v75, v74
	v_bfe_u32 v75, v79, 16, 2
	v_bfe_u32 v77, v79, 24, 2
	;; [unrolled: 1-line block ×3, first 2 shown]
	s_delay_alu instid0(VALU_DEP_3) | instskip(NEXT) | instid1(VALU_DEP_3)
	v_mul_i32_i24_e32 v75, v75, v10
	v_mul_i32_i24_e32 v77, v77, v9
	s_delay_alu instid0(VALU_DEP_3) | instskip(NEXT) | instid1(VALU_DEP_2)
	v_mul_i32_i24_e32 v79, v79, v71
	v_add3_u32 v75, v80, v75, v77
	v_bfe_u32 v77, v81, 16, 2
	v_bfe_u32 v80, v85, 24, 2
	v_and_b32_e32 v81, 15, v123
	s_delay_alu instid0(VALU_DEP_3) | instskip(NEXT) | instid1(VALU_DEP_3)
	v_mul_i32_i24_e32 v77, v77, v72
	v_mul_i32_i24_e32 v80, v80, v9
	s_delay_alu instid0(VALU_DEP_2) | instskip(SKIP_2) | instid1(VALU_DEP_2)
	v_add3_u32 v77, v83, v77, v79
	v_bfe_u32 v79, v85, 16, 2
	v_and_b32_e32 v83, 15, v124
	v_mul_i32_i24_e32 v79, v79, v10
	s_delay_alu instid0(VALU_DEP_1) | instskip(SKIP_2) | instid1(VALU_DEP_2)
	v_add3_u32 v79, v86, v79, v80
	v_bfe_u32 v80, v6, 16, 2
	v_bfe_u32 v6, v6, 24, 2
	v_mul_i32_i24_e32 v80, v80, v72
	s_delay_alu instid0(VALU_DEP_2) | instskip(NEXT) | instid1(VALU_DEP_1)
	v_mul_i32_i24_e32 v6, v6, v71
	v_add3_u32 v6, v5, v80, v6
	v_bfe_u32 v5, v88, 16, 2
	s_delay_alu instid0(VALU_DEP_1) | instskip(SKIP_1) | instid1(VALU_DEP_1)
	v_mul_i32_i24_e32 v5, v5, v10
	v_bfe_u32 v10, v88, 24, 2
	v_mul_i32_i24_e32 v9, v10, v9
	s_wait_alu 0xfffe
	v_add3_u32 v10, s16, v63, v64
	s_delay_alu instid0(VALU_DEP_2) | instskip(SKIP_1) | instid1(VALU_DEP_1)
	v_add3_u32 v9, v73, v5, v9
	v_bfe_u32 v5, v76, 16, 2
	v_mul_i32_i24_e32 v5, v5, v72
	v_bfe_u32 v72, v76, 24, 2
	v_and_b32_e32 v76, 15, v91
	s_delay_alu instid0(VALU_DEP_2)
	v_mul_i32_i24_e32 v71, v72, v71
	v_add3_u32 v72, s16, v67, v68
	ds_load_b32 v73, v10
	ds_load_b32 v72, v72
	v_add3_u32 v10, v74, v5, v71
	v_add3_u32 v5, s16, v69, v70
	;; [unrolled: 1-line block ×3, first 2 shown]
	ds_load_b32 v74, v5
	ds_load_b32 v71, v71
	v_and_b32_e32 v5, 15, v97
	s_add_co_i32 s16, s1, 2
	s_cmp_lt_u32 s1, 30
	s_wait_alu 0xfffe
	s_mov_b32 s1, s16
	v_mul_lo_u32 v3, v3, v5
	v_and_b32_e32 v5, 15, v117
	s_delay_alu instid0(VALU_DEP_2)
	v_mad_co_u64_u32 v[3:4], null, v4, v76, v[3:4]
	v_and_b32_e32 v4, 15, v104
	ds_load_b32 v76, v8
	v_add_nc_u32_e32 v8, 4, v8
	s_wait_dscnt 0x1
	v_lshrrev_b32_e32 v80, 16, v71
	v_mul_lo_u32 v4, v75, v4
	v_lshrrev_b32_e32 v75, 16, v74
	v_cvt_f32_i32_e32 v3, v3
	s_delay_alu instid0(VALU_DEP_4) | instskip(NEXT) | instid1(VALU_DEP_3)
	v_cvt_f32_f16_e32 v80, v80
	v_cvt_f32_f16_e32 v75, v75
	v_mad_co_u64_u32 v[4:5], null, v77, v5, v[4:5]
	v_and_b32_e32 v5, 15, v130
	v_lshrrev_b32_e32 v77, 16, v73
	s_delay_alu instid0(VALU_DEP_4) | instskip(NEXT) | instid1(VALU_DEP_3)
	v_mul_f32_e32 v75, v75, v78
	v_mul_lo_u32 v5, v79, v5
	v_lshrrev_b32_e32 v79, 16, v72
	s_delay_alu instid0(VALU_DEP_4) | instskip(SKIP_1) | instid1(VALU_DEP_3)
	v_cvt_f32_f16_e32 v77, v77
	v_cvt_f32_i32_e32 v4, v4
	v_cvt_f32_f16_e32 v79, v79
	v_mad_co_u64_u32 v[5:6], null, v6, v83, v[5:6]
	v_mul_lo_u32 v6, v9, v81
	v_and_b32_e32 v9, 15, v87
	v_cvt_f32_i32_e32 v81, v82
	v_cvt_f32_i32_e32 v82, v89
	;; [unrolled: 1-line block ×4, first 2 shown]
	v_mad_co_u64_u32 v[9:10], null, v10, v9, v[6:7]
	v_mul_f32_e32 v6, v77, v81
	s_delay_alu instid0(VALU_DEP_4) | instskip(SKIP_1) | instid1(VALU_DEP_3)
	v_dual_mul_f32 v10, v80, v82 :: v_dual_mul_f32 v77, v79, v83
	v_add_nc_u32_e32 v7, 32, v7
	v_fma_mix_f32 v3, v73, v3, -v6 op_sel_hi:[1,0,0]
	v_cvt_f32_i32_e32 v9, v9
	s_delay_alu instid0(VALU_DEP_4)
	v_fma_mix_f32 v4, v71, v4, -v10 op_sel_hi:[1,0,0]
	v_fma_mix_f32 v5, v72, v5, -v77 op_sel_hi:[1,0,0]
	s_wait_dscnt 0x0
	v_fmac_f32_e32 v13, v76, v3
	v_fma_mix_f32 v6, v74, v9, -v75 op_sel_hi:[1,0,0]
	v_fmac_f32_e32 v47, v76, v4
	v_fmac_f32_e32 v38, v76, v5
	s_delay_alu instid0(VALU_DEP_3)
	v_fmac_f32_e32 v2, v76, v6
	s_cbranch_scc1 .LBB227_35
; %bb.36:                               ;   in Loop: Header=BB227_5 Depth=1
	s_wait_loadcnt 0x0
	s_barrier_signal -1
	s_barrier_wait -1
	global_inv scope:SCOPE_SE
	s_branch .LBB227_4
.LBB227_37:
	s_mul_i32 s0, s7, s4
	s_wait_loadcnt 0x0
	s_wait_alu 0xfffe
	v_cmp_gt_i32_e32 vcc_lo, s0, v11
	s_and_saveexec_b32 s0, vcc_lo
	s_cbranch_execz .LBB227_46
; %bb.38:
	v_mul_lo_u32 v0, v11, s6
	v_add_nc_u32_e32 v1, s18, v12
	s_mov_b32 s0, exec_lo
	s_delay_alu instid0(VALU_DEP_1)
	v_cmpx_gt_u32_e64 s6, v1
	s_cbranch_execz .LBB227_40
; %bb.39:
	v_bfe_u32 v4, v13, 16, 1
	s_delay_alu instid0(VALU_DEP_4) | instskip(SKIP_1) | instid1(VALU_DEP_3)
	v_add_nc_u32_e32 v3, v0, v1
	v_cmp_o_f32_e32 vcc_lo, v13, v13
	v_add3_u32 v5, v13, v4, 0x7fff
	v_mov_b32_e32 v4, 0
	s_delay_alu instid0(VALU_DEP_2) | instskip(NEXT) | instid1(VALU_DEP_2)
	v_lshrrev_b32_e32 v5, 16, v5
	v_lshlrev_b64_e32 v[3:4], 1, v[3:4]
	s_wait_alu 0xfffd
	s_delay_alu instid0(VALU_DEP_2) | instskip(NEXT) | instid1(VALU_DEP_2)
	v_cndmask_b32_e32 v5, 0x7fc0, v5, vcc_lo
	v_add_co_u32 v3, vcc_lo, s8, v3
	s_wait_alu 0xfffd
	s_delay_alu instid0(VALU_DEP_3)
	v_add_co_ci_u32_e64 v4, null, s9, v4, vcc_lo
	global_store_b16 v[3:4], v5, off
.LBB227_40:
	s_wait_alu 0xfffe
	s_or_b32 exec_lo, exec_lo, s0
	v_add_nc_u32_e32 v3, 32, v1
	s_mov_b32 s0, exec_lo
	s_delay_alu instid0(VALU_DEP_1)
	v_cmpx_gt_u32_e64 s6, v3
	s_cbranch_execz .LBB227_42
; %bb.41:
	v_bfe_u32 v4, v47, 16, 1
	v_add_nc_u32_e32 v3, v0, v3
	v_cmp_o_f32_e32 vcc_lo, v47, v47
	s_delay_alu instid0(VALU_DEP_3) | instskip(SKIP_1) | instid1(VALU_DEP_2)
	v_add3_u32 v5, v47, v4, 0x7fff
	v_mov_b32_e32 v4, 0
	v_lshrrev_b32_e32 v5, 16, v5
	s_delay_alu instid0(VALU_DEP_2) | instskip(SKIP_1) | instid1(VALU_DEP_2)
	v_lshlrev_b64_e32 v[3:4], 1, v[3:4]
	s_wait_alu 0xfffd
	v_cndmask_b32_e32 v5, 0x7fc0, v5, vcc_lo
	s_delay_alu instid0(VALU_DEP_2) | instskip(SKIP_1) | instid1(VALU_DEP_3)
	v_add_co_u32 v3, vcc_lo, s8, v3
	s_wait_alu 0xfffd
	v_add_co_ci_u32_e64 v4, null, s9, v4, vcc_lo
	global_store_b16 v[3:4], v5, off
.LBB227_42:
	s_wait_alu 0xfffe
	s_or_b32 exec_lo, exec_lo, s0
	v_add_nc_u32_e32 v3, 64, v1
	s_mov_b32 s0, exec_lo
	s_delay_alu instid0(VALU_DEP_1)
	v_cmpx_gt_u32_e64 s6, v3
	s_cbranch_execz .LBB227_44
; %bb.43:
	v_bfe_u32 v4, v38, 16, 1
	v_add_nc_u32_e32 v3, v0, v3
	v_cmp_o_f32_e32 vcc_lo, v38, v38
	s_delay_alu instid0(VALU_DEP_3) | instskip(SKIP_1) | instid1(VALU_DEP_2)
	v_add3_u32 v5, v38, v4, 0x7fff
	v_mov_b32_e32 v4, 0
	v_lshrrev_b32_e32 v5, 16, v5
	s_delay_alu instid0(VALU_DEP_2) | instskip(SKIP_1) | instid1(VALU_DEP_2)
	v_lshlrev_b64_e32 v[3:4], 1, v[3:4]
	s_wait_alu 0xfffd
	v_cndmask_b32_e32 v5, 0x7fc0, v5, vcc_lo
	s_delay_alu instid0(VALU_DEP_2) | instskip(SKIP_1) | instid1(VALU_DEP_3)
	v_add_co_u32 v3, vcc_lo, s8, v3
	s_wait_alu 0xfffd
	v_add_co_ci_u32_e64 v4, null, s9, v4, vcc_lo
	global_store_b16 v[3:4], v5, off
.LBB227_44:
	s_wait_alu 0xfffe
	s_or_b32 exec_lo, exec_lo, s0
	v_add_nc_u32_e32 v1, 0x60, v1
	s_delay_alu instid0(VALU_DEP_1)
	v_cmp_gt_u32_e32 vcc_lo, s6, v1
	s_and_b32 exec_lo, exec_lo, vcc_lo
	s_cbranch_execz .LBB227_46
; %bb.45:
	v_bfe_u32 v3, v2, 16, 1
	v_dual_mov_b32 v1, 0 :: v_dual_add_nc_u32 v0, v0, v1
	v_cmp_o_f32_e32 vcc_lo, v2, v2
	s_delay_alu instid0(VALU_DEP_3) | instskip(NEXT) | instid1(VALU_DEP_3)
	v_add3_u32 v3, v2, v3, 0x7fff
	v_lshlrev_b64_e32 v[0:1], 1, v[0:1]
	s_delay_alu instid0(VALU_DEP_2) | instskip(SKIP_1) | instid1(VALU_DEP_1)
	v_lshrrev_b32_e32 v3, 16, v3
	s_wait_alu 0xfffd
	v_cndmask_b32_e32 v2, 0x7fc0, v3, vcc_lo
	s_delay_alu instid0(VALU_DEP_3)
	v_add_co_u32 v0, vcc_lo, s8, v0
	s_wait_alu 0xfffd
	v_add_co_ci_u32_e64 v1, null, s9, v1, vcc_lo
	global_store_b16 v[0:1], v2, off
.LBB227_46:
	s_nop 0
	s_sendmsg sendmsg(MSG_DEALLOC_VGPRS)
	s_endpgm
	.section	.rodata,"a",@progbits
	.p2align	6, 0x0
	.amdhsa_kernel _ZL8moe_q2_KIN3c108BFloat16ELb0EEvPKvS3_PT_PKiS7_S7_iiiiiii
		.amdhsa_group_segment_fixed_size 23328
		.amdhsa_private_segment_fixed_size 0
		.amdhsa_kernarg_size 76
		.amdhsa_user_sgpr_count 2
		.amdhsa_user_sgpr_dispatch_ptr 0
		.amdhsa_user_sgpr_queue_ptr 0
		.amdhsa_user_sgpr_kernarg_segment_ptr 1
		.amdhsa_user_sgpr_dispatch_id 0
		.amdhsa_user_sgpr_private_segment_size 0
		.amdhsa_wavefront_size32 1
		.amdhsa_uses_dynamic_stack 0
		.amdhsa_enable_private_segment 0
		.amdhsa_system_sgpr_workgroup_id_x 1
		.amdhsa_system_sgpr_workgroup_id_y 1
		.amdhsa_system_sgpr_workgroup_id_z 0
		.amdhsa_system_sgpr_workgroup_info 0
		.amdhsa_system_vgpr_workitem_id 1
		.amdhsa_next_free_vgpr 136
		.amdhsa_next_free_sgpr 22
		.amdhsa_reserve_vcc 1
		.amdhsa_float_round_mode_32 0
		.amdhsa_float_round_mode_16_64 0
		.amdhsa_float_denorm_mode_32 3
		.amdhsa_float_denorm_mode_16_64 3
		.amdhsa_fp16_overflow 0
		.amdhsa_workgroup_processor_mode 1
		.amdhsa_memory_ordered 1
		.amdhsa_forward_progress 1
		.amdhsa_inst_pref_size 169
		.amdhsa_round_robin_scheduling 0
		.amdhsa_exception_fp_ieee_invalid_op 0
		.amdhsa_exception_fp_denorm_src 0
		.amdhsa_exception_fp_ieee_div_zero 0
		.amdhsa_exception_fp_ieee_overflow 0
		.amdhsa_exception_fp_ieee_underflow 0
		.amdhsa_exception_fp_ieee_inexact 0
		.amdhsa_exception_int_div_zero 0
	.end_amdhsa_kernel
	.section	.text._ZL8moe_q2_KIN3c108BFloat16ELb0EEvPKvS3_PT_PKiS7_S7_iiiiiii,"axG",@progbits,_ZL8moe_q2_KIN3c108BFloat16ELb0EEvPKvS3_PT_PKiS7_S7_iiiiiii,comdat
.Lfunc_end227:
	.size	_ZL8moe_q2_KIN3c108BFloat16ELb0EEvPKvS3_PT_PKiS7_S7_iiiiiii, .Lfunc_end227-_ZL8moe_q2_KIN3c108BFloat16ELb0EEvPKvS3_PT_PKiS7_S7_iiiiiii
                                        ; -- End function
	.set _ZL8moe_q2_KIN3c108BFloat16ELb0EEvPKvS3_PT_PKiS7_S7_iiiiiii.num_vgpr, 136
	.set _ZL8moe_q2_KIN3c108BFloat16ELb0EEvPKvS3_PT_PKiS7_S7_iiiiiii.num_agpr, 0
	.set _ZL8moe_q2_KIN3c108BFloat16ELb0EEvPKvS3_PT_PKiS7_S7_iiiiiii.numbered_sgpr, 22
	.set _ZL8moe_q2_KIN3c108BFloat16ELb0EEvPKvS3_PT_PKiS7_S7_iiiiiii.num_named_barrier, 0
	.set _ZL8moe_q2_KIN3c108BFloat16ELb0EEvPKvS3_PT_PKiS7_S7_iiiiiii.private_seg_size, 0
	.set _ZL8moe_q2_KIN3c108BFloat16ELb0EEvPKvS3_PT_PKiS7_S7_iiiiiii.uses_vcc, 1
	.set _ZL8moe_q2_KIN3c108BFloat16ELb0EEvPKvS3_PT_PKiS7_S7_iiiiiii.uses_flat_scratch, 0
	.set _ZL8moe_q2_KIN3c108BFloat16ELb0EEvPKvS3_PT_PKiS7_S7_iiiiiii.has_dyn_sized_stack, 0
	.set _ZL8moe_q2_KIN3c108BFloat16ELb0EEvPKvS3_PT_PKiS7_S7_iiiiiii.has_recursion, 0
	.set _ZL8moe_q2_KIN3c108BFloat16ELb0EEvPKvS3_PT_PKiS7_S7_iiiiiii.has_indirect_call, 0
	.section	.AMDGPU.csdata,"",@progbits
; Kernel info:
; codeLenInByte = 21604
; TotalNumSgprs: 24
; NumVgprs: 136
; ScratchSize: 0
; MemoryBound: 0
; FloatMode: 240
; IeeeMode: 1
; LDSByteSize: 23328 bytes/workgroup (compile time only)
; SGPRBlocks: 0
; VGPRBlocks: 16
; NumSGPRsForWavesPerEU: 24
; NumVGPRsForWavesPerEU: 136
; Occupancy: 10
; WaveLimiterHint : 1
; COMPUTE_PGM_RSRC2:SCRATCH_EN: 0
; COMPUTE_PGM_RSRC2:USER_SGPR: 2
; COMPUTE_PGM_RSRC2:TRAP_HANDLER: 0
; COMPUTE_PGM_RSRC2:TGID_X_EN: 1
; COMPUTE_PGM_RSRC2:TGID_Y_EN: 1
; COMPUTE_PGM_RSRC2:TGID_Z_EN: 0
; COMPUTE_PGM_RSRC2:TIDIG_COMP_CNT: 1
	.section	.text._ZL8moe_q2_KIN3c108BFloat16ELb1EEvPKvS3_PT_PKiS7_S7_iiiiiii,"axG",@progbits,_ZL8moe_q2_KIN3c108BFloat16ELb1EEvPKvS3_PT_PKiS7_S7_iiiiiii,comdat
	.globl	_ZL8moe_q2_KIN3c108BFloat16ELb1EEvPKvS3_PT_PKiS7_S7_iiiiiii ; -- Begin function _ZL8moe_q2_KIN3c108BFloat16ELb1EEvPKvS3_PT_PKiS7_S7_iiiiiii
	.p2align	8
	.type	_ZL8moe_q2_KIN3c108BFloat16ELb1EEvPKvS3_PT_PKiS7_S7_iiiiiii,@function
_ZL8moe_q2_KIN3c108BFloat16ELb1EEvPKvS3_PT_PKiS7_S7_iiiiiii: ; @_ZL8moe_q2_KIN3c108BFloat16ELb1EEvPKvS3_PT_PKiS7_S7_iiiiiii
; %bb.0:
	s_load_b128 s[4:7], s[0:1], 0x18
	s_mov_b32 s2, ttmp7
	s_mov_b32 s3, 0
	s_delay_alu instid0(SALU_CYCLE_1)
	s_lshl_b64 s[2:3], s[2:3], 2
	s_wait_kmcnt 0x0
	s_add_nc_u64 s[2:3], s[6:7], s[2:3]
	s_load_b32 s14, s[2:3], 0x0
	s_wait_kmcnt 0x0
	s_cmp_gt_u32 s14, 0xff
	s_cbranch_scc1 .LBB228_46
; %bb.1:
	s_load_b64 s[2:3], s[0:1], 0x28
	s_wait_kmcnt 0x0
	s_load_b32 s3, s[2:3], 0x0
	s_lshl_b32 s2, ttmp7, 3
	s_wait_kmcnt 0x0
	s_cmp_gt_u32 s2, s3
	s_cbranch_scc1 .LBB228_46
; %bb.2:
	v_bfe_u32 v18, v0, 10, 10
	v_mov_b32_e32 v17, 0
	s_lshl_b32 s11, ttmp9, 7
	s_delay_alu instid0(VALU_DEP_2) | instskip(NEXT) | instid1(VALU_DEP_2)
	v_add_nc_u32_e32 v16, s2, v18
	v_dual_mov_b32 v62, v17 :: v_dual_and_b32 v29, 0x3ff, v0
	v_dual_mov_b32 v55, v17 :: v_dual_mov_b32 v30, v17
	s_delay_alu instid0(VALU_DEP_3) | instskip(NEXT) | instid1(VALU_DEP_1)
	v_lshlrev_b64_e32 v[1:2], 2, v[16:17]
	v_add_co_u32 v1, vcc_lo, s4, v1
	s_delay_alu instid0(VALU_DEP_1)
	v_add_co_ci_u32_e64 v2, null, s5, v2, vcc_lo
	global_load_b32 v28, v[1:2], off
	s_clause 0x2
	s_load_b128 s[4:7], s[0:1], 0x30
	s_load_b64 s[12:13], s[0:1], 0x10
	s_load_b96 s[8:10], s[0:1], 0x40
	s_wait_kmcnt 0x0
	s_cmp_lt_i32 s5, 0x100
	s_cbranch_scc1 .LBB228_37
; %bb.3:
	s_ashr_i32 s16, s8, 31
	s_not_b32 s17, s11
	v_add_nc_u32_e32 v1, 8, v18
	s_ashr_i32 s15, s5, 31
	v_add_nc_u32_e32 v3, 16, v18
	s_lshr_b32 s20, s16, 27
	s_add_co_i32 s16, s6, s17
	v_add_nc_u32_e32 v6, 24, v18
	s_mul_i32 s14, s14, s4
	s_lshr_b32 s4, s15, 24
	v_dual_mov_b32 v30, 0 :: v_dual_add_nc_u32 v7, 32, v18
	v_lshlrev_b32_e32 v19, 2, v29
	v_min_i32_e32 v2, s16, v18
	v_add_nc_u32_e32 v8, 40, v18
	s_wait_alu 0xfffe
	s_add_co_i32 s4, s5, s4
	v_min_i32_e32 v4, s16, v1
	v_add_nc_u32_e32 v9, 48, v18
	v_min_i32_e32 v5, s16, v3
	v_add_nc_u32_e32 v10, 56, v18
	s_wait_alu 0xfffe
	s_ashr_i32 s4, s4, 8
	v_min_i32_e32 v6, s16, v6
	v_min_i32_e32 v7, s16, v7
	s_wait_alu 0xfffe
	v_mul_lo_u32 v33, v2, s4
	v_mad_co_u64_u32 v[1:2], null, 0x84, v2, v[19:20]
	v_min_i32_e32 v8, s16, v8
	v_mad_co_u64_u32 v[2:3], null, 0x84, v4, v[19:20]
	v_min_i32_e32 v9, s16, v9
	v_mul_lo_u32 v34, v4, s4
	v_mad_co_u64_u32 v[3:4], null, 0x84, v5, v[19:20]
	v_min_i32_e32 v10, s16, v10
	v_mul_lo_u32 v35, v5, s4
	v_mad_co_u64_u32 v[4:5], null, 0x84, v6, v[19:20]
	v_mul_lo_u32 v36, v6, s4
	v_mad_co_u64_u32 v[5:6], null, 0x84, v7, v[19:20]
	;; [unrolled: 2-line block ×5, first 2 shown]
	v_lshlrev_b32_e32 v20, 4, v18
	v_bfe_u32 v14, v0, 1, 9
	v_add_nc_u32_e32 v11, 64, v18
	v_add_nc_u32_e32 v12, 0x48, v18
	;; [unrolled: 1-line block ×5, first 2 shown]
	v_min_i32_e32 v11, s16, v11
	v_min_i32_e32 v12, s16, v12
	;; [unrolled: 1-line block ×4, first 2 shown]
	v_and_b32_e32 v14, 0x7f, v14
	v_add_nc_u32_e32 v16, 0x60, v18
	v_add_nc_u32_e32 v17, 0x68, v18
	s_load_b128 s[0:3], s[0:1], 0x0
	v_mul_lo_u32 v40, v10, s4
	v_min_i32_e32 v21, s16, v14
	v_mad_co_u64_u32 v[9:10], null, 0x84, v11, v[19:20]
	v_mul_lo_u32 v41, v11, s4
	v_mad_co_u64_u32 v[10:11], null, 0x84, v12, v[19:20]
	v_mul_lo_u32 v42, v12, s4
	v_mad_co_u64_u32 v[11:12], null, 0x84, v13, v[19:20]
	v_mul_lo_u32 v43, v13, s4
	v_mul_lo_u32 v44, v15, s4
	v_min_i32_e32 v16, s16, v16
	v_mad_co_u64_u32 v[12:13], null, 0x84, v15, v[19:20]
	v_min_i32_e32 v15, s16, v17
	v_add_nc_u32_e32 v17, 0x70, v18
	v_ashrrev_i32_e32 v22, 31, v21
	v_mul_lo_u32 v45, v16, s4
	v_mad_co_u64_u32 v[13:14], null, 0x84, v16, v[19:20]
	s_delay_alu instid0(VALU_DEP_4) | instskip(NEXT) | instid1(VALU_DEP_4)
	v_min_i32_e32 v16, s16, v17
	v_lshrrev_b32_e32 v17, 28, v22
	v_mul_lo_u32 v46, v15, s4
	v_mad_co_u64_u32 v[14:15], null, 0x84, v15, v[19:20]
	s_mul_i32 s18, s4, s11
	v_add_nc_u32_e32 v15, v21, v17
	s_ashr_i32 s15, s14, 31
	s_ashr_i32 s19, s18, 31
	v_add_nc_u32_e32 v22, 0x78, v18
	v_bfe_u32 v47, v0, 3, 7
	v_and_b32_e32 v49, 1, v0
	v_ashrrev_i32_e32 v23, 4, v15
	s_mul_u64 s[18:19], s[18:19], 0x54
	s_wait_kmcnt 0x0
	s_add_nc_u64 s[0:1], s[0:1], s[14:15]
	v_min_i32_e32 v17, s16, v22
	s_add_nc_u64 s[14:15], s[0:1], s[18:19]
	s_abs_i32 s1, s10
	v_lshl_add_u32 v22, v18, 2, v47
	v_lshlrev_b32_e32 v23, 2, v23
	v_lshlrev_b32_e32 v25, 2, v49
	s_cvt_f32_u32 s0, s1
	s_wait_loadcnt 0x0
	v_sub_nc_u32_e32 v57, 0, v28
	v_min_i32_e32 v24, s16, v22
	v_add_nc_u32_e32 v56, 64, v22
	v_add3_u32 v23, v23, v25, 0x5280
	v_add_nc_u32_e32 v25, 32, v22
	v_rcp_iflag_f32_e32 v27, s0
	v_add_nc_u32_e32 v22, 0x60, v22
	s_add_co_i32 s6, s8, s20
	s_sub_co_i32 s8, 0, s1
	v_min_i32_e32 v25, s16, v25
	v_mul_lo_u32 v48, v16, s4
	v_min_i32_e32 v22, s16, v22
	v_mad_co_u64_u32 v[15:16], null, 0x84, v16, v[19:20]
	s_delay_alu instid0(VALU_DEP_4) | instskip(NEXT) | instid1(TRANS32_DEP_1)
	v_ashrrev_i32_e32 v55, 31, v25
	v_readfirstlane_b32 s0, v27
	v_mul_lo_u32 v50, v17, s4
	v_mad_co_u64_u32 v[16:17], null, 0x84, v17, v[19:20]
	s_delay_alu instid0(VALU_DEP_4) | instskip(NEXT) | instid1(VALU_DEP_4)
	v_lshrrev_b32_e32 v55, 30, v55
	s_mul_f32 s0, s0, 0x4f7ffffe
	v_max_i32_e32 v60, v28, v57
	v_ashrrev_i32_e32 v17, 31, v24
	v_ashrrev_i32_e32 v58, 31, v22
	s_wait_alu 0xfffe
	s_cvt_u32_f32 s0, s0
	v_add_nc_u32_e32 v27, v25, v55
	v_min_i32_e32 v55, s16, v56
	v_lshrrev_b32_e32 v17, 30, v17
	s_wait_alu 0xfffe
	s_mul_i32 s8, s8, s0
	v_lshrrev_b32_e32 v57, 30, v58
	s_mul_hi_u32 s8, s0, s8
	v_ashrrev_i32_e32 v56, 31, v55
	s_add_co_i32 s0, s0, s8
	v_and_b32_e32 v26, 7, v0
	s_wait_alu 0xfffe
	v_mul_hi_u32 v62, v60, s0
	v_add_nc_u32_e32 v17, v24, v17
	v_lshrrev_b32_e32 v56, 30, v56
	v_add_nc_u32_e32 v59, v22, v57
	v_cmp_lt_u32_e32 vcc_lo, 3, v26
	v_lshlrev_b32_e32 v26, 2, v26
	v_and_b32_e32 v17, -4, v17
	v_add_nc_u32_e32 v58, v55, v56
	v_mul_lo_u32 v61, v62, s1
	v_and_b32_e32 v27, -4, v27
	v_and_b32_e32 v59, -4, v59
	v_add3_u32 v17, v17, v26, 0x4200
	v_and_b32_e32 v58, -4, v58
	v_add_nc_u32_e32 v64, 1, v62
	v_add3_u32 v27, v27, v26, 0x4200
	v_and_b32_e32 v63, 31, v0
	v_and_b32_e32 v32, 60, v19
	v_add3_u32 v76, v58, v26, 0x4200
	v_add3_u32 v26, v59, v26, 0x4200
	v_lshl_add_u32 v59, v18, 7, 0x56a0
	v_sub_nc_u32_e32 v18, v60, v61
	v_add_nc_u32_e32 v61, 0x5aa0, v20
	v_and_b32_e32 v53, 12, v19
	v_and_b32_e32 v68, 28, v19
	v_lshl_add_u32 v60, v63, 2, v59
	v_subrev_nc_u32_e32 v20, s1, v18
	v_cmp_le_u32_e64 s0, s1, v18
	v_add_nc_u32_e32 v63, v61, v19
	v_xor_b32_e32 v19, s10, v28
	s_ashr_i32 s6, s6, 5
	v_add_nc_u32_e32 v70, 32, v29
	s_wait_alu 0xf1ff
	v_cndmask_b32_e64 v62, v62, v64, s0
	v_cndmask_b32_e64 v18, v18, v20, s0
	v_ashrrev_i32_e32 v19, 31, v19
	v_add_nc_u32_e32 v71, 0x60, v29
	v_bfe_u32 v31, v0, 4, 6
	v_add_nc_u32_e32 v20, 1, v62
	v_cmp_le_u32_e64 s0, s1, v18
	v_mul_lo_u32 v51, v21, s4
	v_lshlrev_b32_e32 v21, 3, v21
	v_mul_lo_u32 v54, v24, s4
	v_lshlrev_b32_e32 v24, 5, v24
	s_wait_alu 0xf1ff
	v_cndmask_b32_e64 v18, v62, v20, s0
	v_add_nc_u32_e32 v62, 64, v29
	v_mul_lo_u32 v56, v25, s4
	v_lshlrev_b32_e32 v25, 5, v25
	v_mul_lo_u32 v57, v55, s4
	v_xor_b32_e32 v18, v18, v19
	v_lshlrev_b32_e32 v55, 5, v55
	v_mul_lo_u32 v58, v22, s4
	v_lshlrev_b32_e32 v22, 5, v22
	v_mul_u32_u24_e32 v69, 33, v29
	v_sub_nc_u32_e32 v18, v18, v19
	v_lshlrev_b32_e32 v20, 1, v29
	v_lshlrev_b32_e32 v81, 1, v70
	v_lshrrev_b32_e32 v80, 4, v70
	v_lshlrev_b32_e32 v83, 1, v62
	v_mul_lo_u32 v67, v18, s6
	v_lshrrev_b32_e32 v82, 4, v62
	v_lshlrev_b32_e32 v85, 1, v71
	v_lshrrev_b32_e32 v84, 4, v71
	v_lshrrev_b32_e32 v65, 3, v62
	;; [unrolled: 1-line block ×3, first 2 shown]
	v_lshlrev_b32_e32 v72, 5, v29
	v_and_b32_e32 v73, 0xfc, v0
	v_and_b32_e32 v71, 0x1fc, v71
	;; [unrolled: 1-line block ×4, first 2 shown]
	s_wait_alu 0xfffd
	v_cndmask_b32_e64 v52, 0, 1, vcc_lo
	v_cmp_gt_u32_e32 vcc_lo, 4, v29
	v_cmp_gt_i32_e64 s0, s7, v18
	v_add_co_u32 v18, s1, s2, v68
	v_lshrrev_b32_e32 v64, 3, v70
	s_wait_alu 0xf1ff
	v_add_co_ci_u32_e64 v19, null, s3, 0, s1
	v_lshlrev_b32_e32 v0, 2, v69
	v_add_nc_u32_e32 v68, v72, v73
	v_ashrrev_i32_e32 v69, 31, v67
	v_add_nc_u32_e32 v70, v72, v71
	v_add_nc_u32_e32 v71, v72, v74
	;; [unrolled: 1-line block ×8, first 2 shown]
	v_lshlrev_b32_e32 v78, 2, v31
	v_lshlrev_b32_e32 v79, 2, v20
	;; [unrolled: 1-line block ×7, first 2 shown]
	v_dual_mov_b32 v62, 0 :: v_dual_lshlrev_b32 v85, 2, v85
	v_mov_b32_e32 v55, 0
	v_mov_b32_e32 v17, 0
	s_mov_b32 s17, 0
	s_and_b32 s8, vcc_lo, s0
	s_wait_alu 0xfffe
	s_mov_b32 s16, s17
	s_branch .LBB228_5
.LBB228_4:                              ;   in Loop: Header=BB228_5 Depth=1
	s_add_co_i32 s16, s16, 2
	s_wait_alu 0xfffe
	s_cmp_ge_i32 s16, s4
	s_cbranch_scc1 .LBB228_37
.LBB228_5:                              ; =>This Loop Header: Depth=1
                                        ;     Child Loop BB228_11 Depth 2
                                        ;     Child Loop BB228_19 Depth 2
	;; [unrolled: 1-line block ×4, first 2 shown]
	s_wait_alu 0xfffe
	s_mul_u64 s[18:19], s[16:17], 0x54
	s_wait_alu 0xfffe
	s_add_nc_u64 s[18:19], s[14:15], s[18:19]
	s_wait_alu 0xfffe
	v_mad_co_u64_u32 v[20:21], null, 0x54, v31, s[18:19]
	s_delay_alu instid0(VALU_DEP_1) | instskip(SKIP_3) | instid1(VALU_DEP_4)
	v_mad_co_i64_i32 v[22:23], null, 0x54, v33, v[20:21]
	v_mad_co_i64_i32 v[24:25], null, 0x54, v34, v[20:21]
	;; [unrolled: 1-line block ×4, first 2 shown]
	v_add_co_u32 v22, s1, v22, v32
	v_mad_co_i64_i32 v[88:89], null, 0x54, v37, v[20:21]
	s_wait_alu 0xf1ff
	v_add_co_ci_u32_e64 v23, null, 0, v23, s1
	v_add_co_u32 v24, s1, v24, v32
	v_mad_co_i64_i32 v[90:91], null, 0x54, v38, v[20:21]
	s_wait_alu 0xf1ff
	v_add_co_ci_u32_e64 v25, null, 0, v25, s1
	v_add_co_u32 v26, s1, v26, v32
	v_mad_co_i64_i32 v[92:93], null, 0x54, v39, v[20:21]
	s_wait_alu 0xf1ff
	v_add_co_ci_u32_e64 v27, null, 0, v27, s1
	v_add_co_u32 v86, s1, v86, v32
	v_mad_co_i64_i32 v[94:95], null, 0x54, v40, v[20:21]
	s_wait_alu 0xf1ff
	v_add_co_ci_u32_e64 v87, null, 0, v87, s1
	v_add_co_u32 v88, s1, v88, v32
	s_wait_alu 0xf1ff
	v_add_co_ci_u32_e64 v89, null, 0, v89, s1
	v_add_co_u32 v90, s1, v90, v32
	s_wait_alu 0xf1ff
	v_add_co_ci_u32_e64 v91, null, 0, v91, s1
	;; [unrolled: 3-line block ×3, first 2 shown]
	v_add_co_u32 v94, s1, v94, v32
	v_mad_co_i64_i32 v[96:97], null, 0x54, v41, v[20:21]
	s_wait_alu 0xf1ff
	v_add_co_ci_u32_e64 v95, null, 0, v95, s1
	s_clause 0x7
	global_load_b32 v104, v[22:23], off offset:16
	global_load_b32 v105, v[24:25], off offset:16
	;; [unrolled: 1-line block ×8, first 2 shown]
	v_mad_co_i64_i32 v[22:23], null, 0x54, v42, v[20:21]
	v_mad_co_i64_i32 v[26:27], null, 0x54, v43, v[20:21]
	v_mad_co_i64_i32 v[86:87], null, 0x54, v44, v[20:21]
	v_add_co_u32 v24, s1, v96, v32
	v_mad_co_i64_i32 v[88:89], null, 0x54, v45, v[20:21]
	s_wait_alu 0xf1ff
	v_add_co_ci_u32_e64 v25, null, 0, v97, s1
	v_add_co_u32 v22, s1, v22, v32
	v_mad_co_i64_i32 v[90:91], null, 0x54, v46, v[20:21]
	s_wait_alu 0xf1ff
	v_add_co_ci_u32_e64 v23, null, 0, v23, s1
	;; [unrolled: 4-line block ×3, first 2 shown]
	v_add_co_u32 v86, s1, v86, v32
	v_mad_co_u64_u32 v[94:95], null, 0x54, v52, s[18:19]
	s_wait_alu 0xf1ff
	v_add_co_ci_u32_e64 v87, null, 0, v87, s1
	v_add_co_u32 v88, s1, v88, v32
	s_wait_alu 0xf1ff
	v_add_co_ci_u32_e64 v89, null, 0, v89, s1
	v_add_co_u32 v90, s1, v90, v32
	v_mad_co_i64_i32 v[20:21], null, 0x54, v50, v[20:21]
	s_wait_alu 0xf1ff
	v_add_co_ci_u32_e64 v91, null, 0, v91, s1
	v_add_co_u32 v92, s1, v92, v32
	v_mad_co_i64_i32 v[96:97], null, 0x54, v51, s[18:19]
	s_wait_alu 0xf1ff
	v_add_co_ci_u32_e64 v93, null, 0, v93, s1
	v_add_co_u32 v94, s1, v94, v53
	s_wait_alu 0xf1ff
	v_add_co_ci_u32_e64 v95, null, 0, v95, s1
	v_add_co_u32 v20, s1, v20, v32
	s_wait_alu 0xf1ff
	v_add_co_ci_u32_e64 v21, null, 0, v21, s1
	v_mad_co_u64_u32 v[96:97], null, 0x54, v49, v[96:97]
	v_mad_co_i64_i32 v[98:99], null, 0x54, v54, v[94:95]
	v_mad_co_i64_i32 v[100:101], null, 0x54, v56, v[94:95]
	;; [unrolled: 1-line block ×4, first 2 shown]
	s_clause 0xc
	global_load_b32 v24, v[24:25], off offset:16
	global_load_b32 v22, v[22:23], off offset:16
	;; [unrolled: 1-line block ×9, first 2 shown]
	global_load_b32 v87, v[98:99], off
	global_load_b32 v88, v[100:101], off
	;; [unrolled: 1-line block ×4, first 2 shown]
	s_lshl_b32 s18, s16, 8
	s_wait_loadcnt 0x14
	ds_store_b32 v1, v104
	s_wait_loadcnt 0x13
	ds_store_b32 v2, v105
	;; [unrolled: 2-line block ×21, first 2 shown]
	s_wait_alu 0xfffe
	s_cmp_lt_i32 s18, s5
	s_cbranch_scc0 .LBB228_4
; %bb.6:                                ;   in Loop: Header=BB228_5 Depth=1
	s_lshl_b32 s19, s16, 3
	s_wait_alu 0xfffe
	v_add_nc_u32_e32 v20, s19, v47
	s_delay_alu instid0(VALU_DEP_1)
	v_cmp_gt_i32_e64 s1, s6, v20
	s_and_b32 s20, s0, s1
	s_wait_alu 0xfffe
	s_and_saveexec_b32 s1, s20
	s_cbranch_execz .LBB228_8
; %bb.7:                                ;   in Loop: Header=BB228_5 Depth=1
	v_add_nc_u32_e32 v20, v67, v20
	s_delay_alu instid0(VALU_DEP_1)
	v_mad_co_i64_i32 v[20:21], null, v20, 36, v[18:19]
	global_load_b32 v20, v[20:21], off offset:4
	s_wait_loadcnt 0x0
	ds_store_b32 v60, v20
.LBB228_8:                              ;   in Loop: Header=BB228_5 Depth=1
	s_wait_alu 0xfffe
	s_or_b32 exec_lo, exec_lo, s1
	v_add_nc_u32_e32 v86, s19, v29
	s_delay_alu instid0(VALU_DEP_1)
	v_cmp_gt_i32_e64 s1, s6, v86
	s_and_b32 s20, s8, s1
	s_wait_alu 0xfffe
	s_and_saveexec_b32 s1, s20
	s_cbranch_execz .LBB228_10
; %bb.9:                                ;   in Loop: Header=BB228_5 Depth=1
	v_add_nc_u32_e32 v20, v67, v86
	s_delay_alu instid0(VALU_DEP_1)
	v_mad_co_i64_i32 v[20:21], null, v20, 36, s[2:3]
	global_load_b32 v20, v[20:21], off
	s_wait_loadcnt 0x0
	v_cvt_f32_f16_e32 v20, v20
	ds_store_b32 v63, v20
.LBB228_10:                             ;   in Loop: Header=BB228_5 Depth=1
	s_wait_alu 0xfffe
	s_or_b32 exec_lo, exec_lo, s1
	v_dual_mov_b32 v87, v61 :: v_dual_mov_b32 v88, v59
	s_mov_b32 s1, 0
	s_wait_dscnt 0x0
	s_barrier_signal -1
	s_barrier_wait -1
	global_inv scope:SCOPE_SE
.LBB228_11:                             ;   Parent Loop BB228_5 Depth=1
                                        ; =>  This Inner Loop Header: Depth=2
	ds_load_b128 v[20:23], v88 offset:16
	ds_load_b128 v[24:27], v88
	s_wait_alu 0xfffe
	s_and_b32 s20, s1, 0x3ffffff8
	v_add_nc_u32_e32 v88, 32, v88
	s_wait_alu 0xfffe
	v_lshl_add_u32 v119, s20, 2, v0
	s_and_b32 s20, s1, -16
	s_wait_alu 0xfffe
	s_add_co_i32 s20, s1, s20
	s_delay_alu instid0(VALU_DEP_1)
	v_add_nc_u32_e32 v126, 0x2108, v119
	v_add_nc_u32_e32 v128, 0x2110, v119
	;; [unrolled: 1-line block ×4, first 2 shown]
	s_wait_dscnt 0x1
	v_lshrrev_b16 v121, 8, v20
	s_wait_dscnt 0x0
	v_ashrrev_i32_e32 v100, 24, v24
	v_bfe_i32 v112, v25, 8, 8
	v_bfe_i32 v114, v24, 0, 8
	;; [unrolled: 1-line block ×3, first 2 shown]
	v_ashrrev_i32_e32 v111, 24, v25
	v_bfe_i32 v108, v24, 8, 8
	v_bfe_i32 v116, v25, 0, 8
	;; [unrolled: 1-line block ×3, first 2 shown]
	v_lshrrev_b16 v115, 8, v26
	v_ashrrev_i32_e32 v96, 24, v26
	v_bfe_i32 v97, v26, 16, 8
	v_bfe_i32 v118, v26, 0, 8
	v_lshrrev_b16 v117, 8, v27
	v_ashrrev_i32_e32 v89, 24, v27
	v_bfe_i32 v90, v27, 16, 8
	v_bfe_i32 v93, v27, 0, 8
	v_ashrrev_i32_e32 v105, 24, v20
	v_bfe_i32 v109, v20, 0, 8
	v_bfe_i32 v103, v20, 16, 8
	v_lshrrev_b16 v120, 8, v21
	v_ashrrev_i32_e32 v106, 24, v21
	v_bfe_i32 v110, v21, 0, 8
	v_bfe_i32 v104, v21, 16, 8
	v_ashrrev_i32_e32 v98, 24, v22
	v_bfe_i32 v99, v22, 16, 8
	v_bfe_i32 v102, v22, 0, 8
	;; [unrolled: 1-line block ×3, first 2 shown]
	v_ashrrev_i32_e32 v91, 24, v23
	v_bfe_i32 v92, v23, 16, 8
	v_bfe_i32 v95, v23, 0, 8
	;; [unrolled: 1-line block ×3, first 2 shown]
	ds_load_2addr_b32 v[26:27], v119 offset1:1
	ds_load_2addr_b32 v[22:23], v119 offset0:2 offset1:3
	ds_load_2addr_b32 v[24:25], v119 offset0:4 offset1:5
	;; [unrolled: 1-line block ×3, first 2 shown]
	v_bfe_i32 v138, v121, 0, 8
	v_bfe_i32 v142, v120, 0, 8
	;; [unrolled: 1-line block ×4, first 2 shown]
	s_wait_dscnt 0x3
	v_ashrrev_i32_e32 v27, s1, v27
	v_ashrrev_i32_e32 v139, s1, v26
	s_wait_dscnt 0x1
	v_ashrrev_i32_e32 v24, s1, v24
	v_ashrrev_i32_e32 v22, s1, v22
	;; [unrolled: 1-line block ×3, first 2 shown]
	v_and_b32_e32 v122, 3, v27
	v_bfe_u32 v123, v27, 8, 2
	v_and_b32_e32 v121, 3, v24
	v_and_b32_e32 v26, 3, v139
	;; [unrolled: 1-line block ×3, first 2 shown]
	v_mul_i32_i24_e32 v122, v122, v116
	s_wait_dscnt 0x0
	v_ashrrev_i32_e32 v20, s1, v20
	v_mul_i32_i24_e32 v121, v121, v109
	v_mul_i32_i24_e32 v26, v114, v26
	;; [unrolled: 1-line block ×3, first 2 shown]
	v_mad_i32_i24 v122, v123, v112, v122
	v_bfe_u32 v123, v27, 16, 2
	v_bfe_u32 v27, v27, 24, 2
	v_ashrrev_i32_e32 v23, s1, v23
	v_ashrrev_i32_e32 v21, s1, v21
	s_delay_alu instid0(VALU_DEP_4) | instskip(NEXT) | instid1(VALU_DEP_4)
	v_mul_i32_i24_e32 v123, v123, v113
	v_mul_i32_i24_e32 v27, v27, v111
	s_delay_alu instid0(VALU_DEP_1) | instskip(SKIP_1) | instid1(VALU_DEP_1)
	v_add3_u32 v27, v122, v123, v27
	v_bfe_u32 v122, v24, 8, 2
	v_mad_i32_i24 v121, v122, v138, v121
	v_bfe_u32 v122, v24, 16, 2
	v_bfe_u32 v24, v24, 24, 2
	s_delay_alu instid0(VALU_DEP_2) | instskip(NEXT) | instid1(VALU_DEP_2)
	v_mul_i32_i24_e32 v122, v122, v103
	v_mul_i32_i24_e32 v24, v24, v105
	s_delay_alu instid0(VALU_DEP_1) | instskip(SKIP_2) | instid1(VALU_DEP_2)
	v_add3_u32 v24, v121, v122, v24
	v_and_b32_e32 v121, 3, v22
	v_add_nc_u32_e32 v122, 0x1098, v119
	v_mul_i32_i24_e32 v121, v121, v118
	s_delay_alu instid0(VALU_DEP_1) | instskip(SKIP_1) | instid1(VALU_DEP_1)
	v_add3_u32 v140, v27, v121, v26
	v_bfe_u32 v26, v141, 8, 2
	v_mul_i32_i24_e32 v26, v26, v142
	s_delay_alu instid0(VALU_DEP_1)
	v_add3_u32 v143, v24, v25, v26
	v_add_nc_u32_e32 v24, 0x1080, v119
	v_add_nc_u32_e32 v26, 0x1088, v119
	ds_load_2addr_b32 v[24:25], v24 offset1:1
	ds_load_2addr_b32 v[26:27], v26 offset1:1
	s_wait_dscnt 0x1
	v_ashrrev_i32_e32 v25, s1, v25
	v_ashrrev_i32_e32 v24, s1, v24
	s_wait_dscnt 0x0
	v_ashrrev_i32_e32 v26, s1, v26
	s_delay_alu instid0(VALU_DEP_3) | instskip(SKIP_1) | instid1(VALU_DEP_2)
	v_and_b32_e32 v120, 3, v25
	v_bfe_u32 v121, v25, 8, 2
	v_mul_i32_i24_e32 v120, v120, v116
	s_delay_alu instid0(VALU_DEP_1) | instskip(SKIP_2) | instid1(VALU_DEP_2)
	v_mad_i32_i24 v120, v121, v112, v120
	v_bfe_u32 v121, v25, 16, 2
	v_bfe_u32 v25, v25, 24, 2
	v_mul_i32_i24_e32 v121, v121, v113
	s_delay_alu instid0(VALU_DEP_2) | instskip(NEXT) | instid1(VALU_DEP_1)
	v_mul_i32_i24_e32 v25, v25, v111
	v_add3_u32 v25, v120, v121, v25
	s_wait_alu 0xfffe
	v_add_nc_u32_e32 v120, s20, v71
	ds_load_u16 v144, v120 offset:17920
	v_add_nc_u32_e32 v120, 0x1090, v119
	ds_load_2addr_b32 v[120:121], v120 offset1:1
	ds_load_2addr_b32 v[122:123], v122 offset1:1
	s_wait_dscnt 0x1
	v_ashrrev_i32_e32 v120, s1, v120
	v_ashrrev_i32_e32 v121, s1, v121
	s_delay_alu instid0(VALU_DEP_2) | instskip(SKIP_1) | instid1(VALU_DEP_2)
	v_and_b32_e32 v124, 3, v120
	v_bfe_u32 v125, v120, 8, 2
	v_mul_i32_i24_e32 v124, v124, v109
	s_delay_alu instid0(VALU_DEP_1) | instskip(SKIP_2) | instid1(VALU_DEP_2)
	v_mad_i32_i24 v124, v125, v138, v124
	v_bfe_u32 v125, v120, 16, 2
	v_bfe_u32 v120, v120, 24, 2
	v_mul_i32_i24_e32 v125, v125, v103
	s_delay_alu instid0(VALU_DEP_2) | instskip(NEXT) | instid1(VALU_DEP_1)
	v_mul_i32_i24_e32 v120, v120, v105
	v_add3_u32 v145, v124, v125, v120
	v_add_nc_u32_e32 v120, 0x2100, v119
	ds_load_2addr_b32 v[124:125], v120 offset1:1
	ds_load_2addr_b32 v[126:127], v126 offset1:1
	;; [unrolled: 1-line block ×4, first 2 shown]
	s_wait_dscnt 0x3
	v_ashrrev_i32_e32 v120, s1, v125
	v_ashrrev_i32_e32 v124, s1, v124
	s_wait_dscnt 0x2
	v_ashrrev_i32_e32 v126, s1, v126
	s_wait_dscnt 0x1
	v_ashrrev_i32_e32 v129, s1, v129
	v_and_b32_e32 v125, 3, v120
	v_bfe_u32 v132, v120, 8, 2
	s_delay_alu instid0(VALU_DEP_2) | instskip(NEXT) | instid1(VALU_DEP_1)
	v_mul_i32_i24_e32 v125, v125, v116
	v_mad_i32_i24 v125, v132, v112, v125
	v_bfe_u32 v132, v120, 16, 2
	v_bfe_u32 v120, v120, 24, 2
	s_delay_alu instid0(VALU_DEP_2) | instskip(NEXT) | instid1(VALU_DEP_2)
	v_mul_i32_i24_e32 v132, v132, v113
	v_mul_i32_i24_e32 v120, v120, v111
	s_delay_alu instid0(VALU_DEP_1) | instskip(SKIP_1) | instid1(VALU_DEP_1)
	v_add3_u32 v125, v125, v132, v120
	v_ashrrev_i32_e32 v120, s1, v128
	v_and_b32_e32 v128, 3, v120
	v_bfe_u32 v132, v120, 8, 2
	s_delay_alu instid0(VALU_DEP_2) | instskip(NEXT) | instid1(VALU_DEP_1)
	v_mul_i32_i24_e32 v128, v128, v109
	v_mad_i32_i24 v128, v132, v138, v128
	v_bfe_u32 v132, v120, 16, 2
	v_bfe_u32 v120, v120, 24, 2
	s_delay_alu instid0(VALU_DEP_2) | instskip(NEXT) | instid1(VALU_DEP_2)
	v_mul_i32_i24_e32 v132, v132, v103
	v_mul_i32_i24_e32 v120, v120, v105
	s_delay_alu instid0(VALU_DEP_1)
	v_add3_u32 v128, v128, v132, v120
	v_add_nc_u32_e32 v120, 0x3180, v119
	ds_load_2addr_b32 v[132:133], v120 offset1:1
	ds_load_2addr_b32 v[134:135], v134 offset1:1
	s_wait_dscnt 0x1
	v_ashrrev_i32_e32 v120, s1, v133
	v_ashrrev_i32_e32 v132, s1, v132
	s_wait_dscnt 0x0
	v_ashrrev_i32_e32 v134, s1, v134
	s_delay_alu instid0(VALU_DEP_3) | instskip(SKIP_1) | instid1(VALU_DEP_2)
	v_and_b32_e32 v133, 3, v120
	v_bfe_u32 v136, v120, 8, 2
	v_mul_i32_i24_e32 v133, v133, v116
	s_delay_alu instid0(VALU_DEP_1) | instskip(SKIP_3) | instid1(VALU_DEP_3)
	v_mad_i32_i24 v133, v136, v112, v133
	v_bfe_u32 v136, v120, 16, 2
	v_bfe_u32 v120, v120, 24, 2
	v_add_nc_u32_e32 v112, v108, v112
	v_mul_i32_i24_e32 v136, v136, v113
	s_delay_alu instid0(VALU_DEP_3) | instskip(NEXT) | instid1(VALU_DEP_3)
	v_mul_i32_i24_e32 v120, v120, v111
	v_add3_u32 v112, v112, v115, v117
	v_add_nc_u32_e32 v111, v111, v100
	v_add_nc_u32_e32 v113, v113, v107
	s_delay_alu instid0(VALU_DEP_4)
	v_add3_u32 v133, v133, v136, v120
	v_add_nc_u32_e32 v120, 0x3190, v119
	v_add_nc_u32_e32 v136, 0x3198, v119
	;; [unrolled: 1-line block ×3, first 2 shown]
	ds_load_u16 v146, v119 offset:19968
	ds_load_2addr_b32 v[119:120], v120 offset1:1
	ds_load_2addr_b32 v[136:137], v136 offset1:1
	v_add3_u32 v111, v111, v96, v89
	v_add3_u32 v113, v113, v97, v90
	s_wait_dscnt 0x1
	v_ashrrev_i32_e32 v119, s1, v119
	v_ashrrev_i32_e32 v120, s1, v120
	s_delay_alu instid0(VALU_DEP_2) | instskip(SKIP_1) | instid1(VALU_DEP_2)
	v_and_b32_e32 v147, 3, v119
	v_bfe_u32 v148, v119, 8, 2
	v_mul_i32_i24_e32 v147, v147, v109
	v_add_nc_u32_e32 v109, v110, v109
	s_delay_alu instid0(VALU_DEP_2) | instskip(SKIP_2) | instid1(VALU_DEP_4)
	v_mad_i32_i24 v147, v148, v138, v147
	v_bfe_u32 v148, v119, 16, 2
	v_bfe_u32 v119, v119, 24, 2
	v_add3_u32 v109, v109, v102, v95
	s_delay_alu instid0(VALU_DEP_3) | instskip(NEXT) | instid1(VALU_DEP_3)
	v_mul_i32_i24_e32 v148, v148, v103
	v_mul_i32_i24_e32 v119, v119, v105
	v_add_nc_u32_e32 v105, v106, v105
	v_add_nc_u32_e32 v103, v104, v103
	s_delay_alu instid0(VALU_DEP_3)
	v_add3_u32 v119, v147, v148, v119
	v_bfe_u32 v147, v139, 8, 2
	v_bfe_u32 v148, v139, 16, 2
	v_bfe_u32 v139, v139, 24, 2
	v_add3_u32 v105, v105, v98, v91
	v_add3_u32 v103, v103, v99, v92
	v_mul_i32_i24_e32 v147, v108, v147
	v_mul_i32_i24_e32 v148, v107, v148
	;; [unrolled: 1-line block ×3, first 2 shown]
	s_delay_alu instid0(VALU_DEP_2) | instskip(SKIP_2) | instid1(VALU_DEP_2)
	v_add3_u32 v140, v140, v147, v148
	v_bfe_u32 v147, v141, 16, 2
	v_bfe_u32 v141, v141, 24, 2
	v_mul_i32_i24_e32 v147, v147, v104
	s_delay_alu instid0(VALU_DEP_2) | instskip(NEXT) | instid1(VALU_DEP_1)
	v_mul_i32_i24_e32 v141, v141, v106
	v_add3_u32 v141, v143, v147, v141
	v_and_b32_e32 v143, 3, v24
	v_and_b32_e32 v147, 3, v26
	s_delay_alu instid0(VALU_DEP_2) | instskip(NEXT) | instid1(VALU_DEP_2)
	v_mul_i32_i24_e32 v143, v114, v143
	v_mul_i32_i24_e32 v147, v147, v118
	s_delay_alu instid0(VALU_DEP_1) | instskip(SKIP_2) | instid1(VALU_DEP_2)
	v_add3_u32 v25, v25, v147, v143
	v_and_b32_e32 v143, 3, v121
	v_bfe_u32 v147, v121, 8, 2
	v_mul_i32_i24_e32 v143, v143, v110
	s_delay_alu instid0(VALU_DEP_2) | instskip(NEXT) | instid1(VALU_DEP_1)
	v_mul_i32_i24_e32 v147, v147, v142
	v_add3_u32 v143, v145, v143, v147
	v_and_b32_e32 v145, 3, v124
	v_and_b32_e32 v147, 3, v126
	s_delay_alu instid0(VALU_DEP_2) | instskip(NEXT) | instid1(VALU_DEP_2)
	v_mul_i32_i24_e32 v145, v114, v145
	v_mul_i32_i24_e32 v147, v147, v118
	s_delay_alu instid0(VALU_DEP_1) | instskip(SKIP_2) | instid1(VALU_DEP_2)
	v_add3_u32 v125, v125, v147, v145
	v_and_b32_e32 v145, 3, v129
	v_bfe_u32 v147, v129, 8, 2
	v_mul_i32_i24_e32 v145, v145, v110
	s_delay_alu instid0(VALU_DEP_2) | instskip(NEXT) | instid1(VALU_DEP_1)
	v_mul_i32_i24_e32 v147, v147, v142
	v_add3_u32 v128, v128, v145, v147
	v_and_b32_e32 v145, 3, v132
	v_and_b32_e32 v147, 3, v134
	s_delay_alu instid0(VALU_DEP_2) | instskip(SKIP_2) | instid1(VALU_DEP_4)
	v_mul_i32_i24_e32 v145, v114, v145
	v_add_nc_u32_e32 v114, v116, v114
	v_add_nc_u32_e32 v116, 0x4200, v68
	v_mul_i32_i24_e32 v147, v147, v118
	s_delay_alu instid0(VALU_DEP_3) | instskip(NEXT) | instid1(VALU_DEP_3)
	v_add3_u32 v114, v114, v118, v93
	v_add_nc_u32_e32 v116, s20, v116
	s_delay_alu instid0(VALU_DEP_3)
	v_add3_u32 v133, v133, v147, v145
	v_and_b32_e32 v145, 3, v120
	v_bfe_u32 v147, v120, 8, 2
	ds_load_u16 v116, v116
	v_mul_i32_i24_e32 v145, v145, v110
	v_mul_i32_i24_e32 v147, v147, v142
	v_add_nc_u32_e32 v110, v142, v138
	s_delay_alu instid0(VALU_DEP_2) | instskip(NEXT) | instid1(VALU_DEP_2)
	v_add3_u32 v119, v119, v145, v147
	v_add3_u32 v110, v110, v101, v94
	s_wait_dscnt 0x0
	v_bfe_u32 v118, v116, 4, 4
	s_delay_alu instid0(VALU_DEP_1) | instskip(NEXT) | instid1(VALU_DEP_1)
	v_mul_lo_u32 v118, 0x1010101, v118
	v_bfe_i32 v145, v118, 0, 8
	v_bfe_i32 v147, v118, 8, 8
	s_delay_alu instid0(VALU_DEP_2) | instskip(NEXT) | instid1(VALU_DEP_1)
	v_mul_i32_i24_e32 v145, v114, v145
	v_mad_i32_i24 v145, v112, v147, v145
	v_lshrrev_b32_e32 v147, 24, v118
	v_bfe_i32 v118, v118, 16, 8
	s_delay_alu instid0(VALU_DEP_2) | instskip(NEXT) | instid1(VALU_DEP_2)
	v_mul_i32_i24_e32 v147, v111, v147
	v_mul_i32_i24_e32 v118, v113, v118
	s_delay_alu instid0(VALU_DEP_1) | instskip(SKIP_1) | instid1(VALU_DEP_1)
	v_add3_u32 v118, v145, v118, v147
	v_bfe_u32 v145, v144, 4, 4
	v_mul_lo_u32 v145, 0x1010101, v145
	s_delay_alu instid0(VALU_DEP_1) | instskip(SKIP_1) | instid1(VALU_DEP_2)
	v_bfe_i32 v147, v145, 0, 8
	v_bfe_i32 v148, v145, 8, 8
	v_mul_i32_i24_e32 v147, v114, v147
	s_delay_alu instid0(VALU_DEP_1) | instskip(SKIP_2) | instid1(VALU_DEP_2)
	v_mad_i32_i24 v147, v112, v148, v147
	v_lshrrev_b32_e32 v148, 24, v145
	v_bfe_i32 v145, v145, 16, 8
	v_mul_i32_i24_e32 v148, v111, v148
	s_delay_alu instid0(VALU_DEP_2) | instskip(NEXT) | instid1(VALU_DEP_1)
	v_mul_i32_i24_e32 v145, v113, v145
	v_add3_u32 v145, v147, v145, v148
	v_add_nc_u32_e32 v147, s20, v72
	s_lshr_b32 s20, s1, 2
	s_wait_alu 0xfffe
	s_and_b32 s20, s20, 0x3ffffffc
	ds_load_u16 v147, v147 offset:18944
	s_wait_alu 0xfffe
	s_addk_co_i32 s20, 0x5280
	s_wait_dscnt 0x0
	v_bfe_u32 v148, v147, 4, 4
	s_delay_alu instid0(VALU_DEP_1) | instskip(NEXT) | instid1(VALU_DEP_1)
	v_mul_lo_u32 v148, 0x1010101, v148
	v_bfe_i32 v149, v148, 0, 8
	v_bfe_i32 v150, v148, 8, 8
	s_delay_alu instid0(VALU_DEP_2) | instskip(NEXT) | instid1(VALU_DEP_1)
	v_mul_i32_i24_e32 v149, v114, v149
	v_mad_i32_i24 v149, v112, v150, v149
	v_lshrrev_b32_e32 v150, 24, v148
	v_bfe_i32 v148, v148, 16, 8
	s_delay_alu instid0(VALU_DEP_2) | instskip(NEXT) | instid1(VALU_DEP_2)
	v_mul_i32_i24_e32 v150, v111, v150
	v_mul_i32_i24_e32 v148, v113, v148
	s_delay_alu instid0(VALU_DEP_1) | instskip(SKIP_1) | instid1(VALU_DEP_1)
	v_add3_u32 v148, v149, v148, v150
	v_bfe_u32 v149, v22, 8, 2
	v_mul_i32_i24_e32 v149, v149, v115
	s_delay_alu instid0(VALU_DEP_1) | instskip(SKIP_2) | instid1(VALU_DEP_2)
	v_add3_u32 v139, v140, v139, v149
	v_and_b32_e32 v140, 3, v20
	v_bfe_u32 v149, v20, 8, 2
	v_mul_i32_i24_e32 v140, v140, v102
	s_delay_alu instid0(VALU_DEP_2) | instskip(NEXT) | instid1(VALU_DEP_1)
	v_mul_i32_i24_e32 v149, v149, v101
	v_add3_u32 v140, v141, v140, v149
	v_bfe_u32 v141, v24, 8, 2
	v_bfe_u32 v149, v24, 16, 2
	;; [unrolled: 1-line block ×3, first 2 shown]
	s_delay_alu instid0(VALU_DEP_3) | instskip(NEXT) | instid1(VALU_DEP_3)
	v_mul_i32_i24_e32 v141, v108, v141
	v_mul_i32_i24_e32 v149, v107, v149
	s_delay_alu instid0(VALU_DEP_3) | instskip(NEXT) | instid1(VALU_DEP_2)
	v_mul_i32_i24_e32 v24, v100, v24
	v_add3_u32 v25, v25, v141, v149
	v_bfe_u32 v141, v121, 16, 2
	v_bfe_u32 v121, v121, 24, 2
	s_delay_alu instid0(VALU_DEP_2) | instskip(NEXT) | instid1(VALU_DEP_2)
	v_mul_i32_i24_e32 v141, v141, v104
	v_mul_i32_i24_e32 v121, v121, v106
	s_delay_alu instid0(VALU_DEP_1) | instskip(SKIP_2) | instid1(VALU_DEP_2)
	v_add3_u32 v121, v143, v141, v121
	v_bfe_u32 v141, v124, 8, 2
	v_bfe_u32 v143, v124, 16, 2
	v_mul_i32_i24_e32 v141, v108, v141
	s_delay_alu instid0(VALU_DEP_2) | instskip(NEXT) | instid1(VALU_DEP_1)
	v_mul_i32_i24_e32 v143, v107, v143
	v_add3_u32 v125, v125, v141, v143
	v_bfe_u32 v141, v129, 16, 2
	v_bfe_u32 v129, v129, 24, 2
	s_delay_alu instid0(VALU_DEP_2) | instskip(NEXT) | instid1(VALU_DEP_2)
	v_mul_i32_i24_e32 v141, v141, v104
	v_mul_i32_i24_e32 v129, v129, v106
	s_delay_alu instid0(VALU_DEP_1) | instskip(SKIP_1) | instid1(VALU_DEP_1)
	v_add3_u32 v128, v128, v141, v129
	v_bfe_u32 v129, v132, 8, 2
	v_mul_i32_i24_e32 v108, v108, v129
	v_bfe_u32 v129, v132, 16, 2
	s_delay_alu instid0(VALU_DEP_1) | instskip(NEXT) | instid1(VALU_DEP_1)
	v_mul_i32_i24_e32 v107, v107, v129
	v_add3_u32 v107, v133, v108, v107
	v_bfe_u32 v108, v120, 16, 2
	v_bfe_u32 v120, v120, 24, 2
	s_delay_alu instid0(VALU_DEP_2) | instskip(NEXT) | instid1(VALU_DEP_2)
	v_mul_i32_i24_e32 v108, v108, v104
	v_mul_i32_i24_e32 v120, v120, v106
	v_lshrrev_b16 v106, 8, v146
	s_delay_alu instid0(VALU_DEP_2) | instskip(SKIP_1) | instid1(VALU_DEP_3)
	v_add3_u32 v108, v119, v108, v120
	v_lshrrev_b16 v119, 8, v116
	v_and_b32_e32 v106, 0xffff, v106
	s_delay_alu instid0(VALU_DEP_2) | instskip(NEXT) | instid1(VALU_DEP_1)
	v_and_b32_e32 v119, 0xffff, v119
	v_lshrrev_b32_e32 v120, 4, v119
	s_delay_alu instid0(VALU_DEP_1) | instskip(NEXT) | instid1(VALU_DEP_1)
	v_mul_lo_u32 v120, 0x1010101, v120
	v_bfe_i32 v129, v120, 0, 8
	v_bfe_i32 v133, v120, 8, 8
	s_delay_alu instid0(VALU_DEP_2) | instskip(NEXT) | instid1(VALU_DEP_2)
	v_mul_i32_i24_e32 v129, v109, v129
	v_mul_i32_i24_e32 v133, v110, v133
	s_delay_alu instid0(VALU_DEP_1) | instskip(SKIP_1) | instid1(VALU_DEP_1)
	v_add3_u32 v118, v118, v129, v133
	v_lshrrev_b16 v129, 8, v144
	v_and_b32_e32 v129, 0xffff, v129
	s_delay_alu instid0(VALU_DEP_1) | instskip(NEXT) | instid1(VALU_DEP_1)
	v_lshrrev_b32_e32 v133, 4, v129
	v_mul_lo_u32 v133, 0x1010101, v133
	s_delay_alu instid0(VALU_DEP_1) | instskip(SKIP_1) | instid1(VALU_DEP_2)
	v_bfe_i32 v138, v133, 0, 8
	v_bfe_i32 v141, v133, 8, 8
	v_mul_i32_i24_e32 v138, v109, v138
	s_delay_alu instid0(VALU_DEP_2) | instskip(NEXT) | instid1(VALU_DEP_1)
	v_mul_i32_i24_e32 v141, v110, v141
	v_add3_u32 v138, v145, v138, v141
	v_lshrrev_b16 v141, 8, v147
	s_delay_alu instid0(VALU_DEP_1) | instskip(NEXT) | instid1(VALU_DEP_1)
	v_and_b32_e32 v141, 0xffff, v141
	v_lshrrev_b32_e32 v142, 4, v141
	s_delay_alu instid0(VALU_DEP_1) | instskip(NEXT) | instid1(VALU_DEP_1)
	v_mul_lo_u32 v142, 0x1010101, v142
	v_bfe_i32 v143, v142, 0, 8
	v_bfe_i32 v145, v142, 8, 8
	s_delay_alu instid0(VALU_DEP_2) | instskip(NEXT) | instid1(VALU_DEP_2)
	v_mul_i32_i24_e32 v143, v109, v143
	v_mul_i32_i24_e32 v145, v110, v145
	s_delay_alu instid0(VALU_DEP_1) | instskip(SKIP_2) | instid1(VALU_DEP_2)
	v_add3_u32 v143, v148, v143, v145
	v_lshrrev_b32_e32 v148, 4, v106
	v_bfe_u32 v145, v146, 4, 4
	v_mul_lo_u32 v148, 0x1010101, v148
	s_delay_alu instid0(VALU_DEP_2) | instskip(NEXT) | instid1(VALU_DEP_2)
	v_mul_lo_u32 v145, 0x1010101, v145
	v_lshrrev_b32_e32 v149, 24, v148
	s_delay_alu instid0(VALU_DEP_2) | instskip(SKIP_1) | instid1(VALU_DEP_3)
	v_lshrrev_b32_e32 v150, 24, v145
	v_bfe_i32 v104, v148, 16, 8
	v_mul_i32_i24_e32 v149, v105, v149
	s_delay_alu instid0(VALU_DEP_2) | instskip(NEXT) | instid1(VALU_DEP_2)
	v_mul_i32_i24_e32 v104, v103, v104
	v_mad_i32_i24 v111, v111, v150, v149
	v_bfe_i32 v149, v145, 16, 8
	s_delay_alu instid0(VALU_DEP_1) | instskip(SKIP_1) | instid1(VALU_DEP_1)
	v_mad_i32_i24 v104, v113, v149, v104
	v_bfe_i32 v113, v148, 0, 8
	v_mul_i32_i24_e32 v109, v109, v113
	v_bfe_i32 v113, v145, 0, 8
	s_delay_alu instid0(VALU_DEP_1) | instskip(SKIP_2) | instid1(VALU_DEP_2)
	v_mad_i32_i24 v109, v114, v113, v109
	v_bfe_u32 v113, v22, 16, 2
	v_bfe_u32 v22, v22, 24, 2
	v_mul_i32_i24_e32 v113, v113, v97
	s_delay_alu instid0(VALU_DEP_2) | instskip(NEXT) | instid1(VALU_DEP_1)
	v_mul_i32_i24_e32 v22, v22, v96
	v_add3_u32 v22, v139, v113, v22
	v_bfe_u32 v113, v20, 16, 2
	v_bfe_u32 v20, v20, 24, 2
	s_delay_alu instid0(VALU_DEP_2) | instskip(NEXT) | instid1(VALU_DEP_2)
	v_mul_i32_i24_e32 v113, v113, v99
	v_mul_i32_i24_e32 v20, v20, v98
	s_delay_alu instid0(VALU_DEP_1) | instskip(SKIP_1) | instid1(VALU_DEP_1)
	v_add3_u32 v20, v140, v113, v20
	v_bfe_u32 v113, v26, 8, 2
	v_mul_i32_i24_e32 v113, v113, v115
	s_delay_alu instid0(VALU_DEP_1) | instskip(SKIP_1) | instid1(VALU_DEP_1)
	v_add3_u32 v24, v25, v24, v113
	v_ashrrev_i32_e32 v25, s1, v122
	v_and_b32_e32 v113, 3, v25
	v_bfe_u32 v114, v25, 8, 2
	s_delay_alu instid0(VALU_DEP_2) | instskip(NEXT) | instid1(VALU_DEP_2)
	v_mul_i32_i24_e32 v113, v113, v102
	v_mul_i32_i24_e32 v114, v114, v101
	s_delay_alu instid0(VALU_DEP_1) | instskip(SKIP_2) | instid1(VALU_DEP_2)
	v_add3_u32 v113, v121, v113, v114
	v_bfe_u32 v114, v124, 24, 2
	v_bfe_u32 v121, v126, 8, 2
	v_mul_i32_i24_e32 v114, v100, v114
	s_delay_alu instid0(VALU_DEP_2) | instskip(NEXT) | instid1(VALU_DEP_1)
	v_mul_i32_i24_e32 v121, v121, v115
	v_add3_u32 v114, v125, v114, v121
	v_ashrrev_i32_e32 v121, s1, v130
	s_delay_alu instid0(VALU_DEP_1) | instskip(SKIP_1) | instid1(VALU_DEP_2)
	v_and_b32_e32 v122, 3, v121
	v_bfe_u32 v124, v121, 8, 2
	v_mul_i32_i24_e32 v122, v122, v102
	s_delay_alu instid0(VALU_DEP_2) | instskip(NEXT) | instid1(VALU_DEP_1)
	v_mul_i32_i24_e32 v124, v124, v101
	v_add3_u32 v122, v128, v122, v124
	v_bfe_u32 v124, v132, 24, 2
	s_delay_alu instid0(VALU_DEP_1) | instskip(SKIP_1) | instid1(VALU_DEP_1)
	v_mul_i32_i24_e32 v100, v100, v124
	v_bfe_u32 v124, v134, 8, 2
	v_mul_i32_i24_e32 v115, v124, v115
	s_delay_alu instid0(VALU_DEP_1) | instskip(SKIP_1) | instid1(VALU_DEP_1)
	v_add3_u32 v100, v107, v100, v115
	v_ashrrev_i32_e32 v107, s1, v136
	v_and_b32_e32 v115, 3, v107
	s_delay_alu instid0(VALU_DEP_1) | instskip(SKIP_1) | instid1(VALU_DEP_1)
	v_mul_i32_i24_e32 v102, v115, v102
	v_bfe_u32 v115, v107, 8, 2
	v_mul_i32_i24_e32 v101, v115, v101
	v_lshrrev_b32_e32 v115, 24, v133
	s_delay_alu instid0(VALU_DEP_2) | instskip(SKIP_2) | instid1(VALU_DEP_4)
	v_add3_u32 v101, v108, v102, v101
	v_bfe_i32 v102, v120, 16, 8
	v_lshrrev_b32_e32 v108, 24, v120
	v_mul_i32_i24_e32 v115, v105, v115
	s_delay_alu instid0(VALU_DEP_3) | instskip(NEXT) | instid1(VALU_DEP_3)
	v_mul_i32_i24_e32 v102, v103, v102
	v_mul_i32_i24_e32 v108, v105, v108
	s_delay_alu instid0(VALU_DEP_1) | instskip(SKIP_1) | instid1(VALU_DEP_1)
	v_add3_u32 v102, v118, v102, v108
	v_bfe_i32 v108, v133, 16, 8
	v_mul_i32_i24_e32 v108, v103, v108
	s_delay_alu instid0(VALU_DEP_1) | instskip(SKIP_1) | instid1(VALU_DEP_1)
	v_add3_u32 v108, v138, v108, v115
	v_bfe_i32 v115, v142, 16, 8
	v_mul_i32_i24_e32 v103, v103, v115
	v_lshrrev_b32_e32 v115, 24, v142
	s_delay_alu instid0(VALU_DEP_1) | instskip(NEXT) | instid1(VALU_DEP_1)
	v_mul_i32_i24_e32 v105, v105, v115
	v_add3_u32 v103, v143, v103, v105
	v_lshrrev_b16 v105, 8, v145
	s_delay_alu instid0(VALU_DEP_1) | instskip(NEXT) | instid1(VALU_DEP_1)
	v_bfe_i32 v105, v105, 0, 8
	v_mul_i32_i24_e32 v105, v112, v105
	v_bfe_i32 v112, v148, 8, 8
	s_delay_alu instid0(VALU_DEP_1) | instskip(NEXT) | instid1(VALU_DEP_1)
	v_mul_i32_i24_e32 v110, v110, v112
	v_add3_u32 v105, v105, v110, v111
	v_and_b32_e32 v110, 3, v23
	v_bfe_u32 v111, v23, 8, 2
	s_delay_alu instid0(VALU_DEP_2) | instskip(NEXT) | instid1(VALU_DEP_2)
	v_mul_i32_i24_e32 v110, v110, v93
	v_mul_i32_i24_e32 v111, v111, v117
	s_delay_alu instid0(VALU_DEP_1) | instskip(SKIP_2) | instid1(VALU_DEP_2)
	v_add3_u32 v22, v22, v110, v111
	v_and_b32_e32 v110, 3, v21
	v_bfe_u32 v111, v21, 8, 2
	v_mul_i32_i24_e32 v110, v110, v95
	s_delay_alu instid0(VALU_DEP_2) | instskip(NEXT) | instid1(VALU_DEP_1)
	v_mul_i32_i24_e32 v111, v111, v94
	v_add3_u32 v20, v20, v110, v111
	v_bfe_u32 v110, v26, 16, 2
	v_bfe_u32 v26, v26, 24, 2
	;; [unrolled: 1-line block ×3, first 2 shown]
	s_delay_alu instid0(VALU_DEP_3) | instskip(NEXT) | instid1(VALU_DEP_3)
	v_mul_i32_i24_e32 v110, v110, v97
	v_mul_i32_i24_e32 v26, v26, v96
	s_delay_alu instid0(VALU_DEP_3) | instskip(NEXT) | instid1(VALU_DEP_2)
	v_mul_i32_i24_e32 v111, v111, v98
	v_add3_u32 v24, v24, v110, v26
	v_bfe_u32 v26, v25, 16, 2
	v_bfe_u32 v25, v25, 24, 2
	;; [unrolled: 1-line block ×3, first 2 shown]
	s_delay_alu instid0(VALU_DEP_3) | instskip(NEXT) | instid1(VALU_DEP_3)
	v_mul_i32_i24_e32 v26, v26, v99
	v_mul_i32_i24_e32 v25, v25, v98
	s_delay_alu instid0(VALU_DEP_3) | instskip(NEXT) | instid1(VALU_DEP_2)
	v_mul_i32_i24_e32 v110, v110, v96
	v_add3_u32 v25, v113, v26, v25
	v_bfe_u32 v26, v126, 16, 2
	s_delay_alu instid0(VALU_DEP_1) | instskip(NEXT) | instid1(VALU_DEP_1)
	v_mul_i32_i24_e32 v26, v26, v97
	v_add3_u32 v26, v114, v26, v110
	v_bfe_u32 v110, v121, 16, 2
	s_delay_alu instid0(VALU_DEP_1) | instskip(NEXT) | instid1(VALU_DEP_1)
	v_mul_i32_i24_e32 v110, v110, v99
	v_add3_u32 v110, v122, v110, v111
	v_bfe_u32 v111, v134, 16, 2
	s_delay_alu instid0(VALU_DEP_1) | instskip(SKIP_1) | instid1(VALU_DEP_1)
	v_mul_i32_i24_e32 v97, v111, v97
	v_bfe_u32 v111, v134, 24, 2
	v_mul_i32_i24_e32 v96, v111, v96
	s_delay_alu instid0(VALU_DEP_1) | instskip(SKIP_1) | instid1(VALU_DEP_1)
	v_add3_u32 v96, v100, v97, v96
	v_bfe_u32 v97, v107, 16, 2
	v_mul_i32_i24_e32 v97, v97, v99
	v_bfe_u32 v99, v107, 24, 2
	s_delay_alu instid0(VALU_DEP_1) | instskip(SKIP_2) | instid1(VALU_DEP_3)
	v_mul_i32_i24_e32 v98, v99, v98
	v_bfe_u32 v99, v23, 16, 2
	v_bfe_u32 v23, v23, 24, 2
	v_add3_u32 v97, v101, v97, v98
	s_delay_alu instid0(VALU_DEP_3) | instskip(NEXT) | instid1(VALU_DEP_3)
	v_mul_i32_i24_e32 v99, v99, v90
	v_mul_i32_i24_e32 v23, v23, v89
	v_add3_u32 v98, v109, v104, v105
	s_delay_alu instid0(VALU_DEP_2) | instskip(SKIP_2) | instid1(VALU_DEP_4)
	v_add3_u32 v22, v22, v99, v23
	v_bfe_u32 v23, v21, 16, 2
	v_bfe_u32 v21, v21, 24, 2
	v_cvt_f32_i32_e32 v98, v98
	s_delay_alu instid0(VALU_DEP_3) | instskip(NEXT) | instid1(VALU_DEP_3)
	v_mul_i32_i24_e32 v23, v23, v92
	v_mul_i32_i24_e32 v21, v21, v91
	s_delay_alu instid0(VALU_DEP_1) | instskip(SKIP_1) | instid1(VALU_DEP_1)
	v_add3_u32 v21, v20, v23, v21
	v_ashrrev_i32_e32 v20, s1, v27
	v_and_b32_e32 v23, 3, v20
	v_bfe_u32 v27, v20, 8, 2
	s_delay_alu instid0(VALU_DEP_2) | instskip(NEXT) | instid1(VALU_DEP_2)
	v_mul_i32_i24_e32 v23, v23, v93
	v_mul_i32_i24_e32 v27, v27, v117
	s_delay_alu instid0(VALU_DEP_1) | instskip(SKIP_1) | instid1(VALU_DEP_1)
	v_add3_u32 v23, v24, v23, v27
	v_ashrrev_i32_e32 v24, s1, v123
	v_and_b32_e32 v27, 3, v24
	v_bfe_u32 v99, v24, 8, 2
	s_delay_alu instid0(VALU_DEP_2) | instskip(NEXT) | instid1(VALU_DEP_2)
	;; [unrolled: 8-line block ×4, first 2 shown]
	v_mul_i32_i24_e32 v100, v100, v95
	v_mul_i32_i24_e32 v101, v101, v94
	s_delay_alu instid0(VALU_DEP_1) | instskip(SKIP_1) | instid1(VALU_DEP_1)
	v_add3_u32 v100, v110, v100, v101
	v_ashrrev_i32_e32 v101, s1, v135
	v_and_b32_e32 v104, 3, v101
	s_delay_alu instid0(VALU_DEP_1) | instskip(SKIP_1) | instid1(VALU_DEP_1)
	v_mul_i32_i24_e32 v93, v104, v93
	v_bfe_u32 v104, v101, 8, 2
	v_mul_i32_i24_e32 v104, v104, v117
	s_delay_alu instid0(VALU_DEP_1) | instskip(SKIP_1) | instid1(VALU_DEP_1)
	v_add3_u32 v93, v96, v93, v104
	v_ashrrev_i32_e32 v96, s1, v137
	v_and_b32_e32 v104, 3, v96
	s_delay_alu instid0(VALU_DEP_1) | instskip(SKIP_1) | instid1(VALU_DEP_1)
	v_mul_i32_i24_e32 v95, v104, v95
	v_bfe_u32 v104, v96, 8, 2
	v_mul_i32_i24_e32 v94, v104, v94
	s_delay_alu instid0(VALU_DEP_1) | instskip(SKIP_3) | instid1(VALU_DEP_3)
	v_add3_u32 v94, v97, v95, v94
	v_bfe_u32 v95, v20, 16, 2
	v_bfe_u32 v20, v20, 24, 2
	v_and_b32_e32 v97, 15, v146
	v_mul_i32_i24_e32 v95, v95, v90
	s_delay_alu instid0(VALU_DEP_3) | instskip(NEXT) | instid1(VALU_DEP_1)
	v_mul_i32_i24_e32 v20, v20, v89
	v_add3_u32 v23, v23, v95, v20
	v_bfe_u32 v20, v24, 16, 2
	v_bfe_u32 v24, v24, 24, 2
	s_delay_alu instid0(VALU_DEP_2) | instskip(NEXT) | instid1(VALU_DEP_2)
	v_mul_i32_i24_e32 v20, v20, v92
	v_mul_i32_i24_e32 v24, v24, v91
	s_delay_alu instid0(VALU_DEP_1) | instskip(SKIP_3) | instid1(VALU_DEP_3)
	v_add3_u32 v24, v25, v20, v24
	v_bfe_u32 v20, v27, 16, 2
	v_bfe_u32 v25, v27, 24, 2
	;; [unrolled: 1-line block ×3, first 2 shown]
	v_mul_i32_i24_e32 v20, v20, v90
	s_delay_alu instid0(VALU_DEP_3) | instskip(NEXT) | instid1(VALU_DEP_3)
	v_mul_i32_i24_e32 v25, v25, v89
	v_mul_i32_i24_e32 v27, v27, v89
	s_wait_alu 0xfffe
	v_add3_u32 v89, s20, v82, v83
	s_delay_alu instid0(VALU_DEP_3) | instskip(SKIP_3) | instid1(VALU_DEP_3)
	v_add3_u32 v25, v26, v20, v25
	v_bfe_u32 v20, v99, 16, 2
	v_bfe_u32 v26, v99, 24, 2
	v_cvt_f32_i32_e32 v99, v103
	v_mul_i32_i24_e32 v20, v20, v92
	s_delay_alu instid0(VALU_DEP_3) | instskip(NEXT) | instid1(VALU_DEP_1)
	v_mul_i32_i24_e32 v26, v26, v91
	v_add3_u32 v26, v100, v20, v26
	v_bfe_u32 v20, v101, 16, 2
	s_delay_alu instid0(VALU_DEP_1) | instskip(SKIP_1) | instid1(VALU_DEP_2)
	v_mul_i32_i24_e32 v20, v20, v90
	v_bfe_u32 v90, v96, 24, 2
	v_add3_u32 v27, v93, v20, v27
	v_bfe_u32 v20, v96, 16, 2
	s_delay_alu instid0(VALU_DEP_3)
	v_mul_i32_i24_e32 v90, v90, v91
	v_add3_u32 v93, s20, v84, v85
	v_add3_u32 v91, s20, v78, v79
	ds_load_b32 v89, v89
	ds_load_b32 v91, v91
	v_mul_i32_i24_e32 v20, v20, v92
	ds_load_b32 v92, v87
	v_add_nc_u32_e32 v87, 4, v87
	v_add3_u32 v90, v94, v20, v90
	v_and_b32_e32 v20, 15, v116
	v_and_b32_e32 v94, 15, v119
	s_delay_alu instid0(VALU_DEP_2) | instskip(SKIP_3) | instid1(VALU_DEP_3)
	v_mul_lo_u32 v20, v22, v20
	v_and_b32_e32 v22, 15, v129
	s_wait_dscnt 0x2
	v_lshrrev_b32_e32 v96, 16, v89
	v_mad_co_u64_u32 v[20:21], null, v21, v94, v[20:21]
	v_add3_u32 v21, s20, v80, v81
	ds_load_b32 v93, v93
	ds_load_b32 v94, v21
	v_and_b32_e32 v21, 15, v144
	s_wait_dscnt 0x3
	v_lshrrev_b32_e32 v95, 16, v91
	v_cvt_f32_f16_e32 v96, v96
	v_cvt_f32_i32_e32 v20, v20
	s_add_co_i32 s20, s1, 2
	v_mul_lo_u32 v21, v23, v21
	v_and_b32_e32 v23, 15, v141
	s_cmp_lt_u32 s1, 6
	s_wait_alu 0xfffe
	s_mov_b32 s1, s20
	s_delay_alu instid0(VALU_DEP_2) | instskip(SKIP_3) | instid1(VALU_DEP_2)
	v_mad_co_u64_u32 v[21:22], null, v24, v22, v[21:22]
	v_and_b32_e32 v22, 15, v147
	s_wait_dscnt 0x0
	v_lshrrev_b32_e32 v24, 16, v94
	v_mul_lo_u32 v22, v25, v22
	v_lshrrev_b32_e32 v25, 16, v93
	v_cvt_f32_i32_e32 v21, v21
	s_delay_alu instid0(VALU_DEP_2) | instskip(NEXT) | instid1(VALU_DEP_4)
	v_cvt_f32_f16_e32 v25, v25
	v_mad_co_u64_u32 v[22:23], null, v26, v23, v[22:23]
	v_mul_lo_u32 v23, v27, v97
	v_cvt_f32_f16_e32 v26, v95
	v_cvt_f32_f16_e32 v95, v24
	v_and_b32_e32 v24, 15, v106
	v_cvt_f32_i32_e32 v27, v102
	v_cvt_f32_i32_e32 v97, v108
	v_mul_f32_e32 v25, v25, v98
	v_cvt_f32_i32_e32 v22, v22
	v_mad_co_u64_u32 v[23:24], null, v90, v24, v[23:24]
	v_mul_f32_e32 v24, v26, v27
	v_dual_mul_f32 v26, v95, v97 :: v_dual_mul_f32 v27, v96, v99
	s_delay_alu instid0(VALU_DEP_2) | instskip(NEXT) | instid1(VALU_DEP_4)
	v_fma_mix_f32 v20, v91, v20, -v24 op_sel_hi:[1,0,0]
	v_cvt_f32_i32_e32 v23, v23
	s_delay_alu instid0(VALU_DEP_3) | instskip(NEXT) | instid1(VALU_DEP_4)
	v_fma_mix_f32 v21, v94, v21, -v26 op_sel_hi:[1,0,0]
	v_fma_mix_f32 v22, v89, v22, -v27 op_sel_hi:[1,0,0]
	s_delay_alu instid0(VALU_DEP_4) | instskip(NEXT) | instid1(VALU_DEP_4)
	v_fmac_f32_e32 v30, v92, v20
	v_fma_mix_f32 v23, v93, v23, -v25 op_sel_hi:[1,0,0]
	s_delay_alu instid0(VALU_DEP_4) | instskip(NEXT) | instid1(VALU_DEP_4)
	v_fmac_f32_e32 v62, v92, v21
	v_fmac_f32_e32 v55, v92, v22
	s_delay_alu instid0(VALU_DEP_3)
	v_fmac_f32_e32 v17, v92, v23
	s_cbranch_scc1 .LBB228_11
; %bb.12:                               ;   in Loop: Header=BB228_5 Depth=1
	s_or_b32 s1, s18, 0x80
	s_wait_loadcnt 0x0
	s_wait_alu 0xfffe
	s_cmp_ge_i32 s1, s5
	s_barrier_signal -1
	s_barrier_wait -1
	global_inv scope:SCOPE_SE
	s_cbranch_scc1 .LBB228_4
; %bb.13:                               ;   in Loop: Header=BB228_5 Depth=1
	v_add_nc_u32_e32 v20, s19, v64
	s_delay_alu instid0(VALU_DEP_1)
	v_cmp_gt_i32_e64 s1, s6, v20
	s_and_b32 s20, s0, s1
	s_wait_alu 0xfffe
	s_and_saveexec_b32 s1, s20
	s_cbranch_execz .LBB228_15
; %bb.14:                               ;   in Loop: Header=BB228_5 Depth=1
	v_add_nc_u32_e32 v20, v67, v20
	s_delay_alu instid0(VALU_DEP_1)
	v_mad_co_i64_i32 v[20:21], null, v20, 36, v[18:19]
	global_load_b32 v20, v[20:21], off offset:4
	s_wait_loadcnt 0x0
	ds_store_b32 v60, v20
.LBB228_15:                             ;   in Loop: Header=BB228_5 Depth=1
	s_wait_alu 0xfffe
	s_or_b32 exec_lo, exec_lo, s1
	s_and_saveexec_b32 s20, vcc_lo
	s_cbranch_execz .LBB228_18
; %bb.16:                               ;   in Loop: Header=BB228_5 Depth=1
	v_or_b32_e32 v20, 4, v86
	s_delay_alu instid0(VALU_DEP_1)
	v_cmp_gt_i32_e64 s1, s6, v20
	s_and_b32 s1, s0, s1
	s_wait_alu 0xfffe
	s_and_b32 exec_lo, exec_lo, s1
	s_cbranch_execz .LBB228_18
; %bb.17:                               ;   in Loop: Header=BB228_5 Depth=1
	v_ashrrev_i32_e32 v20, 31, v86
	v_add_co_u32 v21, s1, v67, v86
	s_wait_alu 0xf1ff
	s_delay_alu instid0(VALU_DEP_2) | instskip(NEXT) | instid1(VALU_DEP_2)
	v_add_co_ci_u32_e64 v22, null, v69, v20, s1
	v_mad_co_u64_u32 v[20:21], null, v21, 36, s[2:3]
	s_delay_alu instid0(VALU_DEP_1)
	v_mad_i32_i24 v21, v22, 36, v21
	global_load_b32 v20, v[20:21], off offset:144
	s_wait_loadcnt 0x0
	v_cvt_f32_f16_e32 v20, v20
	ds_store_b32 v63, v20
.LBB228_18:                             ;   in Loop: Header=BB228_5 Depth=1
	s_wait_alu 0xfffe
	s_or_b32 exec_lo, exec_lo, s20
	v_dual_mov_b32 v24, v59 :: v_dual_mov_b32 v25, v61
	s_mov_b32 s1, 8
	s_wait_loadcnt_dscnt 0x0
	s_barrier_signal -1
	s_barrier_wait -1
	global_inv scope:SCOPE_SE
.LBB228_19:                             ;   Parent Loop BB228_5 Depth=1
                                        ; =>  This Inner Loop Header: Depth=2
	ds_load_b128 v[20:23], v24
	ds_load_b128 v[117:120], v24 offset:16
	s_wait_alu 0xfffe
	s_and_b32 s21, s1, 0x3ffffff8
	s_add_co_i32 s20, s1, -8
	s_wait_alu 0xfffe
	v_lshl_add_u32 v99, s21, 2, v0
	s_and_b32 s21, s1, -16
	s_wait_alu 0xfffe
	s_add_co_i32 s21, s1, s21
	s_delay_alu instid0(VALU_DEP_1)
	v_add_nc_u32_e32 v124, 0x1098, v99
	v_add_nc_u32_e32 v128, 0x2108, v99
	;; [unrolled: 1-line block ×3, first 2 shown]
	s_wait_dscnt 0x1
	v_ashrrev_i32_e32 v96, 24, v20
	v_bfe_i32 v110, v21, 8, 8
	v_bfe_i32 v111, v20, 0, 8
	;; [unrolled: 1-line block ×3, first 2 shown]
	v_ashrrev_i32_e32 v108, 24, v21
	v_bfe_i32 v105, v20, 8, 8
	v_bfe_i32 v113, v21, 0, 8
	;; [unrolled: 1-line block ×3, first 2 shown]
	v_lshrrev_b16 v112, 8, v22
	v_ashrrev_i32_e32 v92, 24, v22
	v_bfe_i32 v93, v22, 16, 8
	v_bfe_i32 v115, v22, 0, 8
	v_lshrrev_b16 v114, 8, v23
	v_ashrrev_i32_e32 v26, 24, v23
	v_bfe_i32 v27, v23, 16, 8
	v_bfe_i32 v89, v23, 0, 8
	s_wait_dscnt 0x0
	v_ashrrev_i32_e32 v94, 24, v119
	v_bfe_i32 v95, v119, 16, 8
	v_bfe_i32 v98, v119, 0, 8
	;; [unrolled: 1-line block ×3, first 2 shown]
	v_ashrrev_i32_e32 v87, 24, v120
	v_bfe_i32 v88, v120, 16, 8
	v_bfe_i32 v91, v120, 0, 8
	;; [unrolled: 1-line block ×3, first 2 shown]
	ds_load_2addr_b32 v[22:23], v99 offset1:1
	ds_load_2addr_b32 v[20:21], v99 offset0:2 offset1:3
	ds_load_2addr_b32 v[119:120], v99 offset0:4 offset1:5
	v_lshrrev_b16 v116, 8, v117
	v_ashrrev_i32_e32 v102, 24, v117
	v_bfe_i32 v106, v117, 0, 8
	v_bfe_i32 v100, v117, 16, 8
	v_lshrrev_b16 v117, 8, v118
	v_ashrrev_i32_e32 v103, 24, v118
	v_bfe_i32 v107, v118, 0, 8
	v_bfe_i32 v101, v118, 16, 8
	;; [unrolled: 1-line block ×4, first 2 shown]
	s_wait_dscnt 0x2
	v_ashrrev_i32_e32 v23, s20, v23
	s_wait_dscnt 0x1
	v_ashrrev_i32_e32 v20, s20, v20
	v_ashrrev_i32_e32 v21, s20, v21
	s_delay_alu instid0(VALU_DEP_3) | instskip(SKIP_1) | instid1(VALU_DEP_2)
	v_and_b32_e32 v118, 3, v23
	v_bfe_u32 v121, v23, 8, 2
	v_mul_i32_i24_e32 v118, v118, v113
	s_delay_alu instid0(VALU_DEP_1) | instskip(SKIP_2) | instid1(VALU_DEP_2)
	v_mad_i32_i24 v118, v121, v110, v118
	v_bfe_u32 v121, v23, 16, 2
	v_bfe_u32 v23, v23, 24, 2
	v_mul_i32_i24_e32 v121, v121, v109
	s_delay_alu instid0(VALU_DEP_2) | instskip(NEXT) | instid1(VALU_DEP_1)
	v_mul_i32_i24_e32 v23, v23, v108
	v_add3_u32 v118, v118, v121, v23
	v_bfe_i32 v23, v116, 0, 8
	s_wait_dscnt 0x0
	v_ashrrev_i32_e32 v116, s20, v119
	s_delay_alu instid0(VALU_DEP_1) | instskip(SKIP_1) | instid1(VALU_DEP_2)
	v_and_b32_e32 v119, 3, v116
	v_bfe_u32 v121, v116, 8, 2
	v_mul_i32_i24_e32 v119, v119, v106
	s_delay_alu instid0(VALU_DEP_1) | instskip(SKIP_2) | instid1(VALU_DEP_2)
	v_mad_i32_i24 v119, v121, v23, v119
	v_bfe_u32 v121, v116, 16, 2
	v_bfe_u32 v116, v116, 24, 2
	v_mul_i32_i24_e32 v121, v121, v100
	s_delay_alu instid0(VALU_DEP_2) | instskip(NEXT) | instid1(VALU_DEP_1)
	v_mul_i32_i24_e32 v116, v116, v102
	v_add3_u32 v121, v119, v121, v116
	v_ashrrev_i32_e32 v116, s20, v22
	v_and_b32_e32 v119, 3, v20
	s_delay_alu instid0(VALU_DEP_2) | instskip(NEXT) | instid1(VALU_DEP_2)
	v_and_b32_e32 v22, 3, v116
	v_mul_i32_i24_e32 v119, v119, v115
	s_delay_alu instid0(VALU_DEP_2) | instskip(NEXT) | instid1(VALU_DEP_1)
	v_mul_i32_i24_e32 v22, v111, v22
	v_add3_u32 v119, v118, v119, v22
	v_ashrrev_i32_e32 v118, s20, v120
	v_bfe_i32 v22, v117, 0, 8
	s_delay_alu instid0(VALU_DEP_2) | instskip(SKIP_1) | instid1(VALU_DEP_2)
	v_and_b32_e32 v117, 3, v118
	v_bfe_u32 v120, v118, 8, 2
	v_mul_i32_i24_e32 v117, v117, v107
	s_delay_alu instid0(VALU_DEP_2) | instskip(NEXT) | instid1(VALU_DEP_1)
	v_mul_i32_i24_e32 v120, v120, v22
	v_add3_u32 v117, v121, v117, v120
	v_add_nc_u32_e32 v120, 0x1080, v99
	ds_load_2addr_b32 v[121:122], v120 offset1:1
	s_wait_dscnt 0x0
	v_ashrrev_i32_e32 v120, s20, v122
	s_delay_alu instid0(VALU_DEP_1) | instskip(SKIP_1) | instid1(VALU_DEP_2)
	v_and_b32_e32 v122, 3, v120
	v_bfe_u32 v123, v120, 8, 2
	v_mul_i32_i24_e32 v122, v122, v113
	s_delay_alu instid0(VALU_DEP_1) | instskip(SKIP_2) | instid1(VALU_DEP_2)
	v_mad_i32_i24 v122, v123, v110, v122
	v_bfe_u32 v123, v120, 16, 2
	v_bfe_u32 v120, v120, 24, 2
	v_mul_i32_i24_e32 v123, v123, v109
	s_delay_alu instid0(VALU_DEP_2) | instskip(NEXT) | instid1(VALU_DEP_1)
	v_mul_i32_i24_e32 v120, v120, v108
	v_add3_u32 v137, v122, v123, v120
	s_wait_alu 0xfffe
	v_add_nc_u32_e32 v120, s21, v71
	v_add_nc_u32_e32 v122, 0x1090, v99
	ds_load_u16 v120, v120 offset:17920
	ds_load_2addr_b32 v[122:123], v122 offset1:1
	ds_load_2addr_b32 v[124:125], v124 offset1:1
	s_wait_dscnt 0x1
	v_ashrrev_i32_e32 v122, s20, v122
	v_ashrrev_i32_e32 v123, s20, v123
	s_delay_alu instid0(VALU_DEP_2) | instskip(SKIP_1) | instid1(VALU_DEP_2)
	v_and_b32_e32 v126, 3, v122
	v_bfe_u32 v127, v122, 8, 2
	v_mul_i32_i24_e32 v126, v126, v106
	s_delay_alu instid0(VALU_DEP_1) | instskip(SKIP_2) | instid1(VALU_DEP_2)
	v_mad_i32_i24 v126, v127, v23, v126
	v_bfe_u32 v127, v122, 16, 2
	v_bfe_u32 v122, v122, 24, 2
	v_mul_i32_i24_e32 v127, v127, v100
	s_delay_alu instid0(VALU_DEP_2) | instskip(NEXT) | instid1(VALU_DEP_1)
	v_mul_i32_i24_e32 v122, v122, v102
	v_add3_u32 v122, v126, v127, v122
	v_add_nc_u32_e32 v126, 0x2100, v99
	ds_load_2addr_b32 v[126:127], v126 offset1:1
	ds_load_2addr_b32 v[128:129], v128 offset1:1
	;; [unrolled: 1-line block ×3, first 2 shown]
	s_wait_dscnt 0x2
	v_ashrrev_i32_e32 v127, s20, v127
	v_ashrrev_i32_e32 v126, s20, v126
	s_wait_dscnt 0x0
	v_ashrrev_i32_e32 v130, s20, v130
	v_ashrrev_i32_e32 v128, s20, v128
	;; [unrolled: 1-line block ×3, first 2 shown]
	v_and_b32_e32 v132, 3, v127
	v_bfe_u32 v133, v127, 8, 2
	s_delay_alu instid0(VALU_DEP_2) | instskip(NEXT) | instid1(VALU_DEP_1)
	v_mul_i32_i24_e32 v132, v132, v113
	v_mad_i32_i24 v132, v133, v110, v132
	v_bfe_u32 v133, v127, 16, 2
	v_bfe_u32 v127, v127, 24, 2
	s_delay_alu instid0(VALU_DEP_2) | instskip(NEXT) | instid1(VALU_DEP_2)
	v_mul_i32_i24_e32 v133, v133, v109
	v_mul_i32_i24_e32 v127, v127, v108
	s_delay_alu instid0(VALU_DEP_1) | instskip(SKIP_2) | instid1(VALU_DEP_2)
	v_add3_u32 v127, v132, v133, v127
	v_and_b32_e32 v132, 3, v130
	v_bfe_u32 v133, v130, 8, 2
	v_mul_i32_i24_e32 v132, v132, v106
	s_delay_alu instid0(VALU_DEP_1) | instskip(SKIP_2) | instid1(VALU_DEP_2)
	v_mad_i32_i24 v132, v133, v23, v132
	v_bfe_u32 v133, v130, 16, 2
	v_bfe_u32 v130, v130, 24, 2
	v_mul_i32_i24_e32 v133, v133, v100
	s_delay_alu instid0(VALU_DEP_2) | instskip(NEXT) | instid1(VALU_DEP_1)
	v_mul_i32_i24_e32 v130, v130, v102
	v_add3_u32 v130, v132, v133, v130
	v_add_nc_u32_e32 v132, 0x3180, v99
	ds_load_2addr_b32 v[132:133], v132 offset1:1
	s_wait_dscnt 0x0
	v_ashrrev_i32_e32 v133, s20, v133
	v_ashrrev_i32_e32 v132, s20, v132
	s_delay_alu instid0(VALU_DEP_2) | instskip(SKIP_1) | instid1(VALU_DEP_2)
	v_and_b32_e32 v134, 3, v133
	v_bfe_u32 v135, v133, 8, 2
	v_mul_i32_i24_e32 v134, v134, v113
	s_delay_alu instid0(VALU_DEP_1) | instskip(SKIP_3) | instid1(VALU_DEP_3)
	v_mad_i32_i24 v134, v135, v110, v134
	v_bfe_u32 v135, v133, 16, 2
	v_bfe_u32 v133, v133, 24, 2
	v_add_nc_u32_e32 v110, v105, v110
	v_mul_i32_i24_e32 v135, v135, v109
	s_delay_alu instid0(VALU_DEP_3) | instskip(NEXT) | instid1(VALU_DEP_3)
	v_mul_i32_i24_e32 v133, v133, v108
	v_add3_u32 v110, v110, v112, v114
	v_add_nc_u32_e32 v108, v108, v96
	v_add_nc_u32_e32 v109, v109, v104
	s_delay_alu instid0(VALU_DEP_4) | instskip(SKIP_2) | instid1(VALU_DEP_4)
	v_add3_u32 v138, v134, v135, v133
	v_add_nc_u32_e32 v133, s21, v70
	v_add_nc_u32_e32 v135, 0x3198, v99
	v_add3_u32 v145, v109, v93, v27
	ds_load_u16 v139, v133 offset:19968
	v_add_nc_u32_e32 v133, 0x3190, v99
	ds_load_2addr_b32 v[133:134], v133 offset1:1
	ds_load_2addr_b32 v[135:136], v135 offset1:1
	s_wait_dscnt 0x1
	v_ashrrev_i32_e32 v133, s20, v133
	v_ashrrev_i32_e32 v134, s20, v134
	s_delay_alu instid0(VALU_DEP_2) | instskip(SKIP_1) | instid1(VALU_DEP_2)
	v_and_b32_e32 v140, 3, v133
	v_bfe_u32 v141, v133, 8, 2
	v_mul_i32_i24_e32 v140, v140, v106
	v_add_nc_u32_e32 v106, v107, v106
	s_delay_alu instid0(VALU_DEP_2) | instskip(SKIP_2) | instid1(VALU_DEP_2)
	v_mad_i32_i24 v140, v141, v23, v140
	v_bfe_u32 v141, v133, 16, 2
	v_bfe_u32 v133, v133, 24, 2
	v_mul_i32_i24_e32 v141, v141, v100
	s_delay_alu instid0(VALU_DEP_2) | instskip(NEXT) | instid1(VALU_DEP_1)
	v_mul_i32_i24_e32 v133, v133, v102
	v_add3_u32 v133, v140, v141, v133
	v_bfe_u32 v140, v116, 8, 2
	v_bfe_u32 v141, v116, 16, 2
	s_delay_alu instid0(VALU_DEP_2) | instskip(NEXT) | instid1(VALU_DEP_2)
	v_mul_i32_i24_e32 v140, v105, v140
	v_mul_i32_i24_e32 v141, v104, v141
	s_delay_alu instid0(VALU_DEP_1) | instskip(SKIP_3) | instid1(VALU_DEP_3)
	v_add3_u32 v119, v119, v140, v141
	v_bfe_u32 v140, v118, 16, 2
	v_bfe_u32 v118, v118, 24, 2
	v_ashrrev_i32_e32 v141, s20, v121
	v_mul_i32_i24_e32 v140, v140, v101
	s_delay_alu instid0(VALU_DEP_3) | instskip(NEXT) | instid1(VALU_DEP_1)
	v_mul_i32_i24_e32 v118, v118, v103
	v_add3_u32 v140, v117, v140, v118
	s_delay_alu instid0(VALU_DEP_4) | instskip(NEXT) | instid1(VALU_DEP_1)
	v_and_b32_e32 v117, 3, v141
	v_mul_i32_i24_e32 v121, v111, v117
	v_add_nc_u32_e32 v117, 0x1088, v99
	ds_load_2addr_b32 v[117:118], v117 offset1:1
	s_wait_dscnt 0x0
	v_ashrrev_i32_e32 v117, s20, v117
	s_delay_alu instid0(VALU_DEP_1) | instskip(NEXT) | instid1(VALU_DEP_1)
	v_and_b32_e32 v142, 3, v117
	v_mul_i32_i24_e32 v142, v142, v115
	s_delay_alu instid0(VALU_DEP_1) | instskip(SKIP_2) | instid1(VALU_DEP_2)
	v_add3_u32 v137, v137, v142, v121
	v_and_b32_e32 v121, 3, v123
	v_bfe_u32 v142, v123, 8, 2
	v_mul_i32_i24_e32 v121, v121, v107
	s_delay_alu instid0(VALU_DEP_2) | instskip(NEXT) | instid1(VALU_DEP_1)
	v_mul_i32_i24_e32 v142, v142, v22
	v_add3_u32 v142, v122, v121, v142
	v_and_b32_e32 v121, 3, v126
	v_and_b32_e32 v122, 3, v128
	s_delay_alu instid0(VALU_DEP_2) | instskip(NEXT) | instid1(VALU_DEP_2)
	v_mul_i32_i24_e32 v121, v111, v121
	v_mul_i32_i24_e32 v122, v122, v115
	s_delay_alu instid0(VALU_DEP_1) | instskip(SKIP_2) | instid1(VALU_DEP_2)
	v_add3_u32 v127, v127, v122, v121
	v_and_b32_e32 v121, 3, v131
	v_bfe_u32 v122, v131, 8, 2
	v_mul_i32_i24_e32 v121, v121, v107
	s_delay_alu instid0(VALU_DEP_2) | instskip(NEXT) | instid1(VALU_DEP_1)
	v_mul_i32_i24_e32 v122, v122, v22
	v_add3_u32 v130, v130, v121, v122
	v_and_b32_e32 v121, 3, v132
	s_delay_alu instid0(VALU_DEP_1)
	v_mul_i32_i24_e32 v143, v111, v121
	v_add_nc_u32_e32 v121, 0x3188, v99
	v_add_nc_u32_e32 v111, v113, v111
	;; [unrolled: 1-line block ×3, first 2 shown]
	ds_load_2addr_b32 v[121:122], v121 offset1:1
	v_add3_u32 v111, v111, v115, v89
	ds_load_u16 v113, v113 offset:16896
	s_wait_dscnt 0x1
	v_ashrrev_i32_e32 v121, s20, v121
	s_delay_alu instid0(VALU_DEP_1) | instskip(NEXT) | instid1(VALU_DEP_1)
	v_and_b32_e32 v144, 3, v121
	v_mul_i32_i24_e32 v144, v144, v115
	s_wait_dscnt 0x0
	v_bfe_u32 v115, v113, 4, 4
	s_delay_alu instid0(VALU_DEP_2) | instskip(SKIP_2) | instid1(VALU_DEP_4)
	v_add3_u32 v138, v138, v144, v143
	v_and_b32_e32 v143, 3, v134
	v_bfe_u32 v144, v134, 8, 2
	v_mul_lo_u32 v115, 0x1010101, v115
	s_delay_alu instid0(VALU_DEP_3) | instskip(NEXT) | instid1(VALU_DEP_3)
	v_mul_i32_i24_e32 v143, v143, v107
	v_mul_i32_i24_e32 v144, v144, v22
	v_add_nc_u32_e32 v22, v22, v23
	v_add3_u32 v23, v106, v98, v91
	v_bfe_i32 v109, v115, 16, 8
	s_delay_alu instid0(VALU_DEP_4)
	v_add3_u32 v133, v133, v143, v144
	v_bfe_i32 v143, v115, 0, 8
	v_bfe_i32 v144, v115, 8, 8
	v_add3_u32 v106, v22, v97, v90
	v_mul_i32_i24_e32 v109, v145, v109
	v_lshrrev_b16 v22, 8, v113
	v_mul_i32_i24_e32 v143, v111, v143
	s_delay_alu instid0(VALU_DEP_2) | instskip(NEXT) | instid1(VALU_DEP_2)
	v_and_b32_e32 v107, 0xffff, v22
	v_mad_i32_i24 v143, v110, v144, v143
	v_add3_u32 v144, v108, v92, v26
	v_lshrrev_b32_e32 v108, 24, v115
	s_delay_alu instid0(VALU_DEP_4) | instskip(NEXT) | instid1(VALU_DEP_2)
	v_lshrrev_b32_e32 v22, 4, v107
	v_mul_i32_i24_e32 v108, v144, v108
	s_delay_alu instid0(VALU_DEP_1) | instskip(SKIP_1) | instid1(VALU_DEP_1)
	v_add3_u32 v115, v143, v109, v108
	v_bfe_u32 v108, v120, 4, 4
	v_mul_lo_u32 v108, 0x1010101, v108
	s_delay_alu instid0(VALU_DEP_1) | instskip(SKIP_1) | instid1(VALU_DEP_2)
	v_bfe_i32 v109, v108, 0, 8
	v_bfe_i32 v143, v108, 8, 8
	v_mul_i32_i24_e32 v109, v111, v109
	s_delay_alu instid0(VALU_DEP_1) | instskip(SKIP_2) | instid1(VALU_DEP_2)
	v_mad_i32_i24 v109, v110, v143, v109
	v_lshrrev_b32_e32 v143, 24, v108
	v_bfe_i32 v108, v108, 16, 8
	v_mul_i32_i24_e32 v143, v144, v143
	s_delay_alu instid0(VALU_DEP_2) | instskip(NEXT) | instid1(VALU_DEP_1)
	v_mul_i32_i24_e32 v108, v145, v108
	v_add3_u32 v143, v109, v108, v143
	v_add_nc_u32_e32 v108, s21, v72
	ds_load_u16 v146, v108 offset:18944
	s_wait_dscnt 0x0
	v_bfe_u32 v108, v146, 4, 4
	s_delay_alu instid0(VALU_DEP_1) | instskip(NEXT) | instid1(VALU_DEP_1)
	v_mul_lo_u32 v108, 0x1010101, v108
	v_bfe_i32 v109, v108, 0, 8
	v_bfe_i32 v147, v108, 8, 8
	s_delay_alu instid0(VALU_DEP_2) | instskip(NEXT) | instid1(VALU_DEP_1)
	v_mul_i32_i24_e32 v109, v111, v109
	v_mad_i32_i24 v109, v110, v147, v109
	v_lshrrev_b32_e32 v147, 24, v108
	v_bfe_i32 v108, v108, 16, 8
	s_delay_alu instid0(VALU_DEP_2) | instskip(NEXT) | instid1(VALU_DEP_2)
	v_mul_i32_i24_e32 v147, v144, v147
	v_mul_i32_i24_e32 v108, v145, v108
	s_delay_alu instid0(VALU_DEP_1) | instskip(SKIP_2) | instid1(VALU_DEP_2)
	v_add3_u32 v147, v109, v108, v147
	v_bfe_u32 v108, v116, 24, 2
	v_bfe_u32 v109, v20, 8, 2
	v_mul_i32_i24_e32 v108, v96, v108
	s_delay_alu instid0(VALU_DEP_2) | instskip(NEXT) | instid1(VALU_DEP_1)
	v_mul_i32_i24_e32 v109, v109, v112
	v_add3_u32 v116, v119, v108, v109
	ds_load_2addr_b32 v[108:109], v99 offset0:6 offset1:7
	s_wait_dscnt 0x0
	v_ashrrev_i32_e32 v108, s20, v108
	s_delay_alu instid0(VALU_DEP_1) | instskip(SKIP_1) | instid1(VALU_DEP_2)
	v_and_b32_e32 v119, 3, v108
	v_bfe_u32 v148, v108, 8, 2
	v_mul_i32_i24_e32 v119, v119, v98
	s_delay_alu instid0(VALU_DEP_2) | instskip(NEXT) | instid1(VALU_DEP_1)
	v_mul_i32_i24_e32 v148, v148, v97
	v_add3_u32 v119, v140, v119, v148
	v_bfe_u32 v140, v141, 8, 2
	v_bfe_u32 v148, v141, 16, 2
	s_delay_alu instid0(VALU_DEP_2) | instskip(NEXT) | instid1(VALU_DEP_2)
	v_mul_i32_i24_e32 v140, v105, v140
	v_mul_i32_i24_e32 v148, v104, v148
	s_delay_alu instid0(VALU_DEP_1) | instskip(SKIP_2) | instid1(VALU_DEP_2)
	v_add3_u32 v137, v137, v140, v148
	v_bfe_u32 v140, v123, 16, 2
	v_bfe_u32 v123, v123, 24, 2
	v_mul_i32_i24_e32 v140, v140, v101
	s_delay_alu instid0(VALU_DEP_2) | instskip(NEXT) | instid1(VALU_DEP_1)
	v_mul_i32_i24_e32 v123, v123, v103
	v_add3_u32 v123, v142, v140, v123
	v_bfe_u32 v140, v126, 8, 2
	v_bfe_u32 v142, v126, 16, 2
	s_delay_alu instid0(VALU_DEP_2) | instskip(NEXT) | instid1(VALU_DEP_2)
	v_mul_i32_i24_e32 v140, v105, v140
	v_mul_i32_i24_e32 v142, v104, v142
	s_delay_alu instid0(VALU_DEP_1) | instskip(SKIP_2) | instid1(VALU_DEP_2)
	v_add3_u32 v127, v127, v140, v142
	v_bfe_u32 v140, v131, 16, 2
	v_bfe_u32 v131, v131, 24, 2
	v_mul_i32_i24_e32 v140, v140, v101
	s_delay_alu instid0(VALU_DEP_2) | instskip(NEXT) | instid1(VALU_DEP_1)
	v_mul_i32_i24_e32 v131, v131, v103
	v_add3_u32 v130, v130, v140, v131
	v_bfe_u32 v131, v132, 8, 2
	s_delay_alu instid0(VALU_DEP_1) | instskip(SKIP_1) | instid1(VALU_DEP_1)
	v_mul_i32_i24_e32 v105, v105, v131
	v_bfe_u32 v131, v132, 16, 2
	v_mul_i32_i24_e32 v104, v104, v131
	v_bfe_u32 v131, v134, 24, 2
	s_delay_alu instid0(VALU_DEP_2) | instskip(SKIP_1) | instid1(VALU_DEP_3)
	v_add3_u32 v104, v138, v105, v104
	v_bfe_u32 v105, v134, 16, 2
	v_mul_i32_i24_e32 v131, v131, v103
	s_delay_alu instid0(VALU_DEP_2) | instskip(NEXT) | instid1(VALU_DEP_1)
	v_mul_i32_i24_e32 v105, v105, v101
	v_add3_u32 v105, v133, v105, v131
	v_mul_lo_u32 v131, 0x1010101, v22
	s_delay_alu instid0(VALU_DEP_1) | instskip(SKIP_1) | instid1(VALU_DEP_2)
	v_bfe_i32 v22, v131, 0, 8
	v_bfe_i32 v133, v131, 8, 8
	v_mul_i32_i24_e32 v22, v23, v22
	s_delay_alu instid0(VALU_DEP_2) | instskip(NEXT) | instid1(VALU_DEP_1)
	v_mul_i32_i24_e32 v133, v106, v133
	v_add3_u32 v115, v115, v22, v133
	v_lshrrev_b16 v22, 8, v120
	s_delay_alu instid0(VALU_DEP_1) | instskip(NEXT) | instid1(VALU_DEP_1)
	v_and_b32_e32 v133, 0xffff, v22
	v_lshrrev_b32_e32 v22, 4, v133
	s_delay_alu instid0(VALU_DEP_1) | instskip(NEXT) | instid1(VALU_DEP_1)
	v_mul_lo_u32 v134, 0x1010101, v22
	v_bfe_i32 v22, v134, 0, 8
	v_bfe_i32 v138, v134, 8, 8
	s_delay_alu instid0(VALU_DEP_2) | instskip(NEXT) | instid1(VALU_DEP_2)
	v_mul_i32_i24_e32 v22, v23, v22
	v_mul_i32_i24_e32 v138, v106, v138
	s_delay_alu instid0(VALU_DEP_1) | instskip(SKIP_1) | instid1(VALU_DEP_1)
	v_add3_u32 v138, v143, v22, v138
	v_lshrrev_b16 v22, 8, v146
	v_and_b32_e32 v140, 0xffff, v22
	s_delay_alu instid0(VALU_DEP_1) | instskip(NEXT) | instid1(VALU_DEP_1)
	v_lshrrev_b32_e32 v22, 4, v140
	v_mul_lo_u32 v142, 0x1010101, v22
	s_delay_alu instid0(VALU_DEP_1) | instskip(SKIP_1) | instid1(VALU_DEP_2)
	v_bfe_i32 v22, v142, 0, 8
	v_bfe_i32 v143, v142, 8, 8
	v_mul_i32_i24_e32 v22, v23, v22
	s_delay_alu instid0(VALU_DEP_2) | instskip(NEXT) | instid1(VALU_DEP_1)
	v_mul_i32_i24_e32 v143, v106, v143
	v_add3_u32 v143, v147, v22, v143
	v_add_nc_u32_e32 v22, v103, v102
	s_delay_alu instid0(VALU_DEP_1) | instskip(SKIP_1) | instid1(VALU_DEP_1)
	v_add3_u32 v102, v22, v94, v87
	v_lshrrev_b16 v22, 8, v139
	v_and_b32_e32 v103, 0xffff, v22
	v_bfe_u32 v22, v139, 4, 4
	s_delay_alu instid0(VALU_DEP_1) | instskip(NEXT) | instid1(VALU_DEP_3)
	v_mul_lo_u32 v147, 0x1010101, v22
	v_lshrrev_b32_e32 v22, 4, v103
	s_delay_alu instid0(VALU_DEP_1) | instskip(NEXT) | instid1(VALU_DEP_3)
	v_mul_lo_u32 v148, 0x1010101, v22
	v_lshrrev_b32_e32 v149, 24, v147
	s_delay_alu instid0(VALU_DEP_2) | instskip(NEXT) | instid1(VALU_DEP_1)
	v_lshrrev_b32_e32 v22, 24, v148
	v_mul_i32_i24_e32 v22, v102, v22
	s_delay_alu instid0(VALU_DEP_1) | instskip(SKIP_2) | instid1(VALU_DEP_2)
	v_mad_i32_i24 v144, v144, v149, v22
	v_add_nc_u32_e32 v22, v101, v100
	v_bfe_i32 v101, v147, 16, 8
	v_add3_u32 v100, v22, v95, v88
	v_bfe_i32 v22, v148, 16, 8
	s_delay_alu instid0(VALU_DEP_1) | instskip(NEXT) | instid1(VALU_DEP_1)
	v_mul_i32_i24_e32 v22, v100, v22
	v_mad_i32_i24 v101, v145, v101, v22
	v_bfe_i32 v22, v148, 0, 8
	s_delay_alu instid0(VALU_DEP_1) | instskip(SKIP_1) | instid1(VALU_DEP_1)
	v_mul_i32_i24_e32 v22, v23, v22
	v_bfe_i32 v23, v147, 0, 8
	v_mad_i32_i24 v111, v111, v23, v22
	v_bfe_u32 v22, v20, 16, 2
	v_bfe_u32 v20, v20, 24, 2
	;; [unrolled: 1-line block ×3, first 2 shown]
	s_delay_alu instid0(VALU_DEP_3) | instskip(NEXT) | instid1(VALU_DEP_3)
	v_mul_i32_i24_e32 v22, v22, v93
	v_mul_i32_i24_e32 v20, v20, v92
	s_delay_alu instid0(VALU_DEP_3) | instskip(NEXT) | instid1(VALU_DEP_2)
	v_mul_i32_i24_e32 v23, v23, v94
	v_add3_u32 v20, v116, v22, v20
	v_bfe_u32 v22, v108, 16, 2
	s_delay_alu instid0(VALU_DEP_1) | instskip(NEXT) | instid1(VALU_DEP_1)
	v_mul_i32_i24_e32 v22, v22, v95
	v_add3_u32 v108, v119, v22, v23
	v_bfe_u32 v22, v141, 24, 2
	v_bfe_u32 v23, v117, 8, 2
	v_ashrrev_i32_e32 v119, s20, v124
	s_delay_alu instid0(VALU_DEP_3) | instskip(NEXT) | instid1(VALU_DEP_3)
	v_mul_i32_i24_e32 v22, v96, v22
	v_mul_i32_i24_e32 v23, v23, v112
	s_delay_alu instid0(VALU_DEP_1) | instskip(NEXT) | instid1(VALU_DEP_4)
	v_add3_u32 v116, v137, v22, v23
	v_and_b32_e32 v22, 3, v119
	v_bfe_u32 v23, v119, 8, 2
	s_delay_alu instid0(VALU_DEP_2) | instskip(NEXT) | instid1(VALU_DEP_2)
	v_mul_i32_i24_e32 v22, v22, v98
	v_mul_i32_i24_e32 v23, v23, v97
	s_delay_alu instid0(VALU_DEP_1) | instskip(SKIP_2) | instid1(VALU_DEP_2)
	v_add3_u32 v123, v123, v22, v23
	v_bfe_u32 v22, v126, 24, 2
	v_bfe_u32 v23, v128, 8, 2
	v_mul_i32_i24_e32 v22, v96, v22
	s_delay_alu instid0(VALU_DEP_2) | instskip(NEXT) | instid1(VALU_DEP_1)
	v_mul_i32_i24_e32 v23, v23, v112
	v_add3_u32 v124, v127, v22, v23
	v_add_nc_u32_e32 v22, 0x2118, v99
	ds_load_2addr_b32 v[22:23], v22 offset1:1
	s_wait_dscnt 0x0
	v_ashrrev_i32_e32 v22, s20, v22
	v_ashrrev_i32_e32 v23, s20, v23
	s_delay_alu instid0(VALU_DEP_2) | instskip(SKIP_1) | instid1(VALU_DEP_2)
	v_and_b32_e32 v99, 3, v22
	v_bfe_u32 v126, v22, 8, 2
	v_mul_i32_i24_e32 v99, v99, v98
	s_delay_alu instid0(VALU_DEP_2) | instskip(NEXT) | instid1(VALU_DEP_1)
	v_mul_i32_i24_e32 v126, v126, v97
	v_add3_u32 v99, v130, v99, v126
	v_bfe_u32 v126, v132, 24, 2
	s_delay_alu instid0(VALU_DEP_1) | instskip(SKIP_1) | instid1(VALU_DEP_1)
	v_mul_i32_i24_e32 v96, v96, v126
	v_bfe_u32 v126, v121, 8, 2
	v_mul_i32_i24_e32 v112, v126, v112
	s_delay_alu instid0(VALU_DEP_1) | instskip(SKIP_1) | instid1(VALU_DEP_1)
	v_add3_u32 v96, v104, v96, v112
	v_ashrrev_i32_e32 v104, s20, v135
	v_and_b32_e32 v112, 3, v104
	s_delay_alu instid0(VALU_DEP_1) | instskip(SKIP_1) | instid1(VALU_DEP_1)
	v_mul_i32_i24_e32 v98, v112, v98
	v_bfe_u32 v112, v104, 8, 2
	v_mul_i32_i24_e32 v97, v112, v97
	v_bfe_i32 v112, v134, 16, 8
	s_delay_alu instid0(VALU_DEP_2) | instskip(SKIP_2) | instid1(VALU_DEP_4)
	v_add3_u32 v97, v105, v98, v97
	v_lshrrev_b32_e32 v98, 24, v131
	v_bfe_i32 v105, v131, 16, 8
	v_mul_i32_i24_e32 v112, v100, v112
	s_delay_alu instid0(VALU_DEP_3) | instskip(NEXT) | instid1(VALU_DEP_3)
	v_mul_i32_i24_e32 v98, v102, v98
	v_mul_i32_i24_e32 v105, v100, v105
	s_delay_alu instid0(VALU_DEP_1) | instskip(SKIP_2) | instid1(VALU_DEP_2)
	v_add3_u32 v98, v115, v105, v98
	v_lshrrev_b32_e32 v105, 24, v134
	v_bfe_u32 v115, v128, 24, 2
	v_mul_i32_i24_e32 v105, v102, v105
	s_delay_alu instid0(VALU_DEP_2) | instskip(NEXT) | instid1(VALU_DEP_2)
	v_mul_i32_i24_e32 v115, v115, v92
	v_add3_u32 v105, v138, v112, v105
	v_lshrrev_b32_e32 v112, 24, v142
	s_delay_alu instid0(VALU_DEP_1) | instskip(SKIP_1) | instid1(VALU_DEP_1)
	v_mul_i32_i24_e32 v102, v102, v112
	v_bfe_i32 v112, v142, 16, 8
	v_mul_i32_i24_e32 v100, v100, v112
	v_bfe_u32 v112, v119, 24, 2
	s_delay_alu instid0(VALU_DEP_2) | instskip(SKIP_1) | instid1(VALU_DEP_3)
	v_add3_u32 v100, v143, v100, v102
	v_lshrrev_b16 v102, 8, v147
	v_mul_i32_i24_e32 v112, v112, v94
	s_delay_alu instid0(VALU_DEP_2) | instskip(NEXT) | instid1(VALU_DEP_1)
	v_bfe_i32 v102, v102, 0, 8
	v_mul_i32_i24_e32 v102, v110, v102
	v_bfe_i32 v110, v148, 8, 8
	s_delay_alu instid0(VALU_DEP_1) | instskip(SKIP_1) | instid1(VALU_DEP_2)
	v_mul_i32_i24_e32 v106, v106, v110
	v_bfe_u32 v110, v21, 8, 2
	v_add3_u32 v102, v102, v106, v144
	v_and_b32_e32 v106, 3, v21
	s_delay_alu instid0(VALU_DEP_3) | instskip(NEXT) | instid1(VALU_DEP_2)
	v_mul_i32_i24_e32 v110, v110, v114
	v_mul_i32_i24_e32 v106, v106, v89
	s_delay_alu instid0(VALU_DEP_1) | instskip(SKIP_1) | instid1(VALU_DEP_1)
	v_add3_u32 v20, v20, v106, v110
	v_ashrrev_i32_e32 v106, s20, v109
	v_and_b32_e32 v109, 3, v106
	v_bfe_u32 v110, v106, 8, 2
	s_delay_alu instid0(VALU_DEP_2) | instskip(NEXT) | instid1(VALU_DEP_2)
	v_mul_i32_i24_e32 v109, v109, v91
	v_mul_i32_i24_e32 v110, v110, v90
	s_delay_alu instid0(VALU_DEP_1) | instskip(SKIP_2) | instid1(VALU_DEP_2)
	v_add3_u32 v108, v108, v109, v110
	v_bfe_u32 v109, v117, 16, 2
	v_bfe_u32 v110, v117, 24, 2
	v_mul_i32_i24_e32 v109, v109, v93
	s_delay_alu instid0(VALU_DEP_2) | instskip(NEXT) | instid1(VALU_DEP_1)
	v_mul_i32_i24_e32 v110, v110, v92
	v_add3_u32 v109, v116, v109, v110
	v_bfe_u32 v110, v119, 16, 2
	s_delay_alu instid0(VALU_DEP_1) | instskip(NEXT) | instid1(VALU_DEP_1)
	v_mul_i32_i24_e32 v110, v110, v95
	v_add3_u32 v110, v123, v110, v112
	v_bfe_u32 v112, v128, 16, 2
	s_delay_alu instid0(VALU_DEP_1) | instskip(NEXT) | instid1(VALU_DEP_1)
	v_mul_i32_i24_e32 v112, v112, v93
	v_add3_u32 v112, v124, v112, v115
	v_bfe_u32 v115, v22, 16, 2
	v_bfe_u32 v22, v22, 24, 2
	s_delay_alu instid0(VALU_DEP_2) | instskip(NEXT) | instid1(VALU_DEP_2)
	v_mul_i32_i24_e32 v115, v115, v95
	v_mul_i32_i24_e32 v22, v22, v94
	s_delay_alu instid0(VALU_DEP_1) | instskip(SKIP_1) | instid1(VALU_DEP_1)
	v_add3_u32 v22, v99, v115, v22
	v_bfe_u32 v99, v121, 16, 2
	v_mul_i32_i24_e32 v93, v99, v93
	v_bfe_u32 v99, v121, 24, 2
	s_delay_alu instid0(VALU_DEP_1) | instskip(NEXT) | instid1(VALU_DEP_1)
	v_mul_i32_i24_e32 v92, v99, v92
	v_add3_u32 v92, v96, v93, v92
	v_bfe_u32 v93, v104, 16, 2
	s_delay_alu instid0(VALU_DEP_1) | instskip(SKIP_1) | instid1(VALU_DEP_1)
	v_mul_i32_i24_e32 v93, v93, v95
	v_bfe_u32 v95, v104, 24, 2
	v_mul_i32_i24_e32 v94, v95, v94
	v_bfe_u32 v95, v21, 16, 2
	v_bfe_u32 v21, v21, 24, 2
	s_delay_alu instid0(VALU_DEP_3) | instskip(NEXT) | instid1(VALU_DEP_3)
	v_add3_u32 v93, v97, v93, v94
	v_mul_i32_i24_e32 v95, v95, v27
	s_delay_alu instid0(VALU_DEP_3) | instskip(SKIP_1) | instid1(VALU_DEP_2)
	v_mul_i32_i24_e32 v21, v21, v26
	v_add3_u32 v94, v111, v101, v102
	v_add3_u32 v20, v20, v95, v21
	v_bfe_u32 v21, v106, 16, 2
	v_bfe_u32 v95, v106, 24, 2
	;; [unrolled: 1-line block ×3, first 2 shown]
	v_cvt_f32_i32_e32 v94, v94
	s_delay_alu instid0(VALU_DEP_4) | instskip(NEXT) | instid1(VALU_DEP_4)
	v_mul_i32_i24_e32 v21, v21, v88
	v_mul_i32_i24_e32 v95, v95, v87
	s_delay_alu instid0(VALU_DEP_4) | instskip(NEXT) | instid1(VALU_DEP_2)
	v_mul_i32_i24_e32 v106, v106, v90
	v_add3_u32 v21, v108, v21, v95
	v_ashrrev_i32_e32 v95, s20, v118
	s_delay_alu instid0(VALU_DEP_1) | instskip(SKIP_1) | instid1(VALU_DEP_2)
	v_and_b32_e32 v96, 3, v95
	v_bfe_u32 v97, v95, 8, 2
	v_mul_i32_i24_e32 v96, v96, v89
	s_delay_alu instid0(VALU_DEP_2) | instskip(NEXT) | instid1(VALU_DEP_1)
	v_mul_i32_i24_e32 v97, v97, v114
	v_add3_u32 v96, v109, v96, v97
	v_ashrrev_i32_e32 v97, s20, v125
	s_delay_alu instid0(VALU_DEP_1) | instskip(SKIP_1) | instid1(VALU_DEP_2)
	v_and_b32_e32 v99, 3, v97
	v_bfe_u32 v101, v97, 8, 2
	v_mul_i32_i24_e32 v99, v99, v91
	s_delay_alu instid0(VALU_DEP_2) | instskip(NEXT) | instid1(VALU_DEP_1)
	;; [unrolled: 8-line block ×3, first 2 shown]
	v_mul_i32_i24_e32 v104, v104, v114
	v_add3_u32 v102, v112, v102, v104
	v_and_b32_e32 v104, 3, v23
	s_delay_alu instid0(VALU_DEP_1) | instskip(NEXT) | instid1(VALU_DEP_1)
	v_mul_i32_i24_e32 v104, v104, v91
	v_add3_u32 v22, v22, v104, v106
	v_ashrrev_i32_e32 v104, s20, v122
	s_delay_alu instid0(VALU_DEP_1) | instskip(NEXT) | instid1(VALU_DEP_1)
	v_and_b32_e32 v106, 3, v104
	v_mul_i32_i24_e32 v89, v106, v89
	v_bfe_u32 v106, v104, 8, 2
	s_delay_alu instid0(VALU_DEP_1) | instskip(NEXT) | instid1(VALU_DEP_1)
	v_mul_i32_i24_e32 v106, v106, v114
	v_add3_u32 v89, v92, v89, v106
	v_ashrrev_i32_e32 v92, s20, v136
	s_lshr_b32 s20, s1, 2
	s_wait_alu 0xfffe
	s_and_b32 s20, s20, 0x3ffffffc
	s_delay_alu instid0(VALU_DEP_1) | instskip(SKIP_2) | instid1(VALU_DEP_1)
	v_and_b32_e32 v106, 3, v92
	s_wait_alu 0xfffe
	s_addk_co_i32 s20, 0x5280
	v_mul_i32_i24_e32 v91, v106, v91
	v_bfe_u32 v106, v92, 8, 2
	s_delay_alu instid0(VALU_DEP_1) | instskip(NEXT) | instid1(VALU_DEP_1)
	v_mul_i32_i24_e32 v90, v106, v90
	v_add3_u32 v90, v93, v91, v90
	v_bfe_u32 v91, v95, 16, 2
	v_bfe_u32 v93, v95, 24, 2
	;; [unrolled: 1-line block ×3, first 2 shown]
	s_delay_alu instid0(VALU_DEP_3) | instskip(NEXT) | instid1(VALU_DEP_3)
	v_mul_i32_i24_e32 v91, v91, v27
	v_mul_i32_i24_e32 v93, v93, v26
	s_delay_alu instid0(VALU_DEP_3) | instskip(NEXT) | instid1(VALU_DEP_2)
	v_mul_i32_i24_e32 v95, v95, v87
	v_add3_u32 v91, v96, v91, v93
	v_bfe_u32 v93, v97, 16, 2
	v_bfe_u32 v96, v101, 24, 2
	v_and_b32_e32 v97, 15, v139
	s_delay_alu instid0(VALU_DEP_3) | instskip(NEXT) | instid1(VALU_DEP_3)
	v_mul_i32_i24_e32 v93, v93, v88
	v_mul_i32_i24_e32 v96, v96, v26
	s_delay_alu instid0(VALU_DEP_2) | instskip(SKIP_2) | instid1(VALU_DEP_2)
	v_add3_u32 v93, v99, v93, v95
	v_bfe_u32 v95, v101, 16, 2
	v_and_b32_e32 v99, 15, v140
	v_mul_i32_i24_e32 v95, v95, v27
	s_delay_alu instid0(VALU_DEP_1) | instskip(SKIP_2) | instid1(VALU_DEP_2)
	v_add3_u32 v95, v102, v95, v96
	v_bfe_u32 v96, v23, 16, 2
	v_bfe_u32 v23, v23, 24, 2
	v_mul_i32_i24_e32 v96, v96, v88
	s_delay_alu instid0(VALU_DEP_2) | instskip(NEXT) | instid1(VALU_DEP_1)
	v_mul_i32_i24_e32 v23, v23, v87
	v_add3_u32 v23, v22, v96, v23
	v_bfe_u32 v22, v104, 16, 2
	s_delay_alu instid0(VALU_DEP_1) | instskip(SKIP_1) | instid1(VALU_DEP_1)
	v_mul_i32_i24_e32 v22, v22, v27
	v_bfe_u32 v27, v104, 24, 2
	v_mul_i32_i24_e32 v26, v27, v26
	s_wait_alu 0xfffe
	v_add3_u32 v27, s20, v78, v79
	s_delay_alu instid0(VALU_DEP_2) | instskip(SKIP_1) | instid1(VALU_DEP_1)
	v_add3_u32 v26, v89, v22, v26
	v_bfe_u32 v22, v92, 16, 2
	v_mul_i32_i24_e32 v22, v22, v88
	v_bfe_u32 v88, v92, 24, 2
	v_and_b32_e32 v92, 15, v107
	s_delay_alu instid0(VALU_DEP_2)
	v_mul_i32_i24_e32 v87, v88, v87
	v_add3_u32 v88, s20, v82, v83
	ds_load_b32 v89, v27
	ds_load_b32 v88, v88
	v_add3_u32 v27, v90, v22, v87
	v_add3_u32 v22, s20, v84, v85
	;; [unrolled: 1-line block ×3, first 2 shown]
	ds_load_b32 v90, v22
	ds_load_b32 v87, v87
	v_and_b32_e32 v22, 15, v113
	s_add_co_i32 s20, s1, 2
	s_cmp_lt_u32 s1, 14
	s_wait_alu 0xfffe
	s_mov_b32 s1, s20
	v_mul_lo_u32 v20, v20, v22
	v_and_b32_e32 v22, 15, v133
	s_delay_alu instid0(VALU_DEP_2)
	v_mad_co_u64_u32 v[20:21], null, v21, v92, v[20:21]
	v_and_b32_e32 v21, 15, v120
	ds_load_b32 v92, v25
	v_add_nc_u32_e32 v25, 4, v25
	s_wait_dscnt 0x1
	v_lshrrev_b32_e32 v96, 16, v87
	v_mul_lo_u32 v21, v91, v21
	v_lshrrev_b32_e32 v91, 16, v90
	v_cvt_f32_i32_e32 v20, v20
	s_delay_alu instid0(VALU_DEP_4) | instskip(NEXT) | instid1(VALU_DEP_3)
	v_cvt_f32_f16_e32 v96, v96
	v_cvt_f32_f16_e32 v91, v91
	v_mad_co_u64_u32 v[21:22], null, v93, v22, v[21:22]
	v_and_b32_e32 v22, 15, v146
	v_lshrrev_b32_e32 v93, 16, v89
	s_delay_alu instid0(VALU_DEP_4) | instskip(NEXT) | instid1(VALU_DEP_3)
	v_mul_f32_e32 v91, v91, v94
	v_mul_lo_u32 v22, v95, v22
	v_lshrrev_b32_e32 v95, 16, v88
	s_delay_alu instid0(VALU_DEP_4) | instskip(SKIP_1) | instid1(VALU_DEP_3)
	v_cvt_f32_f16_e32 v93, v93
	v_cvt_f32_i32_e32 v21, v21
	v_cvt_f32_f16_e32 v95, v95
	v_mad_co_u64_u32 v[22:23], null, v23, v99, v[22:23]
	v_mul_lo_u32 v23, v26, v97
	v_and_b32_e32 v26, 15, v103
	v_cvt_f32_i32_e32 v97, v98
	v_cvt_f32_i32_e32 v98, v105
	;; [unrolled: 1-line block ×4, first 2 shown]
	v_mad_co_u64_u32 v[26:27], null, v27, v26, v[23:24]
	v_mul_f32_e32 v23, v93, v97
	v_mul_f32_e32 v27, v96, v98
	v_dual_mul_f32 v93, v95, v99 :: v_dual_add_nc_u32 v24, 32, v24
	s_delay_alu instid0(VALU_DEP_3) | instskip(SKIP_1) | instid1(VALU_DEP_4)
	v_fma_mix_f32 v20, v89, v20, -v23 op_sel_hi:[1,0,0]
	v_cvt_f32_i32_e32 v26, v26
	v_fma_mix_f32 v21, v87, v21, -v27 op_sel_hi:[1,0,0]
	s_delay_alu instid0(VALU_DEP_4)
	v_fma_mix_f32 v22, v88, v22, -v93 op_sel_hi:[1,0,0]
	s_wait_dscnt 0x0
	v_fmac_f32_e32 v30, v92, v20
	v_fma_mix_f32 v23, v90, v26, -v91 op_sel_hi:[1,0,0]
	v_fmac_f32_e32 v62, v92, v21
	v_fmac_f32_e32 v55, v92, v22
	s_delay_alu instid0(VALU_DEP_3)
	v_fmac_f32_e32 v17, v92, v23
	s_cbranch_scc1 .LBB228_19
; %bb.20:                               ;   in Loop: Header=BB228_5 Depth=1
	s_or_b32 s1, s18, 0x100
	s_wait_loadcnt 0x0
	s_wait_alu 0xfffe
	s_cmp_ge_i32 s1, s5
	s_barrier_signal -1
	s_barrier_wait -1
	global_inv scope:SCOPE_SE
	s_cbranch_scc1 .LBB228_4
; %bb.21:                               ;   in Loop: Header=BB228_5 Depth=1
	v_add_nc_u32_e32 v20, s19, v65
	s_delay_alu instid0(VALU_DEP_1)
	v_cmp_gt_i32_e64 s1, s6, v20
	s_and_b32 s20, s0, s1
	s_wait_alu 0xfffe
	s_and_saveexec_b32 s1, s20
	s_cbranch_execz .LBB228_23
; %bb.22:                               ;   in Loop: Header=BB228_5 Depth=1
	v_add_nc_u32_e32 v20, v67, v20
	s_delay_alu instid0(VALU_DEP_1)
	v_mad_co_i64_i32 v[20:21], null, v20, 36, v[18:19]
	global_load_b32 v20, v[20:21], off offset:4
	s_wait_loadcnt 0x0
	ds_store_b32 v60, v20
.LBB228_23:                             ;   in Loop: Header=BB228_5 Depth=1
	s_wait_alu 0xfffe
	s_or_b32 exec_lo, exec_lo, s1
	s_and_saveexec_b32 s20, vcc_lo
	s_cbranch_execz .LBB228_26
; %bb.24:                               ;   in Loop: Header=BB228_5 Depth=1
	v_or_b32_e32 v20, 8, v86
	s_delay_alu instid0(VALU_DEP_1)
	v_cmp_gt_i32_e64 s1, s6, v20
	s_and_b32 s1, s0, s1
	s_wait_alu 0xfffe
	s_and_b32 exec_lo, exec_lo, s1
	s_cbranch_execz .LBB228_26
; %bb.25:                               ;   in Loop: Header=BB228_5 Depth=1
	v_ashrrev_i32_e32 v20, 31, v86
	v_add_co_u32 v21, s1, v67, v86
	s_wait_alu 0xf1ff
	s_delay_alu instid0(VALU_DEP_2) | instskip(NEXT) | instid1(VALU_DEP_2)
	v_add_co_ci_u32_e64 v22, null, v69, v20, s1
	v_mad_co_u64_u32 v[20:21], null, v21, 36, s[2:3]
	s_delay_alu instid0(VALU_DEP_1)
	v_mad_i32_i24 v21, v22, 36, v21
	global_load_b32 v20, v[20:21], off offset:288
	s_wait_loadcnt 0x0
	v_cvt_f32_f16_e32 v20, v20
	ds_store_b32 v63, v20
.LBB228_26:                             ;   in Loop: Header=BB228_5 Depth=1
	s_wait_alu 0xfffe
	s_or_b32 exec_lo, exec_lo, s20
	v_dual_mov_b32 v24, v59 :: v_dual_mov_b32 v25, v61
	s_mov_b32 s1, 16
	s_wait_loadcnt_dscnt 0x0
	s_barrier_signal -1
	s_barrier_wait -1
	global_inv scope:SCOPE_SE
.LBB228_27:                             ;   Parent Loop BB228_5 Depth=1
                                        ; =>  This Inner Loop Header: Depth=2
	ds_load_b128 v[20:23], v24
	ds_load_b128 v[117:120], v24 offset:16
	s_wait_alu 0xfffe
	s_and_b32 s21, s1, 0x3ffffff8
	s_add_co_i32 s20, s1, -16
	s_wait_alu 0xfffe
	v_lshl_add_u32 v99, s21, 2, v0
	s_and_b32 s21, s1, -16
	s_wait_alu 0xfffe
	s_add_co_i32 s21, s1, s21
	s_delay_alu instid0(VALU_DEP_1)
	v_add_nc_u32_e32 v124, 0x1098, v99
	v_add_nc_u32_e32 v128, 0x2108, v99
	;; [unrolled: 1-line block ×3, first 2 shown]
	s_wait_dscnt 0x1
	v_ashrrev_i32_e32 v96, 24, v20
	v_bfe_i32 v110, v21, 8, 8
	v_bfe_i32 v111, v20, 0, 8
	;; [unrolled: 1-line block ×3, first 2 shown]
	v_ashrrev_i32_e32 v108, 24, v21
	v_bfe_i32 v105, v20, 8, 8
	v_bfe_i32 v113, v21, 0, 8
	;; [unrolled: 1-line block ×3, first 2 shown]
	v_lshrrev_b16 v112, 8, v22
	v_ashrrev_i32_e32 v92, 24, v22
	v_bfe_i32 v93, v22, 16, 8
	v_bfe_i32 v115, v22, 0, 8
	v_lshrrev_b16 v114, 8, v23
	v_ashrrev_i32_e32 v26, 24, v23
	v_bfe_i32 v27, v23, 16, 8
	v_bfe_i32 v89, v23, 0, 8
	s_wait_dscnt 0x0
	v_ashrrev_i32_e32 v94, 24, v119
	v_bfe_i32 v95, v119, 16, 8
	v_bfe_i32 v98, v119, 0, 8
	;; [unrolled: 1-line block ×3, first 2 shown]
	v_ashrrev_i32_e32 v87, 24, v120
	v_bfe_i32 v88, v120, 16, 8
	v_bfe_i32 v91, v120, 0, 8
	;; [unrolled: 1-line block ×3, first 2 shown]
	ds_load_2addr_b32 v[22:23], v99 offset1:1
	ds_load_2addr_b32 v[20:21], v99 offset0:2 offset1:3
	ds_load_2addr_b32 v[119:120], v99 offset0:4 offset1:5
	v_lshrrev_b16 v116, 8, v117
	v_ashrrev_i32_e32 v102, 24, v117
	v_bfe_i32 v106, v117, 0, 8
	v_bfe_i32 v100, v117, 16, 8
	v_lshrrev_b16 v117, 8, v118
	v_ashrrev_i32_e32 v103, 24, v118
	v_bfe_i32 v107, v118, 0, 8
	v_bfe_i32 v101, v118, 16, 8
	;; [unrolled: 1-line block ×4, first 2 shown]
	s_wait_dscnt 0x2
	v_ashrrev_i32_e32 v23, s20, v23
	s_wait_dscnt 0x1
	v_ashrrev_i32_e32 v20, s20, v20
	v_ashrrev_i32_e32 v21, s20, v21
	s_delay_alu instid0(VALU_DEP_3) | instskip(SKIP_1) | instid1(VALU_DEP_2)
	v_and_b32_e32 v118, 3, v23
	v_bfe_u32 v121, v23, 8, 2
	v_mul_i32_i24_e32 v118, v118, v113
	s_delay_alu instid0(VALU_DEP_1) | instskip(SKIP_2) | instid1(VALU_DEP_2)
	v_mad_i32_i24 v118, v121, v110, v118
	v_bfe_u32 v121, v23, 16, 2
	v_bfe_u32 v23, v23, 24, 2
	v_mul_i32_i24_e32 v121, v121, v109
	s_delay_alu instid0(VALU_DEP_2) | instskip(NEXT) | instid1(VALU_DEP_1)
	v_mul_i32_i24_e32 v23, v23, v108
	v_add3_u32 v118, v118, v121, v23
	v_bfe_i32 v23, v116, 0, 8
	s_wait_dscnt 0x0
	v_ashrrev_i32_e32 v116, s20, v119
	s_delay_alu instid0(VALU_DEP_1) | instskip(SKIP_1) | instid1(VALU_DEP_2)
	v_and_b32_e32 v119, 3, v116
	v_bfe_u32 v121, v116, 8, 2
	v_mul_i32_i24_e32 v119, v119, v106
	s_delay_alu instid0(VALU_DEP_1) | instskip(SKIP_2) | instid1(VALU_DEP_2)
	v_mad_i32_i24 v119, v121, v23, v119
	v_bfe_u32 v121, v116, 16, 2
	v_bfe_u32 v116, v116, 24, 2
	v_mul_i32_i24_e32 v121, v121, v100
	s_delay_alu instid0(VALU_DEP_2) | instskip(NEXT) | instid1(VALU_DEP_1)
	v_mul_i32_i24_e32 v116, v116, v102
	v_add3_u32 v121, v119, v121, v116
	v_ashrrev_i32_e32 v116, s20, v22
	v_and_b32_e32 v119, 3, v20
	s_delay_alu instid0(VALU_DEP_2) | instskip(NEXT) | instid1(VALU_DEP_2)
	v_and_b32_e32 v22, 3, v116
	v_mul_i32_i24_e32 v119, v119, v115
	s_delay_alu instid0(VALU_DEP_2) | instskip(NEXT) | instid1(VALU_DEP_1)
	v_mul_i32_i24_e32 v22, v111, v22
	v_add3_u32 v119, v118, v119, v22
	v_ashrrev_i32_e32 v118, s20, v120
	v_bfe_i32 v22, v117, 0, 8
	s_delay_alu instid0(VALU_DEP_2) | instskip(SKIP_1) | instid1(VALU_DEP_2)
	v_and_b32_e32 v117, 3, v118
	v_bfe_u32 v120, v118, 8, 2
	v_mul_i32_i24_e32 v117, v117, v107
	s_delay_alu instid0(VALU_DEP_2) | instskip(NEXT) | instid1(VALU_DEP_1)
	v_mul_i32_i24_e32 v120, v120, v22
	v_add3_u32 v117, v121, v117, v120
	v_add_nc_u32_e32 v120, 0x1080, v99
	ds_load_2addr_b32 v[121:122], v120 offset1:1
	s_wait_dscnt 0x0
	v_ashrrev_i32_e32 v120, s20, v122
	s_delay_alu instid0(VALU_DEP_1) | instskip(SKIP_1) | instid1(VALU_DEP_2)
	v_and_b32_e32 v122, 3, v120
	v_bfe_u32 v123, v120, 8, 2
	v_mul_i32_i24_e32 v122, v122, v113
	s_delay_alu instid0(VALU_DEP_1) | instskip(SKIP_2) | instid1(VALU_DEP_2)
	v_mad_i32_i24 v122, v123, v110, v122
	v_bfe_u32 v123, v120, 16, 2
	v_bfe_u32 v120, v120, 24, 2
	v_mul_i32_i24_e32 v123, v123, v109
	s_delay_alu instid0(VALU_DEP_2) | instskip(NEXT) | instid1(VALU_DEP_1)
	v_mul_i32_i24_e32 v120, v120, v108
	v_add3_u32 v137, v122, v123, v120
	s_wait_alu 0xfffe
	v_add_nc_u32_e32 v120, s21, v71
	v_add_nc_u32_e32 v122, 0x1090, v99
	ds_load_u16 v120, v120 offset:17904
	ds_load_2addr_b32 v[122:123], v122 offset1:1
	ds_load_2addr_b32 v[124:125], v124 offset1:1
	s_wait_dscnt 0x1
	v_ashrrev_i32_e32 v122, s20, v122
	v_ashrrev_i32_e32 v123, s20, v123
	s_delay_alu instid0(VALU_DEP_2) | instskip(SKIP_1) | instid1(VALU_DEP_2)
	v_and_b32_e32 v126, 3, v122
	v_bfe_u32 v127, v122, 8, 2
	v_mul_i32_i24_e32 v126, v126, v106
	s_delay_alu instid0(VALU_DEP_1) | instskip(SKIP_2) | instid1(VALU_DEP_2)
	v_mad_i32_i24 v126, v127, v23, v126
	v_bfe_u32 v127, v122, 16, 2
	v_bfe_u32 v122, v122, 24, 2
	v_mul_i32_i24_e32 v127, v127, v100
	s_delay_alu instid0(VALU_DEP_2) | instskip(NEXT) | instid1(VALU_DEP_1)
	v_mul_i32_i24_e32 v122, v122, v102
	v_add3_u32 v122, v126, v127, v122
	v_add_nc_u32_e32 v126, 0x2100, v99
	ds_load_2addr_b32 v[126:127], v126 offset1:1
	ds_load_2addr_b32 v[128:129], v128 offset1:1
	;; [unrolled: 1-line block ×3, first 2 shown]
	s_wait_dscnt 0x2
	v_ashrrev_i32_e32 v127, s20, v127
	v_ashrrev_i32_e32 v126, s20, v126
	s_wait_dscnt 0x0
	v_ashrrev_i32_e32 v130, s20, v130
	v_ashrrev_i32_e32 v128, s20, v128
	;; [unrolled: 1-line block ×3, first 2 shown]
	v_and_b32_e32 v132, 3, v127
	v_bfe_u32 v133, v127, 8, 2
	s_delay_alu instid0(VALU_DEP_2) | instskip(NEXT) | instid1(VALU_DEP_1)
	v_mul_i32_i24_e32 v132, v132, v113
	v_mad_i32_i24 v132, v133, v110, v132
	v_bfe_u32 v133, v127, 16, 2
	v_bfe_u32 v127, v127, 24, 2
	s_delay_alu instid0(VALU_DEP_2) | instskip(NEXT) | instid1(VALU_DEP_2)
	v_mul_i32_i24_e32 v133, v133, v109
	v_mul_i32_i24_e32 v127, v127, v108
	s_delay_alu instid0(VALU_DEP_1) | instskip(SKIP_2) | instid1(VALU_DEP_2)
	v_add3_u32 v127, v132, v133, v127
	v_and_b32_e32 v132, 3, v130
	v_bfe_u32 v133, v130, 8, 2
	v_mul_i32_i24_e32 v132, v132, v106
	s_delay_alu instid0(VALU_DEP_1) | instskip(SKIP_2) | instid1(VALU_DEP_2)
	v_mad_i32_i24 v132, v133, v23, v132
	v_bfe_u32 v133, v130, 16, 2
	v_bfe_u32 v130, v130, 24, 2
	v_mul_i32_i24_e32 v133, v133, v100
	s_delay_alu instid0(VALU_DEP_2) | instskip(NEXT) | instid1(VALU_DEP_1)
	v_mul_i32_i24_e32 v130, v130, v102
	v_add3_u32 v130, v132, v133, v130
	v_add_nc_u32_e32 v132, 0x3180, v99
	ds_load_2addr_b32 v[132:133], v132 offset1:1
	s_wait_dscnt 0x0
	v_ashrrev_i32_e32 v133, s20, v133
	v_ashrrev_i32_e32 v132, s20, v132
	s_delay_alu instid0(VALU_DEP_2) | instskip(SKIP_1) | instid1(VALU_DEP_2)
	v_and_b32_e32 v134, 3, v133
	v_bfe_u32 v135, v133, 8, 2
	v_mul_i32_i24_e32 v134, v134, v113
	s_delay_alu instid0(VALU_DEP_1) | instskip(SKIP_3) | instid1(VALU_DEP_3)
	v_mad_i32_i24 v134, v135, v110, v134
	v_bfe_u32 v135, v133, 16, 2
	v_bfe_u32 v133, v133, 24, 2
	v_add_nc_u32_e32 v110, v105, v110
	v_mul_i32_i24_e32 v135, v135, v109
	s_delay_alu instid0(VALU_DEP_3) | instskip(NEXT) | instid1(VALU_DEP_3)
	v_mul_i32_i24_e32 v133, v133, v108
	v_add3_u32 v110, v110, v112, v114
	v_add_nc_u32_e32 v108, v108, v96
	v_add_nc_u32_e32 v109, v109, v104
	s_delay_alu instid0(VALU_DEP_4) | instskip(SKIP_2) | instid1(VALU_DEP_4)
	v_add3_u32 v138, v134, v135, v133
	v_add_nc_u32_e32 v133, s21, v70
	v_add_nc_u32_e32 v135, 0x3198, v99
	v_add3_u32 v145, v109, v93, v27
	ds_load_u16 v139, v133 offset:19952
	v_add_nc_u32_e32 v133, 0x3190, v99
	ds_load_2addr_b32 v[133:134], v133 offset1:1
	ds_load_2addr_b32 v[135:136], v135 offset1:1
	s_wait_dscnt 0x1
	v_ashrrev_i32_e32 v133, s20, v133
	v_ashrrev_i32_e32 v134, s20, v134
	s_delay_alu instid0(VALU_DEP_2) | instskip(SKIP_1) | instid1(VALU_DEP_2)
	v_and_b32_e32 v140, 3, v133
	v_bfe_u32 v141, v133, 8, 2
	v_mul_i32_i24_e32 v140, v140, v106
	v_add_nc_u32_e32 v106, v107, v106
	s_delay_alu instid0(VALU_DEP_2) | instskip(SKIP_2) | instid1(VALU_DEP_2)
	v_mad_i32_i24 v140, v141, v23, v140
	v_bfe_u32 v141, v133, 16, 2
	v_bfe_u32 v133, v133, 24, 2
	v_mul_i32_i24_e32 v141, v141, v100
	s_delay_alu instid0(VALU_DEP_2) | instskip(NEXT) | instid1(VALU_DEP_1)
	v_mul_i32_i24_e32 v133, v133, v102
	v_add3_u32 v133, v140, v141, v133
	v_bfe_u32 v140, v116, 8, 2
	v_bfe_u32 v141, v116, 16, 2
	s_delay_alu instid0(VALU_DEP_2) | instskip(NEXT) | instid1(VALU_DEP_2)
	v_mul_i32_i24_e32 v140, v105, v140
	v_mul_i32_i24_e32 v141, v104, v141
	s_delay_alu instid0(VALU_DEP_1) | instskip(SKIP_3) | instid1(VALU_DEP_3)
	v_add3_u32 v119, v119, v140, v141
	v_bfe_u32 v140, v118, 16, 2
	v_bfe_u32 v118, v118, 24, 2
	v_ashrrev_i32_e32 v141, s20, v121
	v_mul_i32_i24_e32 v140, v140, v101
	s_delay_alu instid0(VALU_DEP_3) | instskip(NEXT) | instid1(VALU_DEP_1)
	v_mul_i32_i24_e32 v118, v118, v103
	v_add3_u32 v140, v117, v140, v118
	s_delay_alu instid0(VALU_DEP_4) | instskip(NEXT) | instid1(VALU_DEP_1)
	v_and_b32_e32 v117, 3, v141
	v_mul_i32_i24_e32 v121, v111, v117
	v_add_nc_u32_e32 v117, 0x1088, v99
	ds_load_2addr_b32 v[117:118], v117 offset1:1
	s_wait_dscnt 0x0
	v_ashrrev_i32_e32 v117, s20, v117
	s_delay_alu instid0(VALU_DEP_1) | instskip(NEXT) | instid1(VALU_DEP_1)
	v_and_b32_e32 v142, 3, v117
	v_mul_i32_i24_e32 v142, v142, v115
	s_delay_alu instid0(VALU_DEP_1) | instskip(SKIP_2) | instid1(VALU_DEP_2)
	v_add3_u32 v137, v137, v142, v121
	v_and_b32_e32 v121, 3, v123
	v_bfe_u32 v142, v123, 8, 2
	v_mul_i32_i24_e32 v121, v121, v107
	s_delay_alu instid0(VALU_DEP_2) | instskip(NEXT) | instid1(VALU_DEP_1)
	v_mul_i32_i24_e32 v142, v142, v22
	v_add3_u32 v142, v122, v121, v142
	v_and_b32_e32 v121, 3, v126
	v_and_b32_e32 v122, 3, v128
	s_delay_alu instid0(VALU_DEP_2) | instskip(NEXT) | instid1(VALU_DEP_2)
	v_mul_i32_i24_e32 v121, v111, v121
	v_mul_i32_i24_e32 v122, v122, v115
	s_delay_alu instid0(VALU_DEP_1) | instskip(SKIP_2) | instid1(VALU_DEP_2)
	v_add3_u32 v127, v127, v122, v121
	v_and_b32_e32 v121, 3, v131
	v_bfe_u32 v122, v131, 8, 2
	v_mul_i32_i24_e32 v121, v121, v107
	s_delay_alu instid0(VALU_DEP_2) | instskip(NEXT) | instid1(VALU_DEP_1)
	v_mul_i32_i24_e32 v122, v122, v22
	v_add3_u32 v130, v130, v121, v122
	v_and_b32_e32 v121, 3, v132
	s_delay_alu instid0(VALU_DEP_1)
	v_mul_i32_i24_e32 v143, v111, v121
	v_add_nc_u32_e32 v121, 0x3188, v99
	v_add_nc_u32_e32 v111, v113, v111
	;; [unrolled: 1-line block ×3, first 2 shown]
	ds_load_2addr_b32 v[121:122], v121 offset1:1
	v_add3_u32 v111, v111, v115, v89
	ds_load_u16 v113, v113 offset:16880
	s_wait_dscnt 0x1
	v_ashrrev_i32_e32 v121, s20, v121
	s_delay_alu instid0(VALU_DEP_1) | instskip(NEXT) | instid1(VALU_DEP_1)
	v_and_b32_e32 v144, 3, v121
	v_mul_i32_i24_e32 v144, v144, v115
	s_wait_dscnt 0x0
	v_bfe_u32 v115, v113, 4, 4
	s_delay_alu instid0(VALU_DEP_2) | instskip(SKIP_2) | instid1(VALU_DEP_4)
	v_add3_u32 v138, v138, v144, v143
	v_and_b32_e32 v143, 3, v134
	v_bfe_u32 v144, v134, 8, 2
	v_mul_lo_u32 v115, 0x1010101, v115
	s_delay_alu instid0(VALU_DEP_3) | instskip(NEXT) | instid1(VALU_DEP_3)
	v_mul_i32_i24_e32 v143, v143, v107
	v_mul_i32_i24_e32 v144, v144, v22
	v_add_nc_u32_e32 v22, v22, v23
	v_add3_u32 v23, v106, v98, v91
	v_bfe_i32 v109, v115, 16, 8
	s_delay_alu instid0(VALU_DEP_4)
	v_add3_u32 v133, v133, v143, v144
	v_bfe_i32 v143, v115, 0, 8
	v_bfe_i32 v144, v115, 8, 8
	v_add3_u32 v106, v22, v97, v90
	v_mul_i32_i24_e32 v109, v145, v109
	v_lshrrev_b16 v22, 8, v113
	v_mul_i32_i24_e32 v143, v111, v143
	s_delay_alu instid0(VALU_DEP_2) | instskip(NEXT) | instid1(VALU_DEP_2)
	v_and_b32_e32 v107, 0xffff, v22
	v_mad_i32_i24 v143, v110, v144, v143
	v_add3_u32 v144, v108, v92, v26
	v_lshrrev_b32_e32 v108, 24, v115
	s_delay_alu instid0(VALU_DEP_4) | instskip(NEXT) | instid1(VALU_DEP_2)
	v_lshrrev_b32_e32 v22, 4, v107
	v_mul_i32_i24_e32 v108, v144, v108
	s_delay_alu instid0(VALU_DEP_1) | instskip(SKIP_1) | instid1(VALU_DEP_1)
	v_add3_u32 v115, v143, v109, v108
	v_bfe_u32 v108, v120, 4, 4
	v_mul_lo_u32 v108, 0x1010101, v108
	s_delay_alu instid0(VALU_DEP_1) | instskip(SKIP_1) | instid1(VALU_DEP_2)
	v_bfe_i32 v109, v108, 0, 8
	v_bfe_i32 v143, v108, 8, 8
	v_mul_i32_i24_e32 v109, v111, v109
	s_delay_alu instid0(VALU_DEP_1) | instskip(SKIP_2) | instid1(VALU_DEP_2)
	v_mad_i32_i24 v109, v110, v143, v109
	v_lshrrev_b32_e32 v143, 24, v108
	v_bfe_i32 v108, v108, 16, 8
	v_mul_i32_i24_e32 v143, v144, v143
	s_delay_alu instid0(VALU_DEP_2) | instskip(NEXT) | instid1(VALU_DEP_1)
	v_mul_i32_i24_e32 v108, v145, v108
	v_add3_u32 v143, v109, v108, v143
	v_add_nc_u32_e32 v108, s21, v72
	ds_load_u16 v146, v108 offset:18928
	s_wait_dscnt 0x0
	v_bfe_u32 v108, v146, 4, 4
	s_delay_alu instid0(VALU_DEP_1) | instskip(NEXT) | instid1(VALU_DEP_1)
	v_mul_lo_u32 v108, 0x1010101, v108
	v_bfe_i32 v109, v108, 0, 8
	v_bfe_i32 v147, v108, 8, 8
	s_delay_alu instid0(VALU_DEP_2) | instskip(NEXT) | instid1(VALU_DEP_1)
	v_mul_i32_i24_e32 v109, v111, v109
	v_mad_i32_i24 v109, v110, v147, v109
	v_lshrrev_b32_e32 v147, 24, v108
	v_bfe_i32 v108, v108, 16, 8
	s_delay_alu instid0(VALU_DEP_2) | instskip(NEXT) | instid1(VALU_DEP_2)
	v_mul_i32_i24_e32 v147, v144, v147
	v_mul_i32_i24_e32 v108, v145, v108
	s_delay_alu instid0(VALU_DEP_1) | instskip(SKIP_2) | instid1(VALU_DEP_2)
	v_add3_u32 v147, v109, v108, v147
	v_bfe_u32 v108, v116, 24, 2
	v_bfe_u32 v109, v20, 8, 2
	v_mul_i32_i24_e32 v108, v96, v108
	s_delay_alu instid0(VALU_DEP_2) | instskip(NEXT) | instid1(VALU_DEP_1)
	v_mul_i32_i24_e32 v109, v109, v112
	v_add3_u32 v116, v119, v108, v109
	ds_load_2addr_b32 v[108:109], v99 offset0:6 offset1:7
	s_wait_dscnt 0x0
	v_ashrrev_i32_e32 v108, s20, v108
	s_delay_alu instid0(VALU_DEP_1) | instskip(SKIP_1) | instid1(VALU_DEP_2)
	v_and_b32_e32 v119, 3, v108
	v_bfe_u32 v148, v108, 8, 2
	v_mul_i32_i24_e32 v119, v119, v98
	s_delay_alu instid0(VALU_DEP_2) | instskip(NEXT) | instid1(VALU_DEP_1)
	v_mul_i32_i24_e32 v148, v148, v97
	v_add3_u32 v119, v140, v119, v148
	v_bfe_u32 v140, v141, 8, 2
	v_bfe_u32 v148, v141, 16, 2
	s_delay_alu instid0(VALU_DEP_2) | instskip(NEXT) | instid1(VALU_DEP_2)
	v_mul_i32_i24_e32 v140, v105, v140
	v_mul_i32_i24_e32 v148, v104, v148
	s_delay_alu instid0(VALU_DEP_1) | instskip(SKIP_2) | instid1(VALU_DEP_2)
	v_add3_u32 v137, v137, v140, v148
	v_bfe_u32 v140, v123, 16, 2
	v_bfe_u32 v123, v123, 24, 2
	v_mul_i32_i24_e32 v140, v140, v101
	s_delay_alu instid0(VALU_DEP_2) | instskip(NEXT) | instid1(VALU_DEP_1)
	v_mul_i32_i24_e32 v123, v123, v103
	v_add3_u32 v123, v142, v140, v123
	v_bfe_u32 v140, v126, 8, 2
	v_bfe_u32 v142, v126, 16, 2
	s_delay_alu instid0(VALU_DEP_2) | instskip(NEXT) | instid1(VALU_DEP_2)
	v_mul_i32_i24_e32 v140, v105, v140
	v_mul_i32_i24_e32 v142, v104, v142
	s_delay_alu instid0(VALU_DEP_1) | instskip(SKIP_2) | instid1(VALU_DEP_2)
	v_add3_u32 v127, v127, v140, v142
	v_bfe_u32 v140, v131, 16, 2
	v_bfe_u32 v131, v131, 24, 2
	v_mul_i32_i24_e32 v140, v140, v101
	s_delay_alu instid0(VALU_DEP_2) | instskip(NEXT) | instid1(VALU_DEP_1)
	v_mul_i32_i24_e32 v131, v131, v103
	v_add3_u32 v130, v130, v140, v131
	v_bfe_u32 v131, v132, 8, 2
	s_delay_alu instid0(VALU_DEP_1) | instskip(SKIP_1) | instid1(VALU_DEP_1)
	v_mul_i32_i24_e32 v105, v105, v131
	v_bfe_u32 v131, v132, 16, 2
	v_mul_i32_i24_e32 v104, v104, v131
	v_bfe_u32 v131, v134, 24, 2
	s_delay_alu instid0(VALU_DEP_2) | instskip(SKIP_1) | instid1(VALU_DEP_3)
	v_add3_u32 v104, v138, v105, v104
	v_bfe_u32 v105, v134, 16, 2
	v_mul_i32_i24_e32 v131, v131, v103
	s_delay_alu instid0(VALU_DEP_2) | instskip(NEXT) | instid1(VALU_DEP_1)
	v_mul_i32_i24_e32 v105, v105, v101
	v_add3_u32 v105, v133, v105, v131
	v_mul_lo_u32 v131, 0x1010101, v22
	s_delay_alu instid0(VALU_DEP_1) | instskip(SKIP_1) | instid1(VALU_DEP_2)
	v_bfe_i32 v22, v131, 0, 8
	v_bfe_i32 v133, v131, 8, 8
	v_mul_i32_i24_e32 v22, v23, v22
	s_delay_alu instid0(VALU_DEP_2) | instskip(NEXT) | instid1(VALU_DEP_1)
	v_mul_i32_i24_e32 v133, v106, v133
	v_add3_u32 v115, v115, v22, v133
	v_lshrrev_b16 v22, 8, v120
	s_delay_alu instid0(VALU_DEP_1) | instskip(NEXT) | instid1(VALU_DEP_1)
	v_and_b32_e32 v133, 0xffff, v22
	v_lshrrev_b32_e32 v22, 4, v133
	s_delay_alu instid0(VALU_DEP_1) | instskip(NEXT) | instid1(VALU_DEP_1)
	v_mul_lo_u32 v134, 0x1010101, v22
	v_bfe_i32 v22, v134, 0, 8
	v_bfe_i32 v138, v134, 8, 8
	s_delay_alu instid0(VALU_DEP_2) | instskip(NEXT) | instid1(VALU_DEP_2)
	v_mul_i32_i24_e32 v22, v23, v22
	v_mul_i32_i24_e32 v138, v106, v138
	s_delay_alu instid0(VALU_DEP_1) | instskip(SKIP_1) | instid1(VALU_DEP_1)
	v_add3_u32 v138, v143, v22, v138
	v_lshrrev_b16 v22, 8, v146
	v_and_b32_e32 v140, 0xffff, v22
	s_delay_alu instid0(VALU_DEP_1) | instskip(NEXT) | instid1(VALU_DEP_1)
	v_lshrrev_b32_e32 v22, 4, v140
	v_mul_lo_u32 v142, 0x1010101, v22
	s_delay_alu instid0(VALU_DEP_1) | instskip(SKIP_1) | instid1(VALU_DEP_2)
	v_bfe_i32 v22, v142, 0, 8
	v_bfe_i32 v143, v142, 8, 8
	v_mul_i32_i24_e32 v22, v23, v22
	s_delay_alu instid0(VALU_DEP_2) | instskip(NEXT) | instid1(VALU_DEP_1)
	v_mul_i32_i24_e32 v143, v106, v143
	v_add3_u32 v143, v147, v22, v143
	v_add_nc_u32_e32 v22, v103, v102
	s_delay_alu instid0(VALU_DEP_1) | instskip(SKIP_1) | instid1(VALU_DEP_1)
	v_add3_u32 v102, v22, v94, v87
	v_lshrrev_b16 v22, 8, v139
	v_and_b32_e32 v103, 0xffff, v22
	v_bfe_u32 v22, v139, 4, 4
	s_delay_alu instid0(VALU_DEP_1) | instskip(NEXT) | instid1(VALU_DEP_3)
	v_mul_lo_u32 v147, 0x1010101, v22
	v_lshrrev_b32_e32 v22, 4, v103
	s_delay_alu instid0(VALU_DEP_1) | instskip(NEXT) | instid1(VALU_DEP_3)
	v_mul_lo_u32 v148, 0x1010101, v22
	v_lshrrev_b32_e32 v149, 24, v147
	s_delay_alu instid0(VALU_DEP_2) | instskip(NEXT) | instid1(VALU_DEP_1)
	v_lshrrev_b32_e32 v22, 24, v148
	v_mul_i32_i24_e32 v22, v102, v22
	s_delay_alu instid0(VALU_DEP_1) | instskip(SKIP_2) | instid1(VALU_DEP_2)
	v_mad_i32_i24 v144, v144, v149, v22
	v_add_nc_u32_e32 v22, v101, v100
	v_bfe_i32 v101, v147, 16, 8
	v_add3_u32 v100, v22, v95, v88
	v_bfe_i32 v22, v148, 16, 8
	s_delay_alu instid0(VALU_DEP_1) | instskip(NEXT) | instid1(VALU_DEP_1)
	v_mul_i32_i24_e32 v22, v100, v22
	v_mad_i32_i24 v101, v145, v101, v22
	v_bfe_i32 v22, v148, 0, 8
	s_delay_alu instid0(VALU_DEP_1) | instskip(SKIP_1) | instid1(VALU_DEP_1)
	v_mul_i32_i24_e32 v22, v23, v22
	v_bfe_i32 v23, v147, 0, 8
	v_mad_i32_i24 v111, v111, v23, v22
	v_bfe_u32 v22, v20, 16, 2
	v_bfe_u32 v20, v20, 24, 2
	;; [unrolled: 1-line block ×3, first 2 shown]
	s_delay_alu instid0(VALU_DEP_3) | instskip(NEXT) | instid1(VALU_DEP_3)
	v_mul_i32_i24_e32 v22, v22, v93
	v_mul_i32_i24_e32 v20, v20, v92
	s_delay_alu instid0(VALU_DEP_3) | instskip(NEXT) | instid1(VALU_DEP_2)
	v_mul_i32_i24_e32 v23, v23, v94
	v_add3_u32 v20, v116, v22, v20
	v_bfe_u32 v22, v108, 16, 2
	s_delay_alu instid0(VALU_DEP_1) | instskip(NEXT) | instid1(VALU_DEP_1)
	v_mul_i32_i24_e32 v22, v22, v95
	v_add3_u32 v108, v119, v22, v23
	v_bfe_u32 v22, v141, 24, 2
	v_bfe_u32 v23, v117, 8, 2
	v_ashrrev_i32_e32 v119, s20, v124
	s_delay_alu instid0(VALU_DEP_3) | instskip(NEXT) | instid1(VALU_DEP_3)
	v_mul_i32_i24_e32 v22, v96, v22
	v_mul_i32_i24_e32 v23, v23, v112
	s_delay_alu instid0(VALU_DEP_1) | instskip(NEXT) | instid1(VALU_DEP_4)
	v_add3_u32 v116, v137, v22, v23
	v_and_b32_e32 v22, 3, v119
	v_bfe_u32 v23, v119, 8, 2
	s_delay_alu instid0(VALU_DEP_2) | instskip(NEXT) | instid1(VALU_DEP_2)
	v_mul_i32_i24_e32 v22, v22, v98
	v_mul_i32_i24_e32 v23, v23, v97
	s_delay_alu instid0(VALU_DEP_1) | instskip(SKIP_2) | instid1(VALU_DEP_2)
	v_add3_u32 v123, v123, v22, v23
	v_bfe_u32 v22, v126, 24, 2
	v_bfe_u32 v23, v128, 8, 2
	v_mul_i32_i24_e32 v22, v96, v22
	s_delay_alu instid0(VALU_DEP_2) | instskip(NEXT) | instid1(VALU_DEP_1)
	v_mul_i32_i24_e32 v23, v23, v112
	v_add3_u32 v124, v127, v22, v23
	v_add_nc_u32_e32 v22, 0x2118, v99
	ds_load_2addr_b32 v[22:23], v22 offset1:1
	s_wait_dscnt 0x0
	v_ashrrev_i32_e32 v22, s20, v22
	v_ashrrev_i32_e32 v23, s20, v23
	s_delay_alu instid0(VALU_DEP_2) | instskip(SKIP_1) | instid1(VALU_DEP_2)
	v_and_b32_e32 v99, 3, v22
	v_bfe_u32 v126, v22, 8, 2
	v_mul_i32_i24_e32 v99, v99, v98
	s_delay_alu instid0(VALU_DEP_2) | instskip(NEXT) | instid1(VALU_DEP_1)
	v_mul_i32_i24_e32 v126, v126, v97
	v_add3_u32 v99, v130, v99, v126
	v_bfe_u32 v126, v132, 24, 2
	s_delay_alu instid0(VALU_DEP_1) | instskip(SKIP_1) | instid1(VALU_DEP_1)
	v_mul_i32_i24_e32 v96, v96, v126
	v_bfe_u32 v126, v121, 8, 2
	v_mul_i32_i24_e32 v112, v126, v112
	s_delay_alu instid0(VALU_DEP_1) | instskip(SKIP_1) | instid1(VALU_DEP_1)
	v_add3_u32 v96, v104, v96, v112
	v_ashrrev_i32_e32 v104, s20, v135
	v_and_b32_e32 v112, 3, v104
	s_delay_alu instid0(VALU_DEP_1) | instskip(SKIP_1) | instid1(VALU_DEP_1)
	v_mul_i32_i24_e32 v98, v112, v98
	v_bfe_u32 v112, v104, 8, 2
	v_mul_i32_i24_e32 v97, v112, v97
	v_bfe_i32 v112, v134, 16, 8
	s_delay_alu instid0(VALU_DEP_2) | instskip(SKIP_2) | instid1(VALU_DEP_4)
	v_add3_u32 v97, v105, v98, v97
	v_lshrrev_b32_e32 v98, 24, v131
	v_bfe_i32 v105, v131, 16, 8
	v_mul_i32_i24_e32 v112, v100, v112
	s_delay_alu instid0(VALU_DEP_3) | instskip(NEXT) | instid1(VALU_DEP_3)
	v_mul_i32_i24_e32 v98, v102, v98
	v_mul_i32_i24_e32 v105, v100, v105
	s_delay_alu instid0(VALU_DEP_1) | instskip(SKIP_2) | instid1(VALU_DEP_2)
	v_add3_u32 v98, v115, v105, v98
	v_lshrrev_b32_e32 v105, 24, v134
	v_bfe_u32 v115, v128, 24, 2
	v_mul_i32_i24_e32 v105, v102, v105
	s_delay_alu instid0(VALU_DEP_2) | instskip(NEXT) | instid1(VALU_DEP_2)
	v_mul_i32_i24_e32 v115, v115, v92
	v_add3_u32 v105, v138, v112, v105
	v_lshrrev_b32_e32 v112, 24, v142
	s_delay_alu instid0(VALU_DEP_1) | instskip(SKIP_1) | instid1(VALU_DEP_1)
	v_mul_i32_i24_e32 v102, v102, v112
	v_bfe_i32 v112, v142, 16, 8
	v_mul_i32_i24_e32 v100, v100, v112
	v_bfe_u32 v112, v119, 24, 2
	s_delay_alu instid0(VALU_DEP_2) | instskip(SKIP_1) | instid1(VALU_DEP_3)
	v_add3_u32 v100, v143, v100, v102
	v_lshrrev_b16 v102, 8, v147
	v_mul_i32_i24_e32 v112, v112, v94
	s_delay_alu instid0(VALU_DEP_2) | instskip(NEXT) | instid1(VALU_DEP_1)
	v_bfe_i32 v102, v102, 0, 8
	v_mul_i32_i24_e32 v102, v110, v102
	v_bfe_i32 v110, v148, 8, 8
	s_delay_alu instid0(VALU_DEP_1) | instskip(SKIP_1) | instid1(VALU_DEP_2)
	v_mul_i32_i24_e32 v106, v106, v110
	v_bfe_u32 v110, v21, 8, 2
	v_add3_u32 v102, v102, v106, v144
	v_and_b32_e32 v106, 3, v21
	s_delay_alu instid0(VALU_DEP_3) | instskip(NEXT) | instid1(VALU_DEP_2)
	v_mul_i32_i24_e32 v110, v110, v114
	v_mul_i32_i24_e32 v106, v106, v89
	s_delay_alu instid0(VALU_DEP_1) | instskip(SKIP_1) | instid1(VALU_DEP_1)
	v_add3_u32 v20, v20, v106, v110
	v_ashrrev_i32_e32 v106, s20, v109
	v_and_b32_e32 v109, 3, v106
	v_bfe_u32 v110, v106, 8, 2
	s_delay_alu instid0(VALU_DEP_2) | instskip(NEXT) | instid1(VALU_DEP_2)
	v_mul_i32_i24_e32 v109, v109, v91
	v_mul_i32_i24_e32 v110, v110, v90
	s_delay_alu instid0(VALU_DEP_1) | instskip(SKIP_2) | instid1(VALU_DEP_2)
	v_add3_u32 v108, v108, v109, v110
	v_bfe_u32 v109, v117, 16, 2
	v_bfe_u32 v110, v117, 24, 2
	v_mul_i32_i24_e32 v109, v109, v93
	s_delay_alu instid0(VALU_DEP_2) | instskip(NEXT) | instid1(VALU_DEP_1)
	v_mul_i32_i24_e32 v110, v110, v92
	v_add3_u32 v109, v116, v109, v110
	v_bfe_u32 v110, v119, 16, 2
	s_delay_alu instid0(VALU_DEP_1) | instskip(NEXT) | instid1(VALU_DEP_1)
	v_mul_i32_i24_e32 v110, v110, v95
	v_add3_u32 v110, v123, v110, v112
	v_bfe_u32 v112, v128, 16, 2
	s_delay_alu instid0(VALU_DEP_1) | instskip(NEXT) | instid1(VALU_DEP_1)
	v_mul_i32_i24_e32 v112, v112, v93
	v_add3_u32 v112, v124, v112, v115
	v_bfe_u32 v115, v22, 16, 2
	v_bfe_u32 v22, v22, 24, 2
	s_delay_alu instid0(VALU_DEP_2) | instskip(NEXT) | instid1(VALU_DEP_2)
	v_mul_i32_i24_e32 v115, v115, v95
	v_mul_i32_i24_e32 v22, v22, v94
	s_delay_alu instid0(VALU_DEP_1) | instskip(SKIP_1) | instid1(VALU_DEP_1)
	v_add3_u32 v22, v99, v115, v22
	v_bfe_u32 v99, v121, 16, 2
	v_mul_i32_i24_e32 v93, v99, v93
	v_bfe_u32 v99, v121, 24, 2
	s_delay_alu instid0(VALU_DEP_1) | instskip(NEXT) | instid1(VALU_DEP_1)
	v_mul_i32_i24_e32 v92, v99, v92
	v_add3_u32 v92, v96, v93, v92
	v_bfe_u32 v93, v104, 16, 2
	s_delay_alu instid0(VALU_DEP_1) | instskip(SKIP_1) | instid1(VALU_DEP_1)
	v_mul_i32_i24_e32 v93, v93, v95
	v_bfe_u32 v95, v104, 24, 2
	v_mul_i32_i24_e32 v94, v95, v94
	v_bfe_u32 v95, v21, 16, 2
	v_bfe_u32 v21, v21, 24, 2
	s_delay_alu instid0(VALU_DEP_3) | instskip(NEXT) | instid1(VALU_DEP_3)
	v_add3_u32 v93, v97, v93, v94
	v_mul_i32_i24_e32 v95, v95, v27
	s_delay_alu instid0(VALU_DEP_3) | instskip(SKIP_1) | instid1(VALU_DEP_2)
	v_mul_i32_i24_e32 v21, v21, v26
	v_add3_u32 v94, v111, v101, v102
	v_add3_u32 v20, v20, v95, v21
	v_bfe_u32 v21, v106, 16, 2
	v_bfe_u32 v95, v106, 24, 2
	v_bfe_u32 v106, v23, 8, 2
	v_cvt_f32_i32_e32 v94, v94
	s_delay_alu instid0(VALU_DEP_4) | instskip(NEXT) | instid1(VALU_DEP_4)
	v_mul_i32_i24_e32 v21, v21, v88
	v_mul_i32_i24_e32 v95, v95, v87
	s_delay_alu instid0(VALU_DEP_4) | instskip(NEXT) | instid1(VALU_DEP_2)
	v_mul_i32_i24_e32 v106, v106, v90
	v_add3_u32 v21, v108, v21, v95
	v_ashrrev_i32_e32 v95, s20, v118
	s_delay_alu instid0(VALU_DEP_1) | instskip(SKIP_1) | instid1(VALU_DEP_2)
	v_and_b32_e32 v96, 3, v95
	v_bfe_u32 v97, v95, 8, 2
	v_mul_i32_i24_e32 v96, v96, v89
	s_delay_alu instid0(VALU_DEP_2) | instskip(NEXT) | instid1(VALU_DEP_1)
	v_mul_i32_i24_e32 v97, v97, v114
	v_add3_u32 v96, v109, v96, v97
	v_ashrrev_i32_e32 v97, s20, v125
	s_delay_alu instid0(VALU_DEP_1) | instskip(SKIP_1) | instid1(VALU_DEP_2)
	v_and_b32_e32 v99, 3, v97
	v_bfe_u32 v101, v97, 8, 2
	v_mul_i32_i24_e32 v99, v99, v91
	s_delay_alu instid0(VALU_DEP_2) | instskip(NEXT) | instid1(VALU_DEP_1)
	;; [unrolled: 8-line block ×3, first 2 shown]
	v_mul_i32_i24_e32 v104, v104, v114
	v_add3_u32 v102, v112, v102, v104
	v_and_b32_e32 v104, 3, v23
	s_delay_alu instid0(VALU_DEP_1) | instskip(NEXT) | instid1(VALU_DEP_1)
	v_mul_i32_i24_e32 v104, v104, v91
	v_add3_u32 v22, v22, v104, v106
	v_ashrrev_i32_e32 v104, s20, v122
	s_delay_alu instid0(VALU_DEP_1) | instskip(NEXT) | instid1(VALU_DEP_1)
	v_and_b32_e32 v106, 3, v104
	v_mul_i32_i24_e32 v89, v106, v89
	v_bfe_u32 v106, v104, 8, 2
	s_delay_alu instid0(VALU_DEP_1) | instskip(NEXT) | instid1(VALU_DEP_1)
	v_mul_i32_i24_e32 v106, v106, v114
	v_add3_u32 v89, v92, v89, v106
	v_ashrrev_i32_e32 v92, s20, v136
	s_lshr_b32 s20, s1, 2
	s_wait_alu 0xfffe
	s_and_b32 s20, s20, 0x3ffffffc
	s_delay_alu instid0(VALU_DEP_1) | instskip(SKIP_2) | instid1(VALU_DEP_1)
	v_and_b32_e32 v106, 3, v92
	s_wait_alu 0xfffe
	s_addk_co_i32 s20, 0x5280
	v_mul_i32_i24_e32 v91, v106, v91
	v_bfe_u32 v106, v92, 8, 2
	s_delay_alu instid0(VALU_DEP_1) | instskip(NEXT) | instid1(VALU_DEP_1)
	v_mul_i32_i24_e32 v90, v106, v90
	v_add3_u32 v90, v93, v91, v90
	v_bfe_u32 v91, v95, 16, 2
	v_bfe_u32 v93, v95, 24, 2
	;; [unrolled: 1-line block ×3, first 2 shown]
	s_delay_alu instid0(VALU_DEP_3) | instskip(NEXT) | instid1(VALU_DEP_3)
	v_mul_i32_i24_e32 v91, v91, v27
	v_mul_i32_i24_e32 v93, v93, v26
	s_delay_alu instid0(VALU_DEP_3) | instskip(NEXT) | instid1(VALU_DEP_2)
	v_mul_i32_i24_e32 v95, v95, v87
	v_add3_u32 v91, v96, v91, v93
	v_bfe_u32 v93, v97, 16, 2
	v_bfe_u32 v96, v101, 24, 2
	v_and_b32_e32 v97, 15, v139
	s_delay_alu instid0(VALU_DEP_3) | instskip(NEXT) | instid1(VALU_DEP_3)
	v_mul_i32_i24_e32 v93, v93, v88
	v_mul_i32_i24_e32 v96, v96, v26
	s_delay_alu instid0(VALU_DEP_2) | instskip(SKIP_2) | instid1(VALU_DEP_2)
	v_add3_u32 v93, v99, v93, v95
	v_bfe_u32 v95, v101, 16, 2
	v_and_b32_e32 v99, 15, v140
	v_mul_i32_i24_e32 v95, v95, v27
	s_delay_alu instid0(VALU_DEP_1) | instskip(SKIP_2) | instid1(VALU_DEP_2)
	v_add3_u32 v95, v102, v95, v96
	v_bfe_u32 v96, v23, 16, 2
	v_bfe_u32 v23, v23, 24, 2
	v_mul_i32_i24_e32 v96, v96, v88
	s_delay_alu instid0(VALU_DEP_2) | instskip(NEXT) | instid1(VALU_DEP_1)
	v_mul_i32_i24_e32 v23, v23, v87
	v_add3_u32 v23, v22, v96, v23
	v_bfe_u32 v22, v104, 16, 2
	s_delay_alu instid0(VALU_DEP_1) | instskip(SKIP_1) | instid1(VALU_DEP_1)
	v_mul_i32_i24_e32 v22, v22, v27
	v_bfe_u32 v27, v104, 24, 2
	v_mul_i32_i24_e32 v26, v27, v26
	s_wait_alu 0xfffe
	v_add3_u32 v27, s20, v78, v79
	s_delay_alu instid0(VALU_DEP_2) | instskip(SKIP_1) | instid1(VALU_DEP_1)
	v_add3_u32 v26, v89, v22, v26
	v_bfe_u32 v22, v92, 16, 2
	v_mul_i32_i24_e32 v22, v22, v88
	v_bfe_u32 v88, v92, 24, 2
	v_and_b32_e32 v92, 15, v107
	s_delay_alu instid0(VALU_DEP_2)
	v_mul_i32_i24_e32 v87, v88, v87
	v_add3_u32 v88, s20, v82, v83
	ds_load_b32 v89, v27
	ds_load_b32 v88, v88
	v_add3_u32 v27, v90, v22, v87
	v_add3_u32 v22, s20, v84, v85
	;; [unrolled: 1-line block ×3, first 2 shown]
	ds_load_b32 v90, v22
	ds_load_b32 v87, v87
	v_and_b32_e32 v22, 15, v113
	s_add_co_i32 s20, s1, 2
	s_cmp_lt_u32 s1, 22
	s_wait_alu 0xfffe
	s_mov_b32 s1, s20
	v_mul_lo_u32 v20, v20, v22
	v_and_b32_e32 v22, 15, v133
	s_delay_alu instid0(VALU_DEP_2)
	v_mad_co_u64_u32 v[20:21], null, v21, v92, v[20:21]
	v_and_b32_e32 v21, 15, v120
	ds_load_b32 v92, v25
	v_add_nc_u32_e32 v25, 4, v25
	s_wait_dscnt 0x1
	v_lshrrev_b32_e32 v96, 16, v87
	v_mul_lo_u32 v21, v91, v21
	v_lshrrev_b32_e32 v91, 16, v90
	v_cvt_f32_i32_e32 v20, v20
	s_delay_alu instid0(VALU_DEP_4) | instskip(NEXT) | instid1(VALU_DEP_3)
	v_cvt_f32_f16_e32 v96, v96
	v_cvt_f32_f16_e32 v91, v91
	v_mad_co_u64_u32 v[21:22], null, v93, v22, v[21:22]
	v_and_b32_e32 v22, 15, v146
	v_lshrrev_b32_e32 v93, 16, v89
	s_delay_alu instid0(VALU_DEP_4) | instskip(NEXT) | instid1(VALU_DEP_3)
	v_mul_f32_e32 v91, v91, v94
	v_mul_lo_u32 v22, v95, v22
	v_lshrrev_b32_e32 v95, 16, v88
	s_delay_alu instid0(VALU_DEP_4) | instskip(SKIP_1) | instid1(VALU_DEP_3)
	v_cvt_f32_f16_e32 v93, v93
	v_cvt_f32_i32_e32 v21, v21
	v_cvt_f32_f16_e32 v95, v95
	v_mad_co_u64_u32 v[22:23], null, v23, v99, v[22:23]
	v_mul_lo_u32 v23, v26, v97
	v_and_b32_e32 v26, 15, v103
	v_cvt_f32_i32_e32 v97, v98
	v_cvt_f32_i32_e32 v98, v105
	;; [unrolled: 1-line block ×4, first 2 shown]
	v_mad_co_u64_u32 v[26:27], null, v27, v26, v[23:24]
	v_mul_f32_e32 v23, v93, v97
	v_mul_f32_e32 v27, v96, v98
	v_dual_mul_f32 v93, v95, v99 :: v_dual_add_nc_u32 v24, 32, v24
	s_delay_alu instid0(VALU_DEP_3) | instskip(SKIP_1) | instid1(VALU_DEP_4)
	v_fma_mix_f32 v20, v89, v20, -v23 op_sel_hi:[1,0,0]
	v_cvt_f32_i32_e32 v26, v26
	v_fma_mix_f32 v21, v87, v21, -v27 op_sel_hi:[1,0,0]
	s_delay_alu instid0(VALU_DEP_4)
	v_fma_mix_f32 v22, v88, v22, -v93 op_sel_hi:[1,0,0]
	s_wait_dscnt 0x0
	v_fmac_f32_e32 v30, v92, v20
	v_fma_mix_f32 v23, v90, v26, -v91 op_sel_hi:[1,0,0]
	v_fmac_f32_e32 v62, v92, v21
	v_fmac_f32_e32 v55, v92, v22
	s_delay_alu instid0(VALU_DEP_3)
	v_fmac_f32_e32 v17, v92, v23
	s_cbranch_scc1 .LBB228_27
; %bb.28:                               ;   in Loop: Header=BB228_5 Depth=1
	s_or_b32 s1, s18, 0x180
	s_wait_loadcnt 0x0
	s_wait_alu 0xfffe
	s_cmp_ge_i32 s1, s5
	s_barrier_signal -1
	s_barrier_wait -1
	global_inv scope:SCOPE_SE
	s_cbranch_scc1 .LBB228_4
; %bb.29:                               ;   in Loop: Header=BB228_5 Depth=1
	v_add_nc_u32_e32 v20, s19, v66
	s_delay_alu instid0(VALU_DEP_1)
	v_cmp_gt_i32_e64 s1, s6, v20
	s_and_b32 s18, s0, s1
	s_wait_alu 0xfffe
	s_and_saveexec_b32 s1, s18
	s_cbranch_execz .LBB228_31
; %bb.30:                               ;   in Loop: Header=BB228_5 Depth=1
	v_add_nc_u32_e32 v20, v67, v20
	s_delay_alu instid0(VALU_DEP_1)
	v_mad_co_i64_i32 v[20:21], null, v20, 36, v[18:19]
	global_load_b32 v20, v[20:21], off offset:4
	s_wait_loadcnt 0x0
	ds_store_b32 v60, v20
.LBB228_31:                             ;   in Loop: Header=BB228_5 Depth=1
	s_wait_alu 0xfffe
	s_or_b32 exec_lo, exec_lo, s1
	s_and_saveexec_b32 s18, vcc_lo
	s_cbranch_execz .LBB228_34
; %bb.32:                               ;   in Loop: Header=BB228_5 Depth=1
	v_or_b32_e32 v20, 12, v86
	s_delay_alu instid0(VALU_DEP_1)
	v_cmp_gt_i32_e64 s1, s6, v20
	s_and_b32 s1, s0, s1
	s_wait_alu 0xfffe
	s_and_b32 exec_lo, exec_lo, s1
	s_cbranch_execz .LBB228_34
; %bb.33:                               ;   in Loop: Header=BB228_5 Depth=1
	v_ashrrev_i32_e32 v20, 31, v86
	v_add_co_u32 v21, s1, v67, v86
	s_wait_alu 0xf1ff
	s_delay_alu instid0(VALU_DEP_2) | instskip(NEXT) | instid1(VALU_DEP_2)
	v_add_co_ci_u32_e64 v22, null, v69, v20, s1
	v_mad_co_u64_u32 v[20:21], null, v21, 36, s[2:3]
	s_delay_alu instid0(VALU_DEP_1)
	v_mad_i32_i24 v21, v22, 36, v21
	global_load_b32 v20, v[20:21], off offset:432
	s_wait_loadcnt 0x0
	v_cvt_f32_f16_e32 v20, v20
	ds_store_b32 v63, v20
.LBB228_34:                             ;   in Loop: Header=BB228_5 Depth=1
	s_wait_alu 0xfffe
	s_or_b32 exec_lo, exec_lo, s18
	v_dual_mov_b32 v24, v59 :: v_dual_mov_b32 v25, v61
	s_mov_b32 s1, 24
	s_wait_loadcnt_dscnt 0x0
	s_barrier_signal -1
	s_barrier_wait -1
	global_inv scope:SCOPE_SE
.LBB228_35:                             ;   Parent Loop BB228_5 Depth=1
                                        ; =>  This Inner Loop Header: Depth=2
	ds_load_b128 v[20:23], v24
	ds_load_b128 v[116:119], v24 offset:16
	s_wait_alu 0xfffe
	s_and_b32 s19, s1, 0x3ffffff8
	s_sub_co_i32 s18, s1, 24
	s_wait_alu 0xfffe
	v_lshl_add_u32 v98, s19, 2, v0
	s_and_b32 s19, s1, -16
	s_wait_alu 0xfffe
	s_add_co_i32 s19, s1, s19
	s_delay_alu instid0(VALU_DEP_1)
	v_add_nc_u32_e32 v123, 0x1098, v98
	v_add_nc_u32_e32 v127, 0x2108, v98
	;; [unrolled: 1-line block ×3, first 2 shown]
	s_wait_dscnt 0x1
	v_ashrrev_i32_e32 v95, 24, v20
	v_bfe_i32 v109, v21, 8, 8
	v_bfe_i32 v110, v20, 0, 8
	;; [unrolled: 1-line block ×3, first 2 shown]
	v_ashrrev_i32_e32 v107, 24, v21
	v_bfe_i32 v104, v20, 8, 8
	v_bfe_i32 v112, v21, 0, 8
	;; [unrolled: 1-line block ×3, first 2 shown]
	v_lshrrev_b16 v111, 8, v22
	v_ashrrev_i32_e32 v91, 24, v22
	v_bfe_i32 v92, v22, 16, 8
	v_bfe_i32 v114, v22, 0, 8
	v_lshrrev_b16 v113, 8, v23
	v_ashrrev_i32_e32 v26, 24, v23
	v_bfe_i32 v27, v23, 16, 8
	v_bfe_i32 v88, v23, 0, 8
	s_wait_dscnt 0x0
	v_ashrrev_i32_e32 v93, 24, v118
	v_bfe_i32 v94, v118, 16, 8
	v_bfe_i32 v97, v118, 0, 8
	;; [unrolled: 1-line block ×3, first 2 shown]
	v_ashrrev_i32_e32 v86, 24, v119
	v_bfe_i32 v87, v119, 16, 8
	v_bfe_i32 v90, v119, 0, 8
	;; [unrolled: 1-line block ×3, first 2 shown]
	ds_load_2addr_b32 v[22:23], v98 offset1:1
	ds_load_2addr_b32 v[20:21], v98 offset0:2 offset1:3
	ds_load_2addr_b32 v[118:119], v98 offset0:4 offset1:5
	v_lshrrev_b16 v115, 8, v116
	v_ashrrev_i32_e32 v101, 24, v116
	v_bfe_i32 v105, v116, 0, 8
	v_bfe_i32 v99, v116, 16, 8
	v_lshrrev_b16 v116, 8, v117
	v_ashrrev_i32_e32 v102, 24, v117
	v_bfe_i32 v106, v117, 0, 8
	v_bfe_i32 v100, v117, 16, 8
	;; [unrolled: 1-line block ×4, first 2 shown]
	s_wait_dscnt 0x2
	v_ashrrev_i32_e32 v23, s18, v23
	s_wait_dscnt 0x1
	v_ashrrev_i32_e32 v20, s18, v20
	v_ashrrev_i32_e32 v21, s18, v21
	s_delay_alu instid0(VALU_DEP_3) | instskip(SKIP_1) | instid1(VALU_DEP_2)
	v_and_b32_e32 v117, 3, v23
	v_bfe_u32 v120, v23, 8, 2
	v_mul_i32_i24_e32 v117, v117, v112
	s_delay_alu instid0(VALU_DEP_1) | instskip(SKIP_2) | instid1(VALU_DEP_2)
	v_mad_i32_i24 v117, v120, v109, v117
	v_bfe_u32 v120, v23, 16, 2
	v_bfe_u32 v23, v23, 24, 2
	v_mul_i32_i24_e32 v120, v120, v108
	s_delay_alu instid0(VALU_DEP_2) | instskip(NEXT) | instid1(VALU_DEP_1)
	v_mul_i32_i24_e32 v23, v23, v107
	v_add3_u32 v117, v117, v120, v23
	v_bfe_i32 v23, v115, 0, 8
	s_wait_dscnt 0x0
	v_ashrrev_i32_e32 v115, s18, v118
	s_delay_alu instid0(VALU_DEP_1) | instskip(SKIP_1) | instid1(VALU_DEP_2)
	v_and_b32_e32 v118, 3, v115
	v_bfe_u32 v120, v115, 8, 2
	v_mul_i32_i24_e32 v118, v118, v105
	s_delay_alu instid0(VALU_DEP_1) | instskip(SKIP_2) | instid1(VALU_DEP_2)
	v_mad_i32_i24 v118, v120, v23, v118
	v_bfe_u32 v120, v115, 16, 2
	v_bfe_u32 v115, v115, 24, 2
	v_mul_i32_i24_e32 v120, v120, v99
	s_delay_alu instid0(VALU_DEP_2) | instskip(NEXT) | instid1(VALU_DEP_1)
	v_mul_i32_i24_e32 v115, v115, v101
	v_add3_u32 v120, v118, v120, v115
	v_ashrrev_i32_e32 v115, s18, v22
	v_and_b32_e32 v118, 3, v20
	s_delay_alu instid0(VALU_DEP_2) | instskip(NEXT) | instid1(VALU_DEP_2)
	v_and_b32_e32 v22, 3, v115
	v_mul_i32_i24_e32 v118, v118, v114
	s_delay_alu instid0(VALU_DEP_2) | instskip(NEXT) | instid1(VALU_DEP_1)
	v_mul_i32_i24_e32 v22, v110, v22
	v_add3_u32 v118, v117, v118, v22
	v_ashrrev_i32_e32 v117, s18, v119
	v_bfe_i32 v22, v116, 0, 8
	s_delay_alu instid0(VALU_DEP_2) | instskip(SKIP_1) | instid1(VALU_DEP_2)
	v_and_b32_e32 v116, 3, v117
	v_bfe_u32 v119, v117, 8, 2
	v_mul_i32_i24_e32 v116, v116, v106
	s_delay_alu instid0(VALU_DEP_2) | instskip(NEXT) | instid1(VALU_DEP_1)
	v_mul_i32_i24_e32 v119, v119, v22
	v_add3_u32 v116, v120, v116, v119
	v_add_nc_u32_e32 v119, 0x1080, v98
	ds_load_2addr_b32 v[120:121], v119 offset1:1
	s_wait_dscnt 0x0
	v_ashrrev_i32_e32 v119, s18, v121
	s_delay_alu instid0(VALU_DEP_1) | instskip(SKIP_1) | instid1(VALU_DEP_2)
	v_and_b32_e32 v121, 3, v119
	v_bfe_u32 v122, v119, 8, 2
	v_mul_i32_i24_e32 v121, v121, v112
	s_delay_alu instid0(VALU_DEP_1) | instskip(SKIP_2) | instid1(VALU_DEP_2)
	v_mad_i32_i24 v121, v122, v109, v121
	v_bfe_u32 v122, v119, 16, 2
	v_bfe_u32 v119, v119, 24, 2
	v_mul_i32_i24_e32 v122, v122, v108
	s_delay_alu instid0(VALU_DEP_2) | instskip(NEXT) | instid1(VALU_DEP_1)
	v_mul_i32_i24_e32 v119, v119, v107
	v_add3_u32 v136, v121, v122, v119
	s_wait_alu 0xfffe
	v_add_nc_u32_e32 v119, s19, v71
	v_add_nc_u32_e32 v121, 0x1090, v98
	ds_load_u16 v119, v119 offset:17904
	ds_load_2addr_b32 v[121:122], v121 offset1:1
	ds_load_2addr_b32 v[123:124], v123 offset1:1
	s_wait_dscnt 0x1
	v_ashrrev_i32_e32 v121, s18, v121
	v_ashrrev_i32_e32 v122, s18, v122
	s_delay_alu instid0(VALU_DEP_2) | instskip(SKIP_1) | instid1(VALU_DEP_2)
	v_and_b32_e32 v125, 3, v121
	v_bfe_u32 v126, v121, 8, 2
	v_mul_i32_i24_e32 v125, v125, v105
	s_delay_alu instid0(VALU_DEP_1) | instskip(SKIP_2) | instid1(VALU_DEP_2)
	v_mad_i32_i24 v125, v126, v23, v125
	v_bfe_u32 v126, v121, 16, 2
	v_bfe_u32 v121, v121, 24, 2
	v_mul_i32_i24_e32 v126, v126, v99
	s_delay_alu instid0(VALU_DEP_2) | instskip(NEXT) | instid1(VALU_DEP_1)
	v_mul_i32_i24_e32 v121, v121, v101
	v_add3_u32 v121, v125, v126, v121
	v_add_nc_u32_e32 v125, 0x2100, v98
	ds_load_2addr_b32 v[125:126], v125 offset1:1
	ds_load_2addr_b32 v[127:128], v127 offset1:1
	ds_load_2addr_b32 v[129:130], v129 offset1:1
	s_wait_dscnt 0x2
	v_ashrrev_i32_e32 v126, s18, v126
	v_ashrrev_i32_e32 v125, s18, v125
	s_wait_dscnt 0x0
	v_ashrrev_i32_e32 v129, s18, v129
	v_ashrrev_i32_e32 v127, s18, v127
	;; [unrolled: 1-line block ×3, first 2 shown]
	v_and_b32_e32 v131, 3, v126
	v_bfe_u32 v132, v126, 8, 2
	s_delay_alu instid0(VALU_DEP_2) | instskip(NEXT) | instid1(VALU_DEP_1)
	v_mul_i32_i24_e32 v131, v131, v112
	v_mad_i32_i24 v131, v132, v109, v131
	v_bfe_u32 v132, v126, 16, 2
	v_bfe_u32 v126, v126, 24, 2
	s_delay_alu instid0(VALU_DEP_2) | instskip(NEXT) | instid1(VALU_DEP_2)
	v_mul_i32_i24_e32 v132, v132, v108
	v_mul_i32_i24_e32 v126, v126, v107
	s_delay_alu instid0(VALU_DEP_1) | instskip(SKIP_2) | instid1(VALU_DEP_2)
	v_add3_u32 v126, v131, v132, v126
	v_and_b32_e32 v131, 3, v129
	v_bfe_u32 v132, v129, 8, 2
	v_mul_i32_i24_e32 v131, v131, v105
	s_delay_alu instid0(VALU_DEP_1) | instskip(SKIP_2) | instid1(VALU_DEP_2)
	v_mad_i32_i24 v131, v132, v23, v131
	v_bfe_u32 v132, v129, 16, 2
	v_bfe_u32 v129, v129, 24, 2
	v_mul_i32_i24_e32 v132, v132, v99
	s_delay_alu instid0(VALU_DEP_2) | instskip(NEXT) | instid1(VALU_DEP_1)
	v_mul_i32_i24_e32 v129, v129, v101
	v_add3_u32 v129, v131, v132, v129
	v_add_nc_u32_e32 v131, 0x3180, v98
	ds_load_2addr_b32 v[131:132], v131 offset1:1
	s_wait_dscnt 0x0
	v_ashrrev_i32_e32 v132, s18, v132
	v_ashrrev_i32_e32 v131, s18, v131
	s_delay_alu instid0(VALU_DEP_2) | instskip(SKIP_1) | instid1(VALU_DEP_2)
	v_and_b32_e32 v133, 3, v132
	v_bfe_u32 v134, v132, 8, 2
	v_mul_i32_i24_e32 v133, v133, v112
	s_delay_alu instid0(VALU_DEP_1) | instskip(SKIP_3) | instid1(VALU_DEP_3)
	v_mad_i32_i24 v133, v134, v109, v133
	v_bfe_u32 v134, v132, 16, 2
	v_bfe_u32 v132, v132, 24, 2
	v_add_nc_u32_e32 v109, v104, v109
	v_mul_i32_i24_e32 v134, v134, v108
	s_delay_alu instid0(VALU_DEP_3) | instskip(NEXT) | instid1(VALU_DEP_3)
	v_mul_i32_i24_e32 v132, v132, v107
	v_add3_u32 v109, v109, v111, v113
	v_add_nc_u32_e32 v107, v107, v95
	v_add_nc_u32_e32 v108, v108, v103
	s_delay_alu instid0(VALU_DEP_4) | instskip(SKIP_2) | instid1(VALU_DEP_4)
	v_add3_u32 v137, v133, v134, v132
	v_add_nc_u32_e32 v132, s19, v70
	v_add_nc_u32_e32 v134, 0x3198, v98
	v_add3_u32 v144, v108, v92, v27
	ds_load_u16 v138, v132 offset:19952
	v_add_nc_u32_e32 v132, 0x3190, v98
	ds_load_2addr_b32 v[132:133], v132 offset1:1
	ds_load_2addr_b32 v[134:135], v134 offset1:1
	s_wait_dscnt 0x1
	v_ashrrev_i32_e32 v132, s18, v132
	v_ashrrev_i32_e32 v133, s18, v133
	s_delay_alu instid0(VALU_DEP_2) | instskip(SKIP_1) | instid1(VALU_DEP_2)
	v_and_b32_e32 v139, 3, v132
	v_bfe_u32 v140, v132, 8, 2
	v_mul_i32_i24_e32 v139, v139, v105
	v_add_nc_u32_e32 v105, v106, v105
	s_delay_alu instid0(VALU_DEP_2) | instskip(SKIP_2) | instid1(VALU_DEP_2)
	v_mad_i32_i24 v139, v140, v23, v139
	v_bfe_u32 v140, v132, 16, 2
	v_bfe_u32 v132, v132, 24, 2
	v_mul_i32_i24_e32 v140, v140, v99
	s_delay_alu instid0(VALU_DEP_2) | instskip(NEXT) | instid1(VALU_DEP_1)
	v_mul_i32_i24_e32 v132, v132, v101
	v_add3_u32 v132, v139, v140, v132
	v_bfe_u32 v139, v115, 8, 2
	v_bfe_u32 v140, v115, 16, 2
	s_delay_alu instid0(VALU_DEP_2) | instskip(NEXT) | instid1(VALU_DEP_2)
	v_mul_i32_i24_e32 v139, v104, v139
	v_mul_i32_i24_e32 v140, v103, v140
	s_delay_alu instid0(VALU_DEP_1) | instskip(SKIP_3) | instid1(VALU_DEP_3)
	v_add3_u32 v118, v118, v139, v140
	v_bfe_u32 v139, v117, 16, 2
	v_bfe_u32 v117, v117, 24, 2
	v_ashrrev_i32_e32 v140, s18, v120
	v_mul_i32_i24_e32 v139, v139, v100
	s_delay_alu instid0(VALU_DEP_3) | instskip(NEXT) | instid1(VALU_DEP_1)
	v_mul_i32_i24_e32 v117, v117, v102
	v_add3_u32 v139, v116, v139, v117
	s_delay_alu instid0(VALU_DEP_4) | instskip(NEXT) | instid1(VALU_DEP_1)
	v_and_b32_e32 v116, 3, v140
	v_mul_i32_i24_e32 v120, v110, v116
	v_add_nc_u32_e32 v116, 0x1088, v98
	ds_load_2addr_b32 v[116:117], v116 offset1:1
	s_wait_dscnt 0x0
	v_ashrrev_i32_e32 v116, s18, v116
	s_delay_alu instid0(VALU_DEP_1) | instskip(NEXT) | instid1(VALU_DEP_1)
	v_and_b32_e32 v141, 3, v116
	v_mul_i32_i24_e32 v141, v141, v114
	s_delay_alu instid0(VALU_DEP_1) | instskip(SKIP_2) | instid1(VALU_DEP_2)
	v_add3_u32 v136, v136, v141, v120
	v_and_b32_e32 v120, 3, v122
	v_bfe_u32 v141, v122, 8, 2
	v_mul_i32_i24_e32 v120, v120, v106
	s_delay_alu instid0(VALU_DEP_2) | instskip(NEXT) | instid1(VALU_DEP_1)
	v_mul_i32_i24_e32 v141, v141, v22
	v_add3_u32 v141, v121, v120, v141
	v_and_b32_e32 v120, 3, v125
	v_and_b32_e32 v121, 3, v127
	s_delay_alu instid0(VALU_DEP_2) | instskip(NEXT) | instid1(VALU_DEP_2)
	v_mul_i32_i24_e32 v120, v110, v120
	v_mul_i32_i24_e32 v121, v121, v114
	s_delay_alu instid0(VALU_DEP_1) | instskip(SKIP_2) | instid1(VALU_DEP_2)
	v_add3_u32 v126, v126, v121, v120
	v_and_b32_e32 v120, 3, v130
	v_bfe_u32 v121, v130, 8, 2
	v_mul_i32_i24_e32 v120, v120, v106
	s_delay_alu instid0(VALU_DEP_2) | instskip(NEXT) | instid1(VALU_DEP_1)
	v_mul_i32_i24_e32 v121, v121, v22
	v_add3_u32 v129, v129, v120, v121
	v_and_b32_e32 v120, 3, v131
	s_delay_alu instid0(VALU_DEP_1)
	v_mul_i32_i24_e32 v142, v110, v120
	v_add_nc_u32_e32 v120, 0x3188, v98
	v_add_nc_u32_e32 v110, v112, v110
	;; [unrolled: 1-line block ×3, first 2 shown]
	ds_load_2addr_b32 v[120:121], v120 offset1:1
	v_add3_u32 v110, v110, v114, v88
	ds_load_u16 v112, v112 offset:16880
	s_wait_dscnt 0x1
	v_ashrrev_i32_e32 v120, s18, v120
	s_delay_alu instid0(VALU_DEP_1) | instskip(NEXT) | instid1(VALU_DEP_1)
	v_and_b32_e32 v143, 3, v120
	v_mul_i32_i24_e32 v143, v143, v114
	s_wait_dscnt 0x0
	v_bfe_u32 v114, v112, 4, 4
	s_delay_alu instid0(VALU_DEP_2) | instskip(SKIP_2) | instid1(VALU_DEP_4)
	v_add3_u32 v137, v137, v143, v142
	v_and_b32_e32 v142, 3, v133
	v_bfe_u32 v143, v133, 8, 2
	v_mul_lo_u32 v114, 0x1010101, v114
	s_delay_alu instid0(VALU_DEP_3) | instskip(NEXT) | instid1(VALU_DEP_3)
	v_mul_i32_i24_e32 v142, v142, v106
	v_mul_i32_i24_e32 v143, v143, v22
	v_add_nc_u32_e32 v22, v22, v23
	v_add3_u32 v23, v105, v97, v90
	v_bfe_i32 v108, v114, 16, 8
	s_delay_alu instid0(VALU_DEP_4)
	v_add3_u32 v132, v132, v142, v143
	v_bfe_i32 v142, v114, 0, 8
	v_bfe_i32 v143, v114, 8, 8
	v_add3_u32 v105, v22, v96, v89
	v_mul_i32_i24_e32 v108, v144, v108
	v_lshrrev_b16 v22, 8, v112
	v_mul_i32_i24_e32 v142, v110, v142
	s_delay_alu instid0(VALU_DEP_2) | instskip(NEXT) | instid1(VALU_DEP_2)
	v_and_b32_e32 v106, 0xffff, v22
	v_mad_i32_i24 v142, v109, v143, v142
	v_add3_u32 v143, v107, v91, v26
	v_lshrrev_b32_e32 v107, 24, v114
	s_delay_alu instid0(VALU_DEP_4) | instskip(NEXT) | instid1(VALU_DEP_2)
	v_lshrrev_b32_e32 v22, 4, v106
	v_mul_i32_i24_e32 v107, v143, v107
	s_delay_alu instid0(VALU_DEP_1) | instskip(SKIP_1) | instid1(VALU_DEP_1)
	v_add3_u32 v114, v142, v108, v107
	v_bfe_u32 v107, v119, 4, 4
	v_mul_lo_u32 v107, 0x1010101, v107
	s_delay_alu instid0(VALU_DEP_1) | instskip(SKIP_1) | instid1(VALU_DEP_2)
	v_bfe_i32 v108, v107, 0, 8
	v_bfe_i32 v142, v107, 8, 8
	v_mul_i32_i24_e32 v108, v110, v108
	s_delay_alu instid0(VALU_DEP_1) | instskip(SKIP_2) | instid1(VALU_DEP_2)
	v_mad_i32_i24 v108, v109, v142, v108
	v_lshrrev_b32_e32 v142, 24, v107
	v_bfe_i32 v107, v107, 16, 8
	v_mul_i32_i24_e32 v142, v143, v142
	s_delay_alu instid0(VALU_DEP_2) | instskip(NEXT) | instid1(VALU_DEP_1)
	v_mul_i32_i24_e32 v107, v144, v107
	v_add3_u32 v142, v108, v107, v142
	v_add_nc_u32_e32 v107, s19, v72
	ds_load_u16 v145, v107 offset:18928
	s_wait_dscnt 0x0
	v_bfe_u32 v107, v145, 4, 4
	s_delay_alu instid0(VALU_DEP_1) | instskip(NEXT) | instid1(VALU_DEP_1)
	v_mul_lo_u32 v107, 0x1010101, v107
	v_bfe_i32 v108, v107, 0, 8
	v_bfe_i32 v146, v107, 8, 8
	s_delay_alu instid0(VALU_DEP_2) | instskip(NEXT) | instid1(VALU_DEP_1)
	v_mul_i32_i24_e32 v108, v110, v108
	v_mad_i32_i24 v108, v109, v146, v108
	v_lshrrev_b32_e32 v146, 24, v107
	v_bfe_i32 v107, v107, 16, 8
	s_delay_alu instid0(VALU_DEP_2) | instskip(NEXT) | instid1(VALU_DEP_2)
	v_mul_i32_i24_e32 v146, v143, v146
	v_mul_i32_i24_e32 v107, v144, v107
	s_delay_alu instid0(VALU_DEP_1) | instskip(SKIP_2) | instid1(VALU_DEP_2)
	v_add3_u32 v146, v108, v107, v146
	v_bfe_u32 v107, v115, 24, 2
	v_bfe_u32 v108, v20, 8, 2
	v_mul_i32_i24_e32 v107, v95, v107
	s_delay_alu instid0(VALU_DEP_2) | instskip(NEXT) | instid1(VALU_DEP_1)
	v_mul_i32_i24_e32 v108, v108, v111
	v_add3_u32 v115, v118, v107, v108
	ds_load_2addr_b32 v[107:108], v98 offset0:6 offset1:7
	s_wait_dscnt 0x0
	v_ashrrev_i32_e32 v107, s18, v107
	s_delay_alu instid0(VALU_DEP_1) | instskip(SKIP_1) | instid1(VALU_DEP_2)
	v_and_b32_e32 v118, 3, v107
	v_bfe_u32 v147, v107, 8, 2
	v_mul_i32_i24_e32 v118, v118, v97
	s_delay_alu instid0(VALU_DEP_2) | instskip(NEXT) | instid1(VALU_DEP_1)
	v_mul_i32_i24_e32 v147, v147, v96
	v_add3_u32 v118, v139, v118, v147
	v_bfe_u32 v139, v140, 8, 2
	v_bfe_u32 v147, v140, 16, 2
	s_delay_alu instid0(VALU_DEP_2) | instskip(NEXT) | instid1(VALU_DEP_2)
	v_mul_i32_i24_e32 v139, v104, v139
	v_mul_i32_i24_e32 v147, v103, v147
	s_delay_alu instid0(VALU_DEP_1) | instskip(SKIP_2) | instid1(VALU_DEP_2)
	v_add3_u32 v136, v136, v139, v147
	v_bfe_u32 v139, v122, 16, 2
	v_bfe_u32 v122, v122, 24, 2
	v_mul_i32_i24_e32 v139, v139, v100
	s_delay_alu instid0(VALU_DEP_2) | instskip(NEXT) | instid1(VALU_DEP_1)
	v_mul_i32_i24_e32 v122, v122, v102
	v_add3_u32 v122, v141, v139, v122
	v_bfe_u32 v139, v125, 8, 2
	v_bfe_u32 v141, v125, 16, 2
	s_delay_alu instid0(VALU_DEP_2) | instskip(NEXT) | instid1(VALU_DEP_2)
	v_mul_i32_i24_e32 v139, v104, v139
	v_mul_i32_i24_e32 v141, v103, v141
	s_delay_alu instid0(VALU_DEP_1) | instskip(SKIP_2) | instid1(VALU_DEP_2)
	v_add3_u32 v126, v126, v139, v141
	v_bfe_u32 v139, v130, 16, 2
	v_bfe_u32 v130, v130, 24, 2
	v_mul_i32_i24_e32 v139, v139, v100
	s_delay_alu instid0(VALU_DEP_2) | instskip(NEXT) | instid1(VALU_DEP_1)
	v_mul_i32_i24_e32 v130, v130, v102
	v_add3_u32 v129, v129, v139, v130
	v_bfe_u32 v130, v131, 8, 2
	s_delay_alu instid0(VALU_DEP_1) | instskip(SKIP_1) | instid1(VALU_DEP_1)
	v_mul_i32_i24_e32 v104, v104, v130
	v_bfe_u32 v130, v131, 16, 2
	v_mul_i32_i24_e32 v103, v103, v130
	v_bfe_u32 v130, v133, 24, 2
	s_delay_alu instid0(VALU_DEP_2) | instskip(SKIP_1) | instid1(VALU_DEP_3)
	v_add3_u32 v103, v137, v104, v103
	v_bfe_u32 v104, v133, 16, 2
	v_mul_i32_i24_e32 v130, v130, v102
	s_delay_alu instid0(VALU_DEP_2) | instskip(NEXT) | instid1(VALU_DEP_1)
	v_mul_i32_i24_e32 v104, v104, v100
	v_add3_u32 v104, v132, v104, v130
	v_mul_lo_u32 v130, 0x1010101, v22
	s_delay_alu instid0(VALU_DEP_1) | instskip(SKIP_1) | instid1(VALU_DEP_2)
	v_bfe_i32 v22, v130, 0, 8
	v_bfe_i32 v132, v130, 8, 8
	v_mul_i32_i24_e32 v22, v23, v22
	s_delay_alu instid0(VALU_DEP_2) | instskip(NEXT) | instid1(VALU_DEP_1)
	v_mul_i32_i24_e32 v132, v105, v132
	v_add3_u32 v114, v114, v22, v132
	v_lshrrev_b16 v22, 8, v119
	s_delay_alu instid0(VALU_DEP_1) | instskip(NEXT) | instid1(VALU_DEP_1)
	v_and_b32_e32 v132, 0xffff, v22
	v_lshrrev_b32_e32 v22, 4, v132
	s_delay_alu instid0(VALU_DEP_1) | instskip(NEXT) | instid1(VALU_DEP_1)
	v_mul_lo_u32 v133, 0x1010101, v22
	v_bfe_i32 v22, v133, 0, 8
	v_bfe_i32 v137, v133, 8, 8
	s_delay_alu instid0(VALU_DEP_2) | instskip(NEXT) | instid1(VALU_DEP_2)
	v_mul_i32_i24_e32 v22, v23, v22
	v_mul_i32_i24_e32 v137, v105, v137
	s_delay_alu instid0(VALU_DEP_1) | instskip(SKIP_1) | instid1(VALU_DEP_1)
	v_add3_u32 v137, v142, v22, v137
	v_lshrrev_b16 v22, 8, v145
	v_and_b32_e32 v139, 0xffff, v22
	s_delay_alu instid0(VALU_DEP_1) | instskip(NEXT) | instid1(VALU_DEP_1)
	v_lshrrev_b32_e32 v22, 4, v139
	v_mul_lo_u32 v141, 0x1010101, v22
	s_delay_alu instid0(VALU_DEP_1) | instskip(SKIP_1) | instid1(VALU_DEP_2)
	v_bfe_i32 v22, v141, 0, 8
	v_bfe_i32 v142, v141, 8, 8
	v_mul_i32_i24_e32 v22, v23, v22
	s_delay_alu instid0(VALU_DEP_2) | instskip(NEXT) | instid1(VALU_DEP_1)
	v_mul_i32_i24_e32 v142, v105, v142
	v_add3_u32 v142, v146, v22, v142
	v_add_nc_u32_e32 v22, v102, v101
	s_delay_alu instid0(VALU_DEP_1) | instskip(SKIP_1) | instid1(VALU_DEP_1)
	v_add3_u32 v101, v22, v93, v86
	v_lshrrev_b16 v22, 8, v138
	v_and_b32_e32 v102, 0xffff, v22
	v_bfe_u32 v22, v138, 4, 4
	s_delay_alu instid0(VALU_DEP_1) | instskip(NEXT) | instid1(VALU_DEP_3)
	v_mul_lo_u32 v146, 0x1010101, v22
	v_lshrrev_b32_e32 v22, 4, v102
	s_delay_alu instid0(VALU_DEP_1) | instskip(NEXT) | instid1(VALU_DEP_3)
	v_mul_lo_u32 v147, 0x1010101, v22
	v_lshrrev_b32_e32 v148, 24, v146
	s_delay_alu instid0(VALU_DEP_2) | instskip(NEXT) | instid1(VALU_DEP_1)
	v_lshrrev_b32_e32 v22, 24, v147
	v_mul_i32_i24_e32 v22, v101, v22
	s_delay_alu instid0(VALU_DEP_1) | instskip(SKIP_2) | instid1(VALU_DEP_2)
	v_mad_i32_i24 v143, v143, v148, v22
	v_add_nc_u32_e32 v22, v100, v99
	v_bfe_i32 v100, v146, 16, 8
	v_add3_u32 v99, v22, v94, v87
	v_bfe_i32 v22, v147, 16, 8
	s_delay_alu instid0(VALU_DEP_1) | instskip(NEXT) | instid1(VALU_DEP_1)
	v_mul_i32_i24_e32 v22, v99, v22
	v_mad_i32_i24 v100, v144, v100, v22
	v_bfe_i32 v22, v147, 0, 8
	s_delay_alu instid0(VALU_DEP_1) | instskip(SKIP_1) | instid1(VALU_DEP_1)
	v_mul_i32_i24_e32 v22, v23, v22
	v_bfe_i32 v23, v146, 0, 8
	v_mad_i32_i24 v110, v110, v23, v22
	v_bfe_u32 v22, v20, 16, 2
	v_bfe_u32 v20, v20, 24, 2
	;; [unrolled: 1-line block ×3, first 2 shown]
	s_delay_alu instid0(VALU_DEP_3) | instskip(NEXT) | instid1(VALU_DEP_3)
	v_mul_i32_i24_e32 v22, v22, v92
	v_mul_i32_i24_e32 v20, v20, v91
	s_delay_alu instid0(VALU_DEP_3) | instskip(NEXT) | instid1(VALU_DEP_2)
	v_mul_i32_i24_e32 v23, v23, v93
	v_add3_u32 v20, v115, v22, v20
	v_bfe_u32 v22, v107, 16, 2
	s_delay_alu instid0(VALU_DEP_1) | instskip(NEXT) | instid1(VALU_DEP_1)
	v_mul_i32_i24_e32 v22, v22, v94
	v_add3_u32 v107, v118, v22, v23
	v_bfe_u32 v22, v140, 24, 2
	v_bfe_u32 v23, v116, 8, 2
	v_ashrrev_i32_e32 v118, s18, v123
	s_delay_alu instid0(VALU_DEP_3) | instskip(NEXT) | instid1(VALU_DEP_3)
	v_mul_i32_i24_e32 v22, v95, v22
	v_mul_i32_i24_e32 v23, v23, v111
	s_delay_alu instid0(VALU_DEP_1) | instskip(NEXT) | instid1(VALU_DEP_4)
	v_add3_u32 v115, v136, v22, v23
	v_and_b32_e32 v22, 3, v118
	v_bfe_u32 v23, v118, 8, 2
	s_delay_alu instid0(VALU_DEP_2) | instskip(NEXT) | instid1(VALU_DEP_2)
	v_mul_i32_i24_e32 v22, v22, v97
	v_mul_i32_i24_e32 v23, v23, v96
	s_delay_alu instid0(VALU_DEP_1) | instskip(SKIP_2) | instid1(VALU_DEP_2)
	v_add3_u32 v122, v122, v22, v23
	v_bfe_u32 v22, v125, 24, 2
	v_bfe_u32 v23, v127, 8, 2
	v_mul_i32_i24_e32 v22, v95, v22
	s_delay_alu instid0(VALU_DEP_2) | instskip(NEXT) | instid1(VALU_DEP_1)
	v_mul_i32_i24_e32 v23, v23, v111
	v_add3_u32 v123, v126, v22, v23
	v_add_nc_u32_e32 v22, 0x2118, v98
	ds_load_2addr_b32 v[22:23], v22 offset1:1
	s_wait_dscnt 0x0
	v_ashrrev_i32_e32 v22, s18, v22
	v_ashrrev_i32_e32 v23, s18, v23
	s_delay_alu instid0(VALU_DEP_2) | instskip(SKIP_1) | instid1(VALU_DEP_2)
	v_and_b32_e32 v98, 3, v22
	v_bfe_u32 v125, v22, 8, 2
	v_mul_i32_i24_e32 v98, v98, v97
	s_delay_alu instid0(VALU_DEP_2) | instskip(NEXT) | instid1(VALU_DEP_1)
	v_mul_i32_i24_e32 v125, v125, v96
	v_add3_u32 v98, v129, v98, v125
	v_bfe_u32 v125, v131, 24, 2
	s_delay_alu instid0(VALU_DEP_1) | instskip(SKIP_1) | instid1(VALU_DEP_1)
	v_mul_i32_i24_e32 v95, v95, v125
	v_bfe_u32 v125, v120, 8, 2
	v_mul_i32_i24_e32 v111, v125, v111
	s_delay_alu instid0(VALU_DEP_1) | instskip(SKIP_1) | instid1(VALU_DEP_1)
	v_add3_u32 v95, v103, v95, v111
	v_ashrrev_i32_e32 v103, s18, v134
	v_and_b32_e32 v111, 3, v103
	s_delay_alu instid0(VALU_DEP_1) | instskip(SKIP_1) | instid1(VALU_DEP_1)
	v_mul_i32_i24_e32 v97, v111, v97
	v_bfe_u32 v111, v103, 8, 2
	v_mul_i32_i24_e32 v96, v111, v96
	v_bfe_i32 v111, v133, 16, 8
	s_delay_alu instid0(VALU_DEP_2) | instskip(SKIP_2) | instid1(VALU_DEP_4)
	v_add3_u32 v96, v104, v97, v96
	v_lshrrev_b32_e32 v97, 24, v130
	v_bfe_i32 v104, v130, 16, 8
	v_mul_i32_i24_e32 v111, v99, v111
	s_delay_alu instid0(VALU_DEP_3) | instskip(NEXT) | instid1(VALU_DEP_3)
	v_mul_i32_i24_e32 v97, v101, v97
	v_mul_i32_i24_e32 v104, v99, v104
	s_delay_alu instid0(VALU_DEP_1) | instskip(SKIP_2) | instid1(VALU_DEP_2)
	v_add3_u32 v97, v114, v104, v97
	v_lshrrev_b32_e32 v104, 24, v133
	v_bfe_u32 v114, v127, 24, 2
	v_mul_i32_i24_e32 v104, v101, v104
	s_delay_alu instid0(VALU_DEP_2) | instskip(NEXT) | instid1(VALU_DEP_2)
	v_mul_i32_i24_e32 v114, v114, v91
	v_add3_u32 v104, v137, v111, v104
	v_lshrrev_b32_e32 v111, 24, v141
	s_delay_alu instid0(VALU_DEP_1) | instskip(SKIP_1) | instid1(VALU_DEP_1)
	v_mul_i32_i24_e32 v101, v101, v111
	v_bfe_i32 v111, v141, 16, 8
	v_mul_i32_i24_e32 v99, v99, v111
	v_bfe_u32 v111, v118, 24, 2
	s_delay_alu instid0(VALU_DEP_2) | instskip(SKIP_1) | instid1(VALU_DEP_3)
	v_add3_u32 v99, v142, v99, v101
	v_lshrrev_b16 v101, 8, v146
	v_mul_i32_i24_e32 v111, v111, v93
	s_delay_alu instid0(VALU_DEP_2) | instskip(NEXT) | instid1(VALU_DEP_1)
	v_bfe_i32 v101, v101, 0, 8
	v_mul_i32_i24_e32 v101, v109, v101
	v_bfe_i32 v109, v147, 8, 8
	s_delay_alu instid0(VALU_DEP_1) | instskip(SKIP_1) | instid1(VALU_DEP_2)
	v_mul_i32_i24_e32 v105, v105, v109
	v_bfe_u32 v109, v21, 8, 2
	v_add3_u32 v101, v101, v105, v143
	v_and_b32_e32 v105, 3, v21
	s_delay_alu instid0(VALU_DEP_3) | instskip(NEXT) | instid1(VALU_DEP_2)
	v_mul_i32_i24_e32 v109, v109, v113
	v_mul_i32_i24_e32 v105, v105, v88
	s_delay_alu instid0(VALU_DEP_1) | instskip(SKIP_1) | instid1(VALU_DEP_1)
	v_add3_u32 v20, v20, v105, v109
	v_ashrrev_i32_e32 v105, s18, v108
	v_and_b32_e32 v108, 3, v105
	v_bfe_u32 v109, v105, 8, 2
	s_delay_alu instid0(VALU_DEP_2) | instskip(NEXT) | instid1(VALU_DEP_2)
	v_mul_i32_i24_e32 v108, v108, v90
	v_mul_i32_i24_e32 v109, v109, v89
	s_delay_alu instid0(VALU_DEP_1) | instskip(SKIP_2) | instid1(VALU_DEP_2)
	v_add3_u32 v107, v107, v108, v109
	v_bfe_u32 v108, v116, 16, 2
	v_bfe_u32 v109, v116, 24, 2
	v_mul_i32_i24_e32 v108, v108, v92
	s_delay_alu instid0(VALU_DEP_2) | instskip(NEXT) | instid1(VALU_DEP_1)
	v_mul_i32_i24_e32 v109, v109, v91
	v_add3_u32 v108, v115, v108, v109
	v_bfe_u32 v109, v118, 16, 2
	s_delay_alu instid0(VALU_DEP_1) | instskip(NEXT) | instid1(VALU_DEP_1)
	v_mul_i32_i24_e32 v109, v109, v94
	v_add3_u32 v109, v122, v109, v111
	v_bfe_u32 v111, v127, 16, 2
	s_delay_alu instid0(VALU_DEP_1) | instskip(NEXT) | instid1(VALU_DEP_1)
	v_mul_i32_i24_e32 v111, v111, v92
	v_add3_u32 v111, v123, v111, v114
	v_bfe_u32 v114, v22, 16, 2
	v_bfe_u32 v22, v22, 24, 2
	s_delay_alu instid0(VALU_DEP_2) | instskip(NEXT) | instid1(VALU_DEP_2)
	v_mul_i32_i24_e32 v114, v114, v94
	v_mul_i32_i24_e32 v22, v22, v93
	s_delay_alu instid0(VALU_DEP_1) | instskip(SKIP_1) | instid1(VALU_DEP_1)
	v_add3_u32 v22, v98, v114, v22
	v_bfe_u32 v98, v120, 16, 2
	v_mul_i32_i24_e32 v92, v98, v92
	v_bfe_u32 v98, v120, 24, 2
	s_delay_alu instid0(VALU_DEP_1) | instskip(NEXT) | instid1(VALU_DEP_1)
	v_mul_i32_i24_e32 v91, v98, v91
	v_add3_u32 v91, v95, v92, v91
	v_bfe_u32 v92, v103, 16, 2
	s_delay_alu instid0(VALU_DEP_1) | instskip(SKIP_1) | instid1(VALU_DEP_1)
	v_mul_i32_i24_e32 v92, v92, v94
	v_bfe_u32 v94, v103, 24, 2
	v_mul_i32_i24_e32 v93, v94, v93
	v_bfe_u32 v94, v21, 16, 2
	v_bfe_u32 v21, v21, 24, 2
	s_delay_alu instid0(VALU_DEP_3) | instskip(NEXT) | instid1(VALU_DEP_3)
	v_add3_u32 v92, v96, v92, v93
	v_mul_i32_i24_e32 v94, v94, v27
	s_delay_alu instid0(VALU_DEP_3) | instskip(SKIP_1) | instid1(VALU_DEP_2)
	v_mul_i32_i24_e32 v21, v21, v26
	v_add3_u32 v93, v110, v100, v101
	v_add3_u32 v20, v20, v94, v21
	v_bfe_u32 v21, v105, 16, 2
	v_bfe_u32 v94, v105, 24, 2
	v_bfe_u32 v105, v23, 8, 2
	v_cvt_f32_i32_e32 v93, v93
	s_delay_alu instid0(VALU_DEP_4) | instskip(NEXT) | instid1(VALU_DEP_4)
	v_mul_i32_i24_e32 v21, v21, v87
	v_mul_i32_i24_e32 v94, v94, v86
	s_delay_alu instid0(VALU_DEP_4) | instskip(NEXT) | instid1(VALU_DEP_2)
	v_mul_i32_i24_e32 v105, v105, v89
	v_add3_u32 v21, v107, v21, v94
	v_ashrrev_i32_e32 v94, s18, v117
	s_delay_alu instid0(VALU_DEP_1) | instskip(SKIP_1) | instid1(VALU_DEP_2)
	v_and_b32_e32 v95, 3, v94
	v_bfe_u32 v96, v94, 8, 2
	v_mul_i32_i24_e32 v95, v95, v88
	s_delay_alu instid0(VALU_DEP_2) | instskip(NEXT) | instid1(VALU_DEP_1)
	v_mul_i32_i24_e32 v96, v96, v113
	v_add3_u32 v95, v108, v95, v96
	v_ashrrev_i32_e32 v96, s18, v124
	s_delay_alu instid0(VALU_DEP_1) | instskip(SKIP_1) | instid1(VALU_DEP_2)
	v_and_b32_e32 v98, 3, v96
	v_bfe_u32 v100, v96, 8, 2
	v_mul_i32_i24_e32 v98, v98, v90
	s_delay_alu instid0(VALU_DEP_2) | instskip(NEXT) | instid1(VALU_DEP_1)
	v_mul_i32_i24_e32 v100, v100, v89
	v_add3_u32 v98, v109, v98, v100
	v_ashrrev_i32_e32 v100, s18, v128
	s_delay_alu instid0(VALU_DEP_1) | instskip(SKIP_1) | instid1(VALU_DEP_2)
	v_and_b32_e32 v101, 3, v100
	v_bfe_u32 v103, v100, 8, 2
	v_mul_i32_i24_e32 v101, v101, v88
	s_delay_alu instid0(VALU_DEP_2) | instskip(NEXT) | instid1(VALU_DEP_1)
	v_mul_i32_i24_e32 v103, v103, v113
	v_add3_u32 v101, v111, v101, v103
	v_and_b32_e32 v103, 3, v23
	s_delay_alu instid0(VALU_DEP_1) | instskip(NEXT) | instid1(VALU_DEP_1)
	v_mul_i32_i24_e32 v103, v103, v90
	v_add3_u32 v22, v22, v103, v105
	v_ashrrev_i32_e32 v103, s18, v121
	s_delay_alu instid0(VALU_DEP_1) | instskip(NEXT) | instid1(VALU_DEP_1)
	v_and_b32_e32 v105, 3, v103
	v_mul_i32_i24_e32 v88, v105, v88
	v_bfe_u32 v105, v103, 8, 2
	s_delay_alu instid0(VALU_DEP_1) | instskip(NEXT) | instid1(VALU_DEP_1)
	v_mul_i32_i24_e32 v105, v105, v113
	v_add3_u32 v88, v91, v88, v105
	v_ashrrev_i32_e32 v91, s18, v135
	s_lshr_b32 s18, s1, 2
	s_wait_alu 0xfffe
	s_and_b32 s18, s18, 0x3ffffffc
	s_delay_alu instid0(VALU_DEP_1) | instskip(SKIP_2) | instid1(VALU_DEP_1)
	v_and_b32_e32 v105, 3, v91
	s_wait_alu 0xfffe
	s_addk_co_i32 s18, 0x5280
	v_mul_i32_i24_e32 v90, v105, v90
	v_bfe_u32 v105, v91, 8, 2
	s_delay_alu instid0(VALU_DEP_1) | instskip(NEXT) | instid1(VALU_DEP_1)
	v_mul_i32_i24_e32 v89, v105, v89
	v_add3_u32 v89, v92, v90, v89
	v_bfe_u32 v90, v94, 16, 2
	v_bfe_u32 v92, v94, 24, 2
	;; [unrolled: 1-line block ×3, first 2 shown]
	s_delay_alu instid0(VALU_DEP_3) | instskip(NEXT) | instid1(VALU_DEP_3)
	v_mul_i32_i24_e32 v90, v90, v27
	v_mul_i32_i24_e32 v92, v92, v26
	s_delay_alu instid0(VALU_DEP_3) | instskip(NEXT) | instid1(VALU_DEP_2)
	v_mul_i32_i24_e32 v94, v94, v86
	v_add3_u32 v90, v95, v90, v92
	v_bfe_u32 v92, v96, 16, 2
	v_bfe_u32 v95, v100, 24, 2
	v_and_b32_e32 v96, 15, v138
	s_delay_alu instid0(VALU_DEP_3) | instskip(NEXT) | instid1(VALU_DEP_3)
	v_mul_i32_i24_e32 v92, v92, v87
	v_mul_i32_i24_e32 v95, v95, v26
	s_delay_alu instid0(VALU_DEP_2) | instskip(SKIP_2) | instid1(VALU_DEP_2)
	v_add3_u32 v92, v98, v92, v94
	v_bfe_u32 v94, v100, 16, 2
	v_and_b32_e32 v98, 15, v139
	v_mul_i32_i24_e32 v94, v94, v27
	s_delay_alu instid0(VALU_DEP_1) | instskip(SKIP_2) | instid1(VALU_DEP_2)
	v_add3_u32 v94, v101, v94, v95
	v_bfe_u32 v95, v23, 16, 2
	v_bfe_u32 v23, v23, 24, 2
	v_mul_i32_i24_e32 v95, v95, v87
	s_delay_alu instid0(VALU_DEP_2) | instskip(NEXT) | instid1(VALU_DEP_1)
	v_mul_i32_i24_e32 v23, v23, v86
	v_add3_u32 v23, v22, v95, v23
	v_bfe_u32 v22, v103, 16, 2
	s_delay_alu instid0(VALU_DEP_1) | instskip(SKIP_1) | instid1(VALU_DEP_1)
	v_mul_i32_i24_e32 v22, v22, v27
	v_bfe_u32 v27, v103, 24, 2
	v_mul_i32_i24_e32 v26, v27, v26
	s_wait_alu 0xfffe
	v_add3_u32 v27, s18, v78, v79
	s_delay_alu instid0(VALU_DEP_2) | instskip(SKIP_1) | instid1(VALU_DEP_1)
	v_add3_u32 v26, v88, v22, v26
	v_bfe_u32 v22, v91, 16, 2
	v_mul_i32_i24_e32 v22, v22, v87
	v_bfe_u32 v87, v91, 24, 2
	v_and_b32_e32 v91, 15, v106
	s_delay_alu instid0(VALU_DEP_2)
	v_mul_i32_i24_e32 v86, v87, v86
	v_add3_u32 v87, s18, v82, v83
	ds_load_b32 v88, v27
	ds_load_b32 v87, v87
	v_add3_u32 v27, v89, v22, v86
	v_add3_u32 v22, s18, v84, v85
	;; [unrolled: 1-line block ×3, first 2 shown]
	ds_load_b32 v89, v22
	ds_load_b32 v86, v86
	v_and_b32_e32 v22, 15, v112
	s_add_co_i32 s18, s1, 2
	s_cmp_lt_u32 s1, 30
	s_wait_alu 0xfffe
	s_mov_b32 s1, s18
	v_mul_lo_u32 v20, v20, v22
	v_and_b32_e32 v22, 15, v132
	s_delay_alu instid0(VALU_DEP_2)
	v_mad_co_u64_u32 v[20:21], null, v21, v91, v[20:21]
	v_and_b32_e32 v21, 15, v119
	ds_load_b32 v91, v25
	v_add_nc_u32_e32 v25, 4, v25
	s_wait_dscnt 0x1
	v_lshrrev_b32_e32 v95, 16, v86
	v_mul_lo_u32 v21, v90, v21
	v_lshrrev_b32_e32 v90, 16, v89
	v_cvt_f32_i32_e32 v20, v20
	s_delay_alu instid0(VALU_DEP_4) | instskip(NEXT) | instid1(VALU_DEP_3)
	v_cvt_f32_f16_e32 v95, v95
	v_cvt_f32_f16_e32 v90, v90
	v_mad_co_u64_u32 v[21:22], null, v92, v22, v[21:22]
	v_and_b32_e32 v22, 15, v145
	v_lshrrev_b32_e32 v92, 16, v88
	s_delay_alu instid0(VALU_DEP_4) | instskip(NEXT) | instid1(VALU_DEP_3)
	v_mul_f32_e32 v90, v90, v93
	v_mul_lo_u32 v22, v94, v22
	v_lshrrev_b32_e32 v94, 16, v87
	s_delay_alu instid0(VALU_DEP_4) | instskip(SKIP_1) | instid1(VALU_DEP_3)
	v_cvt_f32_f16_e32 v92, v92
	v_cvt_f32_i32_e32 v21, v21
	v_cvt_f32_f16_e32 v94, v94
	v_mad_co_u64_u32 v[22:23], null, v23, v98, v[22:23]
	v_mul_lo_u32 v23, v26, v96
	v_and_b32_e32 v26, 15, v102
	v_cvt_f32_i32_e32 v96, v97
	v_cvt_f32_i32_e32 v97, v104
	;; [unrolled: 1-line block ×4, first 2 shown]
	v_mad_co_u64_u32 v[26:27], null, v27, v26, v[23:24]
	v_mul_f32_e32 v23, v92, v96
	s_delay_alu instid0(VALU_DEP_4) | instskip(SKIP_1) | instid1(VALU_DEP_3)
	v_dual_mul_f32 v27, v95, v97 :: v_dual_mul_f32 v92, v94, v98
	v_add_nc_u32_e32 v24, 32, v24
	v_fma_mix_f32 v20, v88, v20, -v23 op_sel_hi:[1,0,0]
	v_cvt_f32_i32_e32 v26, v26
	s_delay_alu instid0(VALU_DEP_4)
	v_fma_mix_f32 v21, v86, v21, -v27 op_sel_hi:[1,0,0]
	v_fma_mix_f32 v22, v87, v22, -v92 op_sel_hi:[1,0,0]
	s_wait_dscnt 0x0
	v_fmac_f32_e32 v30, v91, v20
	v_fma_mix_f32 v23, v89, v26, -v90 op_sel_hi:[1,0,0]
	v_fmac_f32_e32 v62, v91, v21
	v_fmac_f32_e32 v55, v91, v22
	s_delay_alu instid0(VALU_DEP_3)
	v_fmac_f32_e32 v17, v91, v23
	s_cbranch_scc1 .LBB228_35
; %bb.36:                               ;   in Loop: Header=BB228_5 Depth=1
	s_wait_loadcnt 0x0
	s_barrier_signal -1
	s_barrier_wait -1
	global_inv scope:SCOPE_SE
	s_branch .LBB228_4
.LBB228_37:
	s_mul_i32 s0, s10, s7
	s_wait_loadcnt 0x0
	s_wait_alu 0xfffe
	v_cmp_gt_i32_e32 vcc_lo, s0, v28
	s_and_saveexec_b32 s0, vcc_lo
	s_cbranch_execz .LBB228_46
; %bb.38:
	v_mul_lo_u32 v0, v28, s9
	v_add_nc_u32_e32 v1, s11, v29
	s_mov_b32 s0, exec_lo
	s_delay_alu instid0(VALU_DEP_1)
	v_cmpx_gt_u32_e64 s9, v1
	s_cbranch_execz .LBB228_40
; %bb.39:
	v_bfe_u32 v3, v30, 16, 1
	s_delay_alu instid0(VALU_DEP_4) | instskip(SKIP_1) | instid1(VALU_DEP_3)
	v_add_nc_u32_e32 v2, v0, v1
	v_cmp_o_f32_e32 vcc_lo, v30, v30
	v_add3_u32 v4, v30, v3, 0x7fff
	v_mov_b32_e32 v3, 0
	s_delay_alu instid0(VALU_DEP_2) | instskip(NEXT) | instid1(VALU_DEP_2)
	v_lshrrev_b32_e32 v4, 16, v4
	v_lshlrev_b64_e32 v[2:3], 1, v[2:3]
	s_wait_alu 0xfffd
	s_delay_alu instid0(VALU_DEP_2) | instskip(NEXT) | instid1(VALU_DEP_2)
	v_cndmask_b32_e32 v4, 0x7fc0, v4, vcc_lo
	v_add_co_u32 v2, vcc_lo, s12, v2
	s_wait_alu 0xfffd
	s_delay_alu instid0(VALU_DEP_3)
	v_add_co_ci_u32_e64 v3, null, s13, v3, vcc_lo
	global_store_b16 v[2:3], v4, off
.LBB228_40:
	s_wait_alu 0xfffe
	s_or_b32 exec_lo, exec_lo, s0
	v_add_nc_u32_e32 v2, 32, v1
	s_mov_b32 s0, exec_lo
	s_delay_alu instid0(VALU_DEP_1)
	v_cmpx_gt_u32_e64 s9, v2
	s_cbranch_execz .LBB228_42
; %bb.41:
	v_bfe_u32 v3, v62, 16, 1
	v_add_nc_u32_e32 v2, v0, v2
	v_cmp_o_f32_e32 vcc_lo, v62, v62
	s_delay_alu instid0(VALU_DEP_3) | instskip(SKIP_1) | instid1(VALU_DEP_2)
	v_add3_u32 v4, v62, v3, 0x7fff
	v_mov_b32_e32 v3, 0
	v_lshrrev_b32_e32 v4, 16, v4
	s_delay_alu instid0(VALU_DEP_2) | instskip(SKIP_1) | instid1(VALU_DEP_2)
	v_lshlrev_b64_e32 v[2:3], 1, v[2:3]
	s_wait_alu 0xfffd
	v_cndmask_b32_e32 v4, 0x7fc0, v4, vcc_lo
	s_delay_alu instid0(VALU_DEP_2) | instskip(SKIP_1) | instid1(VALU_DEP_3)
	v_add_co_u32 v2, vcc_lo, s12, v2
	s_wait_alu 0xfffd
	v_add_co_ci_u32_e64 v3, null, s13, v3, vcc_lo
	global_store_b16 v[2:3], v4, off
.LBB228_42:
	s_wait_alu 0xfffe
	s_or_b32 exec_lo, exec_lo, s0
	v_add_nc_u32_e32 v2, 64, v1
	s_mov_b32 s0, exec_lo
	s_delay_alu instid0(VALU_DEP_1)
	v_cmpx_gt_u32_e64 s9, v2
	s_cbranch_execz .LBB228_44
; %bb.43:
	v_bfe_u32 v3, v55, 16, 1
	v_add_nc_u32_e32 v2, v0, v2
	v_cmp_o_f32_e32 vcc_lo, v55, v55
	s_delay_alu instid0(VALU_DEP_3) | instskip(SKIP_1) | instid1(VALU_DEP_2)
	v_add3_u32 v4, v55, v3, 0x7fff
	v_mov_b32_e32 v3, 0
	v_lshrrev_b32_e32 v4, 16, v4
	s_delay_alu instid0(VALU_DEP_2) | instskip(SKIP_1) | instid1(VALU_DEP_2)
	v_lshlrev_b64_e32 v[2:3], 1, v[2:3]
	s_wait_alu 0xfffd
	v_cndmask_b32_e32 v4, 0x7fc0, v4, vcc_lo
	s_delay_alu instid0(VALU_DEP_2) | instskip(SKIP_1) | instid1(VALU_DEP_3)
	v_add_co_u32 v2, vcc_lo, s12, v2
	s_wait_alu 0xfffd
	v_add_co_ci_u32_e64 v3, null, s13, v3, vcc_lo
	global_store_b16 v[2:3], v4, off
.LBB228_44:
	s_wait_alu 0xfffe
	s_or_b32 exec_lo, exec_lo, s0
	v_add_nc_u32_e32 v1, 0x60, v1
	s_delay_alu instid0(VALU_DEP_1)
	v_cmp_gt_u32_e32 vcc_lo, s9, v1
	s_and_b32 exec_lo, exec_lo, vcc_lo
	s_cbranch_execz .LBB228_46
; %bb.45:
	v_bfe_u32 v2, v17, 16, 1
	v_dual_mov_b32 v1, 0 :: v_dual_add_nc_u32 v0, v0, v1
	v_cmp_o_f32_e32 vcc_lo, v17, v17
	s_delay_alu instid0(VALU_DEP_3) | instskip(NEXT) | instid1(VALU_DEP_3)
	v_add3_u32 v2, v17, v2, 0x7fff
	v_lshlrev_b64_e32 v[0:1], 1, v[0:1]
	s_delay_alu instid0(VALU_DEP_2) | instskip(SKIP_1) | instid1(VALU_DEP_1)
	v_lshrrev_b32_e32 v2, 16, v2
	s_wait_alu 0xfffd
	v_cndmask_b32_e32 v2, 0x7fc0, v2, vcc_lo
	s_delay_alu instid0(VALU_DEP_3)
	v_add_co_u32 v0, vcc_lo, s12, v0
	s_wait_alu 0xfffd
	v_add_co_ci_u32_e64 v1, null, s13, v1, vcc_lo
	global_store_b16 v[0:1], v2, off
.LBB228_46:
	s_nop 0
	s_sendmsg sendmsg(MSG_DEALLOC_VGPRS)
	s_endpgm
	.section	.rodata,"a",@progbits
	.p2align	6, 0x0
	.amdhsa_kernel _ZL8moe_q2_KIN3c108BFloat16ELb1EEvPKvS3_PT_PKiS7_S7_iiiiiii
		.amdhsa_group_segment_fixed_size 23328
		.amdhsa_private_segment_fixed_size 0
		.amdhsa_kernarg_size 76
		.amdhsa_user_sgpr_count 2
		.amdhsa_user_sgpr_dispatch_ptr 0
		.amdhsa_user_sgpr_queue_ptr 0
		.amdhsa_user_sgpr_kernarg_segment_ptr 1
		.amdhsa_user_sgpr_dispatch_id 0
		.amdhsa_user_sgpr_private_segment_size 0
		.amdhsa_wavefront_size32 1
		.amdhsa_uses_dynamic_stack 0
		.amdhsa_enable_private_segment 0
		.amdhsa_system_sgpr_workgroup_id_x 1
		.amdhsa_system_sgpr_workgroup_id_y 1
		.amdhsa_system_sgpr_workgroup_id_z 0
		.amdhsa_system_sgpr_workgroup_info 0
		.amdhsa_system_vgpr_workitem_id 1
		.amdhsa_next_free_vgpr 151
		.amdhsa_next_free_sgpr 22
		.amdhsa_reserve_vcc 1
		.amdhsa_float_round_mode_32 0
		.amdhsa_float_round_mode_16_64 0
		.amdhsa_float_denorm_mode_32 3
		.amdhsa_float_denorm_mode_16_64 3
		.amdhsa_fp16_overflow 0
		.amdhsa_workgroup_processor_mode 1
		.amdhsa_memory_ordered 1
		.amdhsa_forward_progress 1
		.amdhsa_inst_pref_size 172
		.amdhsa_round_robin_scheduling 0
		.amdhsa_exception_fp_ieee_invalid_op 0
		.amdhsa_exception_fp_denorm_src 0
		.amdhsa_exception_fp_ieee_div_zero 0
		.amdhsa_exception_fp_ieee_overflow 0
		.amdhsa_exception_fp_ieee_underflow 0
		.amdhsa_exception_fp_ieee_inexact 0
		.amdhsa_exception_int_div_zero 0
	.end_amdhsa_kernel
	.section	.text._ZL8moe_q2_KIN3c108BFloat16ELb1EEvPKvS3_PT_PKiS7_S7_iiiiiii,"axG",@progbits,_ZL8moe_q2_KIN3c108BFloat16ELb1EEvPKvS3_PT_PKiS7_S7_iiiiiii,comdat
.Lfunc_end228:
	.size	_ZL8moe_q2_KIN3c108BFloat16ELb1EEvPKvS3_PT_PKiS7_S7_iiiiiii, .Lfunc_end228-_ZL8moe_q2_KIN3c108BFloat16ELb1EEvPKvS3_PT_PKiS7_S7_iiiiiii
                                        ; -- End function
	.set _ZL8moe_q2_KIN3c108BFloat16ELb1EEvPKvS3_PT_PKiS7_S7_iiiiiii.num_vgpr, 151
	.set _ZL8moe_q2_KIN3c108BFloat16ELb1EEvPKvS3_PT_PKiS7_S7_iiiiiii.num_agpr, 0
	.set _ZL8moe_q2_KIN3c108BFloat16ELb1EEvPKvS3_PT_PKiS7_S7_iiiiiii.numbered_sgpr, 22
	.set _ZL8moe_q2_KIN3c108BFloat16ELb1EEvPKvS3_PT_PKiS7_S7_iiiiiii.num_named_barrier, 0
	.set _ZL8moe_q2_KIN3c108BFloat16ELb1EEvPKvS3_PT_PKiS7_S7_iiiiiii.private_seg_size, 0
	.set _ZL8moe_q2_KIN3c108BFloat16ELb1EEvPKvS3_PT_PKiS7_S7_iiiiiii.uses_vcc, 1
	.set _ZL8moe_q2_KIN3c108BFloat16ELb1EEvPKvS3_PT_PKiS7_S7_iiiiiii.uses_flat_scratch, 0
	.set _ZL8moe_q2_KIN3c108BFloat16ELb1EEvPKvS3_PT_PKiS7_S7_iiiiiii.has_dyn_sized_stack, 0
	.set _ZL8moe_q2_KIN3c108BFloat16ELb1EEvPKvS3_PT_PKiS7_S7_iiiiiii.has_recursion, 0
	.set _ZL8moe_q2_KIN3c108BFloat16ELb1EEvPKvS3_PT_PKiS7_S7_iiiiiii.has_indirect_call, 0
	.section	.AMDGPU.csdata,"",@progbits
; Kernel info:
; codeLenInByte = 21964
; TotalNumSgprs: 24
; NumVgprs: 151
; ScratchSize: 0
; MemoryBound: 0
; FloatMode: 240
; IeeeMode: 1
; LDSByteSize: 23328 bytes/workgroup (compile time only)
; SGPRBlocks: 0
; VGPRBlocks: 18
; NumSGPRsForWavesPerEU: 24
; NumVGPRsForWavesPerEU: 151
; Occupancy: 9
; WaveLimiterHint : 1
; COMPUTE_PGM_RSRC2:SCRATCH_EN: 0
; COMPUTE_PGM_RSRC2:USER_SGPR: 2
; COMPUTE_PGM_RSRC2:TRAP_HANDLER: 0
; COMPUTE_PGM_RSRC2:TGID_X_EN: 1
; COMPUTE_PGM_RSRC2:TGID_Y_EN: 1
; COMPUTE_PGM_RSRC2:TGID_Z_EN: 0
; COMPUTE_PGM_RSRC2:TIDIG_COMP_CNT: 1
	.section	.text._ZL8moe_q3_KIN3c108BFloat16ELb0EEvPKvS3_PT_PKiS7_S7_iiiiiii,"axG",@progbits,_ZL8moe_q3_KIN3c108BFloat16ELb0EEvPKvS3_PT_PKiS7_S7_iiiiiii,comdat
	.globl	_ZL8moe_q3_KIN3c108BFloat16ELb0EEvPKvS3_PT_PKiS7_S7_iiiiiii ; -- Begin function _ZL8moe_q3_KIN3c108BFloat16ELb0EEvPKvS3_PT_PKiS7_S7_iiiiiii
	.p2align	8
	.type	_ZL8moe_q3_KIN3c108BFloat16ELb0EEvPKvS3_PT_PKiS7_S7_iiiiiii,@function
_ZL8moe_q3_KIN3c108BFloat16ELb0EEvPKvS3_PT_PKiS7_S7_iiiiiii: ; @_ZL8moe_q3_KIN3c108BFloat16ELb0EEvPKvS3_PT_PKiS7_S7_iiiiiii
; %bb.0:
	s_load_b128 s[4:7], s[0:1], 0x18
	s_mov_b32 s2, ttmp7
	s_mov_b32 s3, 0
	s_delay_alu instid0(SALU_CYCLE_1)
	s_lshl_b64 s[2:3], s[2:3], 2
	s_wait_kmcnt 0x0
	s_add_nc_u64 s[2:3], s[6:7], s[2:3]
	s_load_b32 s12, s[2:3], 0x0
	s_wait_kmcnt 0x0
	s_cmp_gt_u32 s12, 0xff
	s_cbranch_scc1 .LBB229_46
; %bb.1:
	s_load_b64 s[2:3], s[0:1], 0x28
	s_wait_kmcnt 0x0
	s_load_b32 s3, s[2:3], 0x0
	s_lshl_b32 s2, ttmp7, 3
	s_wait_kmcnt 0x0
	s_cmp_gt_u32 s2, s3
	s_cbranch_scc1 .LBB229_46
; %bb.2:
	v_bfe_u32 v3, v0, 10, 10
	v_mov_b32_e32 v2, 0
	s_lshl_b32 s18, ttmp9, 7
	s_delay_alu instid0(VALU_DEP_2) | instskip(NEXT) | instid1(VALU_DEP_2)
	v_add_nc_u32_e32 v1, s2, v3
	v_dual_mov_b32 v87, v2 :: v_dual_and_b32 v24, 0x3ff, v0
	v_dual_mov_b32 v82, v2 :: v_dual_mov_b32 v25, v2
	s_delay_alu instid0(VALU_DEP_3) | instskip(NEXT) | instid1(VALU_DEP_1)
	v_lshlrev_b64_e32 v[4:5], 2, v[1:2]
	v_add_co_u32 v4, vcc_lo, s4, v4
	s_delay_alu instid0(VALU_DEP_1)
	v_add_co_ci_u32_e64 v5, null, s5, v5, vcc_lo
	global_load_b32 v23, v[4:5], off
	s_clause 0x2
	s_load_b64 s[10:11], s[0:1], 0x30
	s_load_b64 s[8:9], s[0:1], 0x10
	s_load_b128 s[4:7], s[0:1], 0x3c
	s_wait_kmcnt 0x0
	s_cmp_lt_i32 s11, 0x100
	s_cbranch_scc1 .LBB229_37
; %bb.3:
	v_bfe_u32 v73, v0, 3, 7
	s_ashr_i32 s2, s11, 31
	v_and_b32_e32 v7, 7, v0
	s_wait_alu 0xfffe
	s_lshr_b32 s13, s2, 24
	s_mul_i32 s12, s12, s10
	v_lshl_add_u32 v80, v3, 2, v73
	s_add_co_i32 s13, s11, s13
	v_lshlrev_b32_e32 v36, 2, v7
	s_ashr_i32 s19, s13, 8
	v_lshlrev_b32_e32 v82, 1, v24
	v_add_nc_u32_e32 v83, 64, v80
	v_add_nc_u32_e32 v85, 0x60, v80
	s_lshl_b32 s10, s19, 3
	v_lshlrev_b32_e32 v113, 4, v24
	v_mad_i32_i24 v27, s19, v3, s10
	v_and_b32_e32 v84, 0x3ffc, v83
	v_and_b32_e32 v86, 0x3ffc, v85
	v_lshlrev_b32_e32 v110, 5, v83
	v_lshlrev_b32_e32 v112, 5, v85
	v_add_nc_u32_e32 v29, s10, v27
	v_add3_u32 v109, v84, v36, 0x6300
	v_add3_u32 v111, v86, v36, 0x6300
	v_and_b32_e32 v75, 4, v82
	s_load_b128 s[0:3], s[0:1], 0x0
	s_ashr_i32 s14, s5, 31
	v_add_nc_u32_e32 v109, v109, v110
	v_add_nc_u32_e32 v110, v111, v112
	v_lshlrev_b32_e32 v112, 2, v113
	v_dual_mov_b32 v82, 0 :: v_dual_lshlrev_b32 v113, 2, v82
	v_add_nc_u32_e32 v30, s10, v29
	s_lshr_b32 s14, s14, 27
	v_and_b32_e32 v22, 3, v0
	s_add_co_i32 s5, s5, s14
	s_mul_i32 s14, s19, s18
	v_add_nc_u32_e32 v32, s10, v30
	s_ashr_i32 s13, s12, 31
	s_ashr_i32 s15, s14, 31
	v_add_nc_u16 v74, v22, -2
	s_mul_u64 s[14:15], s[14:15], 0x6e
	v_add_nc_u32_e32 v34, s10, v32
	v_and_b32_e32 v1, 15, v0
	v_lshlrev_b32_e32 v77, 1, v22
	s_wait_kmcnt 0x0
	s_add_nc_u64 s[0:1], s[0:1], s[12:13]
	v_dual_mov_b32 v25, 0 :: v_dual_lshlrev_b32 v2, 2, v24
	v_add_nc_u32_e32 v37, s10, v34
	s_add_nc_u64 s[12:13], s[0:1], s[14:15]
	s_abs_i32 s1, s7
	v_cmp_lt_u32_e32 vcc_lo, 7, v1
	s_cvt_f32_u32 s0, s1
	v_add_nc_u32_e32 v39, s10, v37
	s_sub_co_i32 s14, 0, s1
	v_lshlrev_b32_e32 v4, 4, v3
	v_rcp_iflag_f32_e32 v79, s0
	s_wait_alu 0xfffd
	v_cndmask_b32_e64 v35, 0, 1, vcc_lo
	v_add_nc_u32_e32 v44, s10, v39
	v_cmp_gt_u32_e32 vcc_lo, 2, v22
	v_lshlrev_b32_e32 v6, 1, v3
	v_mad_u32_u24 v33, 0x84, v3, v2
	v_mul_i32_i24_e32 v38, s19, v3
	s_wait_alu 0xfffd
	v_dual_cndmask_b32 v74, v74, v22 :: v_dual_add_nc_u32 v49, s10, v44
	v_add_nc_u32_e32 v22, 32, v80
	v_lshl_add_u32 v83, v3, 7, 0x77a0
	s_lshl_b32 s0, s19, 5
	s_delay_alu instid0(VALU_DEP_3)
	v_add_nc_u32_e32 v54, s10, v49
	v_cmp_lt_u32_e32 vcc_lo, 3, v7
	v_and_b32_e32 v81, 0x3ffc, v22
	v_and_b32_e32 v7, 0x1ffc, v80
	v_mul_i32_i24_e32 v78, s19, v80
	v_add_nc_u32_e32 v58, s10, v54
	v_lshlrev_b32_e32 v87, 5, v80
	v_add3_u32 v108, v81, v36, 0x6300
	s_wait_loadcnt 0x0
	v_sub_nc_u32_e32 v81, 0, v23
	v_bfe_u32 v26, v0, 4, 6
	v_add_nc_u32_e32 v60, s10, v58
	v_bfe_u32 v5, v0, 1, 9
	v_and_b32_e32 v28, 1, v0
	v_max_i32_e32 v88, v23, v81
	v_add_nc_u32_e32 v10, v26, v6
	v_add_nc_u32_e32 v62, s10, v60
	;; [unrolled: 1-line block ×3, first 2 shown]
	v_add3_u32 v7, v7, v36, 0x6300
	s_lshl_b32 s16, s19, 4
	v_lshlrev_b32_e32 v31, 2, v1
	v_add_nc_u32_e32 v63, s10, v62
	v_add_nc_u16 v1, v26, v6
	v_and_b32_e32 v6, 0x7f, v8
	v_lshrrev_b32_e32 v8, 2, v8
	v_add_nc_u32_e32 v11, 16, v10
	v_add_nc_u32_e32 v65, s10, v63
	v_readfirstlane_b32 s10, v79
	s_wait_alu 0xfffe
	v_mad_i32_i24 v79, s19, v80, s0
	v_mad_i32_i24 v66, s19, v10, s16
	v_add_nc_u32_e32 v107, v7, v87
	v_mov_b32_e32 v87, 0
	s_mul_f32 s10, s10, 0x4f7ffffe
	v_add_nc_u32_e32 v80, s0, v79
	v_lshlrev_b32_e32 v9, 2, v28
	v_mul_i32_i24_e32 v61, s19, v6
	s_wait_alu 0xfffe
	s_cvt_u32_f32 s10, s10
	v_and_b32_e32 v8, 28, v8
	v_add_nc_u32_e32 v81, s0, v80
	v_lshl_or_b32 v6, v6, 3, v9
	s_wait_alu 0xfffe
	s_mul_i32 s14, s14, s10
	v_lshlrev_b32_e32 v9, 1, v11
	s_mul_hi_u32 s14, s10, s14
	v_add_nc_u32_e32 v67, s16, v66
	s_add_co_i32 s10, s10, s14
	v_mul_i32_i24_e32 v59, s19, v10
	s_wait_alu 0xfffe
	v_mul_hi_u32 v89, v88, s10
	v_lshrrev_b16 v1, 1, v1
	v_add_nc_u32_e32 v12, 32, v10
	v_add3_u32 v64, v6, v8, 0x7380
	v_and_b32_e32 v6, 0x3ffc, v9
	v_add_nc_u32_e32 v9, 48, v10
	v_lshlrev_b32_e32 v13, 6, v10
	v_add_nc_u32_e32 v15, 64, v10
	v_mul_lo_u32 v3, v89, s1
	v_add_nc_u32_e32 v17, 0x50, v10
	v_add_nc_u32_e32 v68, s16, v67
	;; [unrolled: 1-line block ×4, first 2 shown]
	v_and_b32_e32 v1, 0xffff, v1
	v_lshlrev_b32_e32 v8, 1, v12
	v_lshlrev_b32_e32 v14, 1, v9
	v_sub_nc_u32_e32 v3, v88, v3
	v_add_nc_u32_e32 v88, 1, v89
	v_lshlrev_b32_e32 v16, 1, v15
	v_lshlrev_b32_e32 v18, 1, v17
	v_add_nc_u32_e32 v69, s16, v68
	v_subrev_nc_u32_e32 v90, s1, v3
	v_cmp_le_u32_e64 s0, s1, v3
	v_lshlrev_b32_e32 v20, 1, v19
	v_lshlrev_b32_e32 v21, 1, v10
	v_and_b32_e32 v86, 31, v0
	v_add_nc_u32_e32 v84, 0x7ba0, v4
	s_wait_alu 0xf1ff
	v_cndmask_b32_e64 v88, v89, v88, s0
	v_cndmask_b32_e64 v3, v3, v90, s0
	v_xor_b32_e32 v89, s7, v23
	v_add_nc_u32_e32 v92, 0x60, v24
	s_ashr_i32 s5, s5, 5
	v_add_nc_u32_e32 v90, 1, v88
	v_cmp_le_u32_e64 s0, s1, v3
	v_ashrrev_i32_e32 v89, 31, v89
	v_lshlrev_b32_e32 v1, 2, v1
	v_and_b32_e32 v8, 0x3ffc, v8
	v_and_b32_e32 v14, 0x3ffc, v14
	s_wait_alu 0xf1ff
	v_cndmask_b32_e64 v3, v88, v90, s0
	v_and_b32_e32 v16, 0x3ffc, v16
	v_and_b32_e32 v18, 0x3ffc, v18
	v_add_nc_u32_e32 v70, s16, v69
	v_and_b32_e32 v20, 0x3ffc, v20
	v_xor_b32_e32 v3, v3, v89
	v_and_b32_e32 v21, 0x3ffc, v21
	v_and_b32_e32 v4, 28, v2
	v_lshl_add_u32 v85, v86, 2, v83
	v_add_nc_u32_e32 v86, v84, v2
	v_sub_nc_u32_e32 v3, v3, v89
	v_mul_u32_u24_e32 v2, 33, v24
	v_add_nc_u32_e32 v94, 32, v24
	v_lshlrev_b32_e32 v98, 5, v24
	v_add_nc_u32_e32 v95, 64, v24
	v_and_b32_e32 v93, 0x1fc, v92
	s_wait_alu 0xfffe
	v_mul_lo_u32 v91, v3, s5
	v_add3_u32 v1, v1, v31, 0x4200
	v_add3_u32 v6, v6, v31, 0x4200
	v_lshlrev_b32_e32 v11, 6, v11
	v_add3_u32 v8, v8, v31, 0x4200
	v_lshlrev_b32_e32 v12, 6, v12
	;; [unrolled: 2-line block ×5, first 2 shown]
	v_add_nc_u32_e32 v71, s16, v70
	v_add3_u32 v20, v20, v31, 0x4200
	v_lshlrev_b32_e32 v19, 6, v19
	v_add3_u32 v21, v21, v31, 0x4200
	v_lshlrev_b32_e32 v10, 6, v10
	v_and_b32_e32 v76, 0xff, v74
	v_lshlrev_b32_e32 v22, 5, v22
	v_lshlrev_b32_e32 v115, 4, v94
	v_lshrrev_b32_e32 v114, 1, v94
	v_lshlrev_b32_e32 v117, 1, v94
	v_lshrrev_b32_e32 v116, 4, v94
	v_lshlrev_b32_e32 v119, 4, v95
	v_lshrrev_b32_e32 v118, 1, v95
	v_lshlrev_b32_e32 v121, 1, v95
	v_lshrrev_b32_e32 v120, 4, v95
	v_lshlrev_b32_e32 v123, 4, v92
	v_lshrrev_b32_e32 v122, 1, v92
	v_lshlrev_b32_e32 v125, 1, v92
	v_lshrrev_b32_e32 v124, 4, v92
	v_lshrrev_b32_e32 v90, 3, v92
	v_lshlrev_b32_e32 v92, 2, v2
	v_add_nc_u32_e32 v93, v98, v93
	v_and_b32_e32 v2, 0x1fc, v95
	v_and_b32_e32 v97, 0x1fc, v94
	;; [unrolled: 1-line block ×3, first 2 shown]
	s_wait_alu 0xfffd
	v_cndmask_b32_e64 v74, 0, 1, vcc_lo
	v_cmp_gt_u32_e32 vcc_lo, 4, v24
	v_cmp_gt_i32_e64 s0, s4, v3
	v_add_co_u32 v3, s1, s2, v4
	v_add_nc_u32_e32 v40, 0x420, v33
	v_add_nc_u32_e32 v41, 0x840, v33
	;; [unrolled: 1-line block ×16, first 2 shown]
	v_lshlrev_b32_e32 v76, 2, v76
	v_lshrrev_b32_e32 v88, 3, v94
	v_lshrrev_b32_e32 v89, 3, v95
	s_wait_alu 0xf1ff
	v_add_co_ci_u32_e64 v4, null, s3, 0, s1
	v_ashrrev_i32_e32 v94, 31, v91
	v_add_nc_u32_e32 v95, 0x6f00, v93
	v_add_nc_u32_e32 v96, v98, v2
	;; [unrolled: 1-line block ×13, first 2 shown]
	v_lshlrev_b32_e32 v111, 2, v5
	v_lshlrev_b32_e32 v114, 2, v114
	;; [unrolled: 1-line block ×14, first 2 shown]
	v_mov_b32_e32 v2, 0
	s_mov_b32 s15, 0
	s_and_b32 s10, vcc_lo, s0
	s_mov_b32 s14, s15
	s_branch .LBB229_5
.LBB229_4:                              ;   in Loop: Header=BB229_5 Depth=1
	s_add_co_i32 s14, s14, 2
	s_delay_alu instid0(SALU_CYCLE_1)
	s_cmp_ge_i32 s14, s19
	s_cbranch_scc1 .LBB229_37
.LBB229_5:                              ; =>This Loop Header: Depth=1
                                        ;     Child Loop BB229_11 Depth 2
                                        ;     Child Loop BB229_19 Depth 2
	;; [unrolled: 1-line block ×4, first 2 shown]
	s_mul_u64 s[16:17], s[14:15], 0x6e
	s_wait_alu 0xfffe
	s_add_nc_u64 s[16:17], s[12:13], s[16:17]
	s_wait_alu 0xfffe
	v_mad_co_u64_u32 v[0:1], null, 0x6e, v26, s[16:17]
	s_delay_alu instid0(VALU_DEP_1) | instskip(SKIP_3) | instid1(VALU_DEP_4)
	v_mad_co_u64_u32 v[5:6], null, 0x6e, v38, v[0:1]
	v_mad_co_u64_u32 v[7:8], null, 0x6e, v27, v[0:1]
	;; [unrolled: 1-line block ×4, first 2 shown]
	v_add_co_u32 v5, s1, v5, v31
	v_mad_co_u64_u32 v[13:14], null, 0x6e, v32, v[0:1]
	s_wait_alu 0xf1ff
	v_add_co_ci_u32_e64 v6, null, 0, v6, s1
	v_add_co_u32 v7, s1, v7, v31
	v_mad_co_u64_u32 v[15:16], null, 0x6e, v34, v[0:1]
	s_wait_alu 0xf1ff
	v_add_co_ci_u32_e64 v8, null, 0, v8, s1
	;; [unrolled: 4-line block ×4, first 2 shown]
	v_add_co_u32 v13, s1, v13, v31
	s_wait_alu 0xf1ff
	v_add_co_ci_u32_e64 v14, null, 0, v14, s1
	v_add_co_u32 v15, s1, v15, v31
	s_wait_alu 0xf1ff
	v_add_co_ci_u32_e64 v16, null, 0, v16, s1
	v_add_co_u32 v17, s1, v17, v31
	s_wait_alu 0xf1ff
	v_add_co_ci_u32_e64 v18, null, 0, v18, s1
	v_add_co_u32 v19, s1, v19, v31
	v_mad_co_u64_u32 v[21:22], null, 0x6e, v44, v[0:1]
	s_wait_alu 0xf1ff
	v_add_co_ci_u32_e64 v20, null, 0, v20, s1
	s_clause 0x7
	global_load_b32 v129, v[5:6], off offset:32
	global_load_b32 v130, v[7:8], off offset:32
	;; [unrolled: 1-line block ×8, first 2 shown]
	v_mad_co_u64_u32 v[5:6], null, 0x6e, v49, v[0:1]
	v_mad_co_u64_u32 v[9:10], null, 0x6e, v54, v[0:1]
	;; [unrolled: 1-line block ×3, first 2 shown]
	v_add_co_u32 v7, s1, v21, v31
	v_mad_co_u64_u32 v[13:14], null, 0x6e, v60, v[0:1]
	s_wait_alu 0xf1ff
	v_add_co_ci_u32_e64 v8, null, 0, v22, s1
	v_add_co_u32 v5, s1, v5, v31
	v_mad_co_u64_u32 v[15:16], null, 0x6e, v62, v[0:1]
	s_wait_alu 0xf1ff
	v_add_co_ci_u32_e64 v6, null, 0, v6, s1
	;; [unrolled: 4-line block ×5, first 2 shown]
	v_add_co_u32 v15, s1, v15, v31
	s_wait_alu 0xf1ff
	v_add_co_ci_u32_e64 v16, null, 0, v16, s1
	v_add_co_u32 v17, s1, v17, v31
	s_wait_alu 0xf1ff
	v_add_co_ci_u32_e64 v18, null, 0, v18, s1
	v_add_co_u32 v0, s1, v0, v31
	v_mad_co_u64_u32 v[21:22], null, 0x6e, v61, s[16:17]
	s_wait_alu 0xf1ff
	v_add_co_ci_u32_e64 v1, null, 0, v1, s1
	v_add_co_u32 v19, s1, v19, v36
	s_wait_alu 0xf1ff
	v_add_co_ci_u32_e64 v20, null, 0, v20, s1
	s_clause 0x7
	global_load_b32 v137, v[7:8], off offset:32
	global_load_b32 v138, v[5:6], off offset:32
	;; [unrolled: 1-line block ×8, first 2 shown]
	v_mad_co_u64_u32 v[13:14], null, 0x6e, v74, s[16:17]
	v_mad_co_u64_u32 v[0:1], null, 0x6e, v28, v[21:22]
	;; [unrolled: 1-line block ×10, first 2 shown]
	s_clause 0x7
	global_load_u16 v145, v[0:1], off offset:108
	global_load_b32 v146, v[5:6], off
	global_load_b32 v147, v[7:8], off
	;; [unrolled: 1-line block ×7, first 2 shown]
	v_mad_co_u64_u32 v[5:6], null, 0x6e, v79, v[13:14]
	v_mad_co_u64_u32 v[9:10], null, 0x6e, v80, v[13:14]
	;; [unrolled: 1-line block ×4, first 2 shown]
	v_add_co_u32 v7, s1, v127, v76
	s_wait_alu 0xf1ff
	v_add_co_ci_u32_e64 v8, null, 0, v128, s1
	v_add_co_u32 v13, s1, v5, v76
	s_wait_alu 0xf1ff
	v_add_co_ci_u32_e64 v14, null, 0, v6, s1
	;; [unrolled: 3-line block ×4, first 2 shown]
	s_clause 0x8
	global_load_b32 v0, v[0:1], off
	global_load_b32 v1, v[7:8], off offset:96
	global_load_b32 v7, v[11:12], off offset:104
	;; [unrolled: 1-line block ×8, first 2 shown]
	s_lshl_b32 s16, s14, 8
	s_wait_loadcnt 0x20
	ds_store_b32 v33, v129
	s_wait_loadcnt 0x1f
	ds_store_b32 v40, v130
	;; [unrolled: 2-line block ×16, first 2 shown]
	s_wait_alu 0xfffe
	s_cmp_lt_i32 s16, s11
	s_wait_loadcnt 0x10
	v_cvt_f32_f16_e64 v12, v145
	s_wait_loadcnt 0xf
	v_not_b32_e32 v13, v146
	s_wait_loadcnt 0xe
	v_not_b32_e32 v14, v147
	;; [unrolled: 2-line block ×6, first 2 shown]
	ds_store_b32 v64, v12
	ds_store_b32 v99, v13
	;; [unrolled: 1-line block ×6, first 2 shown]
	s_wait_loadcnt 0x9
	v_not_b32_e32 v19, v21
	ds_store_b32 v104, v18
	ds_store_b32 v105, v19
	s_wait_loadcnt 0x8
	v_not_b32_e32 v0, v0
	s_wait_loadcnt 0x7
	v_ashrrev_i32_e32 v1, v75, v1
	s_wait_loadcnt 0x6
	v_ashrrev_i32_e32 v7, v77, v7
	;; [unrolled: 2-line block ×8, first 2 shown]
	v_and_b32_e32 v1, 0xf0f0f0f, v1
	v_lshlrev_b32_e32 v6, 4, v6
	v_and_b32_e32 v9, 0xf0f0f0f, v9
	v_lshlrev_b32_e32 v5, 4, v5
	;; [unrolled: 2-line block ×4, first 2 shown]
	v_and_or_b32 v1, 0x30303030, v6, v1
	v_and_or_b32 v5, 0x30303030, v5, v9
	;; [unrolled: 1-line block ×3, first 2 shown]
	s_delay_alu instid0(VALU_DEP_4) | instskip(NEXT) | instid1(VALU_DEP_4)
	v_and_or_b32 v7, 0x30303030, v7, v11
	v_lshrrev_b32_e32 v8, 16, v1
	v_and_b32_e32 v9, 0x3f00, v1
	v_lshlrev_b16 v1, 8, v1
	v_lshrrev_b32_e32 v10, 16, v5
	v_lshrrev_b32_e32 v12, 16, v6
	v_and_b32_e32 v11, 0x3f00, v5
	v_lshlrev_b16 v5, 8, v5
	v_lshrrev_b32_e32 v14, 16, v7
	v_and_b32_e32 v16, 0x3f00, v8
	v_lshlrev_b16 v8, 8, v8
	v_add_nc_u16 v1, 0xe000, v1
	v_and_b32_e32 v17, 0x3f00, v10
	v_lshlrev_b16 v10, 8, v10
	v_and_b32_e32 v13, 0x3f00, v6
	v_lshlrev_b16 v6, 8, v6
	;; [unrolled: 2-line block ×4, first 2 shown]
	v_add_nc_u16 v5, 0xe000, v5
	v_and_b32_e32 v20, 0x3f00, v14
	v_lshlrev_b16 v14, 8, v14
	v_add_nc_u16 v8, 0xe000, v8
	v_lshrrev_b16 v1, 8, v1
	v_add_nc_u16 v10, 0xe000, v10
	v_add_nc_u16 v6, 0xe000, v6
	;; [unrolled: 1-line block ×4, first 2 shown]
	v_lshrrev_b16 v5, 8, v5
	v_add_nc_u16 v14, 0xe000, v14
	v_lshrrev_b16 v8, 8, v8
	v_or_b32_e32 v1, v9, v1
	v_lshrrev_b16 v9, 8, v10
	v_lshrrev_b16 v6, 8, v6
	;; [unrolled: 1-line block ×4, first 2 shown]
	v_or_b32_e32 v5, v11, v5
	v_lshrrev_b16 v11, 8, v14
	v_or_b32_e32 v8, v16, v8
	v_or_b32_e32 v9, v17, v9
	v_or_b32_e32 v6, v13, v6
	v_or_b32_e32 v10, v18, v10
	v_or_b32_e32 v7, v15, v7
	v_or_b32_e32 v11, v20, v11
	v_add_nc_u16 v1, 0xe000, v1
	v_add_nc_u16 v8, 0xe000, v8
	;; [unrolled: 1-line block ×8, first 2 shown]
	v_and_b32_e32 v1, 0xffff, v1
	v_lshlrev_b32_e32 v8, 16, v8
	v_and_b32_e32 v5, 0xffff, v5
	v_lshlrev_b32_e32 v9, 16, v9
	;; [unrolled: 2-line block ×4, first 2 shown]
	v_or_b32_e32 v1, v1, v8
	v_or_b32_e32 v5, v5, v9
	;; [unrolled: 1-line block ×3, first 2 shown]
	s_delay_alu instid0(VALU_DEP_4)
	v_or_b32_e32 v7, v7, v11
	ds_store_b32 v106, v0
	ds_store_b32 v107, v1
	;; [unrolled: 1-line block ×5, first 2 shown]
	s_cbranch_scc0 .LBB229_4
; %bb.6:                                ;   in Loop: Header=BB229_5 Depth=1
	s_lshl_b32 s17, s14, 3
	s_wait_alu 0xfffe
	v_add_nc_u32_e32 v0, s17, v73
	s_delay_alu instid0(VALU_DEP_1)
	v_cmp_gt_i32_e64 s1, s5, v0
	s_and_b32 s20, s0, s1
	s_wait_alu 0xfffe
	s_and_saveexec_b32 s1, s20
	s_cbranch_execz .LBB229_8
; %bb.7:                                ;   in Loop: Header=BB229_5 Depth=1
	v_add_nc_u32_e32 v0, v91, v0
	s_delay_alu instid0(VALU_DEP_1)
	v_mad_co_i64_i32 v[0:1], null, v0, 36, v[3:4]
	global_load_b32 v0, v[0:1], off offset:4
	s_wait_loadcnt 0x0
	ds_store_b32 v85, v0
.LBB229_8:                              ;   in Loop: Header=BB229_5 Depth=1
	s_wait_alu 0xfffe
	s_or_b32 exec_lo, exec_lo, s1
	v_add_nc_u32_e32 v127, s17, v24
	s_delay_alu instid0(VALU_DEP_1)
	v_cmp_gt_i32_e64 s1, s5, v127
	s_and_b32 s20, s10, s1
	s_wait_alu 0xfffe
	s_and_saveexec_b32 s1, s20
	s_cbranch_execz .LBB229_10
; %bb.9:                                ;   in Loop: Header=BB229_5 Depth=1
	v_add_nc_u32_e32 v0, v91, v127
	s_delay_alu instid0(VALU_DEP_1)
	v_mad_co_i64_i32 v[0:1], null, v0, 36, s[2:3]
	global_load_b32 v0, v[0:1], off
	s_wait_loadcnt 0x0
	v_cvt_f32_f16_e32 v0, v0
	ds_store_b32 v86, v0
.LBB229_10:                             ;   in Loop: Header=BB229_5 Depth=1
	s_wait_alu 0xfffe
	s_or_b32 exec_lo, exec_lo, s1
	v_dual_mov_b32 v128, v84 :: v_dual_mov_b32 v129, v83
	s_mov_b32 s22, -2
	s_mov_b32 s1, 0
	s_mov_b32 s20, 0
	s_wait_dscnt 0x0
	s_barrier_signal -1
	s_barrier_wait -1
	global_inv scope:SCOPE_SE
.LBB229_11:                             ;   Parent Loop BB229_5 Depth=1
                                        ; =>  This Inner Loop Header: Depth=2
	ds_load_b128 v[5:8], v129
	ds_load_b128 v[16:19], v129 offset:16
	s_wait_alu 0xfffe
	s_add_co_i32 s21, s22, 2
	v_add_nc_u32_e32 v129, 32, v129
	s_wait_alu 0xfffe
	s_and_b32 s25, s21, 0x3ffffff8
	s_lshr_b32 s24, s21, 4
	s_wait_alu 0xfffe
	v_lshl_add_u32 v140, s25, 2, v92
	s_and_b32 s25, s20, -16
	s_lshl_b32 s23, s24, 5
	s_wait_alu 0xfffe
	s_add_co_i32 s22, s22, s25
	s_addk_co_i32 s23, 0x4200
	v_add_nc_u32_e32 v0, 0x3188, v140
	s_wait_alu 0xfffe
	v_add_nc_u32_e32 v20, s22, v95
	s_lshl_b32 s24, s24, 2
	v_add_nc_u32_e32 v22, 0x3198, v140
	s_wait_alu 0xfffe
	s_addk_co_i32 s24, 0x7380
	v_add3_u32 v180, s23, v111, v112
	v_add3_u32 v182, s23, v114, v115
	;; [unrolled: 1-line block ×3, first 2 shown]
	s_add_co_i32 s20, s20, 2
	s_wait_dscnt 0x1
	v_lshrrev_b16 v153, 8, v5
	s_wait_dscnt 0x0
	v_lshrrev_b16 v159, 8, v16
	v_lshrrev_b16 v161, 8, v17
	v_ashrrev_i32_e32 v15, 24, v16
	v_bfe_i32 v13, v16, 16, 8
	v_bfe_i32 v162, v16, 0, 8
	v_perm_b32 v145, v16, v16, 0xc0c0302
	v_ashrrev_i32_e32 v16, 24, v17
	v_bfe_i32 v14, v17, 16, 8
	v_bfe_i32 v142, v17, 0, 8
	v_perm_b32 v138, v17, v17, 0xc030201
	v_add3_u32 v17, s23, v122, v123
	v_lshrrev_b16 v155, 8, v6
	v_lshrrev_b16 v151, 8, v7
	;; [unrolled: 1-line block ×3, first 2 shown]
	v_ashrrev_i32_e32 v11, 24, v5
	v_bfe_i32 v9, v5, 16, 8
	v_bfe_i32 v156, v5, 0, 8
	v_perm_b32 v149, v5, v5, 0xc0c0302
	v_ashrrev_i32_e32 v12, 24, v6
	v_bfe_i32 v10, v6, 16, 8
	v_bfe_i32 v143, v6, 0, 8
	v_perm_b32 v139, v6, v6, 0xc030201
	;; [unrolled: 4-line block ×4, first 2 shown]
	v_lshrrev_b16 v160, 8, v18
	v_lshrrev_b16 v144, 8, v19
	v_ashrrev_i32_e32 v152, 24, v18
	v_bfe_i32 v157, v18, 16, 8
	v_bfe_i32 v136, v18, 0, 8
	v_perm_b32 v134, v18, v18, 0xc030201
	v_ashrrev_i32_e32 v154, 24, v19
	v_bfe_i32 v158, v19, 16, 8
	v_bfe_i32 v132, v19, 0, 8
	v_perm_b32 v130, v19, v19, 0xc030201
	ds_load_2addr_b32 v[0:1], v0 offset1:1
	ds_load_2addr_b32 v[18:19], v17 offset0:4 offset1:5
	ds_load_2addr_b32 v[7:8], v17 offset0:6 offset1:7
	ds_load_2addr_b32 v[5:6], v17 offset0:2 offset1:3
	ds_load_u16 v167, v20 offset:2
	s_wait_alu 0xfffe
	v_add3_u32 v20, s24, v124, v125
	v_bfe_i32 v159, v159, 0, 8
	v_bfe_i32 v161, v161, 0, 8
	v_bfe_i32 v160, v160, 0, 8
	v_bfe_i32 v155, v155, 0, 8
	ds_load_b32 v163, v20
	v_add_nc_u32_e32 v20, 0x3190, v140
	ds_load_2addr_b32 v[20:21], v20 offset1:1
	ds_load_2addr_b32 v[164:165], v22 offset1:1
	v_bfe_i32 v153, v153, 0, 8
	v_bfe_i32 v151, v151, 0, 8
	;; [unrolled: 1-line block ×3, first 2 shown]
	s_wait_dscnt 0x7
	v_ashrrev_i32_e32 v203, s21, v0
	s_wait_dscnt 0x6
	v_ashrrev_i32_e32 v19, s1, v19
	v_ashrrev_i32_e32 v18, s1, v18
	s_wait_dscnt 0x5
	v_ashrrev_i32_e32 v7, s1, v7
	v_ashrrev_i32_e32 v8, s1, v8
	;; [unrolled: 1-line block ×3, first 2 shown]
	v_lshlrev_b32_e32 v19, 2, v19
	v_lshlrev_b32_e32 v18, 2, v18
	;; [unrolled: 1-line block ×4, first 2 shown]
	s_wait_dscnt 0x4
	v_ashrrev_i32_e32 v5, s1, v5
	v_and_b32_e32 v19, 0x4040404, v19
	v_and_b32_e32 v18, 0x4040404, v18
	;; [unrolled: 1-line block ×4, first 2 shown]
	s_wait_dscnt 0x1
	v_ashrrev_i32_e32 v21, s21, v21
	v_ashrrev_i32_e32 v20, s21, v20
	v_lshrrev_b32_e32 v166, 24, v19
	v_lshrrev_b32_e32 v168, 24, v18
	s_wait_dscnt 0x0
	v_ashrrev_i32_e32 v190, s21, v164
	v_bfe_u32 v22, v21, 24, 2
	v_and_b32_e32 v21, 0x3030303, v21
	v_ashrrev_i32_e32 v191, s21, v165
	v_ashrrev_i32_e32 v6, s1, v6
	v_and_b32_e32 v194, 0x3030303, v190
	v_sub_nc_u16 v22, v22, v166
	v_bfe_u32 v166, v20, 24, 2
	v_and_b32_e32 v20, 0x3030303, v20
	v_and_b32_e32 v195, 0x3030303, v191
	v_sub_nc_u16 v7, v194, v192
	v_bfe_i32 v22, v22, 0, 16
	v_sub_nc_u16 v166, v166, v168
	v_and_b32_e32 v207, 0x3030303, v203
	v_sub_nc_u16 v8, v195, v193
	v_bfe_i32 v7, v7, 0, 8
	v_mul_i32_i24_e32 v16, v22, v16
	v_bfe_i32 v22, v166, 0, 16
	v_and_b32_e32 v208, 0x3030303, v204
	v_bfe_i32 v8, v8, 0, 8
	v_mul_i32_i24_e32 v7, v7, v136
	v_lshrrev_b16 v214, 8, v192
	v_mad_i32_i24 v188, v22, v15, v16
	v_lshrrev_b32_e32 v15, 16, v21
	v_lshrrev_b32_e32 v16, 16, v19
	;; [unrolled: 1-line block ×3, first 2 shown]
	v_mul_i32_i24_e32 v8, v8, v132
	v_bfe_i32 v141, v141, 0, 8
	s_delay_alu instid0(VALU_DEP_4) | instskip(SKIP_1) | instid1(VALU_DEP_2)
	v_sub_nc_u16 v15, v15, v16
	v_lshrrev_b32_e32 v16, 16, v20
	v_bfe_i32 v15, v15, 0, 8
	s_delay_alu instid0(VALU_DEP_2) | instskip(NEXT) | instid1(VALU_DEP_2)
	v_sub_nc_u16 v16, v16, v22
	v_mul_i32_i24_e32 v14, v15, v14
	s_delay_alu instid0(VALU_DEP_2) | instskip(NEXT) | instid1(VALU_DEP_1)
	v_bfe_i32 v15, v16, 0, 8
	v_mad_i32_i24 v189, v15, v13, v14
	v_sub_nc_u16 v13, v21, v19
	v_sub_nc_u16 v14, v20, v18
	v_add3_u32 v15, s24, v120, v121
	v_lshrrev_b16 v18, 8, v18
	s_delay_alu instid0(VALU_DEP_4) | instskip(NEXT) | instid1(VALU_DEP_4)
	v_bfe_i32 v13, v13, 0, 8
	v_bfe_i32 v14, v14, 0, 8
	s_delay_alu instid0(VALU_DEP_2) | instskip(NEXT) | instid1(VALU_DEP_1)
	v_mul_i32_i24_e32 v13, v13, v142
	v_mad_i32_i24 v13, v14, v162, v13
	s_delay_alu instid0(VALU_DEP_1)
	v_add3_u32 v196, v13, v7, v8
	v_add_nc_u32_e32 v13, 0x3180, v140
	ds_load_2addr_b32 v[7:8], v17 offset1:1
	ds_load_2addr_b32 v[13:14], v13 offset1:1
	ds_load_b32 v164, v15
	s_wait_dscnt 0x2
	v_ashrrev_i32_e32 v8, s1, v8
	v_ashrrev_i32_e32 v7, s1, v7
	s_wait_dscnt 0x1
	v_ashrrev_i32_e32 v14, s21, v14
	v_ashrrev_i32_e32 v13, s21, v13
	v_lshlrev_b32_e32 v8, 2, v8
	v_lshlrev_b32_e32 v7, 2, v7
	s_delay_alu instid0(VALU_DEP_4) | instskip(NEXT) | instid1(VALU_DEP_4)
	v_and_b32_e32 v200, 0x3030303, v14
	v_and_b32_e32 v201, 0x3030303, v13
	s_delay_alu instid0(VALU_DEP_4) | instskip(NEXT) | instid1(VALU_DEP_4)
	v_and_b32_e32 v197, 0x4040404, v8
	v_and_b32_e32 v198, 0x4040404, v7
	v_bfe_u32 v8, v14, 24, 2
	v_bfe_u32 v7, v13, 24, 2
	s_delay_alu instid0(VALU_DEP_4) | instskip(NEXT) | instid1(VALU_DEP_4)
	v_sub_nc_u16 v0, v200, v197
	v_sub_nc_u16 v1, v201, v198
	v_lshrrev_b32_e32 v15, 24, v197
	s_delay_alu instid0(VALU_DEP_3) | instskip(NEXT) | instid1(VALU_DEP_3)
	v_bfe_i32 v0, v0, 0, 8
	v_bfe_i32 v1, v1, 0, 8
	s_delay_alu instid0(VALU_DEP_3) | instskip(SKIP_1) | instid1(VALU_DEP_4)
	v_sub_nc_u16 v8, v8, v15
	v_lshrrev_b32_e32 v15, 24, v198
	v_mul_i32_i24_e32 v0, v0, v143
	s_delay_alu instid0(VALU_DEP_3) | instskip(NEXT) | instid1(VALU_DEP_3)
	v_bfe_i32 v8, v8, 0, 16
	v_sub_nc_u16 v7, v7, v15
	s_delay_alu instid0(VALU_DEP_3) | instskip(SKIP_4) | instid1(VALU_DEP_4)
	v_mad_i32_i24 v0, v1, v156, v0
	v_lshlrev_b32_e32 v1, 2, v5
	v_lshlrev_b32_e32 v5, 2, v6
	v_mul_i32_i24_e32 v8, v8, v12
	v_bfe_i32 v7, v7, 0, 16
	v_and_b32_e32 v205, 0x4040404, v1
	s_delay_alu instid0(VALU_DEP_4) | instskip(NEXT) | instid1(VALU_DEP_3)
	v_and_b32_e32 v206, 0x4040404, v5
	v_mad_i32_i24 v199, v7, v11, v8
	v_lshrrev_b32_e32 v7, 16, v200
	s_delay_alu instid0(VALU_DEP_4) | instskip(NEXT) | instid1(VALU_DEP_4)
	v_sub_nc_u16 v1, v207, v205
	v_sub_nc_u16 v5, v208, v206
	v_lshrrev_b32_e32 v8, 16, v197
	v_lshrrev_b32_e32 v11, 16, v198
	v_lshrrev_b16 v198, 8, v198
	v_bfe_i32 v1, v1, 0, 8
	v_bfe_i32 v5, v5, 0, 8
	v_sub_nc_u16 v7, v7, v8
	v_lshrrev_b32_e32 v8, 16, v201
	v_lshrrev_b16 v201, 8, v201
	v_mul_i32_i24_e32 v1, v1, v137
	v_mul_i32_i24_e32 v5, v5, v133
	v_bfe_i32 v7, v7, 0, 8
	v_sub_nc_u16 v8, v8, v11
	v_lshrrev_b16 v200, 8, v200
	v_lshrrev_b16 v197, 8, v197
	v_add3_u32 v209, v0, v1, v5
	ds_load_2addr_b32 v[168:169], v180 offset0:4 offset1:5
	ds_load_2addr_b32 v[0:1], v180 offset0:6 offset1:7
	;; [unrolled: 1-line block ×3, first 2 shown]
	v_mul_i32_i24_e32 v7, v7, v10
	v_bfe_i32 v8, v8, 0, 8
	v_add_nc_u32_e32 v10, 0x1098, v140
	v_sub_nc_u16 v198, v201, v198
	v_sub_nc_u16 v197, v200, v197
	v_lshrrev_b16 v200, 8, v207
	v_mad_i32_i24 v202, v8, v9, v7
	v_lshrrev_b16 v201, 8, v205
	v_bfe_i32 v198, v198, 0, 16
	v_bfe_i32 v197, v197, 0, 16
	s_delay_alu instid0(VALU_DEP_3) | instskip(NEXT) | instid1(VALU_DEP_2)
	v_sub_nc_u16 v200, v200, v201
	v_mul_i32_i24_e32 v155, v197, v155
	s_wait_dscnt 0x2
	v_ashrrev_i32_e32 v5, s1, v168
	s_wait_dscnt 0x1
	v_ashrrev_i32_e32 v0, s1, v0
	;; [unrolled: 2-line block ×3, first 2 shown]
	v_ashrrev_i32_e32 v12, s1, v12
	v_lshlrev_b32_e32 v5, 2, v5
	v_lshlrev_b32_e32 v0, 2, v0
	s_delay_alu instid0(VALU_DEP_4) | instskip(NEXT) | instid1(VALU_DEP_4)
	v_lshlrev_b32_e32 v11, 2, v11
	v_lshlrev_b32_e32 v12, 2, v12
	s_delay_alu instid0(VALU_DEP_4)
	v_and_b32_e32 v168, 0x4040404, v5
	ds_load_2addr_b32 v[170:171], v140 offset0:4 offset1:5
	ds_load_2addr_b32 v[5:6], v140 offset0:6 offset1:7
	;; [unrolled: 1-line block ×3, first 2 shown]
	v_and_b32_e32 v11, 0x4040404, v11
	v_and_b32_e32 v0, 0x4040404, v0
	;; [unrolled: 1-line block ×3, first 2 shown]
	v_lshrrev_b16 v8, 8, v168
	s_wait_dscnt 0x2
	v_ashrrev_i32_e32 v170, s21, v170
	s_wait_dscnt 0x1
	v_ashrrev_i32_e32 v5, s21, v5
	;; [unrolled: 2-line block ×3, first 2 shown]
	v_ashrrev_i32_e32 v6, s21, v6
	v_and_b32_e32 v210, 0x3030303, v170
	s_delay_alu instid0(VALU_DEP_1) | instskip(NEXT) | instid1(VALU_DEP_1)
	v_lshrrev_b16 v7, 8, v210
	v_sub_nc_u16 v181, v7, v8
	v_add_nc_u32_e32 v7, s22, v97
	s_delay_alu instid0(VALU_DEP_2)
	v_lshlrev_b16 v181, 8, v181
	ds_load_u16 v166, v7 offset:26370
	v_add3_u32 v7, s24, v116, v117
	v_bfe_i32 v181, v181, 8, 8
	ds_load_b32 v165, v7
	ds_load_2addr_b32 v[172:173], v182 offset0:4 offset1:5
	ds_load_2addr_b32 v[7:8], v182 offset0:6 offset1:7
	;; [unrolled: 1-line block ×3, first 2 shown]
	s_wait_dscnt 0x2
	v_ashrrev_i32_e32 v9, s1, v172
	s_wait_dscnt 0x1
	v_ashrrev_i32_e32 v7, s1, v7
	;; [unrolled: 2-line block ×3, first 2 shown]
	v_ashrrev_i32_e32 v16, s1, v16
	v_ashrrev_i32_e32 v8, s1, v8
	v_lshlrev_b32_e32 v9, 2, v9
	v_lshlrev_b32_e32 v7, 2, v7
	;; [unrolled: 1-line block ×5, first 2 shown]
	v_and_b32_e32 v172, 0x4040404, v9
	v_add_nc_u32_e32 v9, 0x1090, v140
	ds_load_2addr_b32 v[174:175], v9 offset1:1
	ds_load_2addr_b32 v[9:10], v10 offset1:1
	v_lshrrev_b16 v22, 8, v172
	v_and_b32_e32 v15, 0x4040404, v15
	v_and_b32_e32 v7, 0x4040404, v7
	;; [unrolled: 1-line block ×4, first 2 shown]
	s_wait_dscnt 0x1
	v_ashrrev_i32_e32 v174, s21, v174
	s_wait_dscnt 0x0
	v_ashrrev_i32_e32 v9, s21, v9
	v_ashrrev_i32_e32 v10, s21, v10
	s_delay_alu instid0(VALU_DEP_3) | instskip(NEXT) | instid1(VALU_DEP_1)
	v_and_b32_e32 v211, 0x3030303, v174
	v_lshrrev_b16 v17, 8, v211
	v_sub_nc_u16 v215, v211, v172
	s_delay_alu instid0(VALU_DEP_2) | instskip(SKIP_1) | instid1(VALU_DEP_3)
	v_sub_nc_u16 v183, v17, v22
	v_lshrrev_b16 v17, 8, v20
	v_bfe_i32 v215, v215, 0, 8
	s_delay_alu instid0(VALU_DEP_2)
	v_sub_nc_u16 v184, v17, v18
	v_lshrrev_b16 v18, 8, v19
	ds_load_2addr_b32 v[176:177], v212 offset0:4 offset1:5
	ds_load_2addr_b32 v[19:20], v212 offset0:2 offset1:3
	v_lshrrev_b16 v17, 8, v21
	v_add_nc_u32_e32 v21, 0x2108, v140
	v_mul_i32_i24_e32 v215, v162, v215
	s_delay_alu instid0(VALU_DEP_3) | instskip(SKIP_1) | instid1(VALU_DEP_2)
	v_sub_nc_u16 v185, v17, v18
	v_add_nc_u32_e32 v18, 0x2118, v140
	v_bfe_i32 v185, v185, 0, 16
	s_delay_alu instid0(VALU_DEP_1) | instskip(SKIP_4) | instid1(VALU_DEP_2)
	v_mul_i32_i24_e32 v161, v185, v161
	s_wait_dscnt 0x1
	v_ashrrev_i32_e32 v17, s1, v176
	s_wait_dscnt 0x0
	v_ashrrev_i32_e32 v19, s1, v19
	v_lshlrev_b32_e32 v17, 2, v17
	s_delay_alu instid0(VALU_DEP_2) | instskip(NEXT) | instid1(VALU_DEP_2)
	v_lshlrev_b32_e32 v19, 2, v19
	v_and_b32_e32 v176, 0x4040404, v17
	v_add_nc_u32_e32 v17, 0x2110, v140
	ds_load_2addr_b32 v[178:179], v17 offset1:1
	ds_load_2addr_b32 v[17:18], v18 offset1:1
	;; [unrolled: 1-line block ×3, first 2 shown]
	v_lshrrev_b16 v187, 8, v176
	v_and_b32_e32 v19, 0x4040404, v19
	s_wait_dscnt 0x2
	v_ashrrev_i32_e32 v178, s21, v178
	s_wait_dscnt 0x1
	v_ashrrev_i32_e32 v17, s21, v17
	;; [unrolled: 2-line block ×3, first 2 shown]
	v_ashrrev_i32_e32 v18, s21, v18
	v_and_b32_e32 v213, 0x3030303, v178
	s_delay_alu instid0(VALU_DEP_1) | instskip(SKIP_1) | instid1(VALU_DEP_2)
	v_lshrrev_b16 v186, 8, v213
	v_sub_nc_u16 v216, v213, v176
	v_sub_nc_u16 v186, v186, v187
	v_lshrrev_b16 v187, 8, v194
	s_delay_alu instid0(VALU_DEP_3) | instskip(NEXT) | instid1(VALU_DEP_2)
	v_bfe_i32 v216, v216, 0, 8
	v_sub_nc_u16 v187, v187, v214
	v_sub_nc_u16 v214, v210, v168
	s_delay_alu instid0(VALU_DEP_2) | instskip(NEXT) | instid1(VALU_DEP_2)
	v_bfe_i32 v185, v187, 0, 16
	v_bfe_i32 v214, v214, 0, 8
	s_delay_alu instid0(VALU_DEP_2) | instskip(NEXT) | instid1(VALU_DEP_2)
	v_mul_i32_i24_e32 v160, v185, v160
	v_mul_i32_i24_e32 v214, v162, v214
	;; [unrolled: 1-line block ×3, first 2 shown]
	s_delay_alu instid0(VALU_DEP_2) | instskip(SKIP_2) | instid1(VALU_DEP_2)
	v_mad_i32_i24 v214, v159, v181, v214
	v_lshlrev_b16 v181, 8, v183
	v_add_nc_u32_e32 v183, 0x1080, v140
	v_bfe_i32 v181, v181, 8, 8
	s_delay_alu instid0(VALU_DEP_1) | instskip(SKIP_1) | instid1(VALU_DEP_1)
	v_mad_i32_i24 v215, v159, v181, v215
	v_lshlrev_b16 v181, 8, v186
	v_bfe_i32 v181, v181, 8, 8
	s_delay_alu instid0(VALU_DEP_1) | instskip(SKIP_1) | instid1(VALU_DEP_1)
	v_mad_i32_i24 v216, v159, v181, v162
	v_bfe_i32 v162, v184, 0, 16
	v_mul_i32_i24_e32 v159, v162, v159
	s_delay_alu instid0(VALU_DEP_1)
	v_add3_u32 v217, v159, v161, v160
	ds_load_2addr_b32 v[159:160], v180 offset1:1
	ds_load_2addr_b32 v[161:162], v140 offset1:1
	s_wait_dscnt 0x1
	v_ashrrev_i32_e32 v159, s1, v159
	s_wait_dscnt 0x0
	v_ashrrev_i32_e32 v161, s21, v161
	s_delay_alu instid0(VALU_DEP_2) | instskip(NEXT) | instid1(VALU_DEP_2)
	v_lshlrev_b32_e32 v159, 2, v159
	v_and_b32_e32 v219, 0x3030303, v161
	s_delay_alu instid0(VALU_DEP_2) | instskip(NEXT) | instid1(VALU_DEP_2)
	v_and_b32_e32 v218, 0x4040404, v159
	v_lshrrev_b16 v159, 8, v219
	s_delay_alu instid0(VALU_DEP_2) | instskip(SKIP_1) | instid1(VALU_DEP_2)
	v_lshrrev_b16 v180, 8, v218
	v_sub_nc_u16 v201, v219, v218
	v_sub_nc_u16 v220, v159, v180
	v_add3_u32 v159, s24, v126, v113
	s_delay_alu instid0(VALU_DEP_3) | instskip(NEXT) | instid1(VALU_DEP_3)
	v_bfe_i32 v201, v201, 0, 8
	v_lshlrev_b16 v197, 8, v220
	ds_load_b32 v159, v159
	ds_load_2addr_b32 v[180:181], v182 offset1:1
	ds_load_2addr_b32 v[182:183], v183 offset1:1
	v_mul_i32_i24_e32 v201, v156, v201
	v_bfe_i32 v197, v197, 8, 8
	s_delay_alu instid0(VALU_DEP_1) | instskip(SKIP_4) | instid1(VALU_DEP_2)
	v_mad_i32_i24 v197, v153, v197, v201
	s_wait_dscnt 0x1
	v_ashrrev_i32_e32 v180, s1, v180
	s_wait_dscnt 0x0
	v_ashrrev_i32_e32 v182, s21, v182
	v_lshlrev_b32_e32 v180, 2, v180
	s_delay_alu instid0(VALU_DEP_2) | instskip(NEXT) | instid1(VALU_DEP_2)
	v_and_b32_e32 v221, 0x3030303, v182
	v_and_b32_e32 v180, 0x4040404, v180
	s_delay_alu instid0(VALU_DEP_2) | instskip(NEXT) | instid1(VALU_DEP_2)
	v_lshrrev_b16 v184, 8, v221
	v_lshrrev_b16 v185, 8, v180
	s_delay_alu instid0(VALU_DEP_1) | instskip(SKIP_4) | instid1(VALU_DEP_1)
	v_sub_nc_u16 v222, v184, v185
	v_add_nc_u32_e32 v184, 0x2100, v140
	ds_load_2addr_b32 v[184:185], v184 offset1:1
	ds_load_2addr_b32 v[186:187], v212 offset1:1
	v_lshlrev_b16 v201, 8, v222
	v_bfe_i32 v201, v201, 8, 8
	s_wait_dscnt 0x1
	v_ashrrev_i32_e32 v184, s21, v184
	s_wait_dscnt 0x0
	v_ashrrev_i32_e32 v186, s1, v186
	s_delay_alu instid0(VALU_DEP_2) | instskip(NEXT) | instid1(VALU_DEP_2)
	v_and_b32_e32 v223, 0x3030303, v184
	v_lshlrev_b32_e32 v186, 2, v186
	s_delay_alu instid0(VALU_DEP_2) | instskip(NEXT) | instid1(VALU_DEP_2)
	v_lshrrev_b16 v224, 8, v223
	v_and_b32_e32 v186, 0x4040404, v186
	s_delay_alu instid0(VALU_DEP_1) | instskip(SKIP_1) | instid1(VALU_DEP_2)
	v_lshrrev_b16 v225, 8, v186
	v_sub_nc_u16 v226, v223, v186
	v_sub_nc_u16 v224, v224, v225
	v_sub_nc_u16 v225, v221, v180
	s_delay_alu instid0(VALU_DEP_3) | instskip(NEXT) | instid1(VALU_DEP_3)
	v_bfe_i32 v226, v226, 0, 8
	v_lshlrev_b16 v220, 8, v224
	s_delay_alu instid0(VALU_DEP_3) | instskip(NEXT) | instid1(VALU_DEP_2)
	v_bfe_i32 v225, v225, 0, 8
	v_bfe_i32 v220, v220, 8, 8
	s_delay_alu instid0(VALU_DEP_2) | instskip(SKIP_1) | instid1(VALU_DEP_2)
	v_mul_i32_i24_e32 v225, v156, v225
	v_mul_i32_i24_e32 v156, v156, v226
	v_mad_i32_i24 v201, v153, v201, v225
	s_delay_alu instid0(VALU_DEP_2) | instskip(SKIP_2) | instid1(VALU_DEP_1)
	v_mad_i32_i24 v156, v153, v220, v156
	v_mul_i32_i24_e32 v153, v198, v153
	v_bfe_i32 v198, v200, 0, 16
	v_mul_i32_i24_e32 v151, v198, v151
	s_delay_alu instid0(VALU_DEP_1) | instskip(SKIP_3) | instid1(VALU_DEP_2)
	v_add3_u32 v151, v153, v155, v151
	v_lshrrev_b32_e32 v153, 16, v194
	v_lshrrev_b32_e32 v155, 16, v192
	;; [unrolled: 1-line block ×3, first 2 shown]
	v_sub_nc_u16 v153, v153, v155
	v_lshrrev_b32_e32 v155, 16, v195
	s_delay_alu instid0(VALU_DEP_2) | instskip(NEXT) | instid1(VALU_DEP_2)
	v_bfe_i32 v153, v153, 0, 8
	v_sub_nc_u16 v155, v155, v194
	s_delay_alu instid0(VALU_DEP_2) | instskip(NEXT) | instid1(VALU_DEP_2)
	v_mul_i32_i24_e32 v153, v153, v157
	v_bfe_i32 v155, v155, 0, 8
	v_lshrrev_b32_e32 v157, 24, v192
	s_delay_alu instid0(VALU_DEP_2) | instskip(SKIP_1) | instid1(VALU_DEP_2)
	v_mul_i32_i24_e32 v155, v155, v158
	v_lshrrev_b32_e32 v158, 24, v193
	v_add3_u32 v153, v189, v153, v155
	v_bfe_u32 v155, v190, 24, 2
	s_delay_alu instid0(VALU_DEP_1) | instskip(SKIP_1) | instid1(VALU_DEP_2)
	v_sub_nc_u16 v155, v155, v157
	v_bfe_u32 v157, v191, 24, 2
	v_bfe_i32 v155, v155, 0, 16
	s_delay_alu instid0(VALU_DEP_2) | instskip(SKIP_1) | instid1(VALU_DEP_3)
	v_sub_nc_u16 v157, v157, v158
	v_lshrrev_b32_e32 v158, 24, v180
	v_mul_i32_i24_e32 v152, v155, v152
	s_delay_alu instid0(VALU_DEP_3) | instskip(SKIP_1) | instid1(VALU_DEP_2)
	v_bfe_i32 v155, v157, 0, 16
	v_lshrrev_b32_e32 v157, 16, v218
	v_mul_i32_i24_e32 v154, v155, v154
	v_lshrrev_b32_e32 v155, 24, v218
	s_delay_alu instid0(VALU_DEP_2) | instskip(SKIP_3) | instid1(VALU_DEP_3)
	v_add3_u32 v152, v188, v152, v154
	v_bfe_u32 v154, v161, 24, 2
	v_lshrrev_b32_e32 v161, 16, v180
	v_lshrrev_b32_e32 v180, 24, v186
	v_sub_nc_u16 v154, v154, v155
	v_lshrrev_b32_e32 v155, 16, v219
	s_delay_alu instid0(VALU_DEP_2) | instskip(NEXT) | instid1(VALU_DEP_2)
	v_lshlrev_b16 v154, 8, v154
	v_sub_nc_u16 v155, v155, v157
	v_bfe_u32 v157, v182, 24, 2
	v_lshrrev_b32_e32 v182, 16, v186
	s_delay_alu instid0(VALU_DEP_2) | instskip(SKIP_1) | instid1(VALU_DEP_2)
	v_sub_nc_u16 v157, v157, v158
	v_lshrrev_b32_e32 v158, 16, v221
	v_lshlrev_b16 v157, 8, v157
	s_delay_alu instid0(VALU_DEP_2) | instskip(SKIP_1) | instid1(VALU_DEP_1)
	v_sub_nc_u16 v158, v158, v161
	v_bfe_u32 v161, v184, 24, 2
	v_sub_nc_u16 v161, v161, v180
	v_lshrrev_b32_e32 v180, 16, v223
	s_delay_alu instid0(VALU_DEP_2) | instskip(NEXT) | instid1(VALU_DEP_2)
	v_lshlrev_b16 v161, 8, v161
	v_sub_nc_u16 v180, v180, v182
	v_and_b32_e32 v182, 0xff, v155
	s_delay_alu instid0(VALU_DEP_1) | instskip(SKIP_1) | instid1(VALU_DEP_2)
	v_or_b32_e32 v154, v182, v154
	v_and_b32_e32 v182, 0xff, v158
	v_perm_b32 v154, v154, v155, 0xc0c0500
	s_delay_alu instid0(VALU_DEP_2) | instskip(SKIP_1) | instid1(VALU_DEP_3)
	v_or_b32_e32 v157, v182, v157
	v_and_b32_e32 v182, 0xff, v180
	v_dot4_i32_iu8 v154, v149, v154, v197 neg_lo:[1,1,0]
	s_delay_alu instid0(VALU_DEP_3) | instskip(NEXT) | instid1(VALU_DEP_3)
	v_perm_b32 v155, v157, v158, 0xc0c0500
	v_or_b32_e32 v161, v182, v161
	v_lshrrev_b32_e32 v158, 16, v206
	s_delay_alu instid0(VALU_DEP_3) | instskip(NEXT) | instid1(VALU_DEP_3)
	v_dot4_i32_iu8 v155, v149, v155, v201 neg_lo:[1,1,0]
	v_perm_b32 v157, v161, v180, 0xc0c0500
	v_lshrrev_b32_e32 v161, 24, v176
	s_delay_alu instid0(VALU_DEP_2) | instskip(SKIP_2) | instid1(VALU_DEP_1)
	v_dot4_i32_iu8 v149, v149, v157, v156 neg_lo:[1,1,0]
	v_lshrrev_b32_e32 v156, 16, v207
	v_lshrrev_b32_e32 v157, 16, v205
	v_sub_nc_u16 v156, v156, v157
	v_lshrrev_b32_e32 v157, 16, v208
	s_delay_alu instid0(VALU_DEP_2) | instskip(NEXT) | instid1(VALU_DEP_2)
	v_bfe_i32 v156, v156, 0, 8
	v_sub_nc_u16 v157, v157, v158
	v_lshrrev_b32_e32 v158, 16, v172
	s_delay_alu instid0(VALU_DEP_3) | instskip(NEXT) | instid1(VALU_DEP_3)
	v_mul_i32_i24_e32 v148, v156, v148
	v_bfe_i32 v156, v157, 0, 8
	v_lshrrev_b32_e32 v157, 24, v206
	s_delay_alu instid0(VALU_DEP_2) | instskip(SKIP_1) | instid1(VALU_DEP_2)
	v_mul_i32_i24_e32 v150, v156, v150
	v_lshrrev_b32_e32 v156, 24, v205
	v_add3_u32 v148, v202, v148, v150
	v_bfe_u32 v150, v203, 24, 2
	s_delay_alu instid0(VALU_DEP_1) | instskip(SKIP_1) | instid1(VALU_DEP_2)
	v_sub_nc_u16 v150, v150, v156
	v_bfe_u32 v156, v204, 24, 2
	v_bfe_i32 v150, v150, 0, 16
	s_delay_alu instid0(VALU_DEP_2) | instskip(SKIP_1) | instid1(VALU_DEP_3)
	v_sub_nc_u16 v156, v156, v157
	v_lshrrev_b32_e32 v157, 24, v172
	v_mul_i32_i24_e32 v146, v150, v146
	s_delay_alu instid0(VALU_DEP_3) | instskip(SKIP_1) | instid1(VALU_DEP_2)
	v_bfe_i32 v150, v156, 0, 16
	v_lshrrev_b32_e32 v156, 16, v168
	v_mul_i32_i24_e32 v147, v150, v147
	v_lshrrev_b32_e32 v150, 24, v168
	v_lshrrev_b32_e32 v168, 16, v176
	s_delay_alu instid0(VALU_DEP_3) | instskip(SKIP_1) | instid1(VALU_DEP_1)
	v_add3_u32 v146, v199, v146, v147
	v_bfe_u32 v147, v170, 24, 2
	v_sub_nc_u16 v147, v147, v150
	v_lshrrev_b32_e32 v150, 16, v210
	s_delay_alu instid0(VALU_DEP_2) | instskip(NEXT) | instid1(VALU_DEP_2)
	v_lshlrev_b16 v147, 8, v147
	v_sub_nc_u16 v150, v150, v156
	v_bfe_u32 v156, v174, 24, 2
	s_delay_alu instid0(VALU_DEP_1) | instskip(SKIP_1) | instid1(VALU_DEP_2)
	v_sub_nc_u16 v156, v156, v157
	v_lshrrev_b32_e32 v157, 16, v211
	v_lshlrev_b16 v156, 8, v156
	s_delay_alu instid0(VALU_DEP_2) | instskip(SKIP_1) | instid1(VALU_DEP_1)
	v_sub_nc_u16 v157, v157, v158
	v_bfe_u32 v158, v178, 24, 2
	v_sub_nc_u16 v158, v158, v161
	v_lshrrev_b32_e32 v161, 16, v213
	s_delay_alu instid0(VALU_DEP_2) | instskip(NEXT) | instid1(VALU_DEP_2)
	v_lshlrev_b16 v158, 8, v158
	v_sub_nc_u16 v161, v161, v168
	v_and_b32_e32 v168, 0xff, v150
	s_delay_alu instid0(VALU_DEP_1) | instskip(SKIP_1) | instid1(VALU_DEP_2)
	v_or_b32_e32 v147, v168, v147
	v_and_b32_e32 v168, 0xff, v157
	v_perm_b32 v147, v147, v150, 0xc0c0500
	s_delay_alu instid0(VALU_DEP_2) | instskip(SKIP_1) | instid1(VALU_DEP_3)
	v_or_b32_e32 v156, v168, v156
	v_and_b32_e32 v168, 0xff, v161
	v_dot4_i32_iu8 v147, v145, v147, v214 neg_lo:[1,1,0]
	s_delay_alu instid0(VALU_DEP_3) | instskip(NEXT) | instid1(VALU_DEP_3)
	v_perm_b32 v150, v156, v157, 0xc0c0500
	v_or_b32_e32 v158, v168, v158
	v_lshrrev_b16 v157, 8, v193
	s_delay_alu instid0(VALU_DEP_3) | instskip(NEXT) | instid1(VALU_DEP_3)
	v_dot4_i32_iu8 v150, v145, v150, v215 neg_lo:[1,1,0]
	v_perm_b32 v156, v158, v161, 0xc0c0500
	v_ashrrev_i32_e32 v158, s1, v187
	v_ashrrev_i32_e32 v161, s21, v185
	s_delay_alu instid0(VALU_DEP_3) | instskip(SKIP_1) | instid1(VALU_DEP_4)
	v_dot4_i32_iu8 v145, v145, v156, v216 neg_lo:[1,1,0]
	v_lshrrev_b16 v156, 8, v195
	v_lshlrev_b32_e32 v158, 2, v158
	s_delay_alu instid0(VALU_DEP_2) | instskip(SKIP_1) | instid1(VALU_DEP_3)
	v_sub_nc_u16 v156, v156, v157
	v_ashrrev_i32_e32 v157, s1, v181
	v_and_b32_e32 v158, 0x4040404, v158
	s_delay_alu instid0(VALU_DEP_3) | instskip(NEXT) | instid1(VALU_DEP_3)
	v_bfe_i32 v156, v156, 0, 16
	v_lshlrev_b32_e32 v157, 2, v157
	s_delay_alu instid0(VALU_DEP_2) | instskip(SKIP_2) | instid1(VALU_DEP_4)
	v_mul_i32_i24_e32 v144, v156, v144
	v_ashrrev_i32_e32 v156, s1, v160
	v_ashrrev_i32_e32 v160, s21, v183
	v_and_b32_e32 v157, 0x4040404, v157
	s_delay_alu instid0(VALU_DEP_4) | instskip(SKIP_2) | instid1(VALU_DEP_3)
	v_add3_u32 v144, v217, v144, v152
	v_ashrrev_i32_e32 v152, s21, v162
	v_lshlrev_b32_e32 v156, 2, v156
	v_add3_u32 v144, v196, v153, v144
	s_delay_alu instid0(VALU_DEP_3) | instskip(NEXT) | instid1(VALU_DEP_3)
	v_and_b32_e32 v162, 0x3030303, v152
	v_and_b32_e32 v156, 0x4040404, v156
	s_delay_alu instid0(VALU_DEP_1) | instskip(SKIP_1) | instid1(VALU_DEP_2)
	v_sub_nc_u16 v168, v162, v156
	v_lshrrev_b32_e32 v153, 16, v156
	v_bfe_i32 v168, v168, 0, 8
	s_delay_alu instid0(VALU_DEP_1) | instskip(SKIP_1) | instid1(VALU_DEP_1)
	v_mad_i32_i24 v154, v143, v168, v154
	v_and_b32_e32 v168, 0x3030303, v160
	v_sub_nc_u16 v170, v168, v157
	s_delay_alu instid0(VALU_DEP_1) | instskip(NEXT) | instid1(VALU_DEP_1)
	v_bfe_i32 v170, v170, 0, 8
	v_mad_i32_i24 v155, v143, v170, v155
	v_and_b32_e32 v170, 0x3030303, v161
	v_bfe_u32 v161, v161, 24, 2
	s_delay_alu instid0(VALU_DEP_2) | instskip(NEXT) | instid1(VALU_DEP_1)
	v_sub_nc_u16 v172, v170, v158
	v_bfe_i32 v172, v172, 0, 8
	s_delay_alu instid0(VALU_DEP_1) | instskip(SKIP_2) | instid1(VALU_DEP_1)
	v_mad_i32_i24 v143, v143, v172, v149
	v_lshrrev_b16 v149, 8, v208
	v_lshrrev_b16 v172, 8, v206
	v_sub_nc_u16 v149, v149, v172
	v_ashrrev_i32_e32 v172, s21, v179
	s_delay_alu instid0(VALU_DEP_2) | instskip(NEXT) | instid1(VALU_DEP_1)
	v_bfe_i32 v149, v149, 0, 16
	v_mul_i32_i24_e32 v141, v149, v141
	v_ashrrev_i32_e32 v149, s1, v169
	v_ashrrev_i32_e32 v169, s1, v177
	s_delay_alu instid0(VALU_DEP_3) | instskip(SKIP_1) | instid1(VALU_DEP_4)
	v_add3_u32 v141, v151, v141, v146
	v_ashrrev_i32_e32 v146, s21, v171
	v_lshlrev_b32_e32 v149, 2, v149
	v_ashrrev_i32_e32 v151, s1, v173
	v_ashrrev_i32_e32 v171, s21, v175
	v_lshlrev_b32_e32 v169, 2, v169
	v_and_b32_e32 v173, 0x3030303, v146
	v_and_b32_e32 v149, 0x4040404, v149
	v_lshlrev_b32_e32 v151, 2, v151
	v_add3_u32 v148, v209, v148, v141
	v_and_b32_e32 v169, 0x4040404, v169
	s_delay_alu instid0(VALU_DEP_4) | instskip(NEXT) | instid1(VALU_DEP_4)
	v_sub_nc_u16 v174, v173, v149
	v_and_b32_e32 v151, 0x4040404, v151
	v_lshrrev_b32_e32 v141, 24, v149
	s_delay_alu instid0(VALU_DEP_3) | instskip(NEXT) | instid1(VALU_DEP_1)
	v_bfe_i32 v174, v174, 0, 8
	v_mad_i32_i24 v147, v142, v174, v147
	v_and_b32_e32 v174, 0x3030303, v171
	s_delay_alu instid0(VALU_DEP_1) | instskip(NEXT) | instid1(VALU_DEP_1)
	v_sub_nc_u16 v175, v174, v151
	v_bfe_i32 v175, v175, 0, 8
	s_delay_alu instid0(VALU_DEP_1) | instskip(SKIP_1) | instid1(VALU_DEP_1)
	v_mad_i32_i24 v150, v142, v175, v150
	v_and_b32_e32 v175, 0x3030303, v172
	v_sub_nc_u16 v176, v175, v169
	s_delay_alu instid0(VALU_DEP_1) | instskip(NEXT) | instid1(VALU_DEP_1)
	v_bfe_i32 v176, v176, 0, 8
	v_mad_i32_i24 v142, v142, v176, v145
	v_bfe_u32 v145, v152, 24, 2
	v_lshrrev_b32_e32 v152, 24, v156
	v_lshrrev_b16 v156, 8, v156
	s_delay_alu instid0(VALU_DEP_2) | instskip(SKIP_1) | instid1(VALU_DEP_2)
	v_sub_nc_u16 v145, v145, v152
	v_lshrrev_b32_e32 v152, 16, v162
	v_lshlrev_b16 v145, 8, v145
	s_delay_alu instid0(VALU_DEP_2) | instskip(SKIP_2) | instid1(VALU_DEP_2)
	v_sub_nc_u16 v152, v152, v153
	v_lshrrev_b16 v153, 8, v162
	v_lshrrev_b32_e32 v162, 16, v157
	v_sub_nc_u16 v153, v153, v156
	v_bfe_u32 v156, v160, 24, 2
	v_lshrrev_b32_e32 v160, 24, v157
	v_lshrrev_b16 v157, 8, v157
	s_delay_alu instid0(VALU_DEP_4) | instskip(NEXT) | instid1(VALU_DEP_3)
	v_lshlrev_b16 v153, 8, v153
	v_sub_nc_u16 v156, v156, v160
	v_lshrrev_b32_e32 v160, 16, v168
	s_delay_alu instid0(VALU_DEP_3) | instskip(NEXT) | instid1(VALU_DEP_3)
	v_perm_b32 v153, v153, v153, 0xc0c0c01
	v_lshlrev_b16 v156, 8, v156
	s_delay_alu instid0(VALU_DEP_3) | instskip(SKIP_2) | instid1(VALU_DEP_2)
	v_sub_nc_u16 v160, v160, v162
	v_lshrrev_b16 v162, 8, v168
	v_lshrrev_b32_e32 v168, 16, v158
	v_sub_nc_u16 v157, v162, v157
	v_lshrrev_b32_e32 v162, 24, v158
	v_lshrrev_b16 v158, 8, v158
	s_delay_alu instid0(VALU_DEP_2) | instskip(SKIP_1) | instid1(VALU_DEP_2)
	v_sub_nc_u16 v161, v161, v162
	v_lshrrev_b32_e32 v162, 16, v170
	v_lshlrev_b16 v161, 8, v161
	s_delay_alu instid0(VALU_DEP_2) | instskip(SKIP_1) | instid1(VALU_DEP_1)
	v_sub_nc_u16 v162, v162, v168
	v_lshrrev_b16 v168, 8, v170
	v_sub_nc_u16 v158, v168, v158
	v_and_b32_e32 v168, 0xff, v152
	s_delay_alu instid0(VALU_DEP_1) | instskip(SKIP_1) | instid1(VALU_DEP_2)
	v_or_b32_e32 v145, v168, v145
	v_and_b32_e32 v168, 0xff, v160
	v_perm_b32 v145, v145, v152, 0xc05000c
	s_delay_alu instid0(VALU_DEP_2) | instskip(SKIP_1) | instid1(VALU_DEP_3)
	v_or_b32_e32 v156, v168, v156
	v_and_b32_e32 v168, 0xff, v162
	v_or_b32_e32 v145, v145, v153
	v_lshlrev_b16 v153, 8, v157
	s_delay_alu instid0(VALU_DEP_4) | instskip(NEXT) | instid1(VALU_DEP_4)
	v_perm_b32 v152, v156, v160, 0xc05000c
	v_or_b32_e32 v161, v168, v161
	v_lshrrev_b16 v157, 8, v169
	v_dot4_i32_iu8 v145, v139, v145, v154 neg_lo:[1,1,0]
	v_perm_b32 v153, v153, v153, 0xc0c0c01
	v_lshrrev_b32_e32 v154, 16, v151
	v_perm_b32 v156, v161, v162, 0xc05000c
	s_delay_alu instid0(VALU_DEP_3) | instskip(SKIP_1) | instid1(VALU_DEP_2)
	v_or_b32_e32 v152, v152, v153
	v_lshlrev_b16 v153, 8, v158
	v_dot4_i32_iu8 v152, v139, v152, v155 neg_lo:[1,1,0]
	s_delay_alu instid0(VALU_DEP_2) | instskip(SKIP_1) | instid1(VALU_DEP_2)
	v_perm_b32 v153, v153, v153, 0xc0c0c01
	v_lshrrev_b32_e32 v155, 24, v169
	v_or_b32_e32 v153, v156, v153
	v_lshrrev_b32_e32 v156, 16, v169
	s_delay_alu instid0(VALU_DEP_2)
	v_dot4_i32_iu8 v143, v139, v153, v143 neg_lo:[1,1,0]
	v_bfe_u32 v139, v146, 24, 2
	v_lshrrev_b32_e32 v146, 16, v149
	v_lshrrev_b16 v149, 8, v149
	v_lshrrev_b32_e32 v153, 24, v151
	v_lshrrev_b16 v151, 8, v151
	v_sub_nc_u16 v139, v139, v141
	v_lshrrev_b32_e32 v141, 16, v173
	s_delay_alu instid0(VALU_DEP_2) | instskip(NEXT) | instid1(VALU_DEP_2)
	v_lshlrev_b16 v139, 8, v139
	v_sub_nc_u16 v141, v141, v146
	v_lshrrev_b16 v146, 8, v173
	s_delay_alu instid0(VALU_DEP_1) | instskip(SKIP_1) | instid1(VALU_DEP_2)
	v_sub_nc_u16 v146, v146, v149
	v_bfe_u32 v149, v171, 24, 2
	v_lshlrev_b16 v146, 8, v146
	s_delay_alu instid0(VALU_DEP_2) | instskip(SKIP_1) | instid1(VALU_DEP_3)
	v_sub_nc_u16 v149, v149, v153
	v_lshrrev_b32_e32 v153, 16, v174
	v_perm_b32 v146, v146, v146, 0xc0c0c01
	s_delay_alu instid0(VALU_DEP_3) | instskip(NEXT) | instid1(VALU_DEP_3)
	v_lshlrev_b16 v149, 8, v149
	v_sub_nc_u16 v153, v153, v154
	v_lshrrev_b16 v154, 8, v174
	s_delay_alu instid0(VALU_DEP_1) | instskip(SKIP_1) | instid1(VALU_DEP_1)
	v_sub_nc_u16 v151, v154, v151
	v_bfe_u32 v154, v172, 24, 2
	v_sub_nc_u16 v154, v154, v155
	v_lshrrev_b32_e32 v155, 16, v175
	s_delay_alu instid0(VALU_DEP_2) | instskip(NEXT) | instid1(VALU_DEP_2)
	v_lshlrev_b16 v154, 8, v154
	v_sub_nc_u16 v155, v155, v156
	v_lshrrev_b16 v156, 8, v175
	s_delay_alu instid0(VALU_DEP_1) | instskip(SKIP_1) | instid1(VALU_DEP_1)
	v_sub_nc_u16 v156, v156, v157
	v_and_b32_e32 v157, 0xff, v141
	v_or_b32_e32 v139, v157, v139
	v_and_b32_e32 v157, 0xff, v153
	s_delay_alu instid0(VALU_DEP_2) | instskip(NEXT) | instid1(VALU_DEP_2)
	v_perm_b32 v139, v139, v141, 0xc05000c
	v_or_b32_e32 v149, v157, v149
	v_and_b32_e32 v157, 0xff, v155
	s_delay_alu instid0(VALU_DEP_3) | instskip(SKIP_1) | instid1(VALU_DEP_4)
	v_or_b32_e32 v139, v139, v146
	v_lshlrev_b16 v146, 8, v151
	v_perm_b32 v141, v149, v153, 0xc05000c
	s_delay_alu instid0(VALU_DEP_4) | instskip(NEXT) | instid1(VALU_DEP_4)
	v_or_b32_e32 v154, v157, v154
	v_dot4_i32_iu8 v147, v138, v139, v147 neg_lo:[1,1,0]
	s_delay_alu instid0(VALU_DEP_4) | instskip(NEXT) | instid1(VALU_DEP_3)
	v_perm_b32 v146, v146, v146, 0xc0c0c01
	v_perm_b32 v149, v154, v155, 0xc05000c
	s_delay_alu instid0(VALU_DEP_2) | instskip(SKIP_1) | instid1(VALU_DEP_1)
	v_or_b32_e32 v141, v141, v146
	v_lshlrev_b16 v146, 8, v156
	v_perm_b32 v146, v146, v146, 0xc0c0c01
	s_delay_alu instid0(VALU_DEP_1) | instskip(NEXT) | instid1(VALU_DEP_4)
	v_or_b32_e32 v146, v149, v146
	v_dot4_i32_iu8 v149, v138, v141, v150 neg_lo:[1,1,0]
	s_delay_alu instid0(VALU_DEP_2) | instskip(SKIP_2) | instid1(VALU_DEP_2)
	v_dot4_i32_iu8 v142, v138, v146, v142 neg_lo:[1,1,0]
	v_and_b32_e32 v146, 0x3030303, v13
	v_bfe_u32 v13, v13, 24, 2
	v_sub_nc_u16 v138, v146, v11
	s_delay_alu instid0(VALU_DEP_1) | instskip(NEXT) | instid1(VALU_DEP_1)
	v_bfe_i32 v138, v138, 0, 8
	v_mad_i32_i24 v145, v137, v138, v145
	v_add_nc_u32_e32 v138, 0x1088, v140
	ds_load_2addr_b32 v[138:139], v138 offset1:1
	s_wait_dscnt 0x0
	v_ashrrev_i32_e32 v138, s21, v138
	s_delay_alu instid0(VALU_DEP_1) | instskip(SKIP_1) | instid1(VALU_DEP_2)
	v_and_b32_e32 v150, 0x3030303, v138
	v_bfe_u32 v138, v138, 24, 2
	v_sub_nc_u16 v140, v150, v15
	s_delay_alu instid0(VALU_DEP_1) | instskip(NEXT) | instid1(VALU_DEP_1)
	v_bfe_i32 v140, v140, 0, 8
	v_mad_i32_i24 v151, v137, v140, v152
	v_and_b32_e32 v152, 0x3030303, v21
	ds_load_2addr_b32 v[140:141], v212 offset0:6 offset1:7
	v_bfe_u32 v21, v21, 24, 2
	v_sub_nc_u16 v153, v152, v19
	s_delay_alu instid0(VALU_DEP_1) | instskip(NEXT) | instid1(VALU_DEP_1)
	v_bfe_i32 v153, v153, 0, 8
	v_mad_i32_i24 v137, v137, v153, v143
	v_and_b32_e32 v143, 0x3030303, v5
	v_bfe_u32 v5, v5, 24, 2
	s_delay_alu instid0(VALU_DEP_2) | instskip(SKIP_2) | instid1(VALU_DEP_2)
	v_sub_nc_u16 v153, v143, v0
	s_wait_dscnt 0x0
	v_ashrrev_i32_e32 v140, s1, v140
	v_bfe_i32 v153, v153, 0, 8
	s_delay_alu instid0(VALU_DEP_2) | instskip(NEXT) | instid1(VALU_DEP_2)
	v_lshlrev_b32_e32 v140, 2, v140
	v_mad_i32_i24 v147, v136, v153, v147
	v_and_b32_e32 v153, 0x3030303, v9
	s_delay_alu instid0(VALU_DEP_3) | instskip(SKIP_1) | instid1(VALU_DEP_3)
	v_and_b32_e32 v140, 0x4040404, v140
	v_bfe_u32 v9, v9, 24, 2
	v_sub_nc_u16 v154, v153, v7
	s_delay_alu instid0(VALU_DEP_1) | instskip(NEXT) | instid1(VALU_DEP_1)
	v_bfe_i32 v154, v154, 0, 8
	v_mad_i32_i24 v149, v136, v154, v149
	v_and_b32_e32 v154, 0x3030303, v17
	v_bfe_u32 v17, v17, 24, 2
	s_delay_alu instid0(VALU_DEP_2) | instskip(NEXT) | instid1(VALU_DEP_1)
	v_sub_nc_u16 v155, v154, v140
	v_bfe_i32 v155, v155, 0, 8
	s_delay_alu instid0(VALU_DEP_1) | instskip(SKIP_3) | instid1(VALU_DEP_3)
	v_mad_i32_i24 v136, v136, v155, v142
	v_lshrrev_b32_e32 v142, 24, v11
	v_lshrrev_b32_e32 v155, 16, v11
	v_lshrrev_b16 v11, 8, v11
	v_sub_nc_u16 v13, v13, v142
	v_lshrrev_b32_e32 v142, 16, v146
	v_lshrrev_b16 v146, 8, v146
	s_delay_alu instid0(VALU_DEP_3) | instskip(NEXT) | instid1(VALU_DEP_3)
	v_lshlrev_b16 v13, 8, v13
	v_sub_nc_u16 v142, v142, v155
	s_delay_alu instid0(VALU_DEP_3) | instskip(SKIP_3) | instid1(VALU_DEP_4)
	v_sub_nc_u16 v11, v146, v11
	v_lshrrev_b32_e32 v146, 24, v19
	v_lshrrev_b32_e32 v155, 16, v19
	v_lshrrev_b16 v19, 8, v19
	v_lshlrev_b16 v11, 8, v11
	s_delay_alu instid0(VALU_DEP_4) | instskip(SKIP_2) | instid1(VALU_DEP_4)
	v_sub_nc_u16 v21, v21, v146
	v_lshrrev_b32_e32 v146, 16, v152
	v_lshrrev_b16 v152, 8, v152
	v_perm_b32 v11, v11, v11, 0xc0c0c01
	s_delay_alu instid0(VALU_DEP_4) | instskip(NEXT) | instid1(VALU_DEP_4)
	v_lshlrev_b16 v21, 8, v21
	v_sub_nc_u16 v146, v146, v155
	s_delay_alu instid0(VALU_DEP_4) | instskip(SKIP_3) | instid1(VALU_DEP_3)
	v_sub_nc_u16 v19, v152, v19
	v_lshrrev_b32_e32 v152, 24, v15
	v_lshrrev_b32_e32 v155, 16, v15
	v_lshrrev_b16 v15, 8, v15
	v_sub_nc_u16 v138, v138, v152
	v_lshrrev_b32_e32 v152, 16, v150
	v_lshrrev_b16 v150, 8, v150
	s_delay_alu instid0(VALU_DEP_3) | instskip(NEXT) | instid1(VALU_DEP_3)
	v_lshlrev_b16 v138, 8, v138
	v_sub_nc_u16 v152, v152, v155
	s_delay_alu instid0(VALU_DEP_3) | instskip(SKIP_1) | instid1(VALU_DEP_2)
	v_sub_nc_u16 v15, v150, v15
	v_and_b32_e32 v150, 0xff, v142
	v_lshlrev_b16 v15, 8, v15
	s_delay_alu instid0(VALU_DEP_2) | instskip(SKIP_1) | instid1(VALU_DEP_3)
	v_or_b32_e32 v13, v150, v13
	v_and_b32_e32 v150, 0xff, v146
	v_perm_b32 v15, v15, v15, 0xc0c0c01
	s_delay_alu instid0(VALU_DEP_3) | instskip(NEXT) | instid1(VALU_DEP_3)
	v_perm_b32 v13, v13, v142, 0xc05000c
	v_or_b32_e32 v21, v150, v21
	v_and_b32_e32 v150, 0xff, v152
	s_delay_alu instid0(VALU_DEP_3) | instskip(SKIP_1) | instid1(VALU_DEP_4)
	v_or_b32_e32 v11, v13, v11
	v_lshlrev_b16 v13, 8, v19
	v_perm_b32 v21, v21, v146, 0xc05000c
	v_lshrrev_b32_e32 v19, 24, v0
	v_or_b32_e32 v138, v150, v138
	v_dot4_i32_iu8 v11, v135, v11, v145 neg_lo:[1,1,0]
	v_perm_b32 v13, v13, v13, 0xc0c0c01
	s_delay_alu instid0(VALU_DEP_4) | instskip(SKIP_2) | instid1(VALU_DEP_4)
	v_sub_nc_u16 v5, v5, v19
	v_lshrrev_b32_e32 v19, 16, v143
	v_perm_b32 v138, v138, v152, 0xc05000c
	v_or_b32_e32 v13, v21, v13
	v_lshrrev_b32_e32 v21, 16, v0
	v_lshrrev_b16 v0, 8, v0
	v_lshlrev_b16 v5, 8, v5
	v_or_b32_e32 v15, v138, v15
	v_dot4_i32_iu8 v13, v135, v13, v137 neg_lo:[1,1,0]
	v_sub_nc_u16 v19, v19, v21
	v_lshrrev_b16 v21, 8, v143
	v_lshrrev_b32_e32 v137, 16, v140
	v_dot4_i32_iu8 v15, v135, v15, v151 neg_lo:[1,1,0]
	v_lshrrev_b32_e32 v135, 16, v7
	v_lshrrev_b16 v138, 8, v140
	v_sub_nc_u16 v0, v21, v0
	v_lshrrev_b32_e32 v21, 24, v7
	v_lshrrev_b16 v7, 8, v7
	s_delay_alu instid0(VALU_DEP_3) | instskip(NEXT) | instid1(VALU_DEP_3)
	v_lshlrev_b16 v0, 8, v0
	v_sub_nc_u16 v9, v9, v21
	v_lshrrev_b32_e32 v21, 16, v153
	s_delay_alu instid0(VALU_DEP_3) | instskip(NEXT) | instid1(VALU_DEP_3)
	v_perm_b32 v0, v0, v0, 0xc0c0c01
	v_lshlrev_b16 v9, 8, v9
	s_delay_alu instid0(VALU_DEP_3) | instskip(SKIP_1) | instid1(VALU_DEP_1)
	v_sub_nc_u16 v21, v21, v135
	v_lshrrev_b16 v135, 8, v153
	v_sub_nc_u16 v7, v135, v7
	v_lshrrev_b32_e32 v135, 24, v140
	s_delay_alu instid0(VALU_DEP_1) | instskip(SKIP_1) | instid1(VALU_DEP_2)
	v_sub_nc_u16 v17, v17, v135
	v_lshrrev_b32_e32 v135, 16, v154
	v_lshlrev_b16 v17, 8, v17
	s_delay_alu instid0(VALU_DEP_2) | instskip(SKIP_1) | instid1(VALU_DEP_1)
	v_sub_nc_u16 v135, v135, v137
	v_lshrrev_b16 v137, 8, v154
	v_sub_nc_u16 v137, v137, v138
	v_and_b32_e32 v138, 0xff, v19
	s_delay_alu instid0(VALU_DEP_1) | instskip(SKIP_1) | instid1(VALU_DEP_2)
	v_or_b32_e32 v5, v138, v5
	v_and_b32_e32 v138, 0xff, v21
	v_perm_b32 v5, v5, v19, 0xc05000c
	s_delay_alu instid0(VALU_DEP_2) | instskip(SKIP_1) | instid1(VALU_DEP_3)
	v_or_b32_e32 v9, v138, v9
	v_and_b32_e32 v138, 0xff, v135
	v_or_b32_e32 v0, v5, v0
	v_lshlrev_b16 v5, 8, v7
	s_delay_alu instid0(VALU_DEP_3) | instskip(SKIP_2) | instid1(VALU_DEP_4)
	v_or_b32_e32 v17, v138, v17
	v_lshlrev_b16 v7, 8, v137
	v_perm_b32 v9, v9, v21, 0xc05000c
	v_perm_b32 v5, v5, v5, 0xc0c0c01
	s_delay_alu instid0(VALU_DEP_4) | instskip(NEXT) | instid1(VALU_DEP_4)
	v_perm_b32 v17, v17, v135, 0xc05000c
	v_perm_b32 v7, v7, v7, 0xc0c0c01
	s_delay_alu instid0(VALU_DEP_3) | instskip(SKIP_1) | instid1(VALU_DEP_3)
	v_or_b32_e32 v5, v9, v5
	v_dot4_i32_iu8 v9, v134, v0, v147 neg_lo:[1,1,0]
	v_or_b32_e32 v7, v17, v7
	v_lshrrev_b16 v0, 8, v167
	v_bfe_i32 v17, v167, 0, 8
	v_dot4_i32_iu8 v5, v134, v5, v149 neg_lo:[1,1,0]
	s_delay_alu instid0(VALU_DEP_4) | instskip(NEXT) | instid1(VALU_DEP_4)
	v_dot4_i32_iu8 v7, v134, v7, v136 neg_lo:[1,1,0]
	v_bfe_i32 v19, v0, 0, 8
	s_delay_alu instid0(VALU_DEP_4) | instskip(SKIP_1) | instid1(VALU_DEP_2)
	v_mul_lo_u32 v0, v148, v17
	v_ashrrev_i32_e32 v17, s21, v139
	v_mad_co_u64_u32 v[134:135], null, v144, v19, v[0:1]
	v_ashrrev_i32_e32 v0, s21, v14
	v_ashrrev_i32_e32 v14, s1, v20
	;; [unrolled: 1-line block ×4, first 2 shown]
	s_delay_alu instid0(VALU_DEP_4) | instskip(NEXT) | instid1(VALU_DEP_4)
	v_and_b32_e32 v20, 0x3030303, v0
	v_lshlrev_b32_e32 v14, 2, v14
	v_bfe_u32 v0, v0, 24, 2
	s_delay_alu instid0(VALU_DEP_4) | instskip(NEXT) | instid1(VALU_DEP_4)
	v_lshlrev_b32_e32 v1, 2, v1
	v_sub_nc_u16 v21, v20, v12
	s_delay_alu instid0(VALU_DEP_4) | instskip(NEXT) | instid1(VALU_DEP_3)
	v_and_b32_e32 v14, 0x4040404, v14
	v_and_b32_e32 v1, 0x4040404, v1
	s_delay_alu instid0(VALU_DEP_3) | instskip(NEXT) | instid1(VALU_DEP_1)
	v_bfe_i32 v21, v21, 0, 8
	v_mad_i32_i24 v11, v133, v21, v11
	v_and_b32_e32 v21, 0x3030303, v17
	v_bfe_u32 v17, v17, 24, 2
	s_delay_alu instid0(VALU_DEP_2) | instskip(NEXT) | instid1(VALU_DEP_1)
	v_sub_nc_u16 v22, v21, v16
	v_bfe_i32 v22, v22, 0, 8
	s_delay_alu instid0(VALU_DEP_1) | instskip(SKIP_2) | instid1(VALU_DEP_2)
	v_mad_i32_i24 v15, v133, v22, v15
	v_and_b32_e32 v22, 0x3030303, v19
	v_bfe_u32 v19, v19, 24, 2
	v_sub_nc_u16 v135, v22, v14
	s_delay_alu instid0(VALU_DEP_1) | instskip(NEXT) | instid1(VALU_DEP_1)
	v_bfe_i32 v135, v135, 0, 8
	v_mad_i32_i24 v13, v133, v135, v13
	v_and_b32_e32 v135, 0x3030303, v6
	v_ashrrev_i32_e32 v133, s1, v141
	v_bfe_u32 v6, v6, 24, 2
	s_add_co_i32 s1, s1, 1
	s_cmp_lt_u32 s21, 6
	v_sub_nc_u16 v136, v135, v1
	v_lshlrev_b32_e32 v133, 2, v133
	s_delay_alu instid0(VALU_DEP_2) | instskip(NEXT) | instid1(VALU_DEP_2)
	v_bfe_i32 v136, v136, 0, 8
	v_and_b32_e32 v133, 0x4040404, v133
	s_delay_alu instid0(VALU_DEP_2) | instskip(SKIP_2) | instid1(VALU_DEP_2)
	v_mad_i32_i24 v9, v132, v136, v9
	v_and_b32_e32 v136, 0x3030303, v10
	v_bfe_u32 v10, v10, 24, 2
	v_sub_nc_u16 v137, v136, v8
	s_delay_alu instid0(VALU_DEP_1) | instskip(NEXT) | instid1(VALU_DEP_1)
	v_bfe_i32 v137, v137, 0, 8
	v_mad_i32_i24 v5, v132, v137, v5
	v_and_b32_e32 v137, 0x3030303, v18
	s_delay_alu instid0(VALU_DEP_1) | instskip(NEXT) | instid1(VALU_DEP_1)
	v_sub_nc_u16 v138, v137, v133
	v_bfe_i32 v138, v138, 0, 8
	s_delay_alu instid0(VALU_DEP_1) | instskip(SKIP_3) | instid1(VALU_DEP_3)
	v_mad_i32_i24 v7, v132, v138, v7
	v_lshrrev_b32_e32 v132, 24, v12
	v_lshrrev_b32_e32 v138, 16, v12
	v_lshrrev_b16 v12, 8, v12
	v_sub_nc_u16 v0, v0, v132
	v_lshrrev_b32_e32 v132, 16, v20
	v_lshrrev_b16 v20, 8, v20
	s_delay_alu instid0(VALU_DEP_3) | instskip(NEXT) | instid1(VALU_DEP_3)
	v_lshlrev_b16 v0, 8, v0
	v_sub_nc_u16 v132, v132, v138
	s_delay_alu instid0(VALU_DEP_3) | instskip(SKIP_3) | instid1(VALU_DEP_4)
	v_sub_nc_u16 v12, v20, v12
	v_lshrrev_b32_e32 v20, 24, v14
	v_lshrrev_b32_e32 v138, 16, v14
	v_lshrrev_b16 v14, 8, v14
	v_lshlrev_b16 v12, 8, v12
	s_delay_alu instid0(VALU_DEP_4) | instskip(SKIP_2) | instid1(VALU_DEP_4)
	v_sub_nc_u16 v19, v19, v20
	v_lshrrev_b32_e32 v20, 16, v22
	v_lshrrev_b16 v22, 8, v22
	v_perm_b32 v12, v12, v12, 0xc0c0c01
	s_delay_alu instid0(VALU_DEP_4) | instskip(NEXT) | instid1(VALU_DEP_4)
	v_lshlrev_b16 v19, 8, v19
	v_sub_nc_u16 v20, v20, v138
	s_delay_alu instid0(VALU_DEP_4) | instskip(SKIP_3) | instid1(VALU_DEP_3)
	v_sub_nc_u16 v14, v22, v14
	v_lshrrev_b32_e32 v22, 24, v16
	v_lshrrev_b32_e32 v138, 16, v16
	v_lshrrev_b16 v16, 8, v16
	v_sub_nc_u16 v17, v17, v22
	v_lshrrev_b32_e32 v22, 16, v21
	v_lshrrev_b16 v21, 8, v21
	s_delay_alu instid0(VALU_DEP_3) | instskip(NEXT) | instid1(VALU_DEP_3)
	v_lshlrev_b16 v17, 8, v17
	v_sub_nc_u16 v22, v22, v138
	s_delay_alu instid0(VALU_DEP_3) | instskip(SKIP_1) | instid1(VALU_DEP_1)
	v_sub_nc_u16 v16, v21, v16
	v_and_b32_e32 v21, 0xff, v132
	v_or_b32_e32 v0, v21, v0
	v_and_b32_e32 v21, 0xff, v20
	s_delay_alu instid0(VALU_DEP_2) | instskip(NEXT) | instid1(VALU_DEP_2)
	v_perm_b32 v0, v0, v132, 0xc05000c
	v_or_b32_e32 v19, v21, v19
	v_and_b32_e32 v21, 0xff, v22
	s_delay_alu instid0(VALU_DEP_3) | instskip(SKIP_1) | instid1(VALU_DEP_3)
	v_or_b32_e32 v0, v0, v12
	v_lshlrev_b16 v12, 8, v14
	v_or_b32_e32 v17, v21, v17
	v_perm_b32 v19, v19, v20, 0xc05000c
	v_lshlrev_b16 v14, 8, v16
	v_dot4_i32_iu8 v0, v131, v0, v11 neg_lo:[1,1,0]
	v_perm_b32 v12, v12, v12, 0xc0c0c01
	v_perm_b32 v17, v17, v22, 0xc05000c
	v_lshrrev_b32_e32 v16, 24, v133
	v_perm_b32 v14, v14, v14, 0xc0c0c01
	s_delay_alu instid0(VALU_DEP_4) | instskip(NEXT) | instid1(VALU_DEP_2)
	v_or_b32_e32 v12, v19, v12
	v_or_b32_e32 v14, v17, v14
	v_lshrrev_b32_e32 v17, 16, v133
	s_delay_alu instid0(VALU_DEP_3) | instskip(SKIP_1) | instid1(VALU_DEP_4)
	v_dot4_i32_iu8 v12, v131, v12, v13 neg_lo:[1,1,0]
	v_lshrrev_b32_e32 v13, 24, v1
	v_dot4_i32_iu8 v11, v131, v14, v15 neg_lo:[1,1,0]
	v_lshrrev_b32_e32 v14, 16, v1
	v_lshrrev_b16 v1, 8, v1
	s_delay_alu instid0(VALU_DEP_4) | instskip(SKIP_2) | instid1(VALU_DEP_3)
	v_sub_nc_u16 v6, v6, v13
	v_lshrrev_b32_e32 v13, 16, v135
	v_lshrrev_b32_e32 v15, 16, v8
	v_lshlrev_b16 v6, 8, v6
	s_delay_alu instid0(VALU_DEP_3) | instskip(SKIP_1) | instid1(VALU_DEP_1)
	v_sub_nc_u16 v13, v13, v14
	v_lshrrev_b16 v14, 8, v135
	v_sub_nc_u16 v1, v14, v1
	v_lshrrev_b32_e32 v14, 24, v8
	v_lshrrev_b16 v8, 8, v8
	s_delay_alu instid0(VALU_DEP_3) | instskip(NEXT) | instid1(VALU_DEP_3)
	v_lshlrev_b16 v1, 8, v1
	v_sub_nc_u16 v10, v10, v14
	v_lshrrev_b32_e32 v14, 16, v136
	s_delay_alu instid0(VALU_DEP_3) | instskip(NEXT) | instid1(VALU_DEP_3)
	v_perm_b32 v1, v1, v1, 0xc0c0c01
	v_lshlrev_b16 v10, 8, v10
	s_delay_alu instid0(VALU_DEP_3) | instskip(SKIP_1) | instid1(VALU_DEP_1)
	v_sub_nc_u16 v14, v14, v15
	v_lshrrev_b16 v15, 8, v136
	v_sub_nc_u16 v8, v15, v8
	v_bfe_u32 v15, v18, 24, 2
	v_lshrrev_b16 v18, 8, v133
	s_delay_alu instid0(VALU_DEP_2) | instskip(SKIP_1) | instid1(VALU_DEP_2)
	v_sub_nc_u16 v15, v15, v16
	v_lshrrev_b32_e32 v16, 16, v137
	v_lshlrev_b16 v15, 8, v15
	s_delay_alu instid0(VALU_DEP_2) | instskip(SKIP_1) | instid1(VALU_DEP_1)
	v_sub_nc_u16 v16, v16, v17
	v_lshrrev_b16 v17, 8, v137
	v_sub_nc_u16 v17, v17, v18
	v_and_b32_e32 v18, 0xff, v13
	s_delay_alu instid0(VALU_DEP_1) | instskip(SKIP_1) | instid1(VALU_DEP_2)
	v_or_b32_e32 v6, v18, v6
	v_and_b32_e32 v18, 0xff, v14
	v_perm_b32 v6, v6, v13, 0xc05000c
	s_delay_alu instid0(VALU_DEP_2) | instskip(SKIP_1) | instid1(VALU_DEP_3)
	v_or_b32_e32 v10, v18, v10
	v_and_b32_e32 v18, 0xff, v16
	v_or_b32_e32 v1, v6, v1
	v_lshlrev_b16 v6, 8, v8
	s_delay_alu instid0(VALU_DEP_4) | instskip(NEXT) | instid1(VALU_DEP_4)
	v_perm_b32 v10, v10, v14, 0xc05000c
	v_or_b32_e32 v15, v18, v15
	v_lshlrev_b16 v8, 8, v17
	v_dot4_i32_iu8 v1, v130, v1, v9 neg_lo:[1,1,0]
	v_perm_b32 v6, v6, v6, 0xc0c0c01
	s_delay_alu instid0(VALU_DEP_4) | instskip(NEXT) | instid1(VALU_DEP_4)
	v_perm_b32 v13, v15, v16, 0xc05000c
	v_perm_b32 v8, v8, v8, 0xc0c0c01
	s_delay_alu instid0(VALU_DEP_3) | instskip(NEXT) | instid1(VALU_DEP_2)
	v_or_b32_e32 v6, v10, v6
	v_or_b32_e32 v8, v13, v8
	s_delay_alu instid0(VALU_DEP_2) | instskip(SKIP_1) | instid1(VALU_DEP_3)
	v_dot4_i32_iu8 v5, v130, v6, v5 neg_lo:[1,1,0]
	v_add_nc_u32_e32 v6, s22, v98
	v_dot4_i32_iu8 v7, v130, v8, v7 neg_lo:[1,1,0]
	v_add_nc_u32_e32 v8, s22, v96
	s_mov_b32 s22, s21
	ds_load_u16 v6, v6 offset:25346
	ds_load_u16 v8, v8 offset:27394
	s_wait_dscnt 0x1
	v_lshrrev_b16 v9, 8, v6
	v_bfe_i32 v6, v6, 0, 8
	s_delay_alu instid0(VALU_DEP_2) | instskip(NEXT) | instid1(VALU_DEP_2)
	v_bfe_i32 v9, v9, 0, 8
	v_mul_lo_u32 v0, v0, v6
	v_bfe_i32 v6, v166, 0, 8
	s_delay_alu instid0(VALU_DEP_2) | instskip(SKIP_3) | instid1(VALU_DEP_2)
	v_mad_co_u64_u32 v[0:1], null, v1, v9, v[0:1]
	v_lshrrev_b16 v1, 8, v166
	s_wait_dscnt 0x0
	v_bfe_i32 v9, v8, 0, 8
	v_bfe_i32 v10, v1, 0, 8
	v_mul_lo_u32 v1, v11, v6
	v_cvt_f32_i32_e32 v0, v0
	s_delay_alu instid0(VALU_DEP_2) | instskip(SKIP_4) | instid1(VALU_DEP_3)
	v_mad_co_u64_u32 v[5:6], null, v5, v10, v[1:2]
	ds_load_b32 v10, v128
	v_lshrrev_b16 v6, 8, v8
	v_mul_lo_u32 v1, v12, v9
	v_add_nc_u32_e32 v128, 4, v128
	v_bfe_i32 v6, v6, 0, 8
	v_cvt_f32_i32_e32 v5, v5
	s_delay_alu instid0(VALU_DEP_2) | instskip(NEXT) | instid1(VALU_DEP_1)
	v_mad_co_u64_u32 v[6:7], null, v7, v6, v[1:2]
	v_cvt_f32_i32_e32 v6, v6
	s_wait_dscnt 0x0
	v_mul_f32_e32 v1, v10, v159
	v_mul_f32_e32 v7, v10, v165
	;; [unrolled: 1-line block ×4, first 2 shown]
	v_cvt_f32_i32_e32 v10, v134
	v_fmac_f32_e32 v25, v1, v0
	s_delay_alu instid0(VALU_DEP_4) | instskip(NEXT) | instid1(VALU_DEP_3)
	v_dual_fmac_f32 v87, v7, v5 :: v_dual_fmac_f32 v82, v8, v6
	v_fmac_f32_e32 v2, v9, v10
	s_cbranch_scc1 .LBB229_11
; %bb.12:                               ;   in Loop: Header=BB229_5 Depth=1
	s_or_b32 s1, s16, 0x80
	s_wait_loadcnt 0x0
	s_wait_alu 0xfffe
	s_cmp_ge_i32 s1, s11
	s_barrier_signal -1
	s_barrier_wait -1
	global_inv scope:SCOPE_SE
	s_cbranch_scc1 .LBB229_4
; %bb.13:                               ;   in Loop: Header=BB229_5 Depth=1
	v_add_nc_u32_e32 v0, s17, v88
	s_delay_alu instid0(VALU_DEP_1)
	v_cmp_gt_i32_e64 s1, s5, v0
	s_and_b32 s20, s0, s1
	s_wait_alu 0xfffe
	s_and_saveexec_b32 s1, s20
	s_cbranch_execz .LBB229_15
; %bb.14:                               ;   in Loop: Header=BB229_5 Depth=1
	v_add_nc_u32_e32 v0, v91, v0
	s_delay_alu instid0(VALU_DEP_1)
	v_mad_co_i64_i32 v[0:1], null, v0, 36, v[3:4]
	global_load_b32 v0, v[0:1], off offset:4
	s_wait_loadcnt 0x0
	ds_store_b32 v85, v0
.LBB229_15:                             ;   in Loop: Header=BB229_5 Depth=1
	s_wait_alu 0xfffe
	s_or_b32 exec_lo, exec_lo, s1
	s_and_saveexec_b32 s20, vcc_lo
	s_cbranch_execz .LBB229_18
; %bb.16:                               ;   in Loop: Header=BB229_5 Depth=1
	v_or_b32_e32 v0, 4, v127
	s_delay_alu instid0(VALU_DEP_1)
	v_cmp_gt_i32_e64 s1, s5, v0
	s_and_b32 s1, s0, s1
	s_wait_alu 0xfffe
	s_and_b32 exec_lo, exec_lo, s1
	s_cbranch_execz .LBB229_18
; %bb.17:                               ;   in Loop: Header=BB229_5 Depth=1
	v_ashrrev_i32_e32 v0, 31, v127
	v_add_co_u32 v1, s1, v91, v127
	s_wait_alu 0xf1ff
	s_delay_alu instid0(VALU_DEP_2) | instskip(NEXT) | instid1(VALU_DEP_2)
	v_add_co_ci_u32_e64 v5, null, v94, v0, s1
	v_mad_co_u64_u32 v[0:1], null, v1, 36, s[2:3]
	s_delay_alu instid0(VALU_DEP_1)
	v_mad_i32_i24 v1, v5, 36, v1
	global_load_b32 v0, v[0:1], off offset:144
	s_wait_loadcnt 0x0
	v_cvt_f32_f16_e32 v0, v0
	ds_store_b32 v86, v0
.LBB229_18:                             ;   in Loop: Header=BB229_5 Depth=1
	s_wait_alu 0xfffe
	s_or_b32 exec_lo, exec_lo, s20
	v_dual_mov_b32 v128, v83 :: v_dual_mov_b32 v129, v84
	s_mov_b32 s1, 8
	s_mov_b32 s21, 6
	;; [unrolled: 1-line block ×3, first 2 shown]
	s_wait_loadcnt_dscnt 0x0
	s_barrier_signal -1
	s_barrier_wait -1
	global_inv scope:SCOPE_SE
.LBB229_19:                             ;   Parent Loop BB229_5 Depth=1
                                        ; =>  This Inner Loop Header: Depth=2
	ds_load_b128 v[5:8], v128
	ds_load_b128 v[16:19], v128 offset:16
	s_wait_alu 0xfffe
	s_add_co_i32 s22, s21, 2
	s_and_b32 s26, s1, -16
	s_wait_alu 0xfffe
	s_and_b32 s25, s22, 0x3ffffff8
	s_lshr_b32 s24, s22, 4
	s_wait_alu 0xfffe
	v_lshl_add_u32 v140, s25, 2, v92
	s_lshl_b32 s23, s24, 5
	s_add_co_i32 s25, s21, -6
	s_add_co_i32 s21, s21, s26
	s_wait_alu 0xfffe
	s_addk_co_i32 s23, 0x4200
	v_add_nc_u32_e32 v0, 0x3188, v140
	v_add_nc_u32_e32 v20, s21, v93
	s_lshl_b32 s24, s24, 2
	v_add_nc_u32_e32 v22, 0x3198, v140
	s_wait_alu 0xfffe
	s_addk_co_i32 s24, 0x7380
	v_add3_u32 v180, s23, v111, v112
	v_add3_u32 v182, s23, v114, v115
	;; [unrolled: 1-line block ×3, first 2 shown]
	v_add_nc_u32_e32 v128, 32, v128
	s_wait_dscnt 0x1
	v_lshrrev_b16 v155, 8, v5
	s_wait_dscnt 0x0
	v_lshrrev_b16 v161, 8, v16
	v_lshrrev_b16 v160, 8, v17
	v_ashrrev_i32_e32 v15, 24, v16
	v_bfe_i32 v13, v16, 16, 8
	v_bfe_i32 v162, v16, 0, 8
	v_perm_b32 v145, v16, v16, 0xc0c0302
	v_ashrrev_i32_e32 v16, 24, v17
	v_bfe_i32 v14, v17, 16, 8
	v_bfe_i32 v142, v17, 0, 8
	v_perm_b32 v138, v17, v17, 0xc030201
	v_add3_u32 v17, s23, v122, v123
	v_lshrrev_b16 v152, 8, v6
	v_lshrrev_b16 v151, 8, v7
	;; [unrolled: 1-line block ×3, first 2 shown]
	v_ashrrev_i32_e32 v11, 24, v5
	v_bfe_i32 v9, v5, 16, 8
	v_bfe_i32 v156, v5, 0, 8
	v_perm_b32 v149, v5, v5, 0xc0c0302
	v_ashrrev_i32_e32 v12, 24, v6
	v_bfe_i32 v10, v6, 16, 8
	v_bfe_i32 v143, v6, 0, 8
	v_perm_b32 v139, v6, v6, 0xc030201
	v_ashrrev_i32_e32 v146, 24, v7
	v_bfe_i32 v148, v7, 16, 8
	v_bfe_i32 v137, v7, 0, 8
	v_perm_b32 v135, v7, v7, 0xc030201
	v_ashrrev_i32_e32 v147, 24, v8
	v_bfe_i32 v150, v8, 16, 8
	v_bfe_i32 v133, v8, 0, 8
	v_perm_b32 v131, v8, v8, 0xc030201
	v_lshrrev_b16 v159, 8, v18
	v_lshrrev_b16 v144, 8, v19
	v_ashrrev_i32_e32 v153, 24, v18
	v_bfe_i32 v157, v18, 16, 8
	v_bfe_i32 v136, v18, 0, 8
	v_perm_b32 v134, v18, v18, 0xc030201
	v_ashrrev_i32_e32 v154, 24, v19
	v_bfe_i32 v158, v19, 16, 8
	v_bfe_i32 v132, v19, 0, 8
	v_perm_b32 v130, v19, v19, 0xc030201
	ds_load_2addr_b32 v[0:1], v0 offset1:1
	ds_load_2addr_b32 v[18:19], v17 offset0:4 offset1:5
	ds_load_2addr_b32 v[7:8], v17 offset0:6 offset1:7
	;; [unrolled: 1-line block ×3, first 2 shown]
	ds_load_u16 v167, v20 offset:28418
	s_wait_alu 0xfffe
	v_add3_u32 v20, s24, v124, v125
	v_bfe_i32 v161, v161, 0, 8
	v_bfe_i32 v160, v160, 0, 8
	;; [unrolled: 1-line block ×4, first 2 shown]
	ds_load_b32 v163, v20
	v_add_nc_u32_e32 v20, 0x3190, v140
	ds_load_2addr_b32 v[20:21], v20 offset1:1
	ds_load_2addr_b32 v[164:165], v22 offset1:1
	v_bfe_i32 v152, v152, 0, 8
	v_bfe_i32 v151, v151, 0, 8
	;; [unrolled: 1-line block ×3, first 2 shown]
	s_wait_dscnt 0x7
	v_ashrrev_i32_e32 v203, s25, v0
	s_wait_dscnt 0x6
	v_ashrrev_i32_e32 v19, s20, v19
	v_ashrrev_i32_e32 v18, s20, v18
	s_wait_dscnt 0x5
	v_ashrrev_i32_e32 v7, s20, v7
	v_ashrrev_i32_e32 v8, s20, v8
	v_ashrrev_i32_e32 v204, s25, v1
	v_lshlrev_b32_e32 v19, 2, v19
	v_lshlrev_b32_e32 v18, 2, v18
	;; [unrolled: 1-line block ×4, first 2 shown]
	s_wait_dscnt 0x4
	v_ashrrev_i32_e32 v5, s20, v5
	v_and_b32_e32 v19, 0x4040404, v19
	v_and_b32_e32 v18, 0x4040404, v18
	;; [unrolled: 1-line block ×4, first 2 shown]
	s_wait_dscnt 0x1
	v_ashrrev_i32_e32 v21, s25, v21
	v_ashrrev_i32_e32 v20, s25, v20
	v_lshrrev_b32_e32 v166, 24, v19
	v_lshrrev_b32_e32 v168, 24, v18
	s_wait_dscnt 0x0
	v_ashrrev_i32_e32 v190, s25, v164
	v_bfe_u32 v22, v21, 24, 2
	v_and_b32_e32 v21, 0x3030303, v21
	v_ashrrev_i32_e32 v191, s25, v165
	v_ashrrev_i32_e32 v6, s20, v6
	v_and_b32_e32 v194, 0x3030303, v190
	v_sub_nc_u16 v22, v22, v166
	v_bfe_u32 v166, v20, 24, 2
	v_and_b32_e32 v20, 0x3030303, v20
	v_and_b32_e32 v195, 0x3030303, v191
	v_sub_nc_u16 v7, v194, v192
	v_bfe_i32 v22, v22, 0, 16
	v_sub_nc_u16 v166, v166, v168
	v_and_b32_e32 v207, 0x3030303, v203
	v_sub_nc_u16 v8, v195, v193
	v_bfe_i32 v7, v7, 0, 8
	v_mul_i32_i24_e32 v16, v22, v16
	v_bfe_i32 v22, v166, 0, 16
	v_and_b32_e32 v208, 0x3030303, v204
	v_bfe_i32 v8, v8, 0, 8
	v_mul_i32_i24_e32 v7, v7, v136
	v_lshrrev_b16 v214, 8, v192
	v_mad_i32_i24 v188, v22, v15, v16
	v_lshrrev_b32_e32 v15, 16, v21
	v_lshrrev_b32_e32 v16, 16, v19
	;; [unrolled: 1-line block ×3, first 2 shown]
	v_mul_i32_i24_e32 v8, v8, v132
	v_bfe_i32 v141, v141, 0, 8
	s_add_co_i32 s1, s1, 2
	v_sub_nc_u16 v15, v15, v16
	v_lshrrev_b32_e32 v16, 16, v20
	s_delay_alu instid0(VALU_DEP_2) | instskip(NEXT) | instid1(VALU_DEP_2)
	v_bfe_i32 v15, v15, 0, 8
	v_sub_nc_u16 v16, v16, v22
	s_delay_alu instid0(VALU_DEP_2) | instskip(NEXT) | instid1(VALU_DEP_2)
	v_mul_i32_i24_e32 v14, v15, v14
	v_bfe_i32 v15, v16, 0, 8
	s_delay_alu instid0(VALU_DEP_1) | instskip(SKIP_4) | instid1(VALU_DEP_4)
	v_mad_i32_i24 v189, v15, v13, v14
	v_sub_nc_u16 v13, v21, v19
	v_sub_nc_u16 v14, v20, v18
	v_add3_u32 v15, s24, v120, v121
	v_lshrrev_b16 v18, 8, v18
	v_bfe_i32 v13, v13, 0, 8
	s_delay_alu instid0(VALU_DEP_4) | instskip(NEXT) | instid1(VALU_DEP_2)
	v_bfe_i32 v14, v14, 0, 8
	v_mul_i32_i24_e32 v13, v13, v142
	s_delay_alu instid0(VALU_DEP_1) | instskip(NEXT) | instid1(VALU_DEP_1)
	v_mad_i32_i24 v13, v14, v162, v13
	v_add3_u32 v196, v13, v7, v8
	v_add_nc_u32_e32 v13, 0x3180, v140
	ds_load_2addr_b32 v[7:8], v17 offset1:1
	ds_load_2addr_b32 v[13:14], v13 offset1:1
	ds_load_b32 v164, v15
	s_wait_dscnt 0x2
	v_ashrrev_i32_e32 v8, s20, v8
	v_ashrrev_i32_e32 v7, s20, v7
	s_wait_dscnt 0x1
	v_ashrrev_i32_e32 v14, s25, v14
	v_ashrrev_i32_e32 v13, s25, v13
	v_lshlrev_b32_e32 v8, 2, v8
	v_lshlrev_b32_e32 v7, 2, v7
	s_delay_alu instid0(VALU_DEP_4) | instskip(NEXT) | instid1(VALU_DEP_4)
	v_and_b32_e32 v200, 0x3030303, v14
	v_and_b32_e32 v201, 0x3030303, v13
	s_delay_alu instid0(VALU_DEP_4) | instskip(NEXT) | instid1(VALU_DEP_4)
	v_and_b32_e32 v197, 0x4040404, v8
	v_and_b32_e32 v198, 0x4040404, v7
	v_bfe_u32 v8, v14, 24, 2
	v_bfe_u32 v7, v13, 24, 2
	s_delay_alu instid0(VALU_DEP_4) | instskip(NEXT) | instid1(VALU_DEP_4)
	v_sub_nc_u16 v0, v200, v197
	v_sub_nc_u16 v1, v201, v198
	v_lshrrev_b32_e32 v15, 24, v197
	s_delay_alu instid0(VALU_DEP_3) | instskip(NEXT) | instid1(VALU_DEP_3)
	v_bfe_i32 v0, v0, 0, 8
	v_bfe_i32 v1, v1, 0, 8
	s_delay_alu instid0(VALU_DEP_3) | instskip(SKIP_1) | instid1(VALU_DEP_4)
	v_sub_nc_u16 v8, v8, v15
	v_lshrrev_b32_e32 v15, 24, v198
	v_mul_i32_i24_e32 v0, v0, v143
	s_delay_alu instid0(VALU_DEP_3) | instskip(NEXT) | instid1(VALU_DEP_3)
	v_bfe_i32 v8, v8, 0, 16
	v_sub_nc_u16 v7, v7, v15
	s_delay_alu instid0(VALU_DEP_3) | instskip(SKIP_4) | instid1(VALU_DEP_4)
	v_mad_i32_i24 v0, v1, v156, v0
	v_lshlrev_b32_e32 v1, 2, v5
	v_lshlrev_b32_e32 v5, 2, v6
	v_mul_i32_i24_e32 v8, v8, v12
	v_bfe_i32 v7, v7, 0, 16
	v_and_b32_e32 v205, 0x4040404, v1
	s_delay_alu instid0(VALU_DEP_4) | instskip(NEXT) | instid1(VALU_DEP_3)
	v_and_b32_e32 v206, 0x4040404, v5
	v_mad_i32_i24 v199, v7, v11, v8
	v_lshrrev_b32_e32 v7, 16, v200
	s_delay_alu instid0(VALU_DEP_4) | instskip(NEXT) | instid1(VALU_DEP_4)
	v_sub_nc_u16 v1, v207, v205
	v_sub_nc_u16 v5, v208, v206
	v_lshrrev_b32_e32 v8, 16, v197
	v_lshrrev_b32_e32 v11, 16, v198
	v_lshrrev_b16 v198, 8, v198
	v_bfe_i32 v1, v1, 0, 8
	v_bfe_i32 v5, v5, 0, 8
	v_sub_nc_u16 v7, v7, v8
	v_lshrrev_b32_e32 v8, 16, v201
	v_lshrrev_b16 v201, 8, v201
	v_mul_i32_i24_e32 v1, v1, v137
	v_mul_i32_i24_e32 v5, v5, v133
	v_bfe_i32 v7, v7, 0, 8
	v_sub_nc_u16 v8, v8, v11
	v_lshrrev_b16 v200, 8, v200
	v_lshrrev_b16 v197, 8, v197
	v_add3_u32 v209, v0, v1, v5
	ds_load_2addr_b32 v[168:169], v180 offset0:4 offset1:5
	ds_load_2addr_b32 v[0:1], v180 offset0:6 offset1:7
	;; [unrolled: 1-line block ×3, first 2 shown]
	v_mul_i32_i24_e32 v7, v7, v10
	v_bfe_i32 v8, v8, 0, 8
	v_add_nc_u32_e32 v10, 0x1098, v140
	v_sub_nc_u16 v198, v201, v198
	v_sub_nc_u16 v197, v200, v197
	v_lshrrev_b16 v200, 8, v207
	v_mad_i32_i24 v202, v8, v9, v7
	v_lshrrev_b16 v201, 8, v205
	v_bfe_i32 v198, v198, 0, 16
	v_bfe_i32 v197, v197, 0, 16
	s_delay_alu instid0(VALU_DEP_3) | instskip(NEXT) | instid1(VALU_DEP_2)
	v_sub_nc_u16 v200, v200, v201
	v_mul_i32_i24_e32 v152, v197, v152
	s_wait_dscnt 0x2
	v_ashrrev_i32_e32 v5, s20, v168
	s_delay_alu instid0(VALU_DEP_3)
	v_bfe_i32 v197, v200, 0, 16
	s_wait_dscnt 0x0
	v_ashrrev_i32_e32 v11, s20, v11
	v_ashrrev_i32_e32 v0, s20, v0
	;; [unrolled: 1-line block ×3, first 2 shown]
	v_lshlrev_b32_e32 v5, 2, v5
	v_mul_i32_i24_e32 v151, v197, v151
	v_lshlrev_b32_e32 v11, 2, v11
	v_lshlrev_b32_e32 v0, 2, v0
	;; [unrolled: 1-line block ×3, first 2 shown]
	v_and_b32_e32 v168, 0x4040404, v5
	ds_load_2addr_b32 v[170:171], v140 offset0:4 offset1:5
	ds_load_2addr_b32 v[5:6], v140 offset0:6 offset1:7
	ds_load_2addr_b32 v[13:14], v140 offset0:2 offset1:3
	v_and_b32_e32 v11, 0x4040404, v11
	v_and_b32_e32 v0, 0x4040404, v0
	;; [unrolled: 1-line block ×3, first 2 shown]
	v_lshrrev_b16 v8, 8, v168
	s_wait_dscnt 0x2
	v_ashrrev_i32_e32 v170, s25, v170
	s_wait_dscnt 0x1
	v_ashrrev_i32_e32 v5, s25, v5
	s_wait_dscnt 0x0
	v_ashrrev_i32_e32 v13, s25, v13
	v_ashrrev_i32_e32 v6, s25, v6
	v_and_b32_e32 v210, 0x3030303, v170
	s_delay_alu instid0(VALU_DEP_1) | instskip(NEXT) | instid1(VALU_DEP_1)
	v_lshrrev_b16 v7, 8, v210
	v_sub_nc_u16 v181, v7, v8
	v_add_nc_u32_e32 v7, s21, v97
	s_delay_alu instid0(VALU_DEP_2)
	v_lshlrev_b16 v181, 8, v181
	ds_load_u16 v166, v7 offset:26370
	v_add3_u32 v7, s24, v116, v117
	v_bfe_i32 v181, v181, 8, 8
	ds_load_b32 v165, v7
	ds_load_2addr_b32 v[172:173], v182 offset0:4 offset1:5
	ds_load_2addr_b32 v[7:8], v182 offset0:6 offset1:7
	;; [unrolled: 1-line block ×3, first 2 shown]
	s_wait_dscnt 0x2
	v_ashrrev_i32_e32 v9, s20, v172
	s_wait_dscnt 0x1
	v_ashrrev_i32_e32 v7, s20, v7
	;; [unrolled: 2-line block ×3, first 2 shown]
	v_ashrrev_i32_e32 v16, s20, v16
	v_ashrrev_i32_e32 v8, s20, v8
	v_lshlrev_b32_e32 v9, 2, v9
	v_lshlrev_b32_e32 v7, 2, v7
	;; [unrolled: 1-line block ×5, first 2 shown]
	v_and_b32_e32 v172, 0x4040404, v9
	v_add_nc_u32_e32 v9, 0x1090, v140
	ds_load_2addr_b32 v[174:175], v9 offset1:1
	ds_load_2addr_b32 v[9:10], v10 offset1:1
	v_lshrrev_b16 v22, 8, v172
	v_and_b32_e32 v15, 0x4040404, v15
	v_and_b32_e32 v7, 0x4040404, v7
	v_and_b32_e32 v16, 0x4040404, v16
	v_and_b32_e32 v8, 0x4040404, v8
	s_wait_dscnt 0x1
	v_ashrrev_i32_e32 v174, s25, v174
	s_wait_dscnt 0x0
	v_ashrrev_i32_e32 v9, s25, v9
	v_ashrrev_i32_e32 v10, s25, v10
	s_delay_alu instid0(VALU_DEP_3) | instskip(NEXT) | instid1(VALU_DEP_1)
	v_and_b32_e32 v211, 0x3030303, v174
	v_lshrrev_b16 v17, 8, v211
	v_sub_nc_u16 v215, v211, v172
	s_delay_alu instid0(VALU_DEP_2) | instskip(SKIP_1) | instid1(VALU_DEP_3)
	v_sub_nc_u16 v183, v17, v22
	v_lshrrev_b16 v17, 8, v20
	v_bfe_i32 v215, v215, 0, 8
	s_delay_alu instid0(VALU_DEP_2)
	v_sub_nc_u16 v184, v17, v18
	v_lshrrev_b16 v18, 8, v19
	ds_load_2addr_b32 v[176:177], v212 offset0:4 offset1:5
	ds_load_2addr_b32 v[19:20], v212 offset0:2 offset1:3
	v_lshrrev_b16 v17, 8, v21
	v_add_nc_u32_e32 v21, 0x2108, v140
	v_mul_i32_i24_e32 v215, v162, v215
	s_delay_alu instid0(VALU_DEP_3)
	v_sub_nc_u16 v185, v17, v18
	v_add_nc_u32_e32 v18, 0x2118, v140
	s_wait_dscnt 0x1
	v_ashrrev_i32_e32 v17, s20, v176
	s_wait_dscnt 0x0
	v_ashrrev_i32_e32 v19, s20, v19
	s_delay_alu instid0(VALU_DEP_2) | instskip(NEXT) | instid1(VALU_DEP_2)
	v_lshlrev_b32_e32 v17, 2, v17
	v_lshlrev_b32_e32 v19, 2, v19
	s_delay_alu instid0(VALU_DEP_2)
	v_and_b32_e32 v176, 0x4040404, v17
	v_add_nc_u32_e32 v17, 0x2110, v140
	ds_load_2addr_b32 v[178:179], v17 offset1:1
	ds_load_2addr_b32 v[17:18], v18 offset1:1
	ds_load_2addr_b32 v[21:22], v21 offset1:1
	v_lshrrev_b16 v187, 8, v176
	v_and_b32_e32 v19, 0x4040404, v19
	s_wait_dscnt 0x2
	v_ashrrev_i32_e32 v178, s25, v178
	s_wait_dscnt 0x1
	v_ashrrev_i32_e32 v17, s25, v17
	;; [unrolled: 2-line block ×3, first 2 shown]
	v_ashrrev_i32_e32 v18, s25, v18
	v_and_b32_e32 v213, 0x3030303, v178
	s_delay_alu instid0(VALU_DEP_1) | instskip(SKIP_1) | instid1(VALU_DEP_2)
	v_lshrrev_b16 v186, 8, v213
	v_sub_nc_u16 v216, v213, v176
	v_sub_nc_u16 v186, v186, v187
	v_lshrrev_b16 v187, 8, v194
	s_delay_alu instid0(VALU_DEP_3) | instskip(NEXT) | instid1(VALU_DEP_2)
	v_bfe_i32 v216, v216, 0, 8
	v_sub_nc_u16 v187, v187, v214
	v_sub_nc_u16 v214, v210, v168
	s_delay_alu instid0(VALU_DEP_1) | instskip(NEXT) | instid1(VALU_DEP_1)
	v_bfe_i32 v214, v214, 0, 8
	v_mul_i32_i24_e32 v214, v162, v214
	v_mul_i32_i24_e32 v162, v162, v216
	s_delay_alu instid0(VALU_DEP_2) | instskip(SKIP_2) | instid1(VALU_DEP_2)
	v_mad_i32_i24 v214, v161, v181, v214
	v_lshlrev_b16 v181, 8, v183
	v_add_nc_u32_e32 v183, 0x1080, v140
	v_bfe_i32 v181, v181, 8, 8
	s_delay_alu instid0(VALU_DEP_1) | instskip(SKIP_1) | instid1(VALU_DEP_1)
	v_mad_i32_i24 v215, v161, v181, v215
	v_lshlrev_b16 v181, 8, v186
	v_bfe_i32 v181, v181, 8, 8
	s_delay_alu instid0(VALU_DEP_1) | instskip(SKIP_1) | instid1(VALU_DEP_1)
	v_mad_i32_i24 v216, v161, v181, v162
	v_bfe_i32 v162, v184, 0, 16
	v_mul_i32_i24_e32 v161, v162, v161
	v_bfe_i32 v162, v185, 0, 16
	s_delay_alu instid0(VALU_DEP_1) | instskip(SKIP_1) | instid1(VALU_DEP_1)
	v_mul_i32_i24_e32 v160, v162, v160
	v_bfe_i32 v162, v187, 0, 16
	v_mul_i32_i24_e32 v159, v162, v159
	s_delay_alu instid0(VALU_DEP_1)
	v_add3_u32 v217, v161, v160, v159
	ds_load_2addr_b32 v[159:160], v180 offset1:1
	ds_load_2addr_b32 v[161:162], v140 offset1:1
	s_wait_dscnt 0x1
	v_ashrrev_i32_e32 v159, s20, v159
	s_wait_dscnt 0x0
	v_ashrrev_i32_e32 v161, s25, v161
	s_delay_alu instid0(VALU_DEP_2) | instskip(NEXT) | instid1(VALU_DEP_2)
	v_lshlrev_b32_e32 v159, 2, v159
	v_and_b32_e32 v219, 0x3030303, v161
	s_delay_alu instid0(VALU_DEP_2) | instskip(NEXT) | instid1(VALU_DEP_2)
	v_and_b32_e32 v218, 0x4040404, v159
	v_lshrrev_b16 v159, 8, v219
	s_delay_alu instid0(VALU_DEP_2) | instskip(SKIP_1) | instid1(VALU_DEP_2)
	v_lshrrev_b16 v180, 8, v218
	v_sub_nc_u16 v201, v219, v218
	v_sub_nc_u16 v220, v159, v180
	v_add3_u32 v159, s24, v126, v113
	s_delay_alu instid0(VALU_DEP_3) | instskip(NEXT) | instid1(VALU_DEP_3)
	v_bfe_i32 v201, v201, 0, 8
	v_lshlrev_b16 v220, 8, v220
	ds_load_b32 v159, v159
	ds_load_2addr_b32 v[180:181], v182 offset1:1
	ds_load_2addr_b32 v[182:183], v183 offset1:1
	v_mul_i32_i24_e32 v201, v156, v201
	v_bfe_i32 v220, v220, 8, 8
	s_delay_alu instid0(VALU_DEP_1) | instskip(SKIP_4) | instid1(VALU_DEP_2)
	v_mad_i32_i24 v201, v155, v220, v201
	s_wait_dscnt 0x1
	v_ashrrev_i32_e32 v180, s20, v180
	s_wait_dscnt 0x0
	v_ashrrev_i32_e32 v182, s25, v182
	v_lshlrev_b32_e32 v180, 2, v180
	s_delay_alu instid0(VALU_DEP_2) | instskip(NEXT) | instid1(VALU_DEP_2)
	v_and_b32_e32 v221, 0x3030303, v182
	v_and_b32_e32 v180, 0x4040404, v180
	s_delay_alu instid0(VALU_DEP_2) | instskip(NEXT) | instid1(VALU_DEP_2)
	v_lshrrev_b16 v184, 8, v221
	v_lshrrev_b16 v185, 8, v180
	s_delay_alu instid0(VALU_DEP_1) | instskip(SKIP_4) | instid1(VALU_DEP_1)
	v_sub_nc_u16 v222, v184, v185
	v_add_nc_u32_e32 v184, 0x2100, v140
	ds_load_2addr_b32 v[184:185], v184 offset1:1
	ds_load_2addr_b32 v[186:187], v212 offset1:1
	v_lshlrev_b16 v220, 8, v222
	v_bfe_i32 v220, v220, 8, 8
	s_wait_dscnt 0x1
	v_ashrrev_i32_e32 v184, s25, v184
	s_wait_dscnt 0x0
	v_ashrrev_i32_e32 v186, s20, v186
	s_delay_alu instid0(VALU_DEP_2) | instskip(NEXT) | instid1(VALU_DEP_2)
	v_and_b32_e32 v223, 0x3030303, v184
	v_lshlrev_b32_e32 v186, 2, v186
	s_delay_alu instid0(VALU_DEP_2) | instskip(NEXT) | instid1(VALU_DEP_2)
	v_lshrrev_b16 v224, 8, v223
	v_and_b32_e32 v186, 0x4040404, v186
	s_delay_alu instid0(VALU_DEP_1) | instskip(SKIP_1) | instid1(VALU_DEP_2)
	v_lshrrev_b16 v225, 8, v186
	v_sub_nc_u16 v226, v223, v186
	v_sub_nc_u16 v224, v224, v225
	v_sub_nc_u16 v225, v221, v180
	s_delay_alu instid0(VALU_DEP_3) | instskip(NEXT) | instid1(VALU_DEP_3)
	v_bfe_i32 v226, v226, 0, 8
	v_lshlrev_b16 v222, 8, v224
	s_delay_alu instid0(VALU_DEP_3) | instskip(NEXT) | instid1(VALU_DEP_2)
	v_bfe_i32 v225, v225, 0, 8
	v_bfe_i32 v222, v222, 8, 8
	s_delay_alu instid0(VALU_DEP_2) | instskip(SKIP_1) | instid1(VALU_DEP_2)
	v_mul_i32_i24_e32 v225, v156, v225
	v_mul_i32_i24_e32 v156, v156, v226
	v_mad_i32_i24 v220, v155, v220, v225
	s_delay_alu instid0(VALU_DEP_2) | instskip(SKIP_1) | instid1(VALU_DEP_1)
	v_mad_i32_i24 v156, v155, v222, v156
	v_mul_i32_i24_e32 v155, v198, v155
	v_add3_u32 v151, v155, v152, v151
	v_lshrrev_b32_e32 v152, 16, v194
	v_lshrrev_b32_e32 v155, 16, v192
	;; [unrolled: 1-line block ×3, first 2 shown]
	s_delay_alu instid0(VALU_DEP_2) | instskip(SKIP_1) | instid1(VALU_DEP_2)
	v_sub_nc_u16 v152, v152, v155
	v_lshrrev_b32_e32 v155, 16, v195
	v_bfe_i32 v152, v152, 0, 8
	s_delay_alu instid0(VALU_DEP_2) | instskip(NEXT) | instid1(VALU_DEP_2)
	v_sub_nc_u16 v155, v155, v194
	v_mul_i32_i24_e32 v152, v152, v157
	s_delay_alu instid0(VALU_DEP_2) | instskip(SKIP_1) | instid1(VALU_DEP_2)
	v_bfe_i32 v155, v155, 0, 8
	v_lshrrev_b32_e32 v157, 24, v192
	v_mul_i32_i24_e32 v155, v155, v158
	v_lshrrev_b32_e32 v158, 24, v193
	s_delay_alu instid0(VALU_DEP_2) | instskip(SKIP_1) | instid1(VALU_DEP_1)
	v_add3_u32 v152, v189, v152, v155
	v_bfe_u32 v155, v190, 24, 2
	v_sub_nc_u16 v155, v155, v157
	v_bfe_u32 v157, v191, 24, 2
	s_delay_alu instid0(VALU_DEP_2) | instskip(NEXT) | instid1(VALU_DEP_2)
	v_bfe_i32 v155, v155, 0, 16
	v_sub_nc_u16 v157, v157, v158
	v_lshrrev_b32_e32 v158, 24, v180
	s_delay_alu instid0(VALU_DEP_3) | instskip(NEXT) | instid1(VALU_DEP_3)
	v_mul_i32_i24_e32 v153, v155, v153
	v_bfe_i32 v155, v157, 0, 16
	v_lshrrev_b32_e32 v157, 16, v218
	s_delay_alu instid0(VALU_DEP_2) | instskip(SKIP_1) | instid1(VALU_DEP_2)
	v_mul_i32_i24_e32 v154, v155, v154
	v_lshrrev_b32_e32 v155, 24, v218
	v_add3_u32 v153, v188, v153, v154
	v_bfe_u32 v154, v161, 24, 2
	v_lshrrev_b32_e32 v161, 16, v180
	v_lshrrev_b32_e32 v180, 24, v186
	s_delay_alu instid0(VALU_DEP_3) | instskip(SKIP_1) | instid1(VALU_DEP_2)
	v_sub_nc_u16 v154, v154, v155
	v_lshrrev_b32_e32 v155, 16, v219
	v_lshlrev_b16 v154, 8, v154
	s_delay_alu instid0(VALU_DEP_2) | instskip(SKIP_2) | instid1(VALU_DEP_2)
	v_sub_nc_u16 v155, v155, v157
	v_bfe_u32 v157, v182, 24, 2
	v_lshrrev_b32_e32 v182, 16, v186
	v_sub_nc_u16 v157, v157, v158
	v_lshrrev_b32_e32 v158, 16, v221
	s_delay_alu instid0(VALU_DEP_2) | instskip(NEXT) | instid1(VALU_DEP_2)
	v_lshlrev_b16 v157, 8, v157
	v_sub_nc_u16 v158, v158, v161
	v_bfe_u32 v161, v184, 24, 2
	s_delay_alu instid0(VALU_DEP_1) | instskip(SKIP_1) | instid1(VALU_DEP_2)
	v_sub_nc_u16 v161, v161, v180
	v_lshrrev_b32_e32 v180, 16, v223
	v_lshlrev_b16 v161, 8, v161
	s_delay_alu instid0(VALU_DEP_2) | instskip(SKIP_1) | instid1(VALU_DEP_1)
	v_sub_nc_u16 v180, v180, v182
	v_and_b32_e32 v182, 0xff, v155
	v_or_b32_e32 v154, v182, v154
	v_and_b32_e32 v182, 0xff, v158
	s_delay_alu instid0(VALU_DEP_2) | instskip(NEXT) | instid1(VALU_DEP_2)
	v_perm_b32 v154, v154, v155, 0xc0c0500
	v_or_b32_e32 v157, v182, v157
	v_and_b32_e32 v182, 0xff, v180
	s_delay_alu instid0(VALU_DEP_3) | instskip(NEXT) | instid1(VALU_DEP_3)
	v_dot4_i32_iu8 v154, v149, v154, v201 neg_lo:[1,1,0]
	v_perm_b32 v155, v157, v158, 0xc0c0500
	s_delay_alu instid0(VALU_DEP_3) | instskip(SKIP_1) | instid1(VALU_DEP_3)
	v_or_b32_e32 v161, v182, v161
	v_lshrrev_b32_e32 v158, 16, v206
	v_dot4_i32_iu8 v155, v149, v155, v220 neg_lo:[1,1,0]
	s_delay_alu instid0(VALU_DEP_3) | instskip(SKIP_1) | instid1(VALU_DEP_2)
	v_perm_b32 v157, v161, v180, 0xc0c0500
	v_lshrrev_b32_e32 v161, 24, v176
	v_dot4_i32_iu8 v149, v149, v157, v156 neg_lo:[1,1,0]
	v_lshrrev_b32_e32 v156, 16, v207
	v_lshrrev_b32_e32 v157, 16, v205
	s_delay_alu instid0(VALU_DEP_1) | instskip(SKIP_1) | instid1(VALU_DEP_2)
	v_sub_nc_u16 v156, v156, v157
	v_lshrrev_b32_e32 v157, 16, v208
	v_bfe_i32 v156, v156, 0, 8
	s_delay_alu instid0(VALU_DEP_2) | instskip(SKIP_1) | instid1(VALU_DEP_3)
	v_sub_nc_u16 v157, v157, v158
	v_lshrrev_b32_e32 v158, 16, v172
	v_mul_i32_i24_e32 v148, v156, v148
	s_delay_alu instid0(VALU_DEP_3) | instskip(SKIP_1) | instid1(VALU_DEP_2)
	v_bfe_i32 v156, v157, 0, 8
	v_lshrrev_b32_e32 v157, 24, v206
	v_mul_i32_i24_e32 v150, v156, v150
	v_lshrrev_b32_e32 v156, 24, v205
	s_delay_alu instid0(VALU_DEP_2) | instskip(SKIP_1) | instid1(VALU_DEP_1)
	v_add3_u32 v148, v202, v148, v150
	v_bfe_u32 v150, v203, 24, 2
	v_sub_nc_u16 v150, v150, v156
	v_bfe_u32 v156, v204, 24, 2
	s_delay_alu instid0(VALU_DEP_2) | instskip(NEXT) | instid1(VALU_DEP_2)
	v_bfe_i32 v150, v150, 0, 16
	v_sub_nc_u16 v156, v156, v157
	v_lshrrev_b32_e32 v157, 24, v172
	s_delay_alu instid0(VALU_DEP_3) | instskip(NEXT) | instid1(VALU_DEP_3)
	v_mul_i32_i24_e32 v146, v150, v146
	v_bfe_i32 v150, v156, 0, 16
	v_lshrrev_b32_e32 v156, 16, v168
	s_delay_alu instid0(VALU_DEP_2) | instskip(SKIP_2) | instid1(VALU_DEP_3)
	v_mul_i32_i24_e32 v147, v150, v147
	v_lshrrev_b32_e32 v150, 24, v168
	v_lshrrev_b32_e32 v168, 16, v176
	v_add3_u32 v146, v199, v146, v147
	v_bfe_u32 v147, v170, 24, 2
	s_delay_alu instid0(VALU_DEP_1) | instskip(SKIP_1) | instid1(VALU_DEP_2)
	v_sub_nc_u16 v147, v147, v150
	v_lshrrev_b32_e32 v150, 16, v210
	v_lshlrev_b16 v147, 8, v147
	s_delay_alu instid0(VALU_DEP_2) | instskip(SKIP_1) | instid1(VALU_DEP_1)
	v_sub_nc_u16 v150, v150, v156
	v_bfe_u32 v156, v174, 24, 2
	v_sub_nc_u16 v156, v156, v157
	v_lshrrev_b32_e32 v157, 16, v211
	s_delay_alu instid0(VALU_DEP_2) | instskip(NEXT) | instid1(VALU_DEP_2)
	v_lshlrev_b16 v156, 8, v156
	v_sub_nc_u16 v157, v157, v158
	v_bfe_u32 v158, v178, 24, 2
	s_delay_alu instid0(VALU_DEP_1) | instskip(SKIP_1) | instid1(VALU_DEP_2)
	v_sub_nc_u16 v158, v158, v161
	v_lshrrev_b32_e32 v161, 16, v213
	v_lshlrev_b16 v158, 8, v158
	s_delay_alu instid0(VALU_DEP_2) | instskip(SKIP_1) | instid1(VALU_DEP_1)
	v_sub_nc_u16 v161, v161, v168
	v_and_b32_e32 v168, 0xff, v150
	v_or_b32_e32 v147, v168, v147
	v_and_b32_e32 v168, 0xff, v157
	s_delay_alu instid0(VALU_DEP_2) | instskip(NEXT) | instid1(VALU_DEP_2)
	v_perm_b32 v147, v147, v150, 0xc0c0500
	v_or_b32_e32 v156, v168, v156
	v_and_b32_e32 v168, 0xff, v161
	s_delay_alu instid0(VALU_DEP_3) | instskip(NEXT) | instid1(VALU_DEP_3)
	v_dot4_i32_iu8 v147, v145, v147, v214 neg_lo:[1,1,0]
	v_perm_b32 v150, v156, v157, 0xc0c0500
	s_delay_alu instid0(VALU_DEP_3) | instskip(SKIP_1) | instid1(VALU_DEP_3)
	v_or_b32_e32 v158, v168, v158
	v_lshrrev_b16 v157, 8, v193
	v_dot4_i32_iu8 v150, v145, v150, v215 neg_lo:[1,1,0]
	s_delay_alu instid0(VALU_DEP_3) | instskip(SKIP_2) | instid1(VALU_DEP_3)
	v_perm_b32 v156, v158, v161, 0xc0c0500
	v_ashrrev_i32_e32 v158, s20, v187
	v_ashrrev_i32_e32 v161, s25, v185
	v_dot4_i32_iu8 v145, v145, v156, v216 neg_lo:[1,1,0]
	v_lshrrev_b16 v156, 8, v195
	s_delay_alu instid0(VALU_DEP_4) | instskip(NEXT) | instid1(VALU_DEP_2)
	v_lshlrev_b32_e32 v158, 2, v158
	v_sub_nc_u16 v156, v156, v157
	v_ashrrev_i32_e32 v157, s20, v181
	s_delay_alu instid0(VALU_DEP_3) | instskip(NEXT) | instid1(VALU_DEP_3)
	v_and_b32_e32 v158, 0x4040404, v158
	v_bfe_i32 v156, v156, 0, 16
	s_delay_alu instid0(VALU_DEP_3) | instskip(NEXT) | instid1(VALU_DEP_2)
	v_lshlrev_b32_e32 v157, 2, v157
	v_mul_i32_i24_e32 v144, v156, v144
	v_ashrrev_i32_e32 v156, s20, v160
	v_ashrrev_i32_e32 v160, s25, v183
	s_delay_alu instid0(VALU_DEP_4) | instskip(NEXT) | instid1(VALU_DEP_4)
	v_and_b32_e32 v157, 0x4040404, v157
	v_add3_u32 v144, v217, v144, v153
	v_ashrrev_i32_e32 v153, s25, v162
	v_lshlrev_b32_e32 v156, 2, v156
	s_delay_alu instid0(VALU_DEP_3) | instskip(NEXT) | instid1(VALU_DEP_3)
	v_add3_u32 v144, v196, v152, v144
	v_and_b32_e32 v162, 0x3030303, v153
	s_delay_alu instid0(VALU_DEP_3) | instskip(NEXT) | instid1(VALU_DEP_1)
	v_and_b32_e32 v156, 0x4040404, v156
	v_sub_nc_u16 v168, v162, v156
	v_lshrrev_b32_e32 v152, 24, v156
	s_delay_alu instid0(VALU_DEP_2) | instskip(NEXT) | instid1(VALU_DEP_1)
	v_bfe_i32 v168, v168, 0, 8
	v_mad_i32_i24 v154, v143, v168, v154
	v_and_b32_e32 v168, 0x3030303, v160
	s_delay_alu instid0(VALU_DEP_1) | instskip(NEXT) | instid1(VALU_DEP_1)
	v_sub_nc_u16 v170, v168, v157
	v_bfe_i32 v170, v170, 0, 8
	s_delay_alu instid0(VALU_DEP_1) | instskip(SKIP_2) | instid1(VALU_DEP_2)
	v_mad_i32_i24 v155, v143, v170, v155
	v_and_b32_e32 v170, 0x3030303, v161
	v_bfe_u32 v161, v161, 24, 2
	v_sub_nc_u16 v172, v170, v158
	s_delay_alu instid0(VALU_DEP_1) | instskip(NEXT) | instid1(VALU_DEP_1)
	v_bfe_i32 v172, v172, 0, 8
	v_mad_i32_i24 v143, v143, v172, v149
	v_lshrrev_b16 v149, 8, v208
	v_lshrrev_b16 v172, 8, v206
	s_delay_alu instid0(VALU_DEP_1) | instskip(SKIP_1) | instid1(VALU_DEP_2)
	v_sub_nc_u16 v149, v149, v172
	v_ashrrev_i32_e32 v172, s25, v179
	v_bfe_i32 v149, v149, 0, 16
	s_delay_alu instid0(VALU_DEP_1) | instskip(SKIP_2) | instid1(VALU_DEP_3)
	v_mul_i32_i24_e32 v141, v149, v141
	v_ashrrev_i32_e32 v149, s20, v169
	v_ashrrev_i32_e32 v169, s20, v177
	v_add3_u32 v141, v151, v141, v146
	v_ashrrev_i32_e32 v146, s25, v171
	s_delay_alu instid0(VALU_DEP_4)
	v_lshlrev_b32_e32 v149, 2, v149
	v_ashrrev_i32_e32 v151, s20, v173
	v_ashrrev_i32_e32 v171, s25, v175
	v_lshlrev_b32_e32 v169, 2, v169
	v_and_b32_e32 v173, 0x3030303, v146
	v_and_b32_e32 v149, 0x4040404, v149
	v_lshlrev_b32_e32 v151, 2, v151
	v_add3_u32 v148, v209, v148, v141
	v_and_b32_e32 v169, 0x4040404, v169
	s_delay_alu instid0(VALU_DEP_4) | instskip(NEXT) | instid1(VALU_DEP_4)
	v_sub_nc_u16 v174, v173, v149
	v_and_b32_e32 v151, 0x4040404, v151
	v_lshrrev_b32_e32 v141, 24, v149
	s_delay_alu instid0(VALU_DEP_3) | instskip(NEXT) | instid1(VALU_DEP_1)
	v_bfe_i32 v174, v174, 0, 8
	v_mad_i32_i24 v147, v142, v174, v147
	v_and_b32_e32 v174, 0x3030303, v171
	s_delay_alu instid0(VALU_DEP_1) | instskip(NEXT) | instid1(VALU_DEP_1)
	v_sub_nc_u16 v175, v174, v151
	v_bfe_i32 v175, v175, 0, 8
	s_delay_alu instid0(VALU_DEP_1) | instskip(SKIP_1) | instid1(VALU_DEP_1)
	v_mad_i32_i24 v150, v142, v175, v150
	v_and_b32_e32 v175, 0x3030303, v172
	v_sub_nc_u16 v176, v175, v169
	s_delay_alu instid0(VALU_DEP_1) | instskip(NEXT) | instid1(VALU_DEP_1)
	v_bfe_i32 v176, v176, 0, 8
	v_mad_i32_i24 v142, v142, v176, v145
	v_bfe_u32 v145, v153, 24, 2
	v_lshrrev_b32_e32 v153, 16, v156
	v_lshrrev_b16 v156, 8, v156
	s_delay_alu instid0(VALU_DEP_3) | instskip(SKIP_1) | instid1(VALU_DEP_2)
	v_sub_nc_u16 v145, v145, v152
	v_lshrrev_b32_e32 v152, 16, v162
	v_lshlrev_b16 v145, 8, v145
	s_delay_alu instid0(VALU_DEP_2) | instskip(SKIP_2) | instid1(VALU_DEP_2)
	v_sub_nc_u16 v152, v152, v153
	v_lshrrev_b16 v153, 8, v162
	v_lshrrev_b32_e32 v162, 16, v157
	v_sub_nc_u16 v153, v153, v156
	v_bfe_u32 v156, v160, 24, 2
	v_lshrrev_b32_e32 v160, 24, v157
	v_lshrrev_b16 v157, 8, v157
	s_delay_alu instid0(VALU_DEP_4) | instskip(NEXT) | instid1(VALU_DEP_3)
	v_lshlrev_b16 v153, 8, v153
	v_sub_nc_u16 v156, v156, v160
	v_lshrrev_b32_e32 v160, 16, v168
	s_delay_alu instid0(VALU_DEP_3) | instskip(NEXT) | instid1(VALU_DEP_3)
	v_perm_b32 v153, v153, v153, 0xc0c0c01
	v_lshlrev_b16 v156, 8, v156
	s_delay_alu instid0(VALU_DEP_3) | instskip(SKIP_2) | instid1(VALU_DEP_2)
	v_sub_nc_u16 v160, v160, v162
	v_lshrrev_b16 v162, 8, v168
	v_lshrrev_b32_e32 v168, 16, v158
	v_sub_nc_u16 v157, v162, v157
	v_lshrrev_b32_e32 v162, 24, v158
	v_lshrrev_b16 v158, 8, v158
	s_delay_alu instid0(VALU_DEP_2) | instskip(SKIP_1) | instid1(VALU_DEP_2)
	v_sub_nc_u16 v161, v161, v162
	v_lshrrev_b32_e32 v162, 16, v170
	v_lshlrev_b16 v161, 8, v161
	s_delay_alu instid0(VALU_DEP_2) | instskip(SKIP_1) | instid1(VALU_DEP_1)
	v_sub_nc_u16 v162, v162, v168
	v_lshrrev_b16 v168, 8, v170
	v_sub_nc_u16 v158, v168, v158
	v_and_b32_e32 v168, 0xff, v152
	s_delay_alu instid0(VALU_DEP_1) | instskip(SKIP_1) | instid1(VALU_DEP_2)
	v_or_b32_e32 v145, v168, v145
	v_and_b32_e32 v168, 0xff, v160
	v_perm_b32 v145, v145, v152, 0xc05000c
	s_delay_alu instid0(VALU_DEP_2) | instskip(SKIP_1) | instid1(VALU_DEP_3)
	v_or_b32_e32 v156, v168, v156
	v_and_b32_e32 v168, 0xff, v162
	v_or_b32_e32 v145, v145, v153
	v_lshlrev_b16 v153, 8, v157
	s_delay_alu instid0(VALU_DEP_4) | instskip(NEXT) | instid1(VALU_DEP_4)
	v_perm_b32 v152, v156, v160, 0xc05000c
	v_or_b32_e32 v161, v168, v161
	v_lshrrev_b16 v157, 8, v169
	v_dot4_i32_iu8 v145, v139, v145, v154 neg_lo:[1,1,0]
	v_perm_b32 v153, v153, v153, 0xc0c0c01
	v_lshrrev_b32_e32 v154, 16, v151
	v_perm_b32 v156, v161, v162, 0xc05000c
	s_delay_alu instid0(VALU_DEP_3) | instskip(SKIP_1) | instid1(VALU_DEP_2)
	v_or_b32_e32 v152, v152, v153
	v_lshlrev_b16 v153, 8, v158
	v_dot4_i32_iu8 v152, v139, v152, v155 neg_lo:[1,1,0]
	s_delay_alu instid0(VALU_DEP_2) | instskip(SKIP_1) | instid1(VALU_DEP_2)
	v_perm_b32 v153, v153, v153, 0xc0c0c01
	v_lshrrev_b32_e32 v155, 24, v169
	v_or_b32_e32 v153, v156, v153
	v_lshrrev_b32_e32 v156, 16, v169
	s_delay_alu instid0(VALU_DEP_2)
	v_dot4_i32_iu8 v143, v139, v153, v143 neg_lo:[1,1,0]
	v_bfe_u32 v139, v146, 24, 2
	v_lshrrev_b32_e32 v146, 16, v149
	v_lshrrev_b16 v149, 8, v149
	v_lshrrev_b32_e32 v153, 24, v151
	v_lshrrev_b16 v151, 8, v151
	v_sub_nc_u16 v139, v139, v141
	v_lshrrev_b32_e32 v141, 16, v173
	s_delay_alu instid0(VALU_DEP_2) | instskip(NEXT) | instid1(VALU_DEP_2)
	v_lshlrev_b16 v139, 8, v139
	v_sub_nc_u16 v141, v141, v146
	v_lshrrev_b16 v146, 8, v173
	s_delay_alu instid0(VALU_DEP_1) | instskip(SKIP_1) | instid1(VALU_DEP_2)
	v_sub_nc_u16 v146, v146, v149
	v_bfe_u32 v149, v171, 24, 2
	v_lshlrev_b16 v146, 8, v146
	s_delay_alu instid0(VALU_DEP_2) | instskip(SKIP_1) | instid1(VALU_DEP_3)
	v_sub_nc_u16 v149, v149, v153
	v_lshrrev_b32_e32 v153, 16, v174
	v_perm_b32 v146, v146, v146, 0xc0c0c01
	s_delay_alu instid0(VALU_DEP_3) | instskip(NEXT) | instid1(VALU_DEP_3)
	v_lshlrev_b16 v149, 8, v149
	v_sub_nc_u16 v153, v153, v154
	v_lshrrev_b16 v154, 8, v174
	s_delay_alu instid0(VALU_DEP_1) | instskip(SKIP_1) | instid1(VALU_DEP_1)
	v_sub_nc_u16 v151, v154, v151
	v_bfe_u32 v154, v172, 24, 2
	v_sub_nc_u16 v154, v154, v155
	v_lshrrev_b32_e32 v155, 16, v175
	s_delay_alu instid0(VALU_DEP_2) | instskip(NEXT) | instid1(VALU_DEP_2)
	v_lshlrev_b16 v154, 8, v154
	v_sub_nc_u16 v155, v155, v156
	v_lshrrev_b16 v156, 8, v175
	s_delay_alu instid0(VALU_DEP_1) | instskip(SKIP_1) | instid1(VALU_DEP_1)
	v_sub_nc_u16 v156, v156, v157
	v_and_b32_e32 v157, 0xff, v141
	v_or_b32_e32 v139, v157, v139
	v_and_b32_e32 v157, 0xff, v153
	s_delay_alu instid0(VALU_DEP_2) | instskip(NEXT) | instid1(VALU_DEP_2)
	v_perm_b32 v139, v139, v141, 0xc05000c
	v_or_b32_e32 v149, v157, v149
	v_and_b32_e32 v157, 0xff, v155
	s_delay_alu instid0(VALU_DEP_3) | instskip(SKIP_1) | instid1(VALU_DEP_4)
	v_or_b32_e32 v139, v139, v146
	v_lshlrev_b16 v146, 8, v151
	v_perm_b32 v141, v149, v153, 0xc05000c
	s_delay_alu instid0(VALU_DEP_4) | instskip(NEXT) | instid1(VALU_DEP_4)
	v_or_b32_e32 v154, v157, v154
	v_dot4_i32_iu8 v147, v138, v139, v147 neg_lo:[1,1,0]
	s_delay_alu instid0(VALU_DEP_4) | instskip(NEXT) | instid1(VALU_DEP_3)
	v_perm_b32 v146, v146, v146, 0xc0c0c01
	v_perm_b32 v149, v154, v155, 0xc05000c
	s_delay_alu instid0(VALU_DEP_2) | instskip(SKIP_1) | instid1(VALU_DEP_1)
	v_or_b32_e32 v141, v141, v146
	v_lshlrev_b16 v146, 8, v156
	v_perm_b32 v146, v146, v146, 0xc0c0c01
	s_delay_alu instid0(VALU_DEP_1) | instskip(NEXT) | instid1(VALU_DEP_4)
	v_or_b32_e32 v146, v149, v146
	v_dot4_i32_iu8 v149, v138, v141, v150 neg_lo:[1,1,0]
	s_delay_alu instid0(VALU_DEP_2) | instskip(SKIP_2) | instid1(VALU_DEP_2)
	v_dot4_i32_iu8 v142, v138, v146, v142 neg_lo:[1,1,0]
	v_and_b32_e32 v146, 0x3030303, v13
	v_bfe_u32 v13, v13, 24, 2
	v_sub_nc_u16 v138, v146, v11
	s_delay_alu instid0(VALU_DEP_1) | instskip(NEXT) | instid1(VALU_DEP_1)
	v_bfe_i32 v138, v138, 0, 8
	v_mad_i32_i24 v145, v137, v138, v145
	v_add_nc_u32_e32 v138, 0x1088, v140
	ds_load_2addr_b32 v[138:139], v138 offset1:1
	s_wait_dscnt 0x0
	v_ashrrev_i32_e32 v138, s25, v138
	s_delay_alu instid0(VALU_DEP_1) | instskip(SKIP_1) | instid1(VALU_DEP_2)
	v_and_b32_e32 v150, 0x3030303, v138
	v_bfe_u32 v138, v138, 24, 2
	v_sub_nc_u16 v140, v150, v15
	s_delay_alu instid0(VALU_DEP_1) | instskip(NEXT) | instid1(VALU_DEP_1)
	v_bfe_i32 v140, v140, 0, 8
	v_mad_i32_i24 v151, v137, v140, v152
	v_and_b32_e32 v152, 0x3030303, v21
	ds_load_2addr_b32 v[140:141], v212 offset0:6 offset1:7
	v_bfe_u32 v21, v21, 24, 2
	v_sub_nc_u16 v153, v152, v19
	s_delay_alu instid0(VALU_DEP_1) | instskip(NEXT) | instid1(VALU_DEP_1)
	v_bfe_i32 v153, v153, 0, 8
	v_mad_i32_i24 v137, v137, v153, v143
	v_and_b32_e32 v143, 0x3030303, v5
	v_bfe_u32 v5, v5, 24, 2
	s_delay_alu instid0(VALU_DEP_2) | instskip(SKIP_2) | instid1(VALU_DEP_2)
	v_sub_nc_u16 v153, v143, v0
	s_wait_dscnt 0x0
	v_ashrrev_i32_e32 v140, s20, v140
	v_bfe_i32 v153, v153, 0, 8
	s_delay_alu instid0(VALU_DEP_2) | instskip(NEXT) | instid1(VALU_DEP_2)
	v_lshlrev_b32_e32 v140, 2, v140
	v_mad_i32_i24 v147, v136, v153, v147
	v_and_b32_e32 v153, 0x3030303, v9
	s_delay_alu instid0(VALU_DEP_3) | instskip(SKIP_1) | instid1(VALU_DEP_3)
	v_and_b32_e32 v140, 0x4040404, v140
	v_bfe_u32 v9, v9, 24, 2
	v_sub_nc_u16 v154, v153, v7
	s_delay_alu instid0(VALU_DEP_1) | instskip(NEXT) | instid1(VALU_DEP_1)
	v_bfe_i32 v154, v154, 0, 8
	v_mad_i32_i24 v149, v136, v154, v149
	v_and_b32_e32 v154, 0x3030303, v17
	v_bfe_u32 v17, v17, 24, 2
	s_delay_alu instid0(VALU_DEP_2) | instskip(NEXT) | instid1(VALU_DEP_1)
	v_sub_nc_u16 v155, v154, v140
	v_bfe_i32 v155, v155, 0, 8
	s_delay_alu instid0(VALU_DEP_1) | instskip(SKIP_3) | instid1(VALU_DEP_3)
	v_mad_i32_i24 v136, v136, v155, v142
	v_lshrrev_b32_e32 v142, 24, v11
	v_lshrrev_b32_e32 v155, 16, v11
	v_lshrrev_b16 v11, 8, v11
	v_sub_nc_u16 v13, v13, v142
	v_lshrrev_b32_e32 v142, 16, v146
	v_lshrrev_b16 v146, 8, v146
	s_delay_alu instid0(VALU_DEP_3) | instskip(NEXT) | instid1(VALU_DEP_3)
	v_lshlrev_b16 v13, 8, v13
	v_sub_nc_u16 v142, v142, v155
	s_delay_alu instid0(VALU_DEP_3) | instskip(SKIP_3) | instid1(VALU_DEP_4)
	v_sub_nc_u16 v11, v146, v11
	v_lshrrev_b32_e32 v146, 24, v19
	v_lshrrev_b32_e32 v155, 16, v19
	v_lshrrev_b16 v19, 8, v19
	v_lshlrev_b16 v11, 8, v11
	s_delay_alu instid0(VALU_DEP_4) | instskip(SKIP_2) | instid1(VALU_DEP_4)
	v_sub_nc_u16 v21, v21, v146
	v_lshrrev_b32_e32 v146, 16, v152
	v_lshrrev_b16 v152, 8, v152
	v_perm_b32 v11, v11, v11, 0xc0c0c01
	s_delay_alu instid0(VALU_DEP_4) | instskip(NEXT) | instid1(VALU_DEP_4)
	v_lshlrev_b16 v21, 8, v21
	v_sub_nc_u16 v146, v146, v155
	s_delay_alu instid0(VALU_DEP_4) | instskip(SKIP_3) | instid1(VALU_DEP_3)
	v_sub_nc_u16 v19, v152, v19
	v_lshrrev_b32_e32 v152, 24, v15
	v_lshrrev_b32_e32 v155, 16, v15
	v_lshrrev_b16 v15, 8, v15
	v_sub_nc_u16 v138, v138, v152
	v_lshrrev_b32_e32 v152, 16, v150
	v_lshrrev_b16 v150, 8, v150
	s_delay_alu instid0(VALU_DEP_3) | instskip(NEXT) | instid1(VALU_DEP_3)
	v_lshlrev_b16 v138, 8, v138
	v_sub_nc_u16 v152, v152, v155
	s_delay_alu instid0(VALU_DEP_3) | instskip(SKIP_1) | instid1(VALU_DEP_2)
	v_sub_nc_u16 v15, v150, v15
	v_and_b32_e32 v150, 0xff, v142
	v_lshlrev_b16 v15, 8, v15
	s_delay_alu instid0(VALU_DEP_2) | instskip(SKIP_1) | instid1(VALU_DEP_3)
	v_or_b32_e32 v13, v150, v13
	v_and_b32_e32 v150, 0xff, v146
	v_perm_b32 v15, v15, v15, 0xc0c0c01
	s_delay_alu instid0(VALU_DEP_3) | instskip(NEXT) | instid1(VALU_DEP_3)
	v_perm_b32 v13, v13, v142, 0xc05000c
	v_or_b32_e32 v21, v150, v21
	v_and_b32_e32 v150, 0xff, v152
	s_delay_alu instid0(VALU_DEP_3) | instskip(SKIP_1) | instid1(VALU_DEP_4)
	v_or_b32_e32 v11, v13, v11
	v_lshlrev_b16 v13, 8, v19
	v_perm_b32 v21, v21, v146, 0xc05000c
	v_lshrrev_b32_e32 v19, 24, v0
	v_or_b32_e32 v138, v150, v138
	v_dot4_i32_iu8 v11, v135, v11, v145 neg_lo:[1,1,0]
	v_perm_b32 v13, v13, v13, 0xc0c0c01
	s_delay_alu instid0(VALU_DEP_4) | instskip(SKIP_2) | instid1(VALU_DEP_4)
	v_sub_nc_u16 v5, v5, v19
	v_lshrrev_b32_e32 v19, 16, v143
	v_perm_b32 v138, v138, v152, 0xc05000c
	v_or_b32_e32 v13, v21, v13
	v_lshrrev_b32_e32 v21, 16, v0
	v_lshrrev_b16 v0, 8, v0
	v_lshlrev_b16 v5, 8, v5
	v_or_b32_e32 v15, v138, v15
	v_dot4_i32_iu8 v13, v135, v13, v137 neg_lo:[1,1,0]
	v_sub_nc_u16 v19, v19, v21
	v_lshrrev_b16 v21, 8, v143
	v_lshrrev_b32_e32 v137, 16, v140
	v_dot4_i32_iu8 v15, v135, v15, v151 neg_lo:[1,1,0]
	v_lshrrev_b32_e32 v135, 16, v7
	v_lshrrev_b16 v138, 8, v140
	v_sub_nc_u16 v0, v21, v0
	v_lshrrev_b32_e32 v21, 24, v7
	v_lshrrev_b16 v7, 8, v7
	s_delay_alu instid0(VALU_DEP_3) | instskip(NEXT) | instid1(VALU_DEP_3)
	v_lshlrev_b16 v0, 8, v0
	v_sub_nc_u16 v9, v9, v21
	v_lshrrev_b32_e32 v21, 16, v153
	s_delay_alu instid0(VALU_DEP_3) | instskip(NEXT) | instid1(VALU_DEP_3)
	v_perm_b32 v0, v0, v0, 0xc0c0c01
	v_lshlrev_b16 v9, 8, v9
	s_delay_alu instid0(VALU_DEP_3) | instskip(SKIP_1) | instid1(VALU_DEP_1)
	v_sub_nc_u16 v21, v21, v135
	v_lshrrev_b16 v135, 8, v153
	v_sub_nc_u16 v7, v135, v7
	v_lshrrev_b32_e32 v135, 24, v140
	s_delay_alu instid0(VALU_DEP_1) | instskip(SKIP_1) | instid1(VALU_DEP_2)
	v_sub_nc_u16 v17, v17, v135
	v_lshrrev_b32_e32 v135, 16, v154
	v_lshlrev_b16 v17, 8, v17
	s_delay_alu instid0(VALU_DEP_2) | instskip(SKIP_1) | instid1(VALU_DEP_1)
	v_sub_nc_u16 v135, v135, v137
	v_lshrrev_b16 v137, 8, v154
	v_sub_nc_u16 v137, v137, v138
	v_and_b32_e32 v138, 0xff, v19
	s_delay_alu instid0(VALU_DEP_1) | instskip(SKIP_1) | instid1(VALU_DEP_2)
	v_or_b32_e32 v5, v138, v5
	v_and_b32_e32 v138, 0xff, v21
	v_perm_b32 v5, v5, v19, 0xc05000c
	s_delay_alu instid0(VALU_DEP_2) | instskip(SKIP_1) | instid1(VALU_DEP_3)
	v_or_b32_e32 v9, v138, v9
	v_and_b32_e32 v138, 0xff, v135
	v_or_b32_e32 v0, v5, v0
	v_lshlrev_b16 v5, 8, v7
	s_delay_alu instid0(VALU_DEP_3) | instskip(SKIP_2) | instid1(VALU_DEP_4)
	v_or_b32_e32 v17, v138, v17
	v_lshlrev_b16 v7, 8, v137
	v_perm_b32 v9, v9, v21, 0xc05000c
	v_perm_b32 v5, v5, v5, 0xc0c0c01
	s_delay_alu instid0(VALU_DEP_4) | instskip(NEXT) | instid1(VALU_DEP_4)
	v_perm_b32 v17, v17, v135, 0xc05000c
	v_perm_b32 v7, v7, v7, 0xc0c0c01
	s_delay_alu instid0(VALU_DEP_3) | instskip(SKIP_1) | instid1(VALU_DEP_3)
	v_or_b32_e32 v5, v9, v5
	v_dot4_i32_iu8 v9, v134, v0, v147 neg_lo:[1,1,0]
	v_or_b32_e32 v7, v17, v7
	v_lshrrev_b16 v0, 8, v167
	v_bfe_i32 v17, v167, 0, 8
	v_dot4_i32_iu8 v5, v134, v5, v149 neg_lo:[1,1,0]
	s_delay_alu instid0(VALU_DEP_4) | instskip(NEXT) | instid1(VALU_DEP_4)
	v_dot4_i32_iu8 v7, v134, v7, v136 neg_lo:[1,1,0]
	v_bfe_i32 v19, v0, 0, 8
	s_delay_alu instid0(VALU_DEP_4) | instskip(SKIP_1) | instid1(VALU_DEP_2)
	v_mul_lo_u32 v0, v148, v17
	v_ashrrev_i32_e32 v17, s25, v139
	v_mad_co_u64_u32 v[134:135], null, v144, v19, v[0:1]
	v_ashrrev_i32_e32 v0, s25, v14
	v_ashrrev_i32_e32 v14, s20, v20
	;; [unrolled: 1-line block ×4, first 2 shown]
	s_delay_alu instid0(VALU_DEP_4) | instskip(NEXT) | instid1(VALU_DEP_4)
	v_and_b32_e32 v20, 0x3030303, v0
	v_lshlrev_b32_e32 v14, 2, v14
	v_bfe_u32 v0, v0, 24, 2
	s_delay_alu instid0(VALU_DEP_4) | instskip(NEXT) | instid1(VALU_DEP_4)
	v_lshlrev_b32_e32 v1, 2, v1
	v_sub_nc_u16 v21, v20, v12
	s_delay_alu instid0(VALU_DEP_4) | instskip(NEXT) | instid1(VALU_DEP_3)
	v_and_b32_e32 v14, 0x4040404, v14
	v_and_b32_e32 v1, 0x4040404, v1
	s_delay_alu instid0(VALU_DEP_3) | instskip(NEXT) | instid1(VALU_DEP_1)
	v_bfe_i32 v21, v21, 0, 8
	v_mad_i32_i24 v11, v133, v21, v11
	v_and_b32_e32 v21, 0x3030303, v17
	v_bfe_u32 v17, v17, 24, 2
	s_delay_alu instid0(VALU_DEP_2) | instskip(NEXT) | instid1(VALU_DEP_1)
	v_sub_nc_u16 v22, v21, v16
	v_bfe_i32 v22, v22, 0, 8
	s_delay_alu instid0(VALU_DEP_1) | instskip(SKIP_2) | instid1(VALU_DEP_2)
	v_mad_i32_i24 v15, v133, v22, v15
	v_and_b32_e32 v22, 0x3030303, v19
	v_bfe_u32 v19, v19, 24, 2
	v_sub_nc_u16 v135, v22, v14
	s_delay_alu instid0(VALU_DEP_1) | instskip(NEXT) | instid1(VALU_DEP_1)
	v_bfe_i32 v135, v135, 0, 8
	v_mad_i32_i24 v13, v133, v135, v13
	v_and_b32_e32 v135, 0x3030303, v6
	v_ashrrev_i32_e32 v133, s20, v141
	v_bfe_u32 v6, v6, 24, 2
	s_add_co_i32 s20, s20, 1
	s_cmp_lt_u32 s22, 14
	v_sub_nc_u16 v136, v135, v1
	v_lshlrev_b32_e32 v133, 2, v133
	s_delay_alu instid0(VALU_DEP_2) | instskip(NEXT) | instid1(VALU_DEP_2)
	v_bfe_i32 v136, v136, 0, 8
	v_and_b32_e32 v133, 0x4040404, v133
	s_delay_alu instid0(VALU_DEP_2) | instskip(SKIP_2) | instid1(VALU_DEP_2)
	v_mad_i32_i24 v9, v132, v136, v9
	v_and_b32_e32 v136, 0x3030303, v10
	v_bfe_u32 v10, v10, 24, 2
	v_sub_nc_u16 v137, v136, v8
	s_delay_alu instid0(VALU_DEP_1) | instskip(NEXT) | instid1(VALU_DEP_1)
	v_bfe_i32 v137, v137, 0, 8
	v_mad_i32_i24 v5, v132, v137, v5
	v_and_b32_e32 v137, 0x3030303, v18
	s_delay_alu instid0(VALU_DEP_1) | instskip(NEXT) | instid1(VALU_DEP_1)
	v_sub_nc_u16 v138, v137, v133
	v_bfe_i32 v138, v138, 0, 8
	s_delay_alu instid0(VALU_DEP_1) | instskip(SKIP_3) | instid1(VALU_DEP_3)
	v_mad_i32_i24 v7, v132, v138, v7
	v_lshrrev_b32_e32 v132, 24, v12
	v_lshrrev_b32_e32 v138, 16, v12
	v_lshrrev_b16 v12, 8, v12
	v_sub_nc_u16 v0, v0, v132
	v_lshrrev_b32_e32 v132, 16, v20
	v_lshrrev_b16 v20, 8, v20
	s_delay_alu instid0(VALU_DEP_3) | instskip(NEXT) | instid1(VALU_DEP_3)
	v_lshlrev_b16 v0, 8, v0
	v_sub_nc_u16 v132, v132, v138
	s_delay_alu instid0(VALU_DEP_3) | instskip(SKIP_3) | instid1(VALU_DEP_4)
	v_sub_nc_u16 v12, v20, v12
	v_lshrrev_b32_e32 v20, 24, v14
	v_lshrrev_b32_e32 v138, 16, v14
	v_lshrrev_b16 v14, 8, v14
	v_lshlrev_b16 v12, 8, v12
	s_delay_alu instid0(VALU_DEP_4) | instskip(SKIP_2) | instid1(VALU_DEP_4)
	v_sub_nc_u16 v19, v19, v20
	v_lshrrev_b32_e32 v20, 16, v22
	v_lshrrev_b16 v22, 8, v22
	v_perm_b32 v12, v12, v12, 0xc0c0c01
	s_delay_alu instid0(VALU_DEP_4) | instskip(NEXT) | instid1(VALU_DEP_4)
	v_lshlrev_b16 v19, 8, v19
	v_sub_nc_u16 v20, v20, v138
	s_delay_alu instid0(VALU_DEP_4) | instskip(SKIP_3) | instid1(VALU_DEP_3)
	v_sub_nc_u16 v14, v22, v14
	v_lshrrev_b32_e32 v22, 24, v16
	v_lshrrev_b32_e32 v138, 16, v16
	v_lshrrev_b16 v16, 8, v16
	v_sub_nc_u16 v17, v17, v22
	v_lshrrev_b32_e32 v22, 16, v21
	v_lshrrev_b16 v21, 8, v21
	s_delay_alu instid0(VALU_DEP_3) | instskip(NEXT) | instid1(VALU_DEP_3)
	v_lshlrev_b16 v17, 8, v17
	v_sub_nc_u16 v22, v22, v138
	s_delay_alu instid0(VALU_DEP_3) | instskip(SKIP_1) | instid1(VALU_DEP_1)
	v_sub_nc_u16 v16, v21, v16
	v_and_b32_e32 v21, 0xff, v132
	v_or_b32_e32 v0, v21, v0
	v_and_b32_e32 v21, 0xff, v20
	s_delay_alu instid0(VALU_DEP_2) | instskip(NEXT) | instid1(VALU_DEP_2)
	v_perm_b32 v0, v0, v132, 0xc05000c
	v_or_b32_e32 v19, v21, v19
	v_and_b32_e32 v21, 0xff, v22
	s_delay_alu instid0(VALU_DEP_3) | instskip(SKIP_1) | instid1(VALU_DEP_3)
	v_or_b32_e32 v0, v0, v12
	v_lshlrev_b16 v12, 8, v14
	v_or_b32_e32 v17, v21, v17
	v_perm_b32 v19, v19, v20, 0xc05000c
	v_lshlrev_b16 v14, 8, v16
	v_dot4_i32_iu8 v0, v131, v0, v11 neg_lo:[1,1,0]
	v_perm_b32 v12, v12, v12, 0xc0c0c01
	v_perm_b32 v17, v17, v22, 0xc05000c
	v_lshrrev_b32_e32 v16, 24, v133
	v_perm_b32 v14, v14, v14, 0xc0c0c01
	s_delay_alu instid0(VALU_DEP_4) | instskip(NEXT) | instid1(VALU_DEP_2)
	v_or_b32_e32 v12, v19, v12
	v_or_b32_e32 v14, v17, v14
	v_lshrrev_b32_e32 v17, 16, v133
	s_delay_alu instid0(VALU_DEP_3) | instskip(SKIP_1) | instid1(VALU_DEP_4)
	v_dot4_i32_iu8 v12, v131, v12, v13 neg_lo:[1,1,0]
	v_lshrrev_b32_e32 v13, 24, v1
	v_dot4_i32_iu8 v11, v131, v14, v15 neg_lo:[1,1,0]
	v_lshrrev_b32_e32 v14, 16, v1
	v_lshrrev_b16 v1, 8, v1
	s_delay_alu instid0(VALU_DEP_4) | instskip(SKIP_2) | instid1(VALU_DEP_3)
	v_sub_nc_u16 v6, v6, v13
	v_lshrrev_b32_e32 v13, 16, v135
	v_lshrrev_b32_e32 v15, 16, v8
	v_lshlrev_b16 v6, 8, v6
	s_delay_alu instid0(VALU_DEP_3) | instskip(SKIP_1) | instid1(VALU_DEP_1)
	v_sub_nc_u16 v13, v13, v14
	v_lshrrev_b16 v14, 8, v135
	v_sub_nc_u16 v1, v14, v1
	v_lshrrev_b32_e32 v14, 24, v8
	v_lshrrev_b16 v8, 8, v8
	s_delay_alu instid0(VALU_DEP_3) | instskip(NEXT) | instid1(VALU_DEP_3)
	v_lshlrev_b16 v1, 8, v1
	v_sub_nc_u16 v10, v10, v14
	v_lshrrev_b32_e32 v14, 16, v136
	s_delay_alu instid0(VALU_DEP_3) | instskip(NEXT) | instid1(VALU_DEP_3)
	v_perm_b32 v1, v1, v1, 0xc0c0c01
	v_lshlrev_b16 v10, 8, v10
	s_delay_alu instid0(VALU_DEP_3) | instskip(SKIP_1) | instid1(VALU_DEP_1)
	v_sub_nc_u16 v14, v14, v15
	v_lshrrev_b16 v15, 8, v136
	v_sub_nc_u16 v8, v15, v8
	v_bfe_u32 v15, v18, 24, 2
	v_lshrrev_b16 v18, 8, v133
	s_delay_alu instid0(VALU_DEP_2) | instskip(SKIP_1) | instid1(VALU_DEP_2)
	v_sub_nc_u16 v15, v15, v16
	v_lshrrev_b32_e32 v16, 16, v137
	v_lshlrev_b16 v15, 8, v15
	s_delay_alu instid0(VALU_DEP_2) | instskip(SKIP_1) | instid1(VALU_DEP_1)
	v_sub_nc_u16 v16, v16, v17
	v_lshrrev_b16 v17, 8, v137
	v_sub_nc_u16 v17, v17, v18
	v_and_b32_e32 v18, 0xff, v13
	s_delay_alu instid0(VALU_DEP_1) | instskip(SKIP_1) | instid1(VALU_DEP_2)
	v_or_b32_e32 v6, v18, v6
	v_and_b32_e32 v18, 0xff, v14
	v_perm_b32 v6, v6, v13, 0xc05000c
	s_delay_alu instid0(VALU_DEP_2) | instskip(SKIP_1) | instid1(VALU_DEP_3)
	v_or_b32_e32 v10, v18, v10
	v_and_b32_e32 v18, 0xff, v16
	v_or_b32_e32 v1, v6, v1
	v_lshlrev_b16 v6, 8, v8
	s_delay_alu instid0(VALU_DEP_4) | instskip(NEXT) | instid1(VALU_DEP_4)
	v_perm_b32 v10, v10, v14, 0xc05000c
	v_or_b32_e32 v15, v18, v15
	v_lshlrev_b16 v8, 8, v17
	v_dot4_i32_iu8 v1, v130, v1, v9 neg_lo:[1,1,0]
	v_perm_b32 v6, v6, v6, 0xc0c0c01
	s_delay_alu instid0(VALU_DEP_4) | instskip(NEXT) | instid1(VALU_DEP_4)
	v_perm_b32 v13, v15, v16, 0xc05000c
	v_perm_b32 v8, v8, v8, 0xc0c0c01
	s_delay_alu instid0(VALU_DEP_3) | instskip(NEXT) | instid1(VALU_DEP_2)
	v_or_b32_e32 v6, v10, v6
	v_or_b32_e32 v8, v13, v8
	s_delay_alu instid0(VALU_DEP_2) | instskip(SKIP_1) | instid1(VALU_DEP_3)
	v_dot4_i32_iu8 v5, v130, v6, v5 neg_lo:[1,1,0]
	v_add_nc_u32_e32 v6, s21, v98
	v_dot4_i32_iu8 v7, v130, v8, v7 neg_lo:[1,1,0]
	v_add_nc_u32_e32 v8, s21, v96
	s_mov_b32 s21, s22
	ds_load_u16 v6, v6 offset:25346
	ds_load_u16 v8, v8 offset:27394
	s_wait_dscnt 0x1
	v_lshrrev_b16 v9, 8, v6
	v_bfe_i32 v6, v6, 0, 8
	s_delay_alu instid0(VALU_DEP_2) | instskip(NEXT) | instid1(VALU_DEP_2)
	v_bfe_i32 v9, v9, 0, 8
	v_mul_lo_u32 v0, v0, v6
	v_bfe_i32 v6, v166, 0, 8
	s_delay_alu instid0(VALU_DEP_2) | instskip(SKIP_3) | instid1(VALU_DEP_2)
	v_mad_co_u64_u32 v[0:1], null, v1, v9, v[0:1]
	v_lshrrev_b16 v1, 8, v166
	s_wait_dscnt 0x0
	v_bfe_i32 v9, v8, 0, 8
	v_bfe_i32 v10, v1, 0, 8
	v_mul_lo_u32 v1, v11, v6
	v_cvt_f32_i32_e32 v0, v0
	s_delay_alu instid0(VALU_DEP_2) | instskip(SKIP_4) | instid1(VALU_DEP_3)
	v_mad_co_u64_u32 v[5:6], null, v5, v10, v[1:2]
	ds_load_b32 v10, v129
	v_lshrrev_b16 v6, 8, v8
	v_mul_lo_u32 v1, v12, v9
	v_add_nc_u32_e32 v129, 4, v129
	v_bfe_i32 v6, v6, 0, 8
	v_cvt_f32_i32_e32 v5, v5
	s_delay_alu instid0(VALU_DEP_2) | instskip(NEXT) | instid1(VALU_DEP_1)
	v_mad_co_u64_u32 v[6:7], null, v7, v6, v[1:2]
	v_cvt_f32_i32_e32 v6, v6
	s_wait_dscnt 0x0
	v_mul_f32_e32 v1, v10, v159
	v_mul_f32_e32 v7, v10, v165
	;; [unrolled: 1-line block ×4, first 2 shown]
	v_cvt_f32_i32_e32 v10, v134
	v_fmac_f32_e32 v25, v1, v0
	s_delay_alu instid0(VALU_DEP_4) | instskip(NEXT) | instid1(VALU_DEP_3)
	v_dual_fmac_f32 v87, v7, v5 :: v_dual_fmac_f32 v82, v8, v6
	v_fmac_f32_e32 v2, v9, v10
	s_cbranch_scc1 .LBB229_19
; %bb.20:                               ;   in Loop: Header=BB229_5 Depth=1
	s_or_b32 s1, s16, 0x100
	s_wait_loadcnt 0x0
	s_wait_alu 0xfffe
	s_cmp_ge_i32 s1, s11
	s_barrier_signal -1
	s_barrier_wait -1
	global_inv scope:SCOPE_SE
	s_cbranch_scc1 .LBB229_4
; %bb.21:                               ;   in Loop: Header=BB229_5 Depth=1
	v_add_nc_u32_e32 v0, s17, v89
	s_delay_alu instid0(VALU_DEP_1)
	v_cmp_gt_i32_e64 s1, s5, v0
	s_and_b32 s20, s0, s1
	s_wait_alu 0xfffe
	s_and_saveexec_b32 s1, s20
	s_cbranch_execz .LBB229_23
; %bb.22:                               ;   in Loop: Header=BB229_5 Depth=1
	v_add_nc_u32_e32 v0, v91, v0
	s_delay_alu instid0(VALU_DEP_1)
	v_mad_co_i64_i32 v[0:1], null, v0, 36, v[3:4]
	global_load_b32 v0, v[0:1], off offset:4
	s_wait_loadcnt 0x0
	ds_store_b32 v85, v0
.LBB229_23:                             ;   in Loop: Header=BB229_5 Depth=1
	s_wait_alu 0xfffe
	s_or_b32 exec_lo, exec_lo, s1
	s_and_saveexec_b32 s20, vcc_lo
	s_cbranch_execz .LBB229_26
; %bb.24:                               ;   in Loop: Header=BB229_5 Depth=1
	v_or_b32_e32 v0, 8, v127
	s_delay_alu instid0(VALU_DEP_1)
	v_cmp_gt_i32_e64 s1, s5, v0
	s_and_b32 s1, s0, s1
	s_wait_alu 0xfffe
	s_and_b32 exec_lo, exec_lo, s1
	s_cbranch_execz .LBB229_26
; %bb.25:                               ;   in Loop: Header=BB229_5 Depth=1
	v_ashrrev_i32_e32 v0, 31, v127
	v_add_co_u32 v1, s1, v91, v127
	s_wait_alu 0xf1ff
	s_delay_alu instid0(VALU_DEP_2) | instskip(NEXT) | instid1(VALU_DEP_2)
	v_add_co_ci_u32_e64 v5, null, v94, v0, s1
	v_mad_co_u64_u32 v[0:1], null, v1, 36, s[2:3]
	s_delay_alu instid0(VALU_DEP_1)
	v_mad_i32_i24 v1, v5, 36, v1
	global_load_b32 v0, v[0:1], off offset:288
	s_wait_loadcnt 0x0
	v_cvt_f32_f16_e32 v0, v0
	ds_store_b32 v86, v0
.LBB229_26:                             ;   in Loop: Header=BB229_5 Depth=1
	s_wait_alu 0xfffe
	s_or_b32 exec_lo, exec_lo, s20
	v_dual_mov_b32 v128, v83 :: v_dual_mov_b32 v129, v84
	s_mov_b32 s1, 16
	s_mov_b32 s21, 14
	s_mov_b32 s20, 0
	s_wait_loadcnt_dscnt 0x0
	s_barrier_signal -1
	s_barrier_wait -1
	global_inv scope:SCOPE_SE
.LBB229_27:                             ;   Parent Loop BB229_5 Depth=1
                                        ; =>  This Inner Loop Header: Depth=2
	ds_load_b128 v[5:8], v128
	ds_load_b128 v[16:19], v128 offset:16
	s_wait_alu 0xfffe
	s_add_co_i32 s22, s21, 2
	s_and_b32 s26, s1, -16
	s_wait_alu 0xfffe
	s_and_b32 s25, s22, 0x3ffffff8
	s_lshr_b32 s24, s22, 4
	s_wait_alu 0xfffe
	v_lshl_add_u32 v140, s25, 2, v92
	s_lshl_b32 s23, s24, 5
	s_add_co_i32 s25, s21, -14
	s_add_co_i32 s21, s21, s26
	s_wait_alu 0xfffe
	s_addk_co_i32 s23, 0x4200
	v_add_nc_u32_e32 v0, 0x3188, v140
	v_add_nc_u32_e32 v20, s21, v93
	s_lshl_b32 s24, s24, 2
	v_add_nc_u32_e32 v22, 0x3198, v140
	s_wait_alu 0xfffe
	s_addk_co_i32 s24, 0x7380
	v_add3_u32 v180, s23, v111, v112
	v_add3_u32 v182, s23, v114, v115
	;; [unrolled: 1-line block ×3, first 2 shown]
	v_add_nc_u32_e32 v128, 32, v128
	s_wait_dscnt 0x1
	v_lshrrev_b16 v155, 8, v5
	s_wait_dscnt 0x0
	v_lshrrev_b16 v161, 8, v16
	v_lshrrev_b16 v160, 8, v17
	v_ashrrev_i32_e32 v15, 24, v16
	v_bfe_i32 v13, v16, 16, 8
	v_bfe_i32 v162, v16, 0, 8
	v_perm_b32 v145, v16, v16, 0xc0c0302
	v_ashrrev_i32_e32 v16, 24, v17
	v_bfe_i32 v14, v17, 16, 8
	v_bfe_i32 v142, v17, 0, 8
	v_perm_b32 v138, v17, v17, 0xc030201
	v_add3_u32 v17, s23, v122, v123
	v_lshrrev_b16 v152, 8, v6
	v_lshrrev_b16 v151, 8, v7
	;; [unrolled: 1-line block ×3, first 2 shown]
	v_ashrrev_i32_e32 v11, 24, v5
	v_bfe_i32 v9, v5, 16, 8
	v_bfe_i32 v156, v5, 0, 8
	v_perm_b32 v149, v5, v5, 0xc0c0302
	v_ashrrev_i32_e32 v12, 24, v6
	v_bfe_i32 v10, v6, 16, 8
	v_bfe_i32 v143, v6, 0, 8
	v_perm_b32 v139, v6, v6, 0xc030201
	;; [unrolled: 4-line block ×4, first 2 shown]
	v_lshrrev_b16 v159, 8, v18
	v_lshrrev_b16 v144, 8, v19
	v_ashrrev_i32_e32 v153, 24, v18
	v_bfe_i32 v157, v18, 16, 8
	v_bfe_i32 v136, v18, 0, 8
	v_perm_b32 v134, v18, v18, 0xc030201
	v_ashrrev_i32_e32 v154, 24, v19
	v_bfe_i32 v158, v19, 16, 8
	v_bfe_i32 v132, v19, 0, 8
	v_perm_b32 v130, v19, v19, 0xc030201
	ds_load_2addr_b32 v[0:1], v0 offset1:1
	ds_load_2addr_b32 v[18:19], v17 offset0:4 offset1:5
	ds_load_2addr_b32 v[7:8], v17 offset0:6 offset1:7
	;; [unrolled: 1-line block ×3, first 2 shown]
	ds_load_u16 v167, v20 offset:28402
	s_wait_alu 0xfffe
	v_add3_u32 v20, s24, v124, v125
	v_bfe_i32 v161, v161, 0, 8
	v_bfe_i32 v160, v160, 0, 8
	;; [unrolled: 1-line block ×4, first 2 shown]
	ds_load_b32 v163, v20
	v_add_nc_u32_e32 v20, 0x3190, v140
	ds_load_2addr_b32 v[20:21], v20 offset1:1
	ds_load_2addr_b32 v[164:165], v22 offset1:1
	v_bfe_i32 v152, v152, 0, 8
	v_bfe_i32 v151, v151, 0, 8
	;; [unrolled: 1-line block ×3, first 2 shown]
	s_wait_dscnt 0x7
	v_ashrrev_i32_e32 v203, s25, v0
	s_wait_dscnt 0x6
	v_ashrrev_i32_e32 v19, s20, v19
	v_ashrrev_i32_e32 v18, s20, v18
	s_wait_dscnt 0x5
	v_ashrrev_i32_e32 v7, s20, v7
	v_ashrrev_i32_e32 v8, s20, v8
	v_ashrrev_i32_e32 v204, s25, v1
	v_lshlrev_b32_e32 v19, 2, v19
	v_lshlrev_b32_e32 v18, 2, v18
	;; [unrolled: 1-line block ×4, first 2 shown]
	s_wait_dscnt 0x4
	v_ashrrev_i32_e32 v5, s20, v5
	v_and_b32_e32 v19, 0x4040404, v19
	v_and_b32_e32 v18, 0x4040404, v18
	;; [unrolled: 1-line block ×4, first 2 shown]
	s_wait_dscnt 0x1
	v_ashrrev_i32_e32 v21, s25, v21
	v_ashrrev_i32_e32 v20, s25, v20
	v_lshrrev_b32_e32 v166, 24, v19
	v_lshrrev_b32_e32 v168, 24, v18
	s_wait_dscnt 0x0
	v_ashrrev_i32_e32 v190, s25, v164
	v_bfe_u32 v22, v21, 24, 2
	v_and_b32_e32 v21, 0x3030303, v21
	v_ashrrev_i32_e32 v191, s25, v165
	v_ashrrev_i32_e32 v6, s20, v6
	v_and_b32_e32 v194, 0x3030303, v190
	v_sub_nc_u16 v22, v22, v166
	v_bfe_u32 v166, v20, 24, 2
	v_and_b32_e32 v20, 0x3030303, v20
	v_and_b32_e32 v195, 0x3030303, v191
	v_sub_nc_u16 v7, v194, v192
	v_bfe_i32 v22, v22, 0, 16
	v_sub_nc_u16 v166, v166, v168
	v_and_b32_e32 v207, 0x3030303, v203
	v_sub_nc_u16 v8, v195, v193
	v_bfe_i32 v7, v7, 0, 8
	v_mul_i32_i24_e32 v16, v22, v16
	v_bfe_i32 v22, v166, 0, 16
	v_and_b32_e32 v208, 0x3030303, v204
	v_bfe_i32 v8, v8, 0, 8
	v_mul_i32_i24_e32 v7, v7, v136
	v_lshrrev_b16 v214, 8, v192
	v_mad_i32_i24 v188, v22, v15, v16
	v_lshrrev_b32_e32 v15, 16, v21
	v_lshrrev_b32_e32 v16, 16, v19
	;; [unrolled: 1-line block ×3, first 2 shown]
	v_mul_i32_i24_e32 v8, v8, v132
	v_bfe_i32 v141, v141, 0, 8
	s_add_co_i32 s1, s1, 2
	v_sub_nc_u16 v15, v15, v16
	v_lshrrev_b32_e32 v16, 16, v20
	s_delay_alu instid0(VALU_DEP_2) | instskip(NEXT) | instid1(VALU_DEP_2)
	v_bfe_i32 v15, v15, 0, 8
	v_sub_nc_u16 v16, v16, v22
	s_delay_alu instid0(VALU_DEP_2) | instskip(NEXT) | instid1(VALU_DEP_2)
	v_mul_i32_i24_e32 v14, v15, v14
	v_bfe_i32 v15, v16, 0, 8
	s_delay_alu instid0(VALU_DEP_1) | instskip(SKIP_4) | instid1(VALU_DEP_4)
	v_mad_i32_i24 v189, v15, v13, v14
	v_sub_nc_u16 v13, v21, v19
	v_sub_nc_u16 v14, v20, v18
	v_add3_u32 v15, s24, v120, v121
	v_lshrrev_b16 v18, 8, v18
	v_bfe_i32 v13, v13, 0, 8
	s_delay_alu instid0(VALU_DEP_4) | instskip(NEXT) | instid1(VALU_DEP_2)
	v_bfe_i32 v14, v14, 0, 8
	v_mul_i32_i24_e32 v13, v13, v142
	s_delay_alu instid0(VALU_DEP_1) | instskip(NEXT) | instid1(VALU_DEP_1)
	v_mad_i32_i24 v13, v14, v162, v13
	v_add3_u32 v196, v13, v7, v8
	v_add_nc_u32_e32 v13, 0x3180, v140
	ds_load_2addr_b32 v[7:8], v17 offset1:1
	ds_load_2addr_b32 v[13:14], v13 offset1:1
	ds_load_b32 v164, v15
	s_wait_dscnt 0x2
	v_ashrrev_i32_e32 v8, s20, v8
	v_ashrrev_i32_e32 v7, s20, v7
	s_wait_dscnt 0x1
	v_ashrrev_i32_e32 v14, s25, v14
	v_ashrrev_i32_e32 v13, s25, v13
	v_lshlrev_b32_e32 v8, 2, v8
	v_lshlrev_b32_e32 v7, 2, v7
	s_delay_alu instid0(VALU_DEP_4) | instskip(NEXT) | instid1(VALU_DEP_4)
	v_and_b32_e32 v200, 0x3030303, v14
	v_and_b32_e32 v201, 0x3030303, v13
	s_delay_alu instid0(VALU_DEP_4) | instskip(NEXT) | instid1(VALU_DEP_4)
	v_and_b32_e32 v197, 0x4040404, v8
	v_and_b32_e32 v198, 0x4040404, v7
	v_bfe_u32 v8, v14, 24, 2
	v_bfe_u32 v7, v13, 24, 2
	s_delay_alu instid0(VALU_DEP_4) | instskip(NEXT) | instid1(VALU_DEP_4)
	v_sub_nc_u16 v0, v200, v197
	v_sub_nc_u16 v1, v201, v198
	v_lshrrev_b32_e32 v15, 24, v197
	s_delay_alu instid0(VALU_DEP_3) | instskip(NEXT) | instid1(VALU_DEP_3)
	v_bfe_i32 v0, v0, 0, 8
	v_bfe_i32 v1, v1, 0, 8
	s_delay_alu instid0(VALU_DEP_3) | instskip(SKIP_1) | instid1(VALU_DEP_4)
	v_sub_nc_u16 v8, v8, v15
	v_lshrrev_b32_e32 v15, 24, v198
	v_mul_i32_i24_e32 v0, v0, v143
	s_delay_alu instid0(VALU_DEP_3) | instskip(NEXT) | instid1(VALU_DEP_3)
	v_bfe_i32 v8, v8, 0, 16
	v_sub_nc_u16 v7, v7, v15
	s_delay_alu instid0(VALU_DEP_3) | instskip(SKIP_4) | instid1(VALU_DEP_4)
	v_mad_i32_i24 v0, v1, v156, v0
	v_lshlrev_b32_e32 v1, 2, v5
	v_lshlrev_b32_e32 v5, 2, v6
	v_mul_i32_i24_e32 v8, v8, v12
	v_bfe_i32 v7, v7, 0, 16
	v_and_b32_e32 v205, 0x4040404, v1
	s_delay_alu instid0(VALU_DEP_4) | instskip(NEXT) | instid1(VALU_DEP_3)
	v_and_b32_e32 v206, 0x4040404, v5
	v_mad_i32_i24 v199, v7, v11, v8
	v_lshrrev_b32_e32 v7, 16, v200
	s_delay_alu instid0(VALU_DEP_4) | instskip(NEXT) | instid1(VALU_DEP_4)
	v_sub_nc_u16 v1, v207, v205
	v_sub_nc_u16 v5, v208, v206
	v_lshrrev_b32_e32 v8, 16, v197
	v_lshrrev_b32_e32 v11, 16, v198
	v_lshrrev_b16 v198, 8, v198
	v_bfe_i32 v1, v1, 0, 8
	v_bfe_i32 v5, v5, 0, 8
	v_sub_nc_u16 v7, v7, v8
	v_lshrrev_b32_e32 v8, 16, v201
	v_lshrrev_b16 v201, 8, v201
	v_mul_i32_i24_e32 v1, v1, v137
	v_mul_i32_i24_e32 v5, v5, v133
	v_bfe_i32 v7, v7, 0, 8
	v_sub_nc_u16 v8, v8, v11
	v_lshrrev_b16 v200, 8, v200
	v_lshrrev_b16 v197, 8, v197
	v_add3_u32 v209, v0, v1, v5
	ds_load_2addr_b32 v[168:169], v180 offset0:4 offset1:5
	ds_load_2addr_b32 v[0:1], v180 offset0:6 offset1:7
	;; [unrolled: 1-line block ×3, first 2 shown]
	v_mul_i32_i24_e32 v7, v7, v10
	v_bfe_i32 v8, v8, 0, 8
	v_add_nc_u32_e32 v10, 0x1098, v140
	v_sub_nc_u16 v198, v201, v198
	v_sub_nc_u16 v197, v200, v197
	v_lshrrev_b16 v200, 8, v207
	v_mad_i32_i24 v202, v8, v9, v7
	v_lshrrev_b16 v201, 8, v205
	v_bfe_i32 v198, v198, 0, 16
	v_bfe_i32 v197, v197, 0, 16
	s_delay_alu instid0(VALU_DEP_3) | instskip(NEXT) | instid1(VALU_DEP_2)
	v_sub_nc_u16 v200, v200, v201
	v_mul_i32_i24_e32 v152, v197, v152
	s_wait_dscnt 0x2
	v_ashrrev_i32_e32 v5, s20, v168
	s_delay_alu instid0(VALU_DEP_3)
	v_bfe_i32 v197, v200, 0, 16
	s_wait_dscnt 0x0
	v_ashrrev_i32_e32 v11, s20, v11
	v_ashrrev_i32_e32 v0, s20, v0
	;; [unrolled: 1-line block ×3, first 2 shown]
	v_lshlrev_b32_e32 v5, 2, v5
	v_mul_i32_i24_e32 v151, v197, v151
	v_lshlrev_b32_e32 v11, 2, v11
	v_lshlrev_b32_e32 v0, 2, v0
	;; [unrolled: 1-line block ×3, first 2 shown]
	v_and_b32_e32 v168, 0x4040404, v5
	ds_load_2addr_b32 v[170:171], v140 offset0:4 offset1:5
	ds_load_2addr_b32 v[5:6], v140 offset0:6 offset1:7
	;; [unrolled: 1-line block ×3, first 2 shown]
	v_and_b32_e32 v11, 0x4040404, v11
	v_and_b32_e32 v0, 0x4040404, v0
	;; [unrolled: 1-line block ×3, first 2 shown]
	v_lshrrev_b16 v8, 8, v168
	s_wait_dscnt 0x2
	v_ashrrev_i32_e32 v170, s25, v170
	s_wait_dscnt 0x1
	v_ashrrev_i32_e32 v5, s25, v5
	;; [unrolled: 2-line block ×3, first 2 shown]
	v_ashrrev_i32_e32 v6, s25, v6
	v_and_b32_e32 v210, 0x3030303, v170
	s_delay_alu instid0(VALU_DEP_1) | instskip(NEXT) | instid1(VALU_DEP_1)
	v_lshrrev_b16 v7, 8, v210
	v_sub_nc_u16 v181, v7, v8
	v_add_nc_u32_e32 v7, s21, v97
	s_delay_alu instid0(VALU_DEP_2)
	v_lshlrev_b16 v181, 8, v181
	ds_load_u16 v166, v7 offset:26354
	v_add3_u32 v7, s24, v116, v117
	v_bfe_i32 v181, v181, 8, 8
	ds_load_b32 v165, v7
	ds_load_2addr_b32 v[172:173], v182 offset0:4 offset1:5
	ds_load_2addr_b32 v[7:8], v182 offset0:6 offset1:7
	;; [unrolled: 1-line block ×3, first 2 shown]
	s_wait_dscnt 0x2
	v_ashrrev_i32_e32 v9, s20, v172
	s_wait_dscnt 0x1
	v_ashrrev_i32_e32 v7, s20, v7
	;; [unrolled: 2-line block ×3, first 2 shown]
	v_ashrrev_i32_e32 v16, s20, v16
	v_ashrrev_i32_e32 v8, s20, v8
	v_lshlrev_b32_e32 v9, 2, v9
	v_lshlrev_b32_e32 v7, 2, v7
	;; [unrolled: 1-line block ×5, first 2 shown]
	v_and_b32_e32 v172, 0x4040404, v9
	v_add_nc_u32_e32 v9, 0x1090, v140
	ds_load_2addr_b32 v[174:175], v9 offset1:1
	ds_load_2addr_b32 v[9:10], v10 offset1:1
	v_lshrrev_b16 v22, 8, v172
	v_and_b32_e32 v15, 0x4040404, v15
	v_and_b32_e32 v7, 0x4040404, v7
	;; [unrolled: 1-line block ×4, first 2 shown]
	s_wait_dscnt 0x1
	v_ashrrev_i32_e32 v174, s25, v174
	s_wait_dscnt 0x0
	v_ashrrev_i32_e32 v9, s25, v9
	v_ashrrev_i32_e32 v10, s25, v10
	s_delay_alu instid0(VALU_DEP_3) | instskip(NEXT) | instid1(VALU_DEP_1)
	v_and_b32_e32 v211, 0x3030303, v174
	v_lshrrev_b16 v17, 8, v211
	v_sub_nc_u16 v215, v211, v172
	s_delay_alu instid0(VALU_DEP_2) | instskip(SKIP_1) | instid1(VALU_DEP_3)
	v_sub_nc_u16 v183, v17, v22
	v_lshrrev_b16 v17, 8, v20
	v_bfe_i32 v215, v215, 0, 8
	s_delay_alu instid0(VALU_DEP_2)
	v_sub_nc_u16 v184, v17, v18
	v_lshrrev_b16 v18, 8, v19
	ds_load_2addr_b32 v[176:177], v212 offset0:4 offset1:5
	ds_load_2addr_b32 v[19:20], v212 offset0:2 offset1:3
	v_lshrrev_b16 v17, 8, v21
	v_add_nc_u32_e32 v21, 0x2108, v140
	v_mul_i32_i24_e32 v215, v162, v215
	s_delay_alu instid0(VALU_DEP_3)
	v_sub_nc_u16 v185, v17, v18
	v_add_nc_u32_e32 v18, 0x2118, v140
	s_wait_dscnt 0x1
	v_ashrrev_i32_e32 v17, s20, v176
	s_wait_dscnt 0x0
	v_ashrrev_i32_e32 v19, s20, v19
	s_delay_alu instid0(VALU_DEP_2) | instskip(NEXT) | instid1(VALU_DEP_2)
	v_lshlrev_b32_e32 v17, 2, v17
	v_lshlrev_b32_e32 v19, 2, v19
	s_delay_alu instid0(VALU_DEP_2)
	v_and_b32_e32 v176, 0x4040404, v17
	v_add_nc_u32_e32 v17, 0x2110, v140
	ds_load_2addr_b32 v[178:179], v17 offset1:1
	ds_load_2addr_b32 v[17:18], v18 offset1:1
	;; [unrolled: 1-line block ×3, first 2 shown]
	v_lshrrev_b16 v187, 8, v176
	v_and_b32_e32 v19, 0x4040404, v19
	s_wait_dscnt 0x2
	v_ashrrev_i32_e32 v178, s25, v178
	s_wait_dscnt 0x1
	v_ashrrev_i32_e32 v17, s25, v17
	;; [unrolled: 2-line block ×3, first 2 shown]
	v_ashrrev_i32_e32 v18, s25, v18
	v_and_b32_e32 v213, 0x3030303, v178
	s_delay_alu instid0(VALU_DEP_1) | instskip(SKIP_1) | instid1(VALU_DEP_2)
	v_lshrrev_b16 v186, 8, v213
	v_sub_nc_u16 v216, v213, v176
	v_sub_nc_u16 v186, v186, v187
	v_lshrrev_b16 v187, 8, v194
	s_delay_alu instid0(VALU_DEP_3) | instskip(NEXT) | instid1(VALU_DEP_2)
	v_bfe_i32 v216, v216, 0, 8
	v_sub_nc_u16 v187, v187, v214
	v_sub_nc_u16 v214, v210, v168
	s_delay_alu instid0(VALU_DEP_1) | instskip(NEXT) | instid1(VALU_DEP_1)
	v_bfe_i32 v214, v214, 0, 8
	v_mul_i32_i24_e32 v214, v162, v214
	v_mul_i32_i24_e32 v162, v162, v216
	s_delay_alu instid0(VALU_DEP_2) | instskip(SKIP_2) | instid1(VALU_DEP_2)
	v_mad_i32_i24 v214, v161, v181, v214
	v_lshlrev_b16 v181, 8, v183
	v_add_nc_u32_e32 v183, 0x1080, v140
	v_bfe_i32 v181, v181, 8, 8
	s_delay_alu instid0(VALU_DEP_1) | instskip(SKIP_1) | instid1(VALU_DEP_1)
	v_mad_i32_i24 v215, v161, v181, v215
	v_lshlrev_b16 v181, 8, v186
	v_bfe_i32 v181, v181, 8, 8
	s_delay_alu instid0(VALU_DEP_1) | instskip(SKIP_1) | instid1(VALU_DEP_1)
	v_mad_i32_i24 v216, v161, v181, v162
	v_bfe_i32 v162, v184, 0, 16
	v_mul_i32_i24_e32 v161, v162, v161
	v_bfe_i32 v162, v185, 0, 16
	s_delay_alu instid0(VALU_DEP_1) | instskip(SKIP_1) | instid1(VALU_DEP_1)
	v_mul_i32_i24_e32 v160, v162, v160
	v_bfe_i32 v162, v187, 0, 16
	v_mul_i32_i24_e32 v159, v162, v159
	s_delay_alu instid0(VALU_DEP_1)
	v_add3_u32 v217, v161, v160, v159
	ds_load_2addr_b32 v[159:160], v180 offset1:1
	ds_load_2addr_b32 v[161:162], v140 offset1:1
	s_wait_dscnt 0x1
	v_ashrrev_i32_e32 v159, s20, v159
	s_wait_dscnt 0x0
	v_ashrrev_i32_e32 v161, s25, v161
	s_delay_alu instid0(VALU_DEP_2) | instskip(NEXT) | instid1(VALU_DEP_2)
	v_lshlrev_b32_e32 v159, 2, v159
	v_and_b32_e32 v219, 0x3030303, v161
	s_delay_alu instid0(VALU_DEP_2) | instskip(NEXT) | instid1(VALU_DEP_2)
	v_and_b32_e32 v218, 0x4040404, v159
	v_lshrrev_b16 v159, 8, v219
	s_delay_alu instid0(VALU_DEP_2) | instskip(SKIP_1) | instid1(VALU_DEP_2)
	v_lshrrev_b16 v180, 8, v218
	v_sub_nc_u16 v201, v219, v218
	v_sub_nc_u16 v220, v159, v180
	v_add3_u32 v159, s24, v126, v113
	s_delay_alu instid0(VALU_DEP_3) | instskip(NEXT) | instid1(VALU_DEP_3)
	v_bfe_i32 v201, v201, 0, 8
	v_lshlrev_b16 v220, 8, v220
	ds_load_b32 v159, v159
	ds_load_2addr_b32 v[180:181], v182 offset1:1
	ds_load_2addr_b32 v[182:183], v183 offset1:1
	v_mul_i32_i24_e32 v201, v156, v201
	v_bfe_i32 v220, v220, 8, 8
	s_delay_alu instid0(VALU_DEP_1) | instskip(SKIP_4) | instid1(VALU_DEP_2)
	v_mad_i32_i24 v201, v155, v220, v201
	s_wait_dscnt 0x1
	v_ashrrev_i32_e32 v180, s20, v180
	s_wait_dscnt 0x0
	v_ashrrev_i32_e32 v182, s25, v182
	v_lshlrev_b32_e32 v180, 2, v180
	s_delay_alu instid0(VALU_DEP_2) | instskip(NEXT) | instid1(VALU_DEP_2)
	v_and_b32_e32 v221, 0x3030303, v182
	v_and_b32_e32 v180, 0x4040404, v180
	s_delay_alu instid0(VALU_DEP_2) | instskip(NEXT) | instid1(VALU_DEP_2)
	v_lshrrev_b16 v184, 8, v221
	v_lshrrev_b16 v185, 8, v180
	s_delay_alu instid0(VALU_DEP_1) | instskip(SKIP_4) | instid1(VALU_DEP_1)
	v_sub_nc_u16 v222, v184, v185
	v_add_nc_u32_e32 v184, 0x2100, v140
	ds_load_2addr_b32 v[184:185], v184 offset1:1
	ds_load_2addr_b32 v[186:187], v212 offset1:1
	v_lshlrev_b16 v220, 8, v222
	v_bfe_i32 v220, v220, 8, 8
	s_wait_dscnt 0x1
	v_ashrrev_i32_e32 v184, s25, v184
	s_wait_dscnt 0x0
	v_ashrrev_i32_e32 v186, s20, v186
	s_delay_alu instid0(VALU_DEP_2) | instskip(NEXT) | instid1(VALU_DEP_2)
	v_and_b32_e32 v223, 0x3030303, v184
	v_lshlrev_b32_e32 v186, 2, v186
	s_delay_alu instid0(VALU_DEP_2) | instskip(NEXT) | instid1(VALU_DEP_2)
	v_lshrrev_b16 v224, 8, v223
	v_and_b32_e32 v186, 0x4040404, v186
	s_delay_alu instid0(VALU_DEP_1) | instskip(SKIP_1) | instid1(VALU_DEP_2)
	v_lshrrev_b16 v225, 8, v186
	v_sub_nc_u16 v226, v223, v186
	v_sub_nc_u16 v224, v224, v225
	;; [unrolled: 1-line block ×3, first 2 shown]
	s_delay_alu instid0(VALU_DEP_3) | instskip(NEXT) | instid1(VALU_DEP_3)
	v_bfe_i32 v226, v226, 0, 8
	v_lshlrev_b16 v222, 8, v224
	s_delay_alu instid0(VALU_DEP_3) | instskip(NEXT) | instid1(VALU_DEP_2)
	v_bfe_i32 v225, v225, 0, 8
	v_bfe_i32 v222, v222, 8, 8
	s_delay_alu instid0(VALU_DEP_2) | instskip(SKIP_1) | instid1(VALU_DEP_2)
	v_mul_i32_i24_e32 v225, v156, v225
	v_mul_i32_i24_e32 v156, v156, v226
	v_mad_i32_i24 v220, v155, v220, v225
	s_delay_alu instid0(VALU_DEP_2) | instskip(SKIP_1) | instid1(VALU_DEP_1)
	v_mad_i32_i24 v156, v155, v222, v156
	v_mul_i32_i24_e32 v155, v198, v155
	v_add3_u32 v151, v155, v152, v151
	v_lshrrev_b32_e32 v152, 16, v194
	v_lshrrev_b32_e32 v155, 16, v192
	;; [unrolled: 1-line block ×3, first 2 shown]
	s_delay_alu instid0(VALU_DEP_2) | instskip(SKIP_1) | instid1(VALU_DEP_2)
	v_sub_nc_u16 v152, v152, v155
	v_lshrrev_b32_e32 v155, 16, v195
	v_bfe_i32 v152, v152, 0, 8
	s_delay_alu instid0(VALU_DEP_2) | instskip(NEXT) | instid1(VALU_DEP_2)
	v_sub_nc_u16 v155, v155, v194
	v_mul_i32_i24_e32 v152, v152, v157
	s_delay_alu instid0(VALU_DEP_2) | instskip(SKIP_1) | instid1(VALU_DEP_2)
	v_bfe_i32 v155, v155, 0, 8
	v_lshrrev_b32_e32 v157, 24, v192
	v_mul_i32_i24_e32 v155, v155, v158
	v_lshrrev_b32_e32 v158, 24, v193
	s_delay_alu instid0(VALU_DEP_2) | instskip(SKIP_1) | instid1(VALU_DEP_1)
	v_add3_u32 v152, v189, v152, v155
	v_bfe_u32 v155, v190, 24, 2
	v_sub_nc_u16 v155, v155, v157
	v_bfe_u32 v157, v191, 24, 2
	s_delay_alu instid0(VALU_DEP_2) | instskip(NEXT) | instid1(VALU_DEP_2)
	v_bfe_i32 v155, v155, 0, 16
	v_sub_nc_u16 v157, v157, v158
	v_lshrrev_b32_e32 v158, 24, v180
	s_delay_alu instid0(VALU_DEP_3) | instskip(NEXT) | instid1(VALU_DEP_3)
	v_mul_i32_i24_e32 v153, v155, v153
	v_bfe_i32 v155, v157, 0, 16
	v_lshrrev_b32_e32 v157, 16, v218
	s_delay_alu instid0(VALU_DEP_2) | instskip(SKIP_1) | instid1(VALU_DEP_2)
	v_mul_i32_i24_e32 v154, v155, v154
	v_lshrrev_b32_e32 v155, 24, v218
	v_add3_u32 v153, v188, v153, v154
	v_bfe_u32 v154, v161, 24, 2
	v_lshrrev_b32_e32 v161, 16, v180
	v_lshrrev_b32_e32 v180, 24, v186
	s_delay_alu instid0(VALU_DEP_3) | instskip(SKIP_1) | instid1(VALU_DEP_2)
	v_sub_nc_u16 v154, v154, v155
	v_lshrrev_b32_e32 v155, 16, v219
	v_lshlrev_b16 v154, 8, v154
	s_delay_alu instid0(VALU_DEP_2) | instskip(SKIP_2) | instid1(VALU_DEP_2)
	v_sub_nc_u16 v155, v155, v157
	v_bfe_u32 v157, v182, 24, 2
	v_lshrrev_b32_e32 v182, 16, v186
	v_sub_nc_u16 v157, v157, v158
	v_lshrrev_b32_e32 v158, 16, v221
	s_delay_alu instid0(VALU_DEP_2) | instskip(NEXT) | instid1(VALU_DEP_2)
	v_lshlrev_b16 v157, 8, v157
	v_sub_nc_u16 v158, v158, v161
	v_bfe_u32 v161, v184, 24, 2
	s_delay_alu instid0(VALU_DEP_1) | instskip(SKIP_1) | instid1(VALU_DEP_2)
	v_sub_nc_u16 v161, v161, v180
	v_lshrrev_b32_e32 v180, 16, v223
	v_lshlrev_b16 v161, 8, v161
	s_delay_alu instid0(VALU_DEP_2) | instskip(SKIP_1) | instid1(VALU_DEP_1)
	v_sub_nc_u16 v180, v180, v182
	v_and_b32_e32 v182, 0xff, v155
	v_or_b32_e32 v154, v182, v154
	v_and_b32_e32 v182, 0xff, v158
	s_delay_alu instid0(VALU_DEP_2) | instskip(NEXT) | instid1(VALU_DEP_2)
	v_perm_b32 v154, v154, v155, 0xc0c0500
	v_or_b32_e32 v157, v182, v157
	v_and_b32_e32 v182, 0xff, v180
	s_delay_alu instid0(VALU_DEP_3) | instskip(NEXT) | instid1(VALU_DEP_3)
	v_dot4_i32_iu8 v154, v149, v154, v201 neg_lo:[1,1,0]
	v_perm_b32 v155, v157, v158, 0xc0c0500
	s_delay_alu instid0(VALU_DEP_3) | instskip(SKIP_1) | instid1(VALU_DEP_3)
	v_or_b32_e32 v161, v182, v161
	v_lshrrev_b32_e32 v158, 16, v206
	v_dot4_i32_iu8 v155, v149, v155, v220 neg_lo:[1,1,0]
	s_delay_alu instid0(VALU_DEP_3) | instskip(SKIP_1) | instid1(VALU_DEP_2)
	v_perm_b32 v157, v161, v180, 0xc0c0500
	v_lshrrev_b32_e32 v161, 24, v176
	v_dot4_i32_iu8 v149, v149, v157, v156 neg_lo:[1,1,0]
	v_lshrrev_b32_e32 v156, 16, v207
	v_lshrrev_b32_e32 v157, 16, v205
	s_delay_alu instid0(VALU_DEP_1) | instskip(SKIP_1) | instid1(VALU_DEP_2)
	v_sub_nc_u16 v156, v156, v157
	v_lshrrev_b32_e32 v157, 16, v208
	v_bfe_i32 v156, v156, 0, 8
	s_delay_alu instid0(VALU_DEP_2) | instskip(SKIP_1) | instid1(VALU_DEP_3)
	v_sub_nc_u16 v157, v157, v158
	v_lshrrev_b32_e32 v158, 16, v172
	v_mul_i32_i24_e32 v148, v156, v148
	s_delay_alu instid0(VALU_DEP_3) | instskip(SKIP_1) | instid1(VALU_DEP_2)
	v_bfe_i32 v156, v157, 0, 8
	v_lshrrev_b32_e32 v157, 24, v206
	v_mul_i32_i24_e32 v150, v156, v150
	v_lshrrev_b32_e32 v156, 24, v205
	s_delay_alu instid0(VALU_DEP_2) | instskip(SKIP_1) | instid1(VALU_DEP_1)
	v_add3_u32 v148, v202, v148, v150
	v_bfe_u32 v150, v203, 24, 2
	v_sub_nc_u16 v150, v150, v156
	v_bfe_u32 v156, v204, 24, 2
	s_delay_alu instid0(VALU_DEP_2) | instskip(NEXT) | instid1(VALU_DEP_2)
	v_bfe_i32 v150, v150, 0, 16
	v_sub_nc_u16 v156, v156, v157
	v_lshrrev_b32_e32 v157, 24, v172
	s_delay_alu instid0(VALU_DEP_3) | instskip(NEXT) | instid1(VALU_DEP_3)
	v_mul_i32_i24_e32 v146, v150, v146
	v_bfe_i32 v150, v156, 0, 16
	v_lshrrev_b32_e32 v156, 16, v168
	s_delay_alu instid0(VALU_DEP_2) | instskip(SKIP_2) | instid1(VALU_DEP_3)
	v_mul_i32_i24_e32 v147, v150, v147
	v_lshrrev_b32_e32 v150, 24, v168
	v_lshrrev_b32_e32 v168, 16, v176
	v_add3_u32 v146, v199, v146, v147
	v_bfe_u32 v147, v170, 24, 2
	s_delay_alu instid0(VALU_DEP_1) | instskip(SKIP_1) | instid1(VALU_DEP_2)
	v_sub_nc_u16 v147, v147, v150
	v_lshrrev_b32_e32 v150, 16, v210
	v_lshlrev_b16 v147, 8, v147
	s_delay_alu instid0(VALU_DEP_2) | instskip(SKIP_1) | instid1(VALU_DEP_1)
	v_sub_nc_u16 v150, v150, v156
	v_bfe_u32 v156, v174, 24, 2
	v_sub_nc_u16 v156, v156, v157
	v_lshrrev_b32_e32 v157, 16, v211
	s_delay_alu instid0(VALU_DEP_2) | instskip(NEXT) | instid1(VALU_DEP_2)
	v_lshlrev_b16 v156, 8, v156
	v_sub_nc_u16 v157, v157, v158
	v_bfe_u32 v158, v178, 24, 2
	s_delay_alu instid0(VALU_DEP_1) | instskip(SKIP_1) | instid1(VALU_DEP_2)
	v_sub_nc_u16 v158, v158, v161
	v_lshrrev_b32_e32 v161, 16, v213
	v_lshlrev_b16 v158, 8, v158
	s_delay_alu instid0(VALU_DEP_2) | instskip(SKIP_1) | instid1(VALU_DEP_1)
	v_sub_nc_u16 v161, v161, v168
	v_and_b32_e32 v168, 0xff, v150
	v_or_b32_e32 v147, v168, v147
	v_and_b32_e32 v168, 0xff, v157
	s_delay_alu instid0(VALU_DEP_2) | instskip(NEXT) | instid1(VALU_DEP_2)
	v_perm_b32 v147, v147, v150, 0xc0c0500
	v_or_b32_e32 v156, v168, v156
	v_and_b32_e32 v168, 0xff, v161
	s_delay_alu instid0(VALU_DEP_3) | instskip(NEXT) | instid1(VALU_DEP_3)
	v_dot4_i32_iu8 v147, v145, v147, v214 neg_lo:[1,1,0]
	v_perm_b32 v150, v156, v157, 0xc0c0500
	s_delay_alu instid0(VALU_DEP_3) | instskip(SKIP_1) | instid1(VALU_DEP_3)
	v_or_b32_e32 v158, v168, v158
	v_lshrrev_b16 v157, 8, v193
	v_dot4_i32_iu8 v150, v145, v150, v215 neg_lo:[1,1,0]
	s_delay_alu instid0(VALU_DEP_3) | instskip(SKIP_2) | instid1(VALU_DEP_3)
	v_perm_b32 v156, v158, v161, 0xc0c0500
	v_ashrrev_i32_e32 v158, s20, v187
	v_ashrrev_i32_e32 v161, s25, v185
	v_dot4_i32_iu8 v145, v145, v156, v216 neg_lo:[1,1,0]
	v_lshrrev_b16 v156, 8, v195
	s_delay_alu instid0(VALU_DEP_4) | instskip(NEXT) | instid1(VALU_DEP_2)
	v_lshlrev_b32_e32 v158, 2, v158
	v_sub_nc_u16 v156, v156, v157
	v_ashrrev_i32_e32 v157, s20, v181
	s_delay_alu instid0(VALU_DEP_3) | instskip(NEXT) | instid1(VALU_DEP_3)
	v_and_b32_e32 v158, 0x4040404, v158
	v_bfe_i32 v156, v156, 0, 16
	s_delay_alu instid0(VALU_DEP_3) | instskip(NEXT) | instid1(VALU_DEP_2)
	v_lshlrev_b32_e32 v157, 2, v157
	v_mul_i32_i24_e32 v144, v156, v144
	v_ashrrev_i32_e32 v156, s20, v160
	v_ashrrev_i32_e32 v160, s25, v183
	s_delay_alu instid0(VALU_DEP_4) | instskip(NEXT) | instid1(VALU_DEP_4)
	v_and_b32_e32 v157, 0x4040404, v157
	v_add3_u32 v144, v217, v144, v153
	v_ashrrev_i32_e32 v153, s25, v162
	v_lshlrev_b32_e32 v156, 2, v156
	s_delay_alu instid0(VALU_DEP_3) | instskip(NEXT) | instid1(VALU_DEP_3)
	v_add3_u32 v144, v196, v152, v144
	v_and_b32_e32 v162, 0x3030303, v153
	s_delay_alu instid0(VALU_DEP_3) | instskip(NEXT) | instid1(VALU_DEP_1)
	v_and_b32_e32 v156, 0x4040404, v156
	v_sub_nc_u16 v168, v162, v156
	v_lshrrev_b32_e32 v152, 24, v156
	s_delay_alu instid0(VALU_DEP_2) | instskip(NEXT) | instid1(VALU_DEP_1)
	v_bfe_i32 v168, v168, 0, 8
	v_mad_i32_i24 v154, v143, v168, v154
	v_and_b32_e32 v168, 0x3030303, v160
	s_delay_alu instid0(VALU_DEP_1) | instskip(NEXT) | instid1(VALU_DEP_1)
	v_sub_nc_u16 v170, v168, v157
	v_bfe_i32 v170, v170, 0, 8
	s_delay_alu instid0(VALU_DEP_1) | instskip(SKIP_2) | instid1(VALU_DEP_2)
	v_mad_i32_i24 v155, v143, v170, v155
	v_and_b32_e32 v170, 0x3030303, v161
	v_bfe_u32 v161, v161, 24, 2
	v_sub_nc_u16 v172, v170, v158
	s_delay_alu instid0(VALU_DEP_1) | instskip(NEXT) | instid1(VALU_DEP_1)
	v_bfe_i32 v172, v172, 0, 8
	v_mad_i32_i24 v143, v143, v172, v149
	v_lshrrev_b16 v149, 8, v208
	v_lshrrev_b16 v172, 8, v206
	s_delay_alu instid0(VALU_DEP_1) | instskip(SKIP_1) | instid1(VALU_DEP_2)
	v_sub_nc_u16 v149, v149, v172
	v_ashrrev_i32_e32 v172, s25, v179
	v_bfe_i32 v149, v149, 0, 16
	s_delay_alu instid0(VALU_DEP_1) | instskip(SKIP_2) | instid1(VALU_DEP_3)
	v_mul_i32_i24_e32 v141, v149, v141
	v_ashrrev_i32_e32 v149, s20, v169
	v_ashrrev_i32_e32 v169, s20, v177
	v_add3_u32 v141, v151, v141, v146
	v_ashrrev_i32_e32 v146, s25, v171
	s_delay_alu instid0(VALU_DEP_4)
	v_lshlrev_b32_e32 v149, 2, v149
	v_ashrrev_i32_e32 v151, s20, v173
	v_ashrrev_i32_e32 v171, s25, v175
	v_lshlrev_b32_e32 v169, 2, v169
	v_and_b32_e32 v173, 0x3030303, v146
	v_and_b32_e32 v149, 0x4040404, v149
	v_lshlrev_b32_e32 v151, 2, v151
	v_add3_u32 v148, v209, v148, v141
	v_and_b32_e32 v169, 0x4040404, v169
	s_delay_alu instid0(VALU_DEP_4) | instskip(NEXT) | instid1(VALU_DEP_4)
	v_sub_nc_u16 v174, v173, v149
	v_and_b32_e32 v151, 0x4040404, v151
	v_lshrrev_b32_e32 v141, 24, v149
	s_delay_alu instid0(VALU_DEP_3) | instskip(NEXT) | instid1(VALU_DEP_1)
	v_bfe_i32 v174, v174, 0, 8
	v_mad_i32_i24 v147, v142, v174, v147
	v_and_b32_e32 v174, 0x3030303, v171
	s_delay_alu instid0(VALU_DEP_1) | instskip(NEXT) | instid1(VALU_DEP_1)
	v_sub_nc_u16 v175, v174, v151
	v_bfe_i32 v175, v175, 0, 8
	s_delay_alu instid0(VALU_DEP_1) | instskip(SKIP_1) | instid1(VALU_DEP_1)
	v_mad_i32_i24 v150, v142, v175, v150
	v_and_b32_e32 v175, 0x3030303, v172
	v_sub_nc_u16 v176, v175, v169
	s_delay_alu instid0(VALU_DEP_1) | instskip(NEXT) | instid1(VALU_DEP_1)
	v_bfe_i32 v176, v176, 0, 8
	v_mad_i32_i24 v142, v142, v176, v145
	v_bfe_u32 v145, v153, 24, 2
	v_lshrrev_b32_e32 v153, 16, v156
	v_lshrrev_b16 v156, 8, v156
	s_delay_alu instid0(VALU_DEP_3) | instskip(SKIP_1) | instid1(VALU_DEP_2)
	v_sub_nc_u16 v145, v145, v152
	v_lshrrev_b32_e32 v152, 16, v162
	v_lshlrev_b16 v145, 8, v145
	s_delay_alu instid0(VALU_DEP_2) | instskip(SKIP_2) | instid1(VALU_DEP_2)
	v_sub_nc_u16 v152, v152, v153
	v_lshrrev_b16 v153, 8, v162
	v_lshrrev_b32_e32 v162, 16, v157
	v_sub_nc_u16 v153, v153, v156
	v_bfe_u32 v156, v160, 24, 2
	v_lshrrev_b32_e32 v160, 24, v157
	v_lshrrev_b16 v157, 8, v157
	s_delay_alu instid0(VALU_DEP_4) | instskip(NEXT) | instid1(VALU_DEP_3)
	v_lshlrev_b16 v153, 8, v153
	v_sub_nc_u16 v156, v156, v160
	v_lshrrev_b32_e32 v160, 16, v168
	s_delay_alu instid0(VALU_DEP_3) | instskip(NEXT) | instid1(VALU_DEP_3)
	v_perm_b32 v153, v153, v153, 0xc0c0c01
	v_lshlrev_b16 v156, 8, v156
	s_delay_alu instid0(VALU_DEP_3) | instskip(SKIP_2) | instid1(VALU_DEP_2)
	v_sub_nc_u16 v160, v160, v162
	v_lshrrev_b16 v162, 8, v168
	v_lshrrev_b32_e32 v168, 16, v158
	v_sub_nc_u16 v157, v162, v157
	v_lshrrev_b32_e32 v162, 24, v158
	v_lshrrev_b16 v158, 8, v158
	s_delay_alu instid0(VALU_DEP_2) | instskip(SKIP_1) | instid1(VALU_DEP_2)
	v_sub_nc_u16 v161, v161, v162
	v_lshrrev_b32_e32 v162, 16, v170
	v_lshlrev_b16 v161, 8, v161
	s_delay_alu instid0(VALU_DEP_2) | instskip(SKIP_1) | instid1(VALU_DEP_1)
	v_sub_nc_u16 v162, v162, v168
	v_lshrrev_b16 v168, 8, v170
	v_sub_nc_u16 v158, v168, v158
	v_and_b32_e32 v168, 0xff, v152
	s_delay_alu instid0(VALU_DEP_1) | instskip(SKIP_1) | instid1(VALU_DEP_2)
	v_or_b32_e32 v145, v168, v145
	v_and_b32_e32 v168, 0xff, v160
	v_perm_b32 v145, v145, v152, 0xc05000c
	s_delay_alu instid0(VALU_DEP_2) | instskip(SKIP_1) | instid1(VALU_DEP_3)
	v_or_b32_e32 v156, v168, v156
	v_and_b32_e32 v168, 0xff, v162
	v_or_b32_e32 v145, v145, v153
	v_lshlrev_b16 v153, 8, v157
	s_delay_alu instid0(VALU_DEP_4) | instskip(NEXT) | instid1(VALU_DEP_4)
	v_perm_b32 v152, v156, v160, 0xc05000c
	v_or_b32_e32 v161, v168, v161
	v_lshrrev_b16 v157, 8, v169
	v_dot4_i32_iu8 v145, v139, v145, v154 neg_lo:[1,1,0]
	v_perm_b32 v153, v153, v153, 0xc0c0c01
	v_lshrrev_b32_e32 v154, 16, v151
	v_perm_b32 v156, v161, v162, 0xc05000c
	s_delay_alu instid0(VALU_DEP_3) | instskip(SKIP_1) | instid1(VALU_DEP_2)
	v_or_b32_e32 v152, v152, v153
	v_lshlrev_b16 v153, 8, v158
	v_dot4_i32_iu8 v152, v139, v152, v155 neg_lo:[1,1,0]
	s_delay_alu instid0(VALU_DEP_2) | instskip(SKIP_1) | instid1(VALU_DEP_2)
	v_perm_b32 v153, v153, v153, 0xc0c0c01
	v_lshrrev_b32_e32 v155, 24, v169
	v_or_b32_e32 v153, v156, v153
	v_lshrrev_b32_e32 v156, 16, v169
	s_delay_alu instid0(VALU_DEP_2)
	v_dot4_i32_iu8 v143, v139, v153, v143 neg_lo:[1,1,0]
	v_bfe_u32 v139, v146, 24, 2
	v_lshrrev_b32_e32 v146, 16, v149
	v_lshrrev_b16 v149, 8, v149
	v_lshrrev_b32_e32 v153, 24, v151
	v_lshrrev_b16 v151, 8, v151
	v_sub_nc_u16 v139, v139, v141
	v_lshrrev_b32_e32 v141, 16, v173
	s_delay_alu instid0(VALU_DEP_2) | instskip(NEXT) | instid1(VALU_DEP_2)
	v_lshlrev_b16 v139, 8, v139
	v_sub_nc_u16 v141, v141, v146
	v_lshrrev_b16 v146, 8, v173
	s_delay_alu instid0(VALU_DEP_1) | instskip(SKIP_1) | instid1(VALU_DEP_2)
	v_sub_nc_u16 v146, v146, v149
	v_bfe_u32 v149, v171, 24, 2
	v_lshlrev_b16 v146, 8, v146
	s_delay_alu instid0(VALU_DEP_2) | instskip(SKIP_1) | instid1(VALU_DEP_3)
	v_sub_nc_u16 v149, v149, v153
	v_lshrrev_b32_e32 v153, 16, v174
	v_perm_b32 v146, v146, v146, 0xc0c0c01
	s_delay_alu instid0(VALU_DEP_3) | instskip(NEXT) | instid1(VALU_DEP_3)
	v_lshlrev_b16 v149, 8, v149
	v_sub_nc_u16 v153, v153, v154
	v_lshrrev_b16 v154, 8, v174
	s_delay_alu instid0(VALU_DEP_1) | instskip(SKIP_1) | instid1(VALU_DEP_1)
	v_sub_nc_u16 v151, v154, v151
	v_bfe_u32 v154, v172, 24, 2
	v_sub_nc_u16 v154, v154, v155
	v_lshrrev_b32_e32 v155, 16, v175
	s_delay_alu instid0(VALU_DEP_2) | instskip(NEXT) | instid1(VALU_DEP_2)
	v_lshlrev_b16 v154, 8, v154
	v_sub_nc_u16 v155, v155, v156
	v_lshrrev_b16 v156, 8, v175
	s_delay_alu instid0(VALU_DEP_1) | instskip(SKIP_1) | instid1(VALU_DEP_1)
	v_sub_nc_u16 v156, v156, v157
	v_and_b32_e32 v157, 0xff, v141
	v_or_b32_e32 v139, v157, v139
	v_and_b32_e32 v157, 0xff, v153
	s_delay_alu instid0(VALU_DEP_2) | instskip(NEXT) | instid1(VALU_DEP_2)
	v_perm_b32 v139, v139, v141, 0xc05000c
	v_or_b32_e32 v149, v157, v149
	v_and_b32_e32 v157, 0xff, v155
	s_delay_alu instid0(VALU_DEP_3) | instskip(SKIP_1) | instid1(VALU_DEP_4)
	v_or_b32_e32 v139, v139, v146
	v_lshlrev_b16 v146, 8, v151
	v_perm_b32 v141, v149, v153, 0xc05000c
	s_delay_alu instid0(VALU_DEP_4) | instskip(NEXT) | instid1(VALU_DEP_4)
	v_or_b32_e32 v154, v157, v154
	v_dot4_i32_iu8 v147, v138, v139, v147 neg_lo:[1,1,0]
	s_delay_alu instid0(VALU_DEP_4) | instskip(NEXT) | instid1(VALU_DEP_3)
	v_perm_b32 v146, v146, v146, 0xc0c0c01
	v_perm_b32 v149, v154, v155, 0xc05000c
	s_delay_alu instid0(VALU_DEP_2) | instskip(SKIP_1) | instid1(VALU_DEP_1)
	v_or_b32_e32 v141, v141, v146
	v_lshlrev_b16 v146, 8, v156
	v_perm_b32 v146, v146, v146, 0xc0c0c01
	s_delay_alu instid0(VALU_DEP_1) | instskip(NEXT) | instid1(VALU_DEP_4)
	v_or_b32_e32 v146, v149, v146
	v_dot4_i32_iu8 v149, v138, v141, v150 neg_lo:[1,1,0]
	s_delay_alu instid0(VALU_DEP_2) | instskip(SKIP_2) | instid1(VALU_DEP_2)
	v_dot4_i32_iu8 v142, v138, v146, v142 neg_lo:[1,1,0]
	v_and_b32_e32 v146, 0x3030303, v13
	v_bfe_u32 v13, v13, 24, 2
	v_sub_nc_u16 v138, v146, v11
	s_delay_alu instid0(VALU_DEP_1) | instskip(NEXT) | instid1(VALU_DEP_1)
	v_bfe_i32 v138, v138, 0, 8
	v_mad_i32_i24 v145, v137, v138, v145
	v_add_nc_u32_e32 v138, 0x1088, v140
	ds_load_2addr_b32 v[138:139], v138 offset1:1
	s_wait_dscnt 0x0
	v_ashrrev_i32_e32 v138, s25, v138
	s_delay_alu instid0(VALU_DEP_1) | instskip(SKIP_1) | instid1(VALU_DEP_2)
	v_and_b32_e32 v150, 0x3030303, v138
	v_bfe_u32 v138, v138, 24, 2
	v_sub_nc_u16 v140, v150, v15
	s_delay_alu instid0(VALU_DEP_1) | instskip(NEXT) | instid1(VALU_DEP_1)
	v_bfe_i32 v140, v140, 0, 8
	v_mad_i32_i24 v151, v137, v140, v152
	v_and_b32_e32 v152, 0x3030303, v21
	ds_load_2addr_b32 v[140:141], v212 offset0:6 offset1:7
	v_bfe_u32 v21, v21, 24, 2
	v_sub_nc_u16 v153, v152, v19
	s_delay_alu instid0(VALU_DEP_1) | instskip(NEXT) | instid1(VALU_DEP_1)
	v_bfe_i32 v153, v153, 0, 8
	v_mad_i32_i24 v137, v137, v153, v143
	v_and_b32_e32 v143, 0x3030303, v5
	v_bfe_u32 v5, v5, 24, 2
	s_delay_alu instid0(VALU_DEP_2) | instskip(SKIP_2) | instid1(VALU_DEP_2)
	v_sub_nc_u16 v153, v143, v0
	s_wait_dscnt 0x0
	v_ashrrev_i32_e32 v140, s20, v140
	v_bfe_i32 v153, v153, 0, 8
	s_delay_alu instid0(VALU_DEP_2) | instskip(NEXT) | instid1(VALU_DEP_2)
	v_lshlrev_b32_e32 v140, 2, v140
	v_mad_i32_i24 v147, v136, v153, v147
	v_and_b32_e32 v153, 0x3030303, v9
	s_delay_alu instid0(VALU_DEP_3) | instskip(SKIP_1) | instid1(VALU_DEP_3)
	v_and_b32_e32 v140, 0x4040404, v140
	v_bfe_u32 v9, v9, 24, 2
	v_sub_nc_u16 v154, v153, v7
	s_delay_alu instid0(VALU_DEP_1) | instskip(NEXT) | instid1(VALU_DEP_1)
	v_bfe_i32 v154, v154, 0, 8
	v_mad_i32_i24 v149, v136, v154, v149
	v_and_b32_e32 v154, 0x3030303, v17
	v_bfe_u32 v17, v17, 24, 2
	s_delay_alu instid0(VALU_DEP_2) | instskip(NEXT) | instid1(VALU_DEP_1)
	v_sub_nc_u16 v155, v154, v140
	v_bfe_i32 v155, v155, 0, 8
	s_delay_alu instid0(VALU_DEP_1) | instskip(SKIP_3) | instid1(VALU_DEP_3)
	v_mad_i32_i24 v136, v136, v155, v142
	v_lshrrev_b32_e32 v142, 24, v11
	v_lshrrev_b32_e32 v155, 16, v11
	v_lshrrev_b16 v11, 8, v11
	v_sub_nc_u16 v13, v13, v142
	v_lshrrev_b32_e32 v142, 16, v146
	v_lshrrev_b16 v146, 8, v146
	s_delay_alu instid0(VALU_DEP_3) | instskip(NEXT) | instid1(VALU_DEP_3)
	v_lshlrev_b16 v13, 8, v13
	v_sub_nc_u16 v142, v142, v155
	s_delay_alu instid0(VALU_DEP_3) | instskip(SKIP_3) | instid1(VALU_DEP_4)
	v_sub_nc_u16 v11, v146, v11
	v_lshrrev_b32_e32 v146, 24, v19
	v_lshrrev_b32_e32 v155, 16, v19
	v_lshrrev_b16 v19, 8, v19
	v_lshlrev_b16 v11, 8, v11
	s_delay_alu instid0(VALU_DEP_4) | instskip(SKIP_2) | instid1(VALU_DEP_4)
	v_sub_nc_u16 v21, v21, v146
	v_lshrrev_b32_e32 v146, 16, v152
	v_lshrrev_b16 v152, 8, v152
	v_perm_b32 v11, v11, v11, 0xc0c0c01
	s_delay_alu instid0(VALU_DEP_4) | instskip(NEXT) | instid1(VALU_DEP_4)
	v_lshlrev_b16 v21, 8, v21
	v_sub_nc_u16 v146, v146, v155
	s_delay_alu instid0(VALU_DEP_4) | instskip(SKIP_3) | instid1(VALU_DEP_3)
	v_sub_nc_u16 v19, v152, v19
	v_lshrrev_b32_e32 v152, 24, v15
	v_lshrrev_b32_e32 v155, 16, v15
	v_lshrrev_b16 v15, 8, v15
	v_sub_nc_u16 v138, v138, v152
	v_lshrrev_b32_e32 v152, 16, v150
	v_lshrrev_b16 v150, 8, v150
	s_delay_alu instid0(VALU_DEP_3) | instskip(NEXT) | instid1(VALU_DEP_3)
	v_lshlrev_b16 v138, 8, v138
	v_sub_nc_u16 v152, v152, v155
	s_delay_alu instid0(VALU_DEP_3) | instskip(SKIP_1) | instid1(VALU_DEP_2)
	v_sub_nc_u16 v15, v150, v15
	v_and_b32_e32 v150, 0xff, v142
	v_lshlrev_b16 v15, 8, v15
	s_delay_alu instid0(VALU_DEP_2) | instskip(SKIP_1) | instid1(VALU_DEP_3)
	v_or_b32_e32 v13, v150, v13
	v_and_b32_e32 v150, 0xff, v146
	v_perm_b32 v15, v15, v15, 0xc0c0c01
	s_delay_alu instid0(VALU_DEP_3) | instskip(NEXT) | instid1(VALU_DEP_3)
	v_perm_b32 v13, v13, v142, 0xc05000c
	v_or_b32_e32 v21, v150, v21
	v_and_b32_e32 v150, 0xff, v152
	s_delay_alu instid0(VALU_DEP_3) | instskip(SKIP_1) | instid1(VALU_DEP_4)
	v_or_b32_e32 v11, v13, v11
	v_lshlrev_b16 v13, 8, v19
	v_perm_b32 v21, v21, v146, 0xc05000c
	v_lshrrev_b32_e32 v19, 24, v0
	v_or_b32_e32 v138, v150, v138
	v_dot4_i32_iu8 v11, v135, v11, v145 neg_lo:[1,1,0]
	v_perm_b32 v13, v13, v13, 0xc0c0c01
	s_delay_alu instid0(VALU_DEP_4) | instskip(SKIP_2) | instid1(VALU_DEP_4)
	v_sub_nc_u16 v5, v5, v19
	v_lshrrev_b32_e32 v19, 16, v143
	v_perm_b32 v138, v138, v152, 0xc05000c
	v_or_b32_e32 v13, v21, v13
	v_lshrrev_b32_e32 v21, 16, v0
	v_lshrrev_b16 v0, 8, v0
	v_lshlrev_b16 v5, 8, v5
	v_or_b32_e32 v15, v138, v15
	v_dot4_i32_iu8 v13, v135, v13, v137 neg_lo:[1,1,0]
	v_sub_nc_u16 v19, v19, v21
	v_lshrrev_b16 v21, 8, v143
	v_lshrrev_b32_e32 v137, 16, v140
	v_dot4_i32_iu8 v15, v135, v15, v151 neg_lo:[1,1,0]
	v_lshrrev_b32_e32 v135, 16, v7
	v_lshrrev_b16 v138, 8, v140
	v_sub_nc_u16 v0, v21, v0
	v_lshrrev_b32_e32 v21, 24, v7
	v_lshrrev_b16 v7, 8, v7
	s_delay_alu instid0(VALU_DEP_3) | instskip(NEXT) | instid1(VALU_DEP_3)
	v_lshlrev_b16 v0, 8, v0
	v_sub_nc_u16 v9, v9, v21
	v_lshrrev_b32_e32 v21, 16, v153
	s_delay_alu instid0(VALU_DEP_3) | instskip(NEXT) | instid1(VALU_DEP_3)
	v_perm_b32 v0, v0, v0, 0xc0c0c01
	v_lshlrev_b16 v9, 8, v9
	s_delay_alu instid0(VALU_DEP_3) | instskip(SKIP_1) | instid1(VALU_DEP_1)
	v_sub_nc_u16 v21, v21, v135
	v_lshrrev_b16 v135, 8, v153
	v_sub_nc_u16 v7, v135, v7
	v_lshrrev_b32_e32 v135, 24, v140
	s_delay_alu instid0(VALU_DEP_1) | instskip(SKIP_1) | instid1(VALU_DEP_2)
	v_sub_nc_u16 v17, v17, v135
	v_lshrrev_b32_e32 v135, 16, v154
	v_lshlrev_b16 v17, 8, v17
	s_delay_alu instid0(VALU_DEP_2) | instskip(SKIP_1) | instid1(VALU_DEP_1)
	v_sub_nc_u16 v135, v135, v137
	v_lshrrev_b16 v137, 8, v154
	v_sub_nc_u16 v137, v137, v138
	v_and_b32_e32 v138, 0xff, v19
	s_delay_alu instid0(VALU_DEP_1) | instskip(SKIP_1) | instid1(VALU_DEP_2)
	v_or_b32_e32 v5, v138, v5
	v_and_b32_e32 v138, 0xff, v21
	v_perm_b32 v5, v5, v19, 0xc05000c
	s_delay_alu instid0(VALU_DEP_2) | instskip(SKIP_1) | instid1(VALU_DEP_3)
	v_or_b32_e32 v9, v138, v9
	v_and_b32_e32 v138, 0xff, v135
	v_or_b32_e32 v0, v5, v0
	v_lshlrev_b16 v5, 8, v7
	s_delay_alu instid0(VALU_DEP_3) | instskip(SKIP_2) | instid1(VALU_DEP_4)
	v_or_b32_e32 v17, v138, v17
	v_lshlrev_b16 v7, 8, v137
	v_perm_b32 v9, v9, v21, 0xc05000c
	v_perm_b32 v5, v5, v5, 0xc0c0c01
	s_delay_alu instid0(VALU_DEP_4) | instskip(NEXT) | instid1(VALU_DEP_4)
	v_perm_b32 v17, v17, v135, 0xc05000c
	v_perm_b32 v7, v7, v7, 0xc0c0c01
	s_delay_alu instid0(VALU_DEP_3) | instskip(SKIP_1) | instid1(VALU_DEP_3)
	v_or_b32_e32 v5, v9, v5
	v_dot4_i32_iu8 v9, v134, v0, v147 neg_lo:[1,1,0]
	v_or_b32_e32 v7, v17, v7
	v_lshrrev_b16 v0, 8, v167
	v_bfe_i32 v17, v167, 0, 8
	v_dot4_i32_iu8 v5, v134, v5, v149 neg_lo:[1,1,0]
	s_delay_alu instid0(VALU_DEP_4) | instskip(NEXT) | instid1(VALU_DEP_4)
	v_dot4_i32_iu8 v7, v134, v7, v136 neg_lo:[1,1,0]
	v_bfe_i32 v19, v0, 0, 8
	s_delay_alu instid0(VALU_DEP_4) | instskip(SKIP_1) | instid1(VALU_DEP_2)
	v_mul_lo_u32 v0, v148, v17
	v_ashrrev_i32_e32 v17, s25, v139
	v_mad_co_u64_u32 v[134:135], null, v144, v19, v[0:1]
	v_ashrrev_i32_e32 v0, s25, v14
	v_ashrrev_i32_e32 v14, s20, v20
	v_ashrrev_i32_e32 v19, s25, v22
	v_ashrrev_i32_e32 v1, s20, v1
	s_delay_alu instid0(VALU_DEP_4) | instskip(NEXT) | instid1(VALU_DEP_4)
	v_and_b32_e32 v20, 0x3030303, v0
	v_lshlrev_b32_e32 v14, 2, v14
	v_bfe_u32 v0, v0, 24, 2
	s_delay_alu instid0(VALU_DEP_4) | instskip(NEXT) | instid1(VALU_DEP_4)
	v_lshlrev_b32_e32 v1, 2, v1
	v_sub_nc_u16 v21, v20, v12
	s_delay_alu instid0(VALU_DEP_4) | instskip(NEXT) | instid1(VALU_DEP_3)
	v_and_b32_e32 v14, 0x4040404, v14
	v_and_b32_e32 v1, 0x4040404, v1
	s_delay_alu instid0(VALU_DEP_3) | instskip(NEXT) | instid1(VALU_DEP_1)
	v_bfe_i32 v21, v21, 0, 8
	v_mad_i32_i24 v11, v133, v21, v11
	v_and_b32_e32 v21, 0x3030303, v17
	v_bfe_u32 v17, v17, 24, 2
	s_delay_alu instid0(VALU_DEP_2) | instskip(NEXT) | instid1(VALU_DEP_1)
	v_sub_nc_u16 v22, v21, v16
	v_bfe_i32 v22, v22, 0, 8
	s_delay_alu instid0(VALU_DEP_1) | instskip(SKIP_2) | instid1(VALU_DEP_2)
	v_mad_i32_i24 v15, v133, v22, v15
	v_and_b32_e32 v22, 0x3030303, v19
	v_bfe_u32 v19, v19, 24, 2
	v_sub_nc_u16 v135, v22, v14
	s_delay_alu instid0(VALU_DEP_1) | instskip(NEXT) | instid1(VALU_DEP_1)
	v_bfe_i32 v135, v135, 0, 8
	v_mad_i32_i24 v13, v133, v135, v13
	v_and_b32_e32 v135, 0x3030303, v6
	v_ashrrev_i32_e32 v133, s20, v141
	v_bfe_u32 v6, v6, 24, 2
	s_add_co_i32 s20, s20, 1
	s_cmp_lt_u32 s22, 22
	v_sub_nc_u16 v136, v135, v1
	v_lshlrev_b32_e32 v133, 2, v133
	s_delay_alu instid0(VALU_DEP_2) | instskip(NEXT) | instid1(VALU_DEP_2)
	v_bfe_i32 v136, v136, 0, 8
	v_and_b32_e32 v133, 0x4040404, v133
	s_delay_alu instid0(VALU_DEP_2) | instskip(SKIP_2) | instid1(VALU_DEP_2)
	v_mad_i32_i24 v9, v132, v136, v9
	v_and_b32_e32 v136, 0x3030303, v10
	v_bfe_u32 v10, v10, 24, 2
	v_sub_nc_u16 v137, v136, v8
	s_delay_alu instid0(VALU_DEP_1) | instskip(NEXT) | instid1(VALU_DEP_1)
	v_bfe_i32 v137, v137, 0, 8
	v_mad_i32_i24 v5, v132, v137, v5
	v_and_b32_e32 v137, 0x3030303, v18
	s_delay_alu instid0(VALU_DEP_1) | instskip(NEXT) | instid1(VALU_DEP_1)
	v_sub_nc_u16 v138, v137, v133
	v_bfe_i32 v138, v138, 0, 8
	s_delay_alu instid0(VALU_DEP_1) | instskip(SKIP_3) | instid1(VALU_DEP_3)
	v_mad_i32_i24 v7, v132, v138, v7
	v_lshrrev_b32_e32 v132, 24, v12
	v_lshrrev_b32_e32 v138, 16, v12
	v_lshrrev_b16 v12, 8, v12
	v_sub_nc_u16 v0, v0, v132
	v_lshrrev_b32_e32 v132, 16, v20
	v_lshrrev_b16 v20, 8, v20
	s_delay_alu instid0(VALU_DEP_3) | instskip(NEXT) | instid1(VALU_DEP_3)
	v_lshlrev_b16 v0, 8, v0
	v_sub_nc_u16 v132, v132, v138
	s_delay_alu instid0(VALU_DEP_3) | instskip(SKIP_3) | instid1(VALU_DEP_4)
	v_sub_nc_u16 v12, v20, v12
	v_lshrrev_b32_e32 v20, 24, v14
	v_lshrrev_b32_e32 v138, 16, v14
	v_lshrrev_b16 v14, 8, v14
	v_lshlrev_b16 v12, 8, v12
	s_delay_alu instid0(VALU_DEP_4) | instskip(SKIP_2) | instid1(VALU_DEP_4)
	v_sub_nc_u16 v19, v19, v20
	v_lshrrev_b32_e32 v20, 16, v22
	v_lshrrev_b16 v22, 8, v22
	v_perm_b32 v12, v12, v12, 0xc0c0c01
	s_delay_alu instid0(VALU_DEP_4) | instskip(NEXT) | instid1(VALU_DEP_4)
	v_lshlrev_b16 v19, 8, v19
	v_sub_nc_u16 v20, v20, v138
	s_delay_alu instid0(VALU_DEP_4) | instskip(SKIP_3) | instid1(VALU_DEP_3)
	v_sub_nc_u16 v14, v22, v14
	v_lshrrev_b32_e32 v22, 24, v16
	v_lshrrev_b32_e32 v138, 16, v16
	v_lshrrev_b16 v16, 8, v16
	v_sub_nc_u16 v17, v17, v22
	v_lshrrev_b32_e32 v22, 16, v21
	v_lshrrev_b16 v21, 8, v21
	s_delay_alu instid0(VALU_DEP_3) | instskip(NEXT) | instid1(VALU_DEP_3)
	v_lshlrev_b16 v17, 8, v17
	v_sub_nc_u16 v22, v22, v138
	s_delay_alu instid0(VALU_DEP_3) | instskip(SKIP_1) | instid1(VALU_DEP_1)
	v_sub_nc_u16 v16, v21, v16
	v_and_b32_e32 v21, 0xff, v132
	v_or_b32_e32 v0, v21, v0
	v_and_b32_e32 v21, 0xff, v20
	s_delay_alu instid0(VALU_DEP_2) | instskip(NEXT) | instid1(VALU_DEP_2)
	v_perm_b32 v0, v0, v132, 0xc05000c
	v_or_b32_e32 v19, v21, v19
	v_and_b32_e32 v21, 0xff, v22
	s_delay_alu instid0(VALU_DEP_3) | instskip(SKIP_1) | instid1(VALU_DEP_3)
	v_or_b32_e32 v0, v0, v12
	v_lshlrev_b16 v12, 8, v14
	v_or_b32_e32 v17, v21, v17
	v_perm_b32 v19, v19, v20, 0xc05000c
	v_lshlrev_b16 v14, 8, v16
	v_dot4_i32_iu8 v0, v131, v0, v11 neg_lo:[1,1,0]
	v_perm_b32 v12, v12, v12, 0xc0c0c01
	v_perm_b32 v17, v17, v22, 0xc05000c
	v_lshrrev_b32_e32 v16, 24, v133
	v_perm_b32 v14, v14, v14, 0xc0c0c01
	s_delay_alu instid0(VALU_DEP_4) | instskip(NEXT) | instid1(VALU_DEP_2)
	v_or_b32_e32 v12, v19, v12
	v_or_b32_e32 v14, v17, v14
	v_lshrrev_b32_e32 v17, 16, v133
	s_delay_alu instid0(VALU_DEP_3) | instskip(SKIP_1) | instid1(VALU_DEP_4)
	v_dot4_i32_iu8 v12, v131, v12, v13 neg_lo:[1,1,0]
	v_lshrrev_b32_e32 v13, 24, v1
	v_dot4_i32_iu8 v11, v131, v14, v15 neg_lo:[1,1,0]
	v_lshrrev_b32_e32 v14, 16, v1
	v_lshrrev_b16 v1, 8, v1
	s_delay_alu instid0(VALU_DEP_4) | instskip(SKIP_2) | instid1(VALU_DEP_3)
	v_sub_nc_u16 v6, v6, v13
	v_lshrrev_b32_e32 v13, 16, v135
	v_lshrrev_b32_e32 v15, 16, v8
	v_lshlrev_b16 v6, 8, v6
	s_delay_alu instid0(VALU_DEP_3) | instskip(SKIP_1) | instid1(VALU_DEP_1)
	v_sub_nc_u16 v13, v13, v14
	v_lshrrev_b16 v14, 8, v135
	v_sub_nc_u16 v1, v14, v1
	v_lshrrev_b32_e32 v14, 24, v8
	v_lshrrev_b16 v8, 8, v8
	s_delay_alu instid0(VALU_DEP_3) | instskip(NEXT) | instid1(VALU_DEP_3)
	v_lshlrev_b16 v1, 8, v1
	v_sub_nc_u16 v10, v10, v14
	v_lshrrev_b32_e32 v14, 16, v136
	s_delay_alu instid0(VALU_DEP_3) | instskip(NEXT) | instid1(VALU_DEP_3)
	v_perm_b32 v1, v1, v1, 0xc0c0c01
	v_lshlrev_b16 v10, 8, v10
	s_delay_alu instid0(VALU_DEP_3) | instskip(SKIP_1) | instid1(VALU_DEP_1)
	v_sub_nc_u16 v14, v14, v15
	v_lshrrev_b16 v15, 8, v136
	v_sub_nc_u16 v8, v15, v8
	v_bfe_u32 v15, v18, 24, 2
	v_lshrrev_b16 v18, 8, v133
	s_delay_alu instid0(VALU_DEP_2) | instskip(SKIP_1) | instid1(VALU_DEP_2)
	v_sub_nc_u16 v15, v15, v16
	v_lshrrev_b32_e32 v16, 16, v137
	v_lshlrev_b16 v15, 8, v15
	s_delay_alu instid0(VALU_DEP_2) | instskip(SKIP_1) | instid1(VALU_DEP_1)
	v_sub_nc_u16 v16, v16, v17
	v_lshrrev_b16 v17, 8, v137
	v_sub_nc_u16 v17, v17, v18
	v_and_b32_e32 v18, 0xff, v13
	s_delay_alu instid0(VALU_DEP_1) | instskip(SKIP_1) | instid1(VALU_DEP_2)
	v_or_b32_e32 v6, v18, v6
	v_and_b32_e32 v18, 0xff, v14
	v_perm_b32 v6, v6, v13, 0xc05000c
	s_delay_alu instid0(VALU_DEP_2) | instskip(SKIP_1) | instid1(VALU_DEP_3)
	v_or_b32_e32 v10, v18, v10
	v_and_b32_e32 v18, 0xff, v16
	v_or_b32_e32 v1, v6, v1
	v_lshlrev_b16 v6, 8, v8
	s_delay_alu instid0(VALU_DEP_4) | instskip(NEXT) | instid1(VALU_DEP_4)
	v_perm_b32 v10, v10, v14, 0xc05000c
	v_or_b32_e32 v15, v18, v15
	v_lshlrev_b16 v8, 8, v17
	v_dot4_i32_iu8 v1, v130, v1, v9 neg_lo:[1,1,0]
	v_perm_b32 v6, v6, v6, 0xc0c0c01
	s_delay_alu instid0(VALU_DEP_4) | instskip(NEXT) | instid1(VALU_DEP_4)
	v_perm_b32 v13, v15, v16, 0xc05000c
	v_perm_b32 v8, v8, v8, 0xc0c0c01
	s_delay_alu instid0(VALU_DEP_3) | instskip(NEXT) | instid1(VALU_DEP_2)
	v_or_b32_e32 v6, v10, v6
	v_or_b32_e32 v8, v13, v8
	s_delay_alu instid0(VALU_DEP_2) | instskip(SKIP_1) | instid1(VALU_DEP_3)
	v_dot4_i32_iu8 v5, v130, v6, v5 neg_lo:[1,1,0]
	v_add_nc_u32_e32 v6, s21, v98
	v_dot4_i32_iu8 v7, v130, v8, v7 neg_lo:[1,1,0]
	v_add_nc_u32_e32 v8, s21, v96
	s_mov_b32 s21, s22
	ds_load_u16 v6, v6 offset:25330
	ds_load_u16 v8, v8 offset:27378
	s_wait_dscnt 0x1
	v_lshrrev_b16 v9, 8, v6
	v_bfe_i32 v6, v6, 0, 8
	s_delay_alu instid0(VALU_DEP_2) | instskip(NEXT) | instid1(VALU_DEP_2)
	v_bfe_i32 v9, v9, 0, 8
	v_mul_lo_u32 v0, v0, v6
	v_bfe_i32 v6, v166, 0, 8
	s_delay_alu instid0(VALU_DEP_2) | instskip(SKIP_3) | instid1(VALU_DEP_2)
	v_mad_co_u64_u32 v[0:1], null, v1, v9, v[0:1]
	v_lshrrev_b16 v1, 8, v166
	s_wait_dscnt 0x0
	v_bfe_i32 v9, v8, 0, 8
	v_bfe_i32 v10, v1, 0, 8
	v_mul_lo_u32 v1, v11, v6
	v_cvt_f32_i32_e32 v0, v0
	s_delay_alu instid0(VALU_DEP_2) | instskip(SKIP_4) | instid1(VALU_DEP_3)
	v_mad_co_u64_u32 v[5:6], null, v5, v10, v[1:2]
	ds_load_b32 v10, v129
	v_lshrrev_b16 v6, 8, v8
	v_mul_lo_u32 v1, v12, v9
	v_add_nc_u32_e32 v129, 4, v129
	v_bfe_i32 v6, v6, 0, 8
	v_cvt_f32_i32_e32 v5, v5
	s_delay_alu instid0(VALU_DEP_2) | instskip(NEXT) | instid1(VALU_DEP_1)
	v_mad_co_u64_u32 v[6:7], null, v7, v6, v[1:2]
	v_cvt_f32_i32_e32 v6, v6
	s_wait_dscnt 0x0
	v_mul_f32_e32 v1, v10, v159
	v_mul_f32_e32 v7, v10, v165
	;; [unrolled: 1-line block ×4, first 2 shown]
	v_cvt_f32_i32_e32 v10, v134
	v_fmac_f32_e32 v25, v1, v0
	s_delay_alu instid0(VALU_DEP_4) | instskip(NEXT) | instid1(VALU_DEP_3)
	v_dual_fmac_f32 v87, v7, v5 :: v_dual_fmac_f32 v82, v8, v6
	v_fmac_f32_e32 v2, v9, v10
	s_cbranch_scc1 .LBB229_27
; %bb.28:                               ;   in Loop: Header=BB229_5 Depth=1
	s_or_b32 s1, s16, 0x180
	s_wait_loadcnt 0x0
	s_wait_alu 0xfffe
	s_cmp_ge_i32 s1, s11
	s_barrier_signal -1
	s_barrier_wait -1
	global_inv scope:SCOPE_SE
	s_cbranch_scc1 .LBB229_4
; %bb.29:                               ;   in Loop: Header=BB229_5 Depth=1
	v_add_nc_u32_e32 v0, s17, v90
	s_delay_alu instid0(VALU_DEP_1)
	v_cmp_gt_i32_e64 s1, s5, v0
	s_and_b32 s16, s0, s1
	s_wait_alu 0xfffe
	s_and_saveexec_b32 s1, s16
	s_cbranch_execz .LBB229_31
; %bb.30:                               ;   in Loop: Header=BB229_5 Depth=1
	v_add_nc_u32_e32 v0, v91, v0
	s_delay_alu instid0(VALU_DEP_1)
	v_mad_co_i64_i32 v[0:1], null, v0, 36, v[3:4]
	global_load_b32 v0, v[0:1], off offset:4
	s_wait_loadcnt 0x0
	ds_store_b32 v85, v0
.LBB229_31:                             ;   in Loop: Header=BB229_5 Depth=1
	s_wait_alu 0xfffe
	s_or_b32 exec_lo, exec_lo, s1
	s_and_saveexec_b32 s16, vcc_lo
	s_cbranch_execz .LBB229_34
; %bb.32:                               ;   in Loop: Header=BB229_5 Depth=1
	v_or_b32_e32 v0, 12, v127
	s_delay_alu instid0(VALU_DEP_1)
	v_cmp_gt_i32_e64 s1, s5, v0
	s_and_b32 s1, s0, s1
	s_wait_alu 0xfffe
	s_and_b32 exec_lo, exec_lo, s1
	s_cbranch_execz .LBB229_34
; %bb.33:                               ;   in Loop: Header=BB229_5 Depth=1
	v_ashrrev_i32_e32 v0, 31, v127
	v_add_co_u32 v1, s1, v91, v127
	s_wait_alu 0xf1ff
	s_delay_alu instid0(VALU_DEP_2) | instskip(NEXT) | instid1(VALU_DEP_2)
	v_add_co_ci_u32_e64 v5, null, v94, v0, s1
	v_mad_co_u64_u32 v[0:1], null, v1, 36, s[2:3]
	s_delay_alu instid0(VALU_DEP_1)
	v_mad_i32_i24 v1, v5, 36, v1
	global_load_b32 v0, v[0:1], off offset:432
	s_wait_loadcnt 0x0
	v_cvt_f32_f16_e32 v0, v0
	ds_store_b32 v86, v0
.LBB229_34:                             ;   in Loop: Header=BB229_5 Depth=1
	s_wait_alu 0xfffe
	s_or_b32 exec_lo, exec_lo, s16
	v_dual_mov_b32 v127, v83 :: v_dual_mov_b32 v128, v84
	s_mov_b32 s1, 24
	s_mov_b32 s17, 22
	;; [unrolled: 1-line block ×3, first 2 shown]
	s_wait_loadcnt_dscnt 0x0
	s_barrier_signal -1
	s_barrier_wait -1
	global_inv scope:SCOPE_SE
.LBB229_35:                             ;   Parent Loop BB229_5 Depth=1
                                        ; =>  This Inner Loop Header: Depth=2
	ds_load_b128 v[5:8], v127
	ds_load_b128 v[16:19], v127 offset:16
	s_wait_alu 0xfffe
	s_add_co_i32 s20, s17, 2
	s_and_b32 s24, s1, -16
	s_wait_alu 0xfffe
	s_and_b32 s23, s20, 0x3ffffff8
	s_lshr_b32 s22, s20, 4
	s_wait_alu 0xfffe
	v_lshl_add_u32 v139, s23, 2, v92
	s_lshl_b32 s21, s22, 5
	s_sub_co_i32 s23, s17, 22
	s_add_co_i32 s17, s17, s24
	s_wait_alu 0xfffe
	s_addk_co_i32 s21, 0x4200
	v_add_nc_u32_e32 v0, 0x3188, v139
	v_add_nc_u32_e32 v20, s17, v93
	s_lshl_b32 s22, s22, 2
	v_add_nc_u32_e32 v22, 0x3198, v139
	s_wait_alu 0xfffe
	s_addk_co_i32 s22, 0x7380
	v_add3_u32 v179, s21, v111, v112
	v_add3_u32 v181, s21, v114, v115
	;; [unrolled: 1-line block ×3, first 2 shown]
	v_add_nc_u32_e32 v127, 32, v127
	s_wait_dscnt 0x1
	v_lshrrev_b16 v154, 8, v5
	s_wait_dscnt 0x0
	v_lshrrev_b16 v160, 8, v16
	v_lshrrev_b16 v159, 8, v17
	v_ashrrev_i32_e32 v15, 24, v16
	v_bfe_i32 v13, v16, 16, 8
	v_bfe_i32 v161, v16, 0, 8
	v_perm_b32 v144, v16, v16, 0xc0c0302
	v_ashrrev_i32_e32 v16, 24, v17
	v_bfe_i32 v14, v17, 16, 8
	v_bfe_i32 v141, v17, 0, 8
	v_perm_b32 v137, v17, v17, 0xc030201
	v_add3_u32 v17, s21, v122, v123
	v_lshrrev_b16 v151, 8, v6
	v_lshrrev_b16 v150, 8, v7
	v_lshrrev_b16 v140, 8, v8
	v_ashrrev_i32_e32 v11, 24, v5
	v_bfe_i32 v9, v5, 16, 8
	v_bfe_i32 v155, v5, 0, 8
	v_perm_b32 v148, v5, v5, 0xc0c0302
	v_ashrrev_i32_e32 v12, 24, v6
	v_bfe_i32 v10, v6, 16, 8
	v_bfe_i32 v142, v6, 0, 8
	v_perm_b32 v138, v6, v6, 0xc030201
	;; [unrolled: 4-line block ×4, first 2 shown]
	v_lshrrev_b16 v158, 8, v18
	v_lshrrev_b16 v143, 8, v19
	v_ashrrev_i32_e32 v152, 24, v18
	v_bfe_i32 v156, v18, 16, 8
	v_bfe_i32 v135, v18, 0, 8
	v_perm_b32 v133, v18, v18, 0xc030201
	v_ashrrev_i32_e32 v153, 24, v19
	v_bfe_i32 v157, v19, 16, 8
	v_bfe_i32 v131, v19, 0, 8
	v_perm_b32 v129, v19, v19, 0xc030201
	ds_load_2addr_b32 v[0:1], v0 offset1:1
	ds_load_2addr_b32 v[18:19], v17 offset0:4 offset1:5
	ds_load_2addr_b32 v[7:8], v17 offset0:6 offset1:7
	;; [unrolled: 1-line block ×3, first 2 shown]
	ds_load_u16 v166, v20 offset:28402
	s_wait_alu 0xfffe
	v_add3_u32 v20, s22, v124, v125
	v_bfe_i32 v160, v160, 0, 8
	v_bfe_i32 v159, v159, 0, 8
	;; [unrolled: 1-line block ×4, first 2 shown]
	ds_load_b32 v162, v20
	v_add_nc_u32_e32 v20, 0x3190, v139
	ds_load_2addr_b32 v[20:21], v20 offset1:1
	ds_load_2addr_b32 v[163:164], v22 offset1:1
	v_bfe_i32 v151, v151, 0, 8
	v_bfe_i32 v150, v150, 0, 8
	;; [unrolled: 1-line block ×3, first 2 shown]
	s_wait_dscnt 0x7
	v_ashrrev_i32_e32 v202, s23, v0
	s_wait_dscnt 0x6
	v_ashrrev_i32_e32 v19, s16, v19
	v_ashrrev_i32_e32 v18, s16, v18
	s_wait_dscnt 0x5
	v_ashrrev_i32_e32 v7, s16, v7
	v_ashrrev_i32_e32 v8, s16, v8
	v_ashrrev_i32_e32 v203, s23, v1
	v_lshlrev_b32_e32 v19, 2, v19
	v_lshlrev_b32_e32 v18, 2, v18
	;; [unrolled: 1-line block ×4, first 2 shown]
	s_wait_dscnt 0x4
	v_ashrrev_i32_e32 v5, s16, v5
	v_and_b32_e32 v19, 0x4040404, v19
	v_and_b32_e32 v18, 0x4040404, v18
	v_and_b32_e32 v191, 0x4040404, v7
	v_and_b32_e32 v192, 0x4040404, v8
	s_wait_dscnt 0x1
	v_ashrrev_i32_e32 v21, s23, v21
	v_ashrrev_i32_e32 v20, s23, v20
	v_lshrrev_b32_e32 v165, 24, v19
	v_lshrrev_b32_e32 v167, 24, v18
	s_wait_dscnt 0x0
	v_ashrrev_i32_e32 v189, s23, v163
	v_bfe_u32 v22, v21, 24, 2
	v_and_b32_e32 v21, 0x3030303, v21
	v_ashrrev_i32_e32 v190, s23, v164
	v_ashrrev_i32_e32 v6, s16, v6
	v_and_b32_e32 v193, 0x3030303, v189
	v_sub_nc_u16 v22, v22, v165
	v_bfe_u32 v165, v20, 24, 2
	v_and_b32_e32 v20, 0x3030303, v20
	v_and_b32_e32 v194, 0x3030303, v190
	v_sub_nc_u16 v7, v193, v191
	v_bfe_i32 v22, v22, 0, 16
	v_sub_nc_u16 v165, v165, v167
	v_and_b32_e32 v206, 0x3030303, v202
	v_sub_nc_u16 v8, v194, v192
	v_bfe_i32 v7, v7, 0, 8
	v_mul_i32_i24_e32 v16, v22, v16
	v_bfe_i32 v22, v165, 0, 16
	v_and_b32_e32 v207, 0x3030303, v203
	v_bfe_i32 v8, v8, 0, 8
	v_mul_i32_i24_e32 v7, v7, v135
	v_lshrrev_b16 v213, 8, v191
	v_mad_i32_i24 v187, v22, v15, v16
	v_lshrrev_b32_e32 v15, 16, v21
	v_lshrrev_b32_e32 v16, 16, v19
	;; [unrolled: 1-line block ×3, first 2 shown]
	v_mul_i32_i24_e32 v8, v8, v131
	v_bfe_i32 v140, v140, 0, 8
	s_add_co_i32 s1, s1, 2
	v_sub_nc_u16 v15, v15, v16
	v_lshrrev_b32_e32 v16, 16, v20
	s_delay_alu instid0(VALU_DEP_2) | instskip(NEXT) | instid1(VALU_DEP_2)
	v_bfe_i32 v15, v15, 0, 8
	v_sub_nc_u16 v16, v16, v22
	s_delay_alu instid0(VALU_DEP_2) | instskip(NEXT) | instid1(VALU_DEP_2)
	v_mul_i32_i24_e32 v14, v15, v14
	v_bfe_i32 v15, v16, 0, 8
	s_delay_alu instid0(VALU_DEP_1) | instskip(SKIP_4) | instid1(VALU_DEP_4)
	v_mad_i32_i24 v188, v15, v13, v14
	v_sub_nc_u16 v13, v21, v19
	v_sub_nc_u16 v14, v20, v18
	v_add3_u32 v15, s22, v120, v121
	v_lshrrev_b16 v18, 8, v18
	v_bfe_i32 v13, v13, 0, 8
	s_delay_alu instid0(VALU_DEP_4) | instskip(NEXT) | instid1(VALU_DEP_2)
	v_bfe_i32 v14, v14, 0, 8
	v_mul_i32_i24_e32 v13, v13, v141
	s_delay_alu instid0(VALU_DEP_1) | instskip(NEXT) | instid1(VALU_DEP_1)
	v_mad_i32_i24 v13, v14, v161, v13
	v_add3_u32 v195, v13, v7, v8
	v_add_nc_u32_e32 v13, 0x3180, v139
	ds_load_2addr_b32 v[7:8], v17 offset1:1
	ds_load_2addr_b32 v[13:14], v13 offset1:1
	ds_load_b32 v163, v15
	s_wait_dscnt 0x2
	v_ashrrev_i32_e32 v8, s16, v8
	v_ashrrev_i32_e32 v7, s16, v7
	s_wait_dscnt 0x1
	v_ashrrev_i32_e32 v14, s23, v14
	v_ashrrev_i32_e32 v13, s23, v13
	v_lshlrev_b32_e32 v8, 2, v8
	v_lshlrev_b32_e32 v7, 2, v7
	s_delay_alu instid0(VALU_DEP_4) | instskip(NEXT) | instid1(VALU_DEP_4)
	v_and_b32_e32 v199, 0x3030303, v14
	v_and_b32_e32 v200, 0x3030303, v13
	s_delay_alu instid0(VALU_DEP_4) | instskip(NEXT) | instid1(VALU_DEP_4)
	v_and_b32_e32 v196, 0x4040404, v8
	v_and_b32_e32 v197, 0x4040404, v7
	v_bfe_u32 v8, v14, 24, 2
	v_bfe_u32 v7, v13, 24, 2
	s_delay_alu instid0(VALU_DEP_4) | instskip(NEXT) | instid1(VALU_DEP_4)
	v_sub_nc_u16 v0, v199, v196
	v_sub_nc_u16 v1, v200, v197
	v_lshrrev_b32_e32 v15, 24, v196
	s_delay_alu instid0(VALU_DEP_3) | instskip(NEXT) | instid1(VALU_DEP_3)
	v_bfe_i32 v0, v0, 0, 8
	v_bfe_i32 v1, v1, 0, 8
	s_delay_alu instid0(VALU_DEP_3) | instskip(SKIP_1) | instid1(VALU_DEP_4)
	v_sub_nc_u16 v8, v8, v15
	v_lshrrev_b32_e32 v15, 24, v197
	v_mul_i32_i24_e32 v0, v0, v142
	s_delay_alu instid0(VALU_DEP_3) | instskip(NEXT) | instid1(VALU_DEP_3)
	v_bfe_i32 v8, v8, 0, 16
	v_sub_nc_u16 v7, v7, v15
	s_delay_alu instid0(VALU_DEP_3) | instskip(SKIP_4) | instid1(VALU_DEP_4)
	v_mad_i32_i24 v0, v1, v155, v0
	v_lshlrev_b32_e32 v1, 2, v5
	v_lshlrev_b32_e32 v5, 2, v6
	v_mul_i32_i24_e32 v8, v8, v12
	v_bfe_i32 v7, v7, 0, 16
	v_and_b32_e32 v204, 0x4040404, v1
	s_delay_alu instid0(VALU_DEP_4) | instskip(NEXT) | instid1(VALU_DEP_3)
	v_and_b32_e32 v205, 0x4040404, v5
	v_mad_i32_i24 v198, v7, v11, v8
	v_lshrrev_b32_e32 v7, 16, v199
	s_delay_alu instid0(VALU_DEP_4) | instskip(NEXT) | instid1(VALU_DEP_4)
	v_sub_nc_u16 v1, v206, v204
	v_sub_nc_u16 v5, v207, v205
	v_lshrrev_b32_e32 v8, 16, v196
	v_lshrrev_b32_e32 v11, 16, v197
	v_lshrrev_b16 v197, 8, v197
	v_bfe_i32 v1, v1, 0, 8
	v_bfe_i32 v5, v5, 0, 8
	v_sub_nc_u16 v7, v7, v8
	v_lshrrev_b32_e32 v8, 16, v200
	v_lshrrev_b16 v200, 8, v200
	v_mul_i32_i24_e32 v1, v1, v136
	v_mul_i32_i24_e32 v5, v5, v132
	v_bfe_i32 v7, v7, 0, 8
	v_sub_nc_u16 v8, v8, v11
	v_lshrrev_b16 v199, 8, v199
	v_lshrrev_b16 v196, 8, v196
	v_add3_u32 v208, v0, v1, v5
	ds_load_2addr_b32 v[167:168], v179 offset0:4 offset1:5
	ds_load_2addr_b32 v[0:1], v179 offset0:6 offset1:7
	;; [unrolled: 1-line block ×3, first 2 shown]
	v_mul_i32_i24_e32 v7, v7, v10
	v_bfe_i32 v8, v8, 0, 8
	v_add_nc_u32_e32 v10, 0x1098, v139
	v_sub_nc_u16 v197, v200, v197
	v_sub_nc_u16 v196, v199, v196
	v_lshrrev_b16 v199, 8, v206
	v_mad_i32_i24 v201, v8, v9, v7
	v_lshrrev_b16 v200, 8, v204
	v_bfe_i32 v197, v197, 0, 16
	v_bfe_i32 v196, v196, 0, 16
	s_delay_alu instid0(VALU_DEP_3) | instskip(NEXT) | instid1(VALU_DEP_2)
	v_sub_nc_u16 v199, v199, v200
	v_mul_i32_i24_e32 v151, v196, v151
	s_wait_dscnt 0x2
	v_ashrrev_i32_e32 v5, s16, v167
	s_delay_alu instid0(VALU_DEP_3)
	v_bfe_i32 v196, v199, 0, 16
	s_wait_dscnt 0x0
	v_ashrrev_i32_e32 v11, s16, v11
	v_ashrrev_i32_e32 v0, s16, v0
	;; [unrolled: 1-line block ×3, first 2 shown]
	v_lshlrev_b32_e32 v5, 2, v5
	v_mul_i32_i24_e32 v150, v196, v150
	v_lshlrev_b32_e32 v11, 2, v11
	v_lshlrev_b32_e32 v0, 2, v0
	;; [unrolled: 1-line block ×3, first 2 shown]
	v_and_b32_e32 v167, 0x4040404, v5
	ds_load_2addr_b32 v[169:170], v139 offset0:4 offset1:5
	ds_load_2addr_b32 v[5:6], v139 offset0:6 offset1:7
	;; [unrolled: 1-line block ×3, first 2 shown]
	v_and_b32_e32 v11, 0x4040404, v11
	v_and_b32_e32 v0, 0x4040404, v0
	;; [unrolled: 1-line block ×3, first 2 shown]
	v_lshrrev_b16 v8, 8, v167
	s_wait_dscnt 0x2
	v_ashrrev_i32_e32 v169, s23, v169
	s_wait_dscnt 0x1
	v_ashrrev_i32_e32 v5, s23, v5
	;; [unrolled: 2-line block ×3, first 2 shown]
	v_ashrrev_i32_e32 v6, s23, v6
	v_and_b32_e32 v209, 0x3030303, v169
	s_delay_alu instid0(VALU_DEP_1) | instskip(NEXT) | instid1(VALU_DEP_1)
	v_lshrrev_b16 v7, 8, v209
	v_sub_nc_u16 v180, v7, v8
	v_add_nc_u32_e32 v7, s17, v97
	s_delay_alu instid0(VALU_DEP_2)
	v_lshlrev_b16 v180, 8, v180
	ds_load_u16 v165, v7 offset:26354
	v_add3_u32 v7, s22, v116, v117
	v_bfe_i32 v180, v180, 8, 8
	ds_load_b32 v164, v7
	ds_load_2addr_b32 v[171:172], v181 offset0:4 offset1:5
	ds_load_2addr_b32 v[7:8], v181 offset0:6 offset1:7
	;; [unrolled: 1-line block ×3, first 2 shown]
	s_wait_dscnt 0x2
	v_ashrrev_i32_e32 v9, s16, v171
	s_wait_dscnt 0x1
	v_ashrrev_i32_e32 v7, s16, v7
	;; [unrolled: 2-line block ×3, first 2 shown]
	v_ashrrev_i32_e32 v16, s16, v16
	v_ashrrev_i32_e32 v8, s16, v8
	v_lshlrev_b32_e32 v9, 2, v9
	v_lshlrev_b32_e32 v7, 2, v7
	;; [unrolled: 1-line block ×5, first 2 shown]
	v_and_b32_e32 v171, 0x4040404, v9
	v_add_nc_u32_e32 v9, 0x1090, v139
	ds_load_2addr_b32 v[173:174], v9 offset1:1
	ds_load_2addr_b32 v[9:10], v10 offset1:1
	v_lshrrev_b16 v22, 8, v171
	v_and_b32_e32 v15, 0x4040404, v15
	v_and_b32_e32 v7, 0x4040404, v7
	;; [unrolled: 1-line block ×4, first 2 shown]
	s_wait_dscnt 0x1
	v_ashrrev_i32_e32 v173, s23, v173
	s_wait_dscnt 0x0
	v_ashrrev_i32_e32 v9, s23, v9
	v_ashrrev_i32_e32 v10, s23, v10
	s_delay_alu instid0(VALU_DEP_3) | instskip(NEXT) | instid1(VALU_DEP_1)
	v_and_b32_e32 v210, 0x3030303, v173
	v_lshrrev_b16 v17, 8, v210
	v_sub_nc_u16 v214, v210, v171
	s_delay_alu instid0(VALU_DEP_2) | instskip(SKIP_1) | instid1(VALU_DEP_3)
	v_sub_nc_u16 v182, v17, v22
	v_lshrrev_b16 v17, 8, v20
	v_bfe_i32 v214, v214, 0, 8
	s_delay_alu instid0(VALU_DEP_2)
	v_sub_nc_u16 v183, v17, v18
	v_lshrrev_b16 v18, 8, v19
	ds_load_2addr_b32 v[175:176], v211 offset0:4 offset1:5
	ds_load_2addr_b32 v[19:20], v211 offset0:2 offset1:3
	v_lshrrev_b16 v17, 8, v21
	v_add_nc_u32_e32 v21, 0x2108, v139
	v_mul_i32_i24_e32 v214, v161, v214
	s_delay_alu instid0(VALU_DEP_3)
	v_sub_nc_u16 v184, v17, v18
	v_add_nc_u32_e32 v18, 0x2118, v139
	s_wait_dscnt 0x1
	v_ashrrev_i32_e32 v17, s16, v175
	s_wait_dscnt 0x0
	v_ashrrev_i32_e32 v19, s16, v19
	s_delay_alu instid0(VALU_DEP_2) | instskip(NEXT) | instid1(VALU_DEP_2)
	v_lshlrev_b32_e32 v17, 2, v17
	v_lshlrev_b32_e32 v19, 2, v19
	s_delay_alu instid0(VALU_DEP_2)
	v_and_b32_e32 v175, 0x4040404, v17
	v_add_nc_u32_e32 v17, 0x2110, v139
	ds_load_2addr_b32 v[177:178], v17 offset1:1
	ds_load_2addr_b32 v[17:18], v18 offset1:1
	ds_load_2addr_b32 v[21:22], v21 offset1:1
	v_lshrrev_b16 v186, 8, v175
	v_and_b32_e32 v19, 0x4040404, v19
	s_wait_dscnt 0x2
	v_ashrrev_i32_e32 v177, s23, v177
	s_wait_dscnt 0x1
	v_ashrrev_i32_e32 v17, s23, v17
	;; [unrolled: 2-line block ×3, first 2 shown]
	v_ashrrev_i32_e32 v18, s23, v18
	v_and_b32_e32 v212, 0x3030303, v177
	s_delay_alu instid0(VALU_DEP_1) | instskip(SKIP_1) | instid1(VALU_DEP_2)
	v_lshrrev_b16 v185, 8, v212
	v_sub_nc_u16 v215, v212, v175
	v_sub_nc_u16 v185, v185, v186
	v_lshrrev_b16 v186, 8, v193
	s_delay_alu instid0(VALU_DEP_3) | instskip(NEXT) | instid1(VALU_DEP_2)
	v_bfe_i32 v215, v215, 0, 8
	v_sub_nc_u16 v186, v186, v213
	v_sub_nc_u16 v213, v209, v167
	s_delay_alu instid0(VALU_DEP_1) | instskip(NEXT) | instid1(VALU_DEP_1)
	v_bfe_i32 v213, v213, 0, 8
	v_mul_i32_i24_e32 v213, v161, v213
	v_mul_i32_i24_e32 v161, v161, v215
	s_delay_alu instid0(VALU_DEP_2) | instskip(SKIP_2) | instid1(VALU_DEP_2)
	v_mad_i32_i24 v213, v160, v180, v213
	v_lshlrev_b16 v180, 8, v182
	v_add_nc_u32_e32 v182, 0x1080, v139
	v_bfe_i32 v180, v180, 8, 8
	s_delay_alu instid0(VALU_DEP_1) | instskip(SKIP_1) | instid1(VALU_DEP_1)
	v_mad_i32_i24 v214, v160, v180, v214
	v_lshlrev_b16 v180, 8, v185
	v_bfe_i32 v180, v180, 8, 8
	s_delay_alu instid0(VALU_DEP_1) | instskip(SKIP_1) | instid1(VALU_DEP_1)
	v_mad_i32_i24 v215, v160, v180, v161
	v_bfe_i32 v161, v183, 0, 16
	v_mul_i32_i24_e32 v160, v161, v160
	v_bfe_i32 v161, v184, 0, 16
	s_delay_alu instid0(VALU_DEP_1) | instskip(SKIP_1) | instid1(VALU_DEP_1)
	v_mul_i32_i24_e32 v159, v161, v159
	v_bfe_i32 v161, v186, 0, 16
	v_mul_i32_i24_e32 v158, v161, v158
	s_delay_alu instid0(VALU_DEP_1)
	v_add3_u32 v216, v160, v159, v158
	ds_load_2addr_b32 v[158:159], v179 offset1:1
	ds_load_2addr_b32 v[160:161], v139 offset1:1
	s_wait_dscnt 0x1
	v_ashrrev_i32_e32 v158, s16, v158
	s_wait_dscnt 0x0
	v_ashrrev_i32_e32 v160, s23, v160
	s_delay_alu instid0(VALU_DEP_2) | instskip(NEXT) | instid1(VALU_DEP_2)
	v_lshlrev_b32_e32 v158, 2, v158
	v_and_b32_e32 v218, 0x3030303, v160
	s_delay_alu instid0(VALU_DEP_2) | instskip(NEXT) | instid1(VALU_DEP_2)
	v_and_b32_e32 v217, 0x4040404, v158
	v_lshrrev_b16 v158, 8, v218
	s_delay_alu instid0(VALU_DEP_2) | instskip(SKIP_1) | instid1(VALU_DEP_2)
	v_lshrrev_b16 v179, 8, v217
	v_sub_nc_u16 v200, v218, v217
	v_sub_nc_u16 v219, v158, v179
	v_add3_u32 v158, s22, v126, v113
	s_delay_alu instid0(VALU_DEP_3) | instskip(NEXT) | instid1(VALU_DEP_3)
	v_bfe_i32 v200, v200, 0, 8
	v_lshlrev_b16 v219, 8, v219
	ds_load_b32 v158, v158
	ds_load_2addr_b32 v[179:180], v181 offset1:1
	ds_load_2addr_b32 v[181:182], v182 offset1:1
	v_mul_i32_i24_e32 v200, v155, v200
	v_bfe_i32 v219, v219, 8, 8
	s_delay_alu instid0(VALU_DEP_1) | instskip(SKIP_4) | instid1(VALU_DEP_2)
	v_mad_i32_i24 v200, v154, v219, v200
	s_wait_dscnt 0x1
	v_ashrrev_i32_e32 v179, s16, v179
	s_wait_dscnt 0x0
	v_ashrrev_i32_e32 v181, s23, v181
	v_lshlrev_b32_e32 v179, 2, v179
	s_delay_alu instid0(VALU_DEP_2) | instskip(NEXT) | instid1(VALU_DEP_2)
	v_and_b32_e32 v220, 0x3030303, v181
	v_and_b32_e32 v179, 0x4040404, v179
	s_delay_alu instid0(VALU_DEP_2) | instskip(NEXT) | instid1(VALU_DEP_2)
	v_lshrrev_b16 v183, 8, v220
	v_lshrrev_b16 v184, 8, v179
	s_delay_alu instid0(VALU_DEP_1) | instskip(SKIP_4) | instid1(VALU_DEP_1)
	v_sub_nc_u16 v221, v183, v184
	v_add_nc_u32_e32 v183, 0x2100, v139
	ds_load_2addr_b32 v[183:184], v183 offset1:1
	ds_load_2addr_b32 v[185:186], v211 offset1:1
	v_lshlrev_b16 v219, 8, v221
	v_bfe_i32 v219, v219, 8, 8
	s_wait_dscnt 0x1
	v_ashrrev_i32_e32 v183, s23, v183
	s_wait_dscnt 0x0
	v_ashrrev_i32_e32 v185, s16, v185
	s_delay_alu instid0(VALU_DEP_2) | instskip(NEXT) | instid1(VALU_DEP_2)
	v_and_b32_e32 v222, 0x3030303, v183
	v_lshlrev_b32_e32 v185, 2, v185
	s_delay_alu instid0(VALU_DEP_2) | instskip(NEXT) | instid1(VALU_DEP_2)
	v_lshrrev_b16 v223, 8, v222
	v_and_b32_e32 v185, 0x4040404, v185
	s_delay_alu instid0(VALU_DEP_1) | instskip(SKIP_1) | instid1(VALU_DEP_2)
	v_lshrrev_b16 v224, 8, v185
	v_sub_nc_u16 v225, v222, v185
	v_sub_nc_u16 v223, v223, v224
	;; [unrolled: 1-line block ×3, first 2 shown]
	s_delay_alu instid0(VALU_DEP_3) | instskip(NEXT) | instid1(VALU_DEP_3)
	v_bfe_i32 v225, v225, 0, 8
	v_lshlrev_b16 v221, 8, v223
	s_delay_alu instid0(VALU_DEP_3) | instskip(NEXT) | instid1(VALU_DEP_2)
	v_bfe_i32 v224, v224, 0, 8
	v_bfe_i32 v221, v221, 8, 8
	s_delay_alu instid0(VALU_DEP_2) | instskip(SKIP_1) | instid1(VALU_DEP_2)
	v_mul_i32_i24_e32 v224, v155, v224
	v_mul_i32_i24_e32 v155, v155, v225
	v_mad_i32_i24 v219, v154, v219, v224
	s_delay_alu instid0(VALU_DEP_2) | instskip(SKIP_1) | instid1(VALU_DEP_1)
	v_mad_i32_i24 v155, v154, v221, v155
	v_mul_i32_i24_e32 v154, v197, v154
	v_add3_u32 v150, v154, v151, v150
	v_lshrrev_b32_e32 v151, 16, v193
	v_lshrrev_b32_e32 v154, 16, v191
	;; [unrolled: 1-line block ×3, first 2 shown]
	s_delay_alu instid0(VALU_DEP_2) | instskip(SKIP_1) | instid1(VALU_DEP_2)
	v_sub_nc_u16 v151, v151, v154
	v_lshrrev_b32_e32 v154, 16, v194
	v_bfe_i32 v151, v151, 0, 8
	s_delay_alu instid0(VALU_DEP_2) | instskip(NEXT) | instid1(VALU_DEP_2)
	v_sub_nc_u16 v154, v154, v193
	v_mul_i32_i24_e32 v151, v151, v156
	s_delay_alu instid0(VALU_DEP_2) | instskip(SKIP_1) | instid1(VALU_DEP_2)
	v_bfe_i32 v154, v154, 0, 8
	v_lshrrev_b32_e32 v156, 24, v191
	v_mul_i32_i24_e32 v154, v154, v157
	v_lshrrev_b32_e32 v157, 24, v192
	s_delay_alu instid0(VALU_DEP_2) | instskip(SKIP_1) | instid1(VALU_DEP_1)
	v_add3_u32 v151, v188, v151, v154
	v_bfe_u32 v154, v189, 24, 2
	v_sub_nc_u16 v154, v154, v156
	v_bfe_u32 v156, v190, 24, 2
	s_delay_alu instid0(VALU_DEP_2) | instskip(NEXT) | instid1(VALU_DEP_2)
	v_bfe_i32 v154, v154, 0, 16
	v_sub_nc_u16 v156, v156, v157
	v_lshrrev_b32_e32 v157, 24, v179
	s_delay_alu instid0(VALU_DEP_3) | instskip(NEXT) | instid1(VALU_DEP_3)
	v_mul_i32_i24_e32 v152, v154, v152
	v_bfe_i32 v154, v156, 0, 16
	v_lshrrev_b32_e32 v156, 16, v217
	s_delay_alu instid0(VALU_DEP_2) | instskip(SKIP_1) | instid1(VALU_DEP_2)
	v_mul_i32_i24_e32 v153, v154, v153
	v_lshrrev_b32_e32 v154, 24, v217
	v_add3_u32 v152, v187, v152, v153
	v_bfe_u32 v153, v160, 24, 2
	v_lshrrev_b32_e32 v160, 16, v179
	v_lshrrev_b32_e32 v179, 24, v185
	s_delay_alu instid0(VALU_DEP_3) | instskip(SKIP_1) | instid1(VALU_DEP_2)
	v_sub_nc_u16 v153, v153, v154
	v_lshrrev_b32_e32 v154, 16, v218
	v_lshlrev_b16 v153, 8, v153
	s_delay_alu instid0(VALU_DEP_2) | instskip(SKIP_2) | instid1(VALU_DEP_2)
	v_sub_nc_u16 v154, v154, v156
	v_bfe_u32 v156, v181, 24, 2
	v_lshrrev_b32_e32 v181, 16, v185
	v_sub_nc_u16 v156, v156, v157
	v_lshrrev_b32_e32 v157, 16, v220
	s_delay_alu instid0(VALU_DEP_2) | instskip(NEXT) | instid1(VALU_DEP_2)
	v_lshlrev_b16 v156, 8, v156
	v_sub_nc_u16 v157, v157, v160
	v_bfe_u32 v160, v183, 24, 2
	s_delay_alu instid0(VALU_DEP_1) | instskip(SKIP_1) | instid1(VALU_DEP_2)
	v_sub_nc_u16 v160, v160, v179
	v_lshrrev_b32_e32 v179, 16, v222
	v_lshlrev_b16 v160, 8, v160
	s_delay_alu instid0(VALU_DEP_2) | instskip(SKIP_1) | instid1(VALU_DEP_1)
	v_sub_nc_u16 v179, v179, v181
	v_and_b32_e32 v181, 0xff, v154
	v_or_b32_e32 v153, v181, v153
	v_and_b32_e32 v181, 0xff, v157
	s_delay_alu instid0(VALU_DEP_2) | instskip(NEXT) | instid1(VALU_DEP_2)
	v_perm_b32 v153, v153, v154, 0xc0c0500
	v_or_b32_e32 v156, v181, v156
	v_and_b32_e32 v181, 0xff, v179
	s_delay_alu instid0(VALU_DEP_3) | instskip(NEXT) | instid1(VALU_DEP_3)
	v_dot4_i32_iu8 v153, v148, v153, v200 neg_lo:[1,1,0]
	v_perm_b32 v154, v156, v157, 0xc0c0500
	s_delay_alu instid0(VALU_DEP_3) | instskip(SKIP_1) | instid1(VALU_DEP_3)
	v_or_b32_e32 v160, v181, v160
	v_lshrrev_b32_e32 v157, 16, v205
	v_dot4_i32_iu8 v154, v148, v154, v219 neg_lo:[1,1,0]
	s_delay_alu instid0(VALU_DEP_3) | instskip(SKIP_1) | instid1(VALU_DEP_2)
	v_perm_b32 v156, v160, v179, 0xc0c0500
	v_lshrrev_b32_e32 v160, 24, v175
	v_dot4_i32_iu8 v148, v148, v156, v155 neg_lo:[1,1,0]
	v_lshrrev_b32_e32 v155, 16, v206
	v_lshrrev_b32_e32 v156, 16, v204
	s_delay_alu instid0(VALU_DEP_1) | instskip(SKIP_1) | instid1(VALU_DEP_2)
	v_sub_nc_u16 v155, v155, v156
	v_lshrrev_b32_e32 v156, 16, v207
	v_bfe_i32 v155, v155, 0, 8
	s_delay_alu instid0(VALU_DEP_2) | instskip(SKIP_1) | instid1(VALU_DEP_3)
	v_sub_nc_u16 v156, v156, v157
	v_lshrrev_b32_e32 v157, 16, v171
	v_mul_i32_i24_e32 v147, v155, v147
	s_delay_alu instid0(VALU_DEP_3) | instskip(SKIP_1) | instid1(VALU_DEP_2)
	v_bfe_i32 v155, v156, 0, 8
	v_lshrrev_b32_e32 v156, 24, v205
	v_mul_i32_i24_e32 v149, v155, v149
	v_lshrrev_b32_e32 v155, 24, v204
	s_delay_alu instid0(VALU_DEP_2) | instskip(SKIP_1) | instid1(VALU_DEP_1)
	v_add3_u32 v147, v201, v147, v149
	v_bfe_u32 v149, v202, 24, 2
	v_sub_nc_u16 v149, v149, v155
	v_bfe_u32 v155, v203, 24, 2
	s_delay_alu instid0(VALU_DEP_2) | instskip(NEXT) | instid1(VALU_DEP_2)
	v_bfe_i32 v149, v149, 0, 16
	v_sub_nc_u16 v155, v155, v156
	v_lshrrev_b32_e32 v156, 24, v171
	s_delay_alu instid0(VALU_DEP_3) | instskip(NEXT) | instid1(VALU_DEP_3)
	v_mul_i32_i24_e32 v145, v149, v145
	v_bfe_i32 v149, v155, 0, 16
	v_lshrrev_b32_e32 v155, 16, v167
	s_delay_alu instid0(VALU_DEP_2) | instskip(SKIP_2) | instid1(VALU_DEP_3)
	v_mul_i32_i24_e32 v146, v149, v146
	v_lshrrev_b32_e32 v149, 24, v167
	v_lshrrev_b32_e32 v167, 16, v175
	v_add3_u32 v145, v198, v145, v146
	v_bfe_u32 v146, v169, 24, 2
	s_delay_alu instid0(VALU_DEP_1) | instskip(SKIP_1) | instid1(VALU_DEP_2)
	v_sub_nc_u16 v146, v146, v149
	v_lshrrev_b32_e32 v149, 16, v209
	v_lshlrev_b16 v146, 8, v146
	s_delay_alu instid0(VALU_DEP_2) | instskip(SKIP_1) | instid1(VALU_DEP_1)
	v_sub_nc_u16 v149, v149, v155
	v_bfe_u32 v155, v173, 24, 2
	v_sub_nc_u16 v155, v155, v156
	v_lshrrev_b32_e32 v156, 16, v210
	s_delay_alu instid0(VALU_DEP_2) | instskip(NEXT) | instid1(VALU_DEP_2)
	v_lshlrev_b16 v155, 8, v155
	v_sub_nc_u16 v156, v156, v157
	v_bfe_u32 v157, v177, 24, 2
	s_delay_alu instid0(VALU_DEP_1) | instskip(SKIP_1) | instid1(VALU_DEP_2)
	v_sub_nc_u16 v157, v157, v160
	v_lshrrev_b32_e32 v160, 16, v212
	v_lshlrev_b16 v157, 8, v157
	s_delay_alu instid0(VALU_DEP_2) | instskip(SKIP_1) | instid1(VALU_DEP_1)
	v_sub_nc_u16 v160, v160, v167
	v_and_b32_e32 v167, 0xff, v149
	v_or_b32_e32 v146, v167, v146
	v_and_b32_e32 v167, 0xff, v156
	s_delay_alu instid0(VALU_DEP_2) | instskip(NEXT) | instid1(VALU_DEP_2)
	v_perm_b32 v146, v146, v149, 0xc0c0500
	v_or_b32_e32 v155, v167, v155
	v_and_b32_e32 v167, 0xff, v160
	s_delay_alu instid0(VALU_DEP_3) | instskip(NEXT) | instid1(VALU_DEP_3)
	v_dot4_i32_iu8 v146, v144, v146, v213 neg_lo:[1,1,0]
	v_perm_b32 v149, v155, v156, 0xc0c0500
	s_delay_alu instid0(VALU_DEP_3) | instskip(SKIP_1) | instid1(VALU_DEP_3)
	v_or_b32_e32 v157, v167, v157
	v_lshrrev_b16 v156, 8, v192
	v_dot4_i32_iu8 v149, v144, v149, v214 neg_lo:[1,1,0]
	s_delay_alu instid0(VALU_DEP_3) | instskip(SKIP_2) | instid1(VALU_DEP_3)
	v_perm_b32 v155, v157, v160, 0xc0c0500
	v_ashrrev_i32_e32 v157, s16, v186
	v_ashrrev_i32_e32 v160, s23, v184
	v_dot4_i32_iu8 v144, v144, v155, v215 neg_lo:[1,1,0]
	v_lshrrev_b16 v155, 8, v194
	s_delay_alu instid0(VALU_DEP_4) | instskip(NEXT) | instid1(VALU_DEP_2)
	v_lshlrev_b32_e32 v157, 2, v157
	v_sub_nc_u16 v155, v155, v156
	v_ashrrev_i32_e32 v156, s16, v180
	s_delay_alu instid0(VALU_DEP_3) | instskip(NEXT) | instid1(VALU_DEP_3)
	v_and_b32_e32 v157, 0x4040404, v157
	v_bfe_i32 v155, v155, 0, 16
	s_delay_alu instid0(VALU_DEP_3) | instskip(NEXT) | instid1(VALU_DEP_2)
	v_lshlrev_b32_e32 v156, 2, v156
	v_mul_i32_i24_e32 v143, v155, v143
	v_ashrrev_i32_e32 v155, s16, v159
	v_ashrrev_i32_e32 v159, s23, v182
	s_delay_alu instid0(VALU_DEP_4) | instskip(NEXT) | instid1(VALU_DEP_4)
	v_and_b32_e32 v156, 0x4040404, v156
	v_add3_u32 v143, v216, v143, v152
	v_ashrrev_i32_e32 v152, s23, v161
	v_lshlrev_b32_e32 v155, 2, v155
	s_delay_alu instid0(VALU_DEP_3) | instskip(NEXT) | instid1(VALU_DEP_3)
	v_add3_u32 v143, v195, v151, v143
	v_and_b32_e32 v161, 0x3030303, v152
	s_delay_alu instid0(VALU_DEP_3) | instskip(NEXT) | instid1(VALU_DEP_1)
	v_and_b32_e32 v155, 0x4040404, v155
	v_sub_nc_u16 v167, v161, v155
	v_lshrrev_b32_e32 v151, 24, v155
	s_delay_alu instid0(VALU_DEP_2) | instskip(NEXT) | instid1(VALU_DEP_1)
	v_bfe_i32 v167, v167, 0, 8
	v_mad_i32_i24 v153, v142, v167, v153
	v_and_b32_e32 v167, 0x3030303, v159
	s_delay_alu instid0(VALU_DEP_1) | instskip(NEXT) | instid1(VALU_DEP_1)
	v_sub_nc_u16 v169, v167, v156
	v_bfe_i32 v169, v169, 0, 8
	s_delay_alu instid0(VALU_DEP_1) | instskip(SKIP_2) | instid1(VALU_DEP_2)
	v_mad_i32_i24 v154, v142, v169, v154
	v_and_b32_e32 v169, 0x3030303, v160
	v_bfe_u32 v160, v160, 24, 2
	v_sub_nc_u16 v171, v169, v157
	s_delay_alu instid0(VALU_DEP_1) | instskip(NEXT) | instid1(VALU_DEP_1)
	v_bfe_i32 v171, v171, 0, 8
	v_mad_i32_i24 v142, v142, v171, v148
	v_lshrrev_b16 v148, 8, v207
	v_lshrrev_b16 v171, 8, v205
	s_delay_alu instid0(VALU_DEP_1) | instskip(SKIP_1) | instid1(VALU_DEP_2)
	v_sub_nc_u16 v148, v148, v171
	v_ashrrev_i32_e32 v171, s23, v178
	v_bfe_i32 v148, v148, 0, 16
	s_delay_alu instid0(VALU_DEP_1) | instskip(SKIP_2) | instid1(VALU_DEP_3)
	v_mul_i32_i24_e32 v140, v148, v140
	v_ashrrev_i32_e32 v148, s16, v168
	v_ashrrev_i32_e32 v168, s16, v176
	v_add3_u32 v140, v150, v140, v145
	v_ashrrev_i32_e32 v145, s23, v170
	s_delay_alu instid0(VALU_DEP_4)
	v_lshlrev_b32_e32 v148, 2, v148
	v_ashrrev_i32_e32 v150, s16, v172
	v_ashrrev_i32_e32 v170, s23, v174
	v_lshlrev_b32_e32 v168, 2, v168
	v_and_b32_e32 v172, 0x3030303, v145
	v_and_b32_e32 v148, 0x4040404, v148
	v_lshlrev_b32_e32 v150, 2, v150
	v_add3_u32 v147, v208, v147, v140
	v_and_b32_e32 v168, 0x4040404, v168
	s_delay_alu instid0(VALU_DEP_4) | instskip(NEXT) | instid1(VALU_DEP_4)
	v_sub_nc_u16 v173, v172, v148
	v_and_b32_e32 v150, 0x4040404, v150
	v_lshrrev_b32_e32 v140, 24, v148
	s_delay_alu instid0(VALU_DEP_3) | instskip(NEXT) | instid1(VALU_DEP_1)
	v_bfe_i32 v173, v173, 0, 8
	v_mad_i32_i24 v146, v141, v173, v146
	v_and_b32_e32 v173, 0x3030303, v170
	s_delay_alu instid0(VALU_DEP_1) | instskip(NEXT) | instid1(VALU_DEP_1)
	v_sub_nc_u16 v174, v173, v150
	v_bfe_i32 v174, v174, 0, 8
	s_delay_alu instid0(VALU_DEP_1) | instskip(SKIP_1) | instid1(VALU_DEP_1)
	v_mad_i32_i24 v149, v141, v174, v149
	v_and_b32_e32 v174, 0x3030303, v171
	v_sub_nc_u16 v175, v174, v168
	s_delay_alu instid0(VALU_DEP_1) | instskip(NEXT) | instid1(VALU_DEP_1)
	v_bfe_i32 v175, v175, 0, 8
	v_mad_i32_i24 v141, v141, v175, v144
	v_bfe_u32 v144, v152, 24, 2
	v_lshrrev_b32_e32 v152, 16, v155
	v_lshrrev_b16 v155, 8, v155
	s_delay_alu instid0(VALU_DEP_3) | instskip(SKIP_1) | instid1(VALU_DEP_2)
	v_sub_nc_u16 v144, v144, v151
	v_lshrrev_b32_e32 v151, 16, v161
	v_lshlrev_b16 v144, 8, v144
	s_delay_alu instid0(VALU_DEP_2) | instskip(SKIP_2) | instid1(VALU_DEP_2)
	v_sub_nc_u16 v151, v151, v152
	v_lshrrev_b16 v152, 8, v161
	v_lshrrev_b32_e32 v161, 16, v156
	v_sub_nc_u16 v152, v152, v155
	v_bfe_u32 v155, v159, 24, 2
	v_lshrrev_b32_e32 v159, 24, v156
	v_lshrrev_b16 v156, 8, v156
	s_delay_alu instid0(VALU_DEP_4) | instskip(NEXT) | instid1(VALU_DEP_3)
	v_lshlrev_b16 v152, 8, v152
	v_sub_nc_u16 v155, v155, v159
	v_lshrrev_b32_e32 v159, 16, v167
	s_delay_alu instid0(VALU_DEP_3) | instskip(NEXT) | instid1(VALU_DEP_3)
	v_perm_b32 v152, v152, v152, 0xc0c0c01
	v_lshlrev_b16 v155, 8, v155
	s_delay_alu instid0(VALU_DEP_3) | instskip(SKIP_2) | instid1(VALU_DEP_2)
	v_sub_nc_u16 v159, v159, v161
	v_lshrrev_b16 v161, 8, v167
	v_lshrrev_b32_e32 v167, 16, v157
	v_sub_nc_u16 v156, v161, v156
	v_lshrrev_b32_e32 v161, 24, v157
	v_lshrrev_b16 v157, 8, v157
	s_delay_alu instid0(VALU_DEP_2) | instskip(SKIP_1) | instid1(VALU_DEP_2)
	v_sub_nc_u16 v160, v160, v161
	v_lshrrev_b32_e32 v161, 16, v169
	v_lshlrev_b16 v160, 8, v160
	s_delay_alu instid0(VALU_DEP_2) | instskip(SKIP_1) | instid1(VALU_DEP_1)
	v_sub_nc_u16 v161, v161, v167
	v_lshrrev_b16 v167, 8, v169
	v_sub_nc_u16 v157, v167, v157
	v_and_b32_e32 v167, 0xff, v151
	s_delay_alu instid0(VALU_DEP_1) | instskip(SKIP_1) | instid1(VALU_DEP_2)
	v_or_b32_e32 v144, v167, v144
	v_and_b32_e32 v167, 0xff, v159
	v_perm_b32 v144, v144, v151, 0xc05000c
	s_delay_alu instid0(VALU_DEP_2) | instskip(SKIP_1) | instid1(VALU_DEP_3)
	v_or_b32_e32 v155, v167, v155
	v_and_b32_e32 v167, 0xff, v161
	v_or_b32_e32 v144, v144, v152
	v_lshlrev_b16 v152, 8, v156
	s_delay_alu instid0(VALU_DEP_4) | instskip(NEXT) | instid1(VALU_DEP_4)
	v_perm_b32 v151, v155, v159, 0xc05000c
	v_or_b32_e32 v160, v167, v160
	v_lshrrev_b16 v156, 8, v168
	v_dot4_i32_iu8 v144, v138, v144, v153 neg_lo:[1,1,0]
	v_perm_b32 v152, v152, v152, 0xc0c0c01
	v_lshrrev_b32_e32 v153, 16, v150
	v_perm_b32 v155, v160, v161, 0xc05000c
	s_delay_alu instid0(VALU_DEP_3) | instskip(SKIP_1) | instid1(VALU_DEP_2)
	v_or_b32_e32 v151, v151, v152
	v_lshlrev_b16 v152, 8, v157
	v_dot4_i32_iu8 v151, v138, v151, v154 neg_lo:[1,1,0]
	s_delay_alu instid0(VALU_DEP_2) | instskip(SKIP_1) | instid1(VALU_DEP_2)
	v_perm_b32 v152, v152, v152, 0xc0c0c01
	v_lshrrev_b32_e32 v154, 24, v168
	v_or_b32_e32 v152, v155, v152
	v_lshrrev_b32_e32 v155, 16, v168
	s_delay_alu instid0(VALU_DEP_2)
	v_dot4_i32_iu8 v142, v138, v152, v142 neg_lo:[1,1,0]
	v_bfe_u32 v138, v145, 24, 2
	v_lshrrev_b32_e32 v145, 16, v148
	v_lshrrev_b16 v148, 8, v148
	v_lshrrev_b32_e32 v152, 24, v150
	v_lshrrev_b16 v150, 8, v150
	v_sub_nc_u16 v138, v138, v140
	v_lshrrev_b32_e32 v140, 16, v172
	s_delay_alu instid0(VALU_DEP_2) | instskip(NEXT) | instid1(VALU_DEP_2)
	v_lshlrev_b16 v138, 8, v138
	v_sub_nc_u16 v140, v140, v145
	v_lshrrev_b16 v145, 8, v172
	s_delay_alu instid0(VALU_DEP_1) | instskip(SKIP_1) | instid1(VALU_DEP_2)
	v_sub_nc_u16 v145, v145, v148
	v_bfe_u32 v148, v170, 24, 2
	v_lshlrev_b16 v145, 8, v145
	s_delay_alu instid0(VALU_DEP_2) | instskip(SKIP_1) | instid1(VALU_DEP_3)
	v_sub_nc_u16 v148, v148, v152
	v_lshrrev_b32_e32 v152, 16, v173
	v_perm_b32 v145, v145, v145, 0xc0c0c01
	s_delay_alu instid0(VALU_DEP_3) | instskip(NEXT) | instid1(VALU_DEP_3)
	v_lshlrev_b16 v148, 8, v148
	v_sub_nc_u16 v152, v152, v153
	v_lshrrev_b16 v153, 8, v173
	s_delay_alu instid0(VALU_DEP_1) | instskip(SKIP_1) | instid1(VALU_DEP_1)
	v_sub_nc_u16 v150, v153, v150
	v_bfe_u32 v153, v171, 24, 2
	v_sub_nc_u16 v153, v153, v154
	v_lshrrev_b32_e32 v154, 16, v174
	s_delay_alu instid0(VALU_DEP_2) | instskip(NEXT) | instid1(VALU_DEP_2)
	v_lshlrev_b16 v153, 8, v153
	v_sub_nc_u16 v154, v154, v155
	v_lshrrev_b16 v155, 8, v174
	s_delay_alu instid0(VALU_DEP_1) | instskip(SKIP_1) | instid1(VALU_DEP_1)
	v_sub_nc_u16 v155, v155, v156
	v_and_b32_e32 v156, 0xff, v140
	v_or_b32_e32 v138, v156, v138
	v_and_b32_e32 v156, 0xff, v152
	s_delay_alu instid0(VALU_DEP_2) | instskip(NEXT) | instid1(VALU_DEP_2)
	v_perm_b32 v138, v138, v140, 0xc05000c
	v_or_b32_e32 v148, v156, v148
	v_and_b32_e32 v156, 0xff, v154
	s_delay_alu instid0(VALU_DEP_3) | instskip(SKIP_1) | instid1(VALU_DEP_4)
	v_or_b32_e32 v138, v138, v145
	v_lshlrev_b16 v145, 8, v150
	v_perm_b32 v140, v148, v152, 0xc05000c
	s_delay_alu instid0(VALU_DEP_4) | instskip(NEXT) | instid1(VALU_DEP_4)
	v_or_b32_e32 v153, v156, v153
	v_dot4_i32_iu8 v146, v137, v138, v146 neg_lo:[1,1,0]
	s_delay_alu instid0(VALU_DEP_4) | instskip(NEXT) | instid1(VALU_DEP_3)
	v_perm_b32 v145, v145, v145, 0xc0c0c01
	v_perm_b32 v148, v153, v154, 0xc05000c
	s_delay_alu instid0(VALU_DEP_2) | instskip(SKIP_1) | instid1(VALU_DEP_1)
	v_or_b32_e32 v140, v140, v145
	v_lshlrev_b16 v145, 8, v155
	v_perm_b32 v145, v145, v145, 0xc0c0c01
	s_delay_alu instid0(VALU_DEP_1) | instskip(NEXT) | instid1(VALU_DEP_4)
	v_or_b32_e32 v145, v148, v145
	v_dot4_i32_iu8 v148, v137, v140, v149 neg_lo:[1,1,0]
	s_delay_alu instid0(VALU_DEP_2) | instskip(SKIP_2) | instid1(VALU_DEP_2)
	v_dot4_i32_iu8 v141, v137, v145, v141 neg_lo:[1,1,0]
	v_and_b32_e32 v145, 0x3030303, v13
	v_bfe_u32 v13, v13, 24, 2
	v_sub_nc_u16 v137, v145, v11
	s_delay_alu instid0(VALU_DEP_1) | instskip(NEXT) | instid1(VALU_DEP_1)
	v_bfe_i32 v137, v137, 0, 8
	v_mad_i32_i24 v144, v136, v137, v144
	v_add_nc_u32_e32 v137, 0x1088, v139
	ds_load_2addr_b32 v[137:138], v137 offset1:1
	s_wait_dscnt 0x0
	v_ashrrev_i32_e32 v137, s23, v137
	s_delay_alu instid0(VALU_DEP_1) | instskip(SKIP_1) | instid1(VALU_DEP_2)
	v_and_b32_e32 v149, 0x3030303, v137
	v_bfe_u32 v137, v137, 24, 2
	v_sub_nc_u16 v139, v149, v15
	s_delay_alu instid0(VALU_DEP_1) | instskip(NEXT) | instid1(VALU_DEP_1)
	v_bfe_i32 v139, v139, 0, 8
	v_mad_i32_i24 v150, v136, v139, v151
	v_and_b32_e32 v151, 0x3030303, v21
	ds_load_2addr_b32 v[139:140], v211 offset0:6 offset1:7
	v_bfe_u32 v21, v21, 24, 2
	v_sub_nc_u16 v152, v151, v19
	s_delay_alu instid0(VALU_DEP_1) | instskip(NEXT) | instid1(VALU_DEP_1)
	v_bfe_i32 v152, v152, 0, 8
	v_mad_i32_i24 v136, v136, v152, v142
	v_and_b32_e32 v142, 0x3030303, v5
	v_bfe_u32 v5, v5, 24, 2
	s_delay_alu instid0(VALU_DEP_2) | instskip(SKIP_2) | instid1(VALU_DEP_2)
	v_sub_nc_u16 v152, v142, v0
	s_wait_dscnt 0x0
	v_ashrrev_i32_e32 v139, s16, v139
	v_bfe_i32 v152, v152, 0, 8
	s_delay_alu instid0(VALU_DEP_2) | instskip(NEXT) | instid1(VALU_DEP_2)
	v_lshlrev_b32_e32 v139, 2, v139
	v_mad_i32_i24 v146, v135, v152, v146
	v_and_b32_e32 v152, 0x3030303, v9
	s_delay_alu instid0(VALU_DEP_3) | instskip(SKIP_1) | instid1(VALU_DEP_3)
	v_and_b32_e32 v139, 0x4040404, v139
	v_bfe_u32 v9, v9, 24, 2
	v_sub_nc_u16 v153, v152, v7
	s_delay_alu instid0(VALU_DEP_1) | instskip(NEXT) | instid1(VALU_DEP_1)
	v_bfe_i32 v153, v153, 0, 8
	v_mad_i32_i24 v148, v135, v153, v148
	v_and_b32_e32 v153, 0x3030303, v17
	v_bfe_u32 v17, v17, 24, 2
	s_delay_alu instid0(VALU_DEP_2) | instskip(NEXT) | instid1(VALU_DEP_1)
	v_sub_nc_u16 v154, v153, v139
	v_bfe_i32 v154, v154, 0, 8
	s_delay_alu instid0(VALU_DEP_1) | instskip(SKIP_3) | instid1(VALU_DEP_3)
	v_mad_i32_i24 v135, v135, v154, v141
	v_lshrrev_b32_e32 v141, 24, v11
	v_lshrrev_b32_e32 v154, 16, v11
	v_lshrrev_b16 v11, 8, v11
	v_sub_nc_u16 v13, v13, v141
	v_lshrrev_b32_e32 v141, 16, v145
	v_lshrrev_b16 v145, 8, v145
	s_delay_alu instid0(VALU_DEP_3) | instskip(NEXT) | instid1(VALU_DEP_3)
	v_lshlrev_b16 v13, 8, v13
	v_sub_nc_u16 v141, v141, v154
	s_delay_alu instid0(VALU_DEP_3) | instskip(SKIP_3) | instid1(VALU_DEP_4)
	v_sub_nc_u16 v11, v145, v11
	v_lshrrev_b32_e32 v145, 24, v19
	v_lshrrev_b32_e32 v154, 16, v19
	v_lshrrev_b16 v19, 8, v19
	v_lshlrev_b16 v11, 8, v11
	s_delay_alu instid0(VALU_DEP_4) | instskip(SKIP_2) | instid1(VALU_DEP_4)
	v_sub_nc_u16 v21, v21, v145
	v_lshrrev_b32_e32 v145, 16, v151
	v_lshrrev_b16 v151, 8, v151
	v_perm_b32 v11, v11, v11, 0xc0c0c01
	s_delay_alu instid0(VALU_DEP_4) | instskip(NEXT) | instid1(VALU_DEP_4)
	v_lshlrev_b16 v21, 8, v21
	v_sub_nc_u16 v145, v145, v154
	s_delay_alu instid0(VALU_DEP_4) | instskip(SKIP_3) | instid1(VALU_DEP_3)
	v_sub_nc_u16 v19, v151, v19
	v_lshrrev_b32_e32 v151, 24, v15
	v_lshrrev_b32_e32 v154, 16, v15
	v_lshrrev_b16 v15, 8, v15
	v_sub_nc_u16 v137, v137, v151
	v_lshrrev_b32_e32 v151, 16, v149
	v_lshrrev_b16 v149, 8, v149
	s_delay_alu instid0(VALU_DEP_3) | instskip(NEXT) | instid1(VALU_DEP_3)
	v_lshlrev_b16 v137, 8, v137
	v_sub_nc_u16 v151, v151, v154
	s_delay_alu instid0(VALU_DEP_3) | instskip(SKIP_1) | instid1(VALU_DEP_2)
	v_sub_nc_u16 v15, v149, v15
	v_and_b32_e32 v149, 0xff, v141
	v_lshlrev_b16 v15, 8, v15
	s_delay_alu instid0(VALU_DEP_2) | instskip(SKIP_1) | instid1(VALU_DEP_3)
	v_or_b32_e32 v13, v149, v13
	v_and_b32_e32 v149, 0xff, v145
	v_perm_b32 v15, v15, v15, 0xc0c0c01
	s_delay_alu instid0(VALU_DEP_3) | instskip(NEXT) | instid1(VALU_DEP_3)
	v_perm_b32 v13, v13, v141, 0xc05000c
	v_or_b32_e32 v21, v149, v21
	v_and_b32_e32 v149, 0xff, v151
	s_delay_alu instid0(VALU_DEP_3) | instskip(SKIP_1) | instid1(VALU_DEP_4)
	v_or_b32_e32 v11, v13, v11
	v_lshlrev_b16 v13, 8, v19
	v_perm_b32 v21, v21, v145, 0xc05000c
	v_lshrrev_b32_e32 v19, 24, v0
	v_or_b32_e32 v137, v149, v137
	v_dot4_i32_iu8 v11, v134, v11, v144 neg_lo:[1,1,0]
	v_perm_b32 v13, v13, v13, 0xc0c0c01
	s_delay_alu instid0(VALU_DEP_4) | instskip(SKIP_2) | instid1(VALU_DEP_4)
	v_sub_nc_u16 v5, v5, v19
	v_lshrrev_b32_e32 v19, 16, v142
	v_perm_b32 v137, v137, v151, 0xc05000c
	v_or_b32_e32 v13, v21, v13
	v_lshrrev_b32_e32 v21, 16, v0
	v_lshrrev_b16 v0, 8, v0
	v_lshlrev_b16 v5, 8, v5
	v_or_b32_e32 v15, v137, v15
	v_dot4_i32_iu8 v13, v134, v13, v136 neg_lo:[1,1,0]
	v_sub_nc_u16 v19, v19, v21
	v_lshrrev_b16 v21, 8, v142
	v_lshrrev_b32_e32 v136, 16, v139
	v_dot4_i32_iu8 v15, v134, v15, v150 neg_lo:[1,1,0]
	v_lshrrev_b32_e32 v134, 16, v7
	v_lshrrev_b16 v137, 8, v139
	v_sub_nc_u16 v0, v21, v0
	v_lshrrev_b32_e32 v21, 24, v7
	v_lshrrev_b16 v7, 8, v7
	s_delay_alu instid0(VALU_DEP_3) | instskip(NEXT) | instid1(VALU_DEP_3)
	v_lshlrev_b16 v0, 8, v0
	v_sub_nc_u16 v9, v9, v21
	v_lshrrev_b32_e32 v21, 16, v152
	s_delay_alu instid0(VALU_DEP_3) | instskip(NEXT) | instid1(VALU_DEP_3)
	v_perm_b32 v0, v0, v0, 0xc0c0c01
	v_lshlrev_b16 v9, 8, v9
	s_delay_alu instid0(VALU_DEP_3) | instskip(SKIP_1) | instid1(VALU_DEP_1)
	v_sub_nc_u16 v21, v21, v134
	v_lshrrev_b16 v134, 8, v152
	v_sub_nc_u16 v7, v134, v7
	v_lshrrev_b32_e32 v134, 24, v139
	s_delay_alu instid0(VALU_DEP_1) | instskip(SKIP_1) | instid1(VALU_DEP_2)
	v_sub_nc_u16 v17, v17, v134
	v_lshrrev_b32_e32 v134, 16, v153
	v_lshlrev_b16 v17, 8, v17
	s_delay_alu instid0(VALU_DEP_2) | instskip(SKIP_1) | instid1(VALU_DEP_1)
	v_sub_nc_u16 v134, v134, v136
	v_lshrrev_b16 v136, 8, v153
	v_sub_nc_u16 v136, v136, v137
	v_and_b32_e32 v137, 0xff, v19
	s_delay_alu instid0(VALU_DEP_1) | instskip(SKIP_1) | instid1(VALU_DEP_2)
	v_or_b32_e32 v5, v137, v5
	v_and_b32_e32 v137, 0xff, v21
	v_perm_b32 v5, v5, v19, 0xc05000c
	s_delay_alu instid0(VALU_DEP_2) | instskip(SKIP_1) | instid1(VALU_DEP_3)
	v_or_b32_e32 v9, v137, v9
	v_and_b32_e32 v137, 0xff, v134
	v_or_b32_e32 v0, v5, v0
	v_lshlrev_b16 v5, 8, v7
	s_delay_alu instid0(VALU_DEP_3) | instskip(SKIP_2) | instid1(VALU_DEP_4)
	v_or_b32_e32 v17, v137, v17
	v_lshlrev_b16 v7, 8, v136
	v_perm_b32 v9, v9, v21, 0xc05000c
	v_perm_b32 v5, v5, v5, 0xc0c0c01
	s_delay_alu instid0(VALU_DEP_4) | instskip(NEXT) | instid1(VALU_DEP_4)
	v_perm_b32 v17, v17, v134, 0xc05000c
	v_perm_b32 v7, v7, v7, 0xc0c0c01
	s_delay_alu instid0(VALU_DEP_3) | instskip(SKIP_1) | instid1(VALU_DEP_3)
	v_or_b32_e32 v5, v9, v5
	v_dot4_i32_iu8 v9, v133, v0, v146 neg_lo:[1,1,0]
	v_or_b32_e32 v7, v17, v7
	v_lshrrev_b16 v0, 8, v166
	v_bfe_i32 v17, v166, 0, 8
	v_dot4_i32_iu8 v5, v133, v5, v148 neg_lo:[1,1,0]
	s_delay_alu instid0(VALU_DEP_4) | instskip(NEXT) | instid1(VALU_DEP_4)
	v_dot4_i32_iu8 v7, v133, v7, v135 neg_lo:[1,1,0]
	v_bfe_i32 v19, v0, 0, 8
	s_delay_alu instid0(VALU_DEP_4) | instskip(SKIP_1) | instid1(VALU_DEP_2)
	v_mul_lo_u32 v0, v147, v17
	v_ashrrev_i32_e32 v17, s23, v138
	v_mad_co_u64_u32 v[133:134], null, v143, v19, v[0:1]
	v_ashrrev_i32_e32 v0, s23, v14
	v_ashrrev_i32_e32 v14, s16, v20
	v_ashrrev_i32_e32 v19, s23, v22
	v_ashrrev_i32_e32 v1, s16, v1
	s_delay_alu instid0(VALU_DEP_4) | instskip(NEXT) | instid1(VALU_DEP_4)
	v_and_b32_e32 v20, 0x3030303, v0
	v_lshlrev_b32_e32 v14, 2, v14
	v_bfe_u32 v0, v0, 24, 2
	s_delay_alu instid0(VALU_DEP_4) | instskip(NEXT) | instid1(VALU_DEP_4)
	v_lshlrev_b32_e32 v1, 2, v1
	v_sub_nc_u16 v21, v20, v12
	s_delay_alu instid0(VALU_DEP_4) | instskip(NEXT) | instid1(VALU_DEP_3)
	v_and_b32_e32 v14, 0x4040404, v14
	v_and_b32_e32 v1, 0x4040404, v1
	s_delay_alu instid0(VALU_DEP_3) | instskip(NEXT) | instid1(VALU_DEP_1)
	v_bfe_i32 v21, v21, 0, 8
	v_mad_i32_i24 v11, v132, v21, v11
	v_and_b32_e32 v21, 0x3030303, v17
	v_bfe_u32 v17, v17, 24, 2
	s_delay_alu instid0(VALU_DEP_2) | instskip(NEXT) | instid1(VALU_DEP_1)
	v_sub_nc_u16 v22, v21, v16
	v_bfe_i32 v22, v22, 0, 8
	s_delay_alu instid0(VALU_DEP_1) | instskip(SKIP_2) | instid1(VALU_DEP_2)
	v_mad_i32_i24 v15, v132, v22, v15
	v_and_b32_e32 v22, 0x3030303, v19
	v_bfe_u32 v19, v19, 24, 2
	v_sub_nc_u16 v134, v22, v14
	s_delay_alu instid0(VALU_DEP_1) | instskip(NEXT) | instid1(VALU_DEP_1)
	v_bfe_i32 v134, v134, 0, 8
	v_mad_i32_i24 v13, v132, v134, v13
	v_and_b32_e32 v134, 0x3030303, v6
	v_ashrrev_i32_e32 v132, s16, v140
	v_bfe_u32 v6, v6, 24, 2
	s_add_co_i32 s16, s16, 1
	s_cmp_lt_u32 s20, 30
	v_sub_nc_u16 v135, v134, v1
	v_lshlrev_b32_e32 v132, 2, v132
	s_delay_alu instid0(VALU_DEP_2) | instskip(NEXT) | instid1(VALU_DEP_2)
	v_bfe_i32 v135, v135, 0, 8
	v_and_b32_e32 v132, 0x4040404, v132
	s_delay_alu instid0(VALU_DEP_2) | instskip(SKIP_2) | instid1(VALU_DEP_2)
	v_mad_i32_i24 v9, v131, v135, v9
	v_and_b32_e32 v135, 0x3030303, v10
	v_bfe_u32 v10, v10, 24, 2
	v_sub_nc_u16 v136, v135, v8
	s_delay_alu instid0(VALU_DEP_1) | instskip(NEXT) | instid1(VALU_DEP_1)
	v_bfe_i32 v136, v136, 0, 8
	v_mad_i32_i24 v5, v131, v136, v5
	v_and_b32_e32 v136, 0x3030303, v18
	s_delay_alu instid0(VALU_DEP_1) | instskip(NEXT) | instid1(VALU_DEP_1)
	v_sub_nc_u16 v137, v136, v132
	v_bfe_i32 v137, v137, 0, 8
	s_delay_alu instid0(VALU_DEP_1) | instskip(SKIP_3) | instid1(VALU_DEP_3)
	v_mad_i32_i24 v7, v131, v137, v7
	v_lshrrev_b32_e32 v131, 24, v12
	v_lshrrev_b32_e32 v137, 16, v12
	v_lshrrev_b16 v12, 8, v12
	v_sub_nc_u16 v0, v0, v131
	v_lshrrev_b32_e32 v131, 16, v20
	v_lshrrev_b16 v20, 8, v20
	s_delay_alu instid0(VALU_DEP_3) | instskip(NEXT) | instid1(VALU_DEP_3)
	v_lshlrev_b16 v0, 8, v0
	v_sub_nc_u16 v131, v131, v137
	s_delay_alu instid0(VALU_DEP_3) | instskip(SKIP_3) | instid1(VALU_DEP_4)
	v_sub_nc_u16 v12, v20, v12
	v_lshrrev_b32_e32 v20, 24, v14
	v_lshrrev_b32_e32 v137, 16, v14
	v_lshrrev_b16 v14, 8, v14
	v_lshlrev_b16 v12, 8, v12
	s_delay_alu instid0(VALU_DEP_4) | instskip(SKIP_2) | instid1(VALU_DEP_4)
	v_sub_nc_u16 v19, v19, v20
	v_lshrrev_b32_e32 v20, 16, v22
	v_lshrrev_b16 v22, 8, v22
	v_perm_b32 v12, v12, v12, 0xc0c0c01
	s_delay_alu instid0(VALU_DEP_4) | instskip(NEXT) | instid1(VALU_DEP_4)
	v_lshlrev_b16 v19, 8, v19
	v_sub_nc_u16 v20, v20, v137
	s_delay_alu instid0(VALU_DEP_4) | instskip(SKIP_3) | instid1(VALU_DEP_3)
	v_sub_nc_u16 v14, v22, v14
	v_lshrrev_b32_e32 v22, 24, v16
	v_lshrrev_b32_e32 v137, 16, v16
	v_lshrrev_b16 v16, 8, v16
	v_sub_nc_u16 v17, v17, v22
	v_lshrrev_b32_e32 v22, 16, v21
	v_lshrrev_b16 v21, 8, v21
	s_delay_alu instid0(VALU_DEP_3) | instskip(NEXT) | instid1(VALU_DEP_3)
	v_lshlrev_b16 v17, 8, v17
	v_sub_nc_u16 v22, v22, v137
	s_delay_alu instid0(VALU_DEP_3) | instskip(SKIP_1) | instid1(VALU_DEP_1)
	v_sub_nc_u16 v16, v21, v16
	v_and_b32_e32 v21, 0xff, v131
	v_or_b32_e32 v0, v21, v0
	v_and_b32_e32 v21, 0xff, v20
	s_delay_alu instid0(VALU_DEP_2) | instskip(NEXT) | instid1(VALU_DEP_2)
	v_perm_b32 v0, v0, v131, 0xc05000c
	v_or_b32_e32 v19, v21, v19
	v_and_b32_e32 v21, 0xff, v22
	s_delay_alu instid0(VALU_DEP_3) | instskip(SKIP_1) | instid1(VALU_DEP_3)
	v_or_b32_e32 v0, v0, v12
	v_lshlrev_b16 v12, 8, v14
	v_or_b32_e32 v17, v21, v17
	v_perm_b32 v19, v19, v20, 0xc05000c
	v_lshlrev_b16 v14, 8, v16
	v_dot4_i32_iu8 v0, v130, v0, v11 neg_lo:[1,1,0]
	v_perm_b32 v12, v12, v12, 0xc0c0c01
	v_perm_b32 v17, v17, v22, 0xc05000c
	v_lshrrev_b32_e32 v16, 24, v132
	v_perm_b32 v14, v14, v14, 0xc0c0c01
	s_delay_alu instid0(VALU_DEP_4) | instskip(NEXT) | instid1(VALU_DEP_2)
	v_or_b32_e32 v12, v19, v12
	v_or_b32_e32 v14, v17, v14
	v_lshrrev_b32_e32 v17, 16, v132
	s_delay_alu instid0(VALU_DEP_3) | instskip(SKIP_1) | instid1(VALU_DEP_4)
	v_dot4_i32_iu8 v12, v130, v12, v13 neg_lo:[1,1,0]
	v_lshrrev_b32_e32 v13, 24, v1
	v_dot4_i32_iu8 v11, v130, v14, v15 neg_lo:[1,1,0]
	v_lshrrev_b32_e32 v14, 16, v1
	v_lshrrev_b16 v1, 8, v1
	s_delay_alu instid0(VALU_DEP_4) | instskip(SKIP_2) | instid1(VALU_DEP_3)
	v_sub_nc_u16 v6, v6, v13
	v_lshrrev_b32_e32 v13, 16, v134
	v_lshrrev_b32_e32 v15, 16, v8
	v_lshlrev_b16 v6, 8, v6
	s_delay_alu instid0(VALU_DEP_3) | instskip(SKIP_1) | instid1(VALU_DEP_1)
	v_sub_nc_u16 v13, v13, v14
	v_lshrrev_b16 v14, 8, v134
	v_sub_nc_u16 v1, v14, v1
	v_lshrrev_b32_e32 v14, 24, v8
	v_lshrrev_b16 v8, 8, v8
	s_delay_alu instid0(VALU_DEP_3) | instskip(NEXT) | instid1(VALU_DEP_3)
	v_lshlrev_b16 v1, 8, v1
	v_sub_nc_u16 v10, v10, v14
	v_lshrrev_b32_e32 v14, 16, v135
	s_delay_alu instid0(VALU_DEP_3) | instskip(NEXT) | instid1(VALU_DEP_3)
	v_perm_b32 v1, v1, v1, 0xc0c0c01
	v_lshlrev_b16 v10, 8, v10
	s_delay_alu instid0(VALU_DEP_3) | instskip(SKIP_1) | instid1(VALU_DEP_1)
	v_sub_nc_u16 v14, v14, v15
	v_lshrrev_b16 v15, 8, v135
	v_sub_nc_u16 v8, v15, v8
	v_bfe_u32 v15, v18, 24, 2
	v_lshrrev_b16 v18, 8, v132
	s_delay_alu instid0(VALU_DEP_2) | instskip(SKIP_1) | instid1(VALU_DEP_2)
	v_sub_nc_u16 v15, v15, v16
	v_lshrrev_b32_e32 v16, 16, v136
	v_lshlrev_b16 v15, 8, v15
	s_delay_alu instid0(VALU_DEP_2) | instskip(SKIP_1) | instid1(VALU_DEP_1)
	v_sub_nc_u16 v16, v16, v17
	v_lshrrev_b16 v17, 8, v136
	v_sub_nc_u16 v17, v17, v18
	v_and_b32_e32 v18, 0xff, v13
	s_delay_alu instid0(VALU_DEP_1) | instskip(SKIP_1) | instid1(VALU_DEP_2)
	v_or_b32_e32 v6, v18, v6
	v_and_b32_e32 v18, 0xff, v14
	v_perm_b32 v6, v6, v13, 0xc05000c
	s_delay_alu instid0(VALU_DEP_2) | instskip(SKIP_1) | instid1(VALU_DEP_3)
	v_or_b32_e32 v10, v18, v10
	v_and_b32_e32 v18, 0xff, v16
	v_or_b32_e32 v1, v6, v1
	v_lshlrev_b16 v6, 8, v8
	s_delay_alu instid0(VALU_DEP_4) | instskip(NEXT) | instid1(VALU_DEP_4)
	v_perm_b32 v10, v10, v14, 0xc05000c
	v_or_b32_e32 v15, v18, v15
	v_lshlrev_b16 v8, 8, v17
	v_dot4_i32_iu8 v1, v129, v1, v9 neg_lo:[1,1,0]
	v_perm_b32 v6, v6, v6, 0xc0c0c01
	s_delay_alu instid0(VALU_DEP_4) | instskip(NEXT) | instid1(VALU_DEP_4)
	v_perm_b32 v13, v15, v16, 0xc05000c
	v_perm_b32 v8, v8, v8, 0xc0c0c01
	s_delay_alu instid0(VALU_DEP_3) | instskip(NEXT) | instid1(VALU_DEP_2)
	v_or_b32_e32 v6, v10, v6
	v_or_b32_e32 v8, v13, v8
	s_delay_alu instid0(VALU_DEP_2) | instskip(SKIP_1) | instid1(VALU_DEP_3)
	v_dot4_i32_iu8 v5, v129, v6, v5 neg_lo:[1,1,0]
	v_add_nc_u32_e32 v6, s17, v98
	v_dot4_i32_iu8 v7, v129, v8, v7 neg_lo:[1,1,0]
	v_add_nc_u32_e32 v8, s17, v96
	s_mov_b32 s17, s20
	ds_load_u16 v6, v6 offset:25330
	ds_load_u16 v8, v8 offset:27378
	s_wait_dscnt 0x1
	v_lshrrev_b16 v9, 8, v6
	v_bfe_i32 v6, v6, 0, 8
	s_delay_alu instid0(VALU_DEP_2) | instskip(NEXT) | instid1(VALU_DEP_2)
	v_bfe_i32 v9, v9, 0, 8
	v_mul_lo_u32 v0, v0, v6
	v_bfe_i32 v6, v165, 0, 8
	s_delay_alu instid0(VALU_DEP_2) | instskip(SKIP_3) | instid1(VALU_DEP_2)
	v_mad_co_u64_u32 v[0:1], null, v1, v9, v[0:1]
	v_lshrrev_b16 v1, 8, v165
	s_wait_dscnt 0x0
	v_bfe_i32 v9, v8, 0, 8
	v_bfe_i32 v10, v1, 0, 8
	v_mul_lo_u32 v1, v11, v6
	v_cvt_f32_i32_e32 v0, v0
	s_delay_alu instid0(VALU_DEP_2) | instskip(SKIP_4) | instid1(VALU_DEP_3)
	v_mad_co_u64_u32 v[5:6], null, v5, v10, v[1:2]
	ds_load_b32 v10, v128
	v_lshrrev_b16 v6, 8, v8
	v_mul_lo_u32 v1, v12, v9
	v_add_nc_u32_e32 v128, 4, v128
	v_bfe_i32 v6, v6, 0, 8
	v_cvt_f32_i32_e32 v5, v5
	s_delay_alu instid0(VALU_DEP_2) | instskip(NEXT) | instid1(VALU_DEP_1)
	v_mad_co_u64_u32 v[6:7], null, v7, v6, v[1:2]
	v_cvt_f32_i32_e32 v6, v6
	s_wait_dscnt 0x0
	v_mul_f32_e32 v1, v10, v158
	v_mul_f32_e32 v7, v10, v164
	;; [unrolled: 1-line block ×4, first 2 shown]
	v_cvt_f32_i32_e32 v10, v133
	v_fmac_f32_e32 v25, v1, v0
	s_delay_alu instid0(VALU_DEP_4) | instskip(NEXT) | instid1(VALU_DEP_3)
	v_dual_fmac_f32 v87, v7, v5 :: v_dual_fmac_f32 v82, v8, v6
	v_fmac_f32_e32 v2, v9, v10
	s_cbranch_scc1 .LBB229_35
; %bb.36:                               ;   in Loop: Header=BB229_5 Depth=1
	s_wait_loadcnt 0x0
	s_barrier_signal -1
	s_barrier_wait -1
	global_inv scope:SCOPE_SE
	s_branch .LBB229_4
.LBB229_37:
	s_mul_i32 s0, s7, s4
	s_wait_loadcnt 0x0
	s_wait_alu 0xfffe
	v_cmp_gt_i32_e32 vcc_lo, s0, v23
	s_and_saveexec_b32 s0, vcc_lo
	s_cbranch_execz .LBB229_46
; %bb.38:
	v_mul_lo_u32 v0, v23, s6
	v_add_nc_u32_e32 v1, s18, v24
	s_mov_b32 s0, exec_lo
	s_delay_alu instid0(VALU_DEP_1)
	v_cmpx_gt_u32_e64 s6, v1
	s_cbranch_execz .LBB229_40
; %bb.39:
	v_bfe_u32 v4, v25, 16, 1
	s_delay_alu instid0(VALU_DEP_4) | instskip(SKIP_1) | instid1(VALU_DEP_3)
	v_add_nc_u32_e32 v3, v0, v1
	v_cmp_o_f32_e32 vcc_lo, v25, v25
	v_add3_u32 v5, v25, v4, 0x7fff
	v_mov_b32_e32 v4, 0
	s_delay_alu instid0(VALU_DEP_2) | instskip(NEXT) | instid1(VALU_DEP_2)
	v_lshrrev_b32_e32 v5, 16, v5
	v_lshlrev_b64_e32 v[3:4], 1, v[3:4]
	s_wait_alu 0xfffd
	s_delay_alu instid0(VALU_DEP_2) | instskip(NEXT) | instid1(VALU_DEP_2)
	v_cndmask_b32_e32 v5, 0x7fc0, v5, vcc_lo
	v_add_co_u32 v3, vcc_lo, s8, v3
	s_wait_alu 0xfffd
	s_delay_alu instid0(VALU_DEP_3)
	v_add_co_ci_u32_e64 v4, null, s9, v4, vcc_lo
	global_store_b16 v[3:4], v5, off
.LBB229_40:
	s_wait_alu 0xfffe
	s_or_b32 exec_lo, exec_lo, s0
	v_add_nc_u32_e32 v3, 32, v1
	s_mov_b32 s0, exec_lo
	s_delay_alu instid0(VALU_DEP_1)
	v_cmpx_gt_u32_e64 s6, v3
	s_cbranch_execz .LBB229_42
; %bb.41:
	v_bfe_u32 v4, v87, 16, 1
	v_add_nc_u32_e32 v3, v0, v3
	v_cmp_o_f32_e32 vcc_lo, v87, v87
	s_delay_alu instid0(VALU_DEP_3) | instskip(SKIP_1) | instid1(VALU_DEP_2)
	v_add3_u32 v5, v87, v4, 0x7fff
	v_mov_b32_e32 v4, 0
	v_lshrrev_b32_e32 v5, 16, v5
	s_delay_alu instid0(VALU_DEP_2) | instskip(SKIP_1) | instid1(VALU_DEP_2)
	v_lshlrev_b64_e32 v[3:4], 1, v[3:4]
	s_wait_alu 0xfffd
	v_cndmask_b32_e32 v5, 0x7fc0, v5, vcc_lo
	s_delay_alu instid0(VALU_DEP_2) | instskip(SKIP_1) | instid1(VALU_DEP_3)
	v_add_co_u32 v3, vcc_lo, s8, v3
	s_wait_alu 0xfffd
	v_add_co_ci_u32_e64 v4, null, s9, v4, vcc_lo
	global_store_b16 v[3:4], v5, off
.LBB229_42:
	s_wait_alu 0xfffe
	s_or_b32 exec_lo, exec_lo, s0
	v_add_nc_u32_e32 v3, 64, v1
	s_mov_b32 s0, exec_lo
	s_delay_alu instid0(VALU_DEP_1)
	v_cmpx_gt_u32_e64 s6, v3
	s_cbranch_execz .LBB229_44
; %bb.43:
	v_bfe_u32 v4, v82, 16, 1
	v_add_nc_u32_e32 v3, v0, v3
	v_cmp_o_f32_e32 vcc_lo, v82, v82
	s_delay_alu instid0(VALU_DEP_3) | instskip(SKIP_1) | instid1(VALU_DEP_2)
	v_add3_u32 v5, v82, v4, 0x7fff
	v_mov_b32_e32 v4, 0
	v_lshrrev_b32_e32 v5, 16, v5
	s_delay_alu instid0(VALU_DEP_2) | instskip(SKIP_1) | instid1(VALU_DEP_2)
	v_lshlrev_b64_e32 v[3:4], 1, v[3:4]
	s_wait_alu 0xfffd
	v_cndmask_b32_e32 v5, 0x7fc0, v5, vcc_lo
	s_delay_alu instid0(VALU_DEP_2) | instskip(SKIP_1) | instid1(VALU_DEP_3)
	v_add_co_u32 v3, vcc_lo, s8, v3
	s_wait_alu 0xfffd
	v_add_co_ci_u32_e64 v4, null, s9, v4, vcc_lo
	global_store_b16 v[3:4], v5, off
.LBB229_44:
	s_wait_alu 0xfffe
	s_or_b32 exec_lo, exec_lo, s0
	v_add_nc_u32_e32 v1, 0x60, v1
	s_delay_alu instid0(VALU_DEP_1)
	v_cmp_gt_u32_e32 vcc_lo, s6, v1
	s_and_b32 exec_lo, exec_lo, vcc_lo
	s_cbranch_execz .LBB229_46
; %bb.45:
	v_bfe_u32 v3, v2, 16, 1
	v_dual_mov_b32 v1, 0 :: v_dual_add_nc_u32 v0, v0, v1
	v_cmp_o_f32_e32 vcc_lo, v2, v2
	s_delay_alu instid0(VALU_DEP_3) | instskip(NEXT) | instid1(VALU_DEP_3)
	v_add3_u32 v3, v2, v3, 0x7fff
	v_lshlrev_b64_e32 v[0:1], 1, v[0:1]
	s_delay_alu instid0(VALU_DEP_2) | instskip(SKIP_1) | instid1(VALU_DEP_1)
	v_lshrrev_b32_e32 v3, 16, v3
	s_wait_alu 0xfffd
	v_cndmask_b32_e32 v2, 0x7fc0, v3, vcc_lo
	s_delay_alu instid0(VALU_DEP_3)
	v_add_co_u32 v0, vcc_lo, s8, v0
	s_wait_alu 0xfffd
	v_add_co_ci_u32_e64 v1, null, s9, v1, vcc_lo
	global_store_b16 v[0:1], v2, off
.LBB229_46:
	s_nop 0
	s_sendmsg sendmsg(MSG_DEALLOC_VGPRS)
	s_endpgm
	.section	.rodata,"a",@progbits
	.p2align	6, 0x0
	.amdhsa_kernel _ZL8moe_q3_KIN3c108BFloat16ELb0EEvPKvS3_PT_PKiS7_S7_iiiiiii
		.amdhsa_group_segment_fixed_size 31776
		.amdhsa_private_segment_fixed_size 0
		.amdhsa_kernarg_size 76
		.amdhsa_user_sgpr_count 2
		.amdhsa_user_sgpr_dispatch_ptr 0
		.amdhsa_user_sgpr_queue_ptr 0
		.amdhsa_user_sgpr_kernarg_segment_ptr 1
		.amdhsa_user_sgpr_dispatch_id 0
		.amdhsa_user_sgpr_private_segment_size 0
		.amdhsa_wavefront_size32 1
		.amdhsa_uses_dynamic_stack 0
		.amdhsa_enable_private_segment 0
		.amdhsa_system_sgpr_workgroup_id_x 1
		.amdhsa_system_sgpr_workgroup_id_y 1
		.amdhsa_system_sgpr_workgroup_id_z 0
		.amdhsa_system_sgpr_workgroup_info 0
		.amdhsa_system_vgpr_workitem_id 1
		.amdhsa_next_free_vgpr 227
		.amdhsa_next_free_sgpr 27
		.amdhsa_reserve_vcc 1
		.amdhsa_float_round_mode_32 0
		.amdhsa_float_round_mode_16_64 0
		.amdhsa_float_denorm_mode_32 3
		.amdhsa_float_denorm_mode_16_64 3
		.amdhsa_fp16_overflow 0
		.amdhsa_workgroup_processor_mode 1
		.amdhsa_memory_ordered 1
		.amdhsa_forward_progress 1
		.amdhsa_inst_pref_size 255
		.amdhsa_round_robin_scheduling 0
		.amdhsa_exception_fp_ieee_invalid_op 0
		.amdhsa_exception_fp_denorm_src 0
		.amdhsa_exception_fp_ieee_div_zero 0
		.amdhsa_exception_fp_ieee_overflow 0
		.amdhsa_exception_fp_ieee_underflow 0
		.amdhsa_exception_fp_ieee_inexact 0
		.amdhsa_exception_int_div_zero 0
	.end_amdhsa_kernel
	.section	.text._ZL8moe_q3_KIN3c108BFloat16ELb0EEvPKvS3_PT_PKiS7_S7_iiiiiii,"axG",@progbits,_ZL8moe_q3_KIN3c108BFloat16ELb0EEvPKvS3_PT_PKiS7_S7_iiiiiii,comdat
.Lfunc_end229:
	.size	_ZL8moe_q3_KIN3c108BFloat16ELb0EEvPKvS3_PT_PKiS7_S7_iiiiiii, .Lfunc_end229-_ZL8moe_q3_KIN3c108BFloat16ELb0EEvPKvS3_PT_PKiS7_S7_iiiiiii
                                        ; -- End function
	.set _ZL8moe_q3_KIN3c108BFloat16ELb0EEvPKvS3_PT_PKiS7_S7_iiiiiii.num_vgpr, 227
	.set _ZL8moe_q3_KIN3c108BFloat16ELb0EEvPKvS3_PT_PKiS7_S7_iiiiiii.num_agpr, 0
	.set _ZL8moe_q3_KIN3c108BFloat16ELb0EEvPKvS3_PT_PKiS7_S7_iiiiiii.numbered_sgpr, 27
	.set _ZL8moe_q3_KIN3c108BFloat16ELb0EEvPKvS3_PT_PKiS7_S7_iiiiiii.num_named_barrier, 0
	.set _ZL8moe_q3_KIN3c108BFloat16ELb0EEvPKvS3_PT_PKiS7_S7_iiiiiii.private_seg_size, 0
	.set _ZL8moe_q3_KIN3c108BFloat16ELb0EEvPKvS3_PT_PKiS7_S7_iiiiiii.uses_vcc, 1
	.set _ZL8moe_q3_KIN3c108BFloat16ELb0EEvPKvS3_PT_PKiS7_S7_iiiiiii.uses_flat_scratch, 0
	.set _ZL8moe_q3_KIN3c108BFloat16ELb0EEvPKvS3_PT_PKiS7_S7_iiiiiii.has_dyn_sized_stack, 0
	.set _ZL8moe_q3_KIN3c108BFloat16ELb0EEvPKvS3_PT_PKiS7_S7_iiiiiii.has_recursion, 0
	.set _ZL8moe_q3_KIN3c108BFloat16ELb0EEvPKvS3_PT_PKiS7_S7_iiiiiii.has_indirect_call, 0
	.section	.AMDGPU.csdata,"",@progbits
; Kernel info:
; codeLenInByte = 36208
; TotalNumSgprs: 29
; NumVgprs: 227
; ScratchSize: 0
; MemoryBound: 0
; FloatMode: 240
; IeeeMode: 1
; LDSByteSize: 31776 bytes/workgroup (compile time only)
; SGPRBlocks: 0
; VGPRBlocks: 28
; NumSGPRsForWavesPerEU: 29
; NumVGPRsForWavesPerEU: 227
; Occupancy: 6
; WaveLimiterHint : 1
; COMPUTE_PGM_RSRC2:SCRATCH_EN: 0
; COMPUTE_PGM_RSRC2:USER_SGPR: 2
; COMPUTE_PGM_RSRC2:TRAP_HANDLER: 0
; COMPUTE_PGM_RSRC2:TGID_X_EN: 1
; COMPUTE_PGM_RSRC2:TGID_Y_EN: 1
; COMPUTE_PGM_RSRC2:TGID_Z_EN: 0
; COMPUTE_PGM_RSRC2:TIDIG_COMP_CNT: 1
	.section	.text._ZL8moe_q3_KIN3c108BFloat16ELb1EEvPKvS3_PT_PKiS7_S7_iiiiiii,"axG",@progbits,_ZL8moe_q3_KIN3c108BFloat16ELb1EEvPKvS3_PT_PKiS7_S7_iiiiiii,comdat
	.globl	_ZL8moe_q3_KIN3c108BFloat16ELb1EEvPKvS3_PT_PKiS7_S7_iiiiiii ; -- Begin function _ZL8moe_q3_KIN3c108BFloat16ELb1EEvPKvS3_PT_PKiS7_S7_iiiiiii
	.p2align	8
	.type	_ZL8moe_q3_KIN3c108BFloat16ELb1EEvPKvS3_PT_PKiS7_S7_iiiiiii,@function
_ZL8moe_q3_KIN3c108BFloat16ELb1EEvPKvS3_PT_PKiS7_S7_iiiiiii: ; @_ZL8moe_q3_KIN3c108BFloat16ELb1EEvPKvS3_PT_PKiS7_S7_iiiiiii
; %bb.0:
	s_load_b128 s[4:7], s[0:1], 0x18
	s_mov_b32 s2, ttmp7
	s_mov_b32 s3, 0
	s_delay_alu instid0(SALU_CYCLE_1)
	s_lshl_b64 s[2:3], s[2:3], 2
	s_wait_kmcnt 0x0
	s_add_nc_u64 s[2:3], s[6:7], s[2:3]
	s_load_b32 s14, s[2:3], 0x0
	s_wait_kmcnt 0x0
	s_cmp_gt_u32 s14, 0xff
	s_cbranch_scc1 .LBB230_46
; %bb.1:
	s_load_b64 s[2:3], s[0:1], 0x28
	s_wait_kmcnt 0x0
	s_load_b32 s3, s[2:3], 0x0
	s_lshl_b32 s2, ttmp7, 3
	s_wait_kmcnt 0x0
	s_cmp_gt_u32 s2, s3
	s_cbranch_scc1 .LBB230_46
; %bb.2:
	v_bfe_u32 v18, v0, 10, 10
	v_mov_b32_e32 v17, 0
	s_lshl_b32 s11, ttmp9, 7
	s_delay_alu instid0(VALU_DEP_2) | instskip(NEXT) | instid1(VALU_DEP_2)
	v_add_nc_u32_e32 v16, s2, v18
	v_dual_mov_b32 v42, v17 :: v_dual_and_b32 v41, 0x3ff, v0
	v_mov_b32_e32 v83, v17
	v_mov_b32_e32 v89, v17
	s_delay_alu instid0(VALU_DEP_4) | instskip(NEXT) | instid1(VALU_DEP_1)
	v_lshlrev_b64_e32 v[1:2], 2, v[16:17]
	v_add_co_u32 v1, vcc_lo, s4, v1
	s_delay_alu instid0(VALU_DEP_1)
	v_add_co_ci_u32_e64 v2, null, s5, v2, vcc_lo
	global_load_b32 v40, v[1:2], off
	s_clause 0x2
	s_load_b128 s[4:7], s[0:1], 0x30
	s_load_b64 s[12:13], s[0:1], 0x10
	s_load_b96 s[8:10], s[0:1], 0x40
	s_wait_kmcnt 0x0
	s_cmp_lt_i32 s5, 0x100
	s_cbranch_scc1 .LBB230_37
; %bb.3:
	v_lshlrev_b32_e32 v21, 4, v18
	v_bfe_u32 v53, v0, 1, 9
	s_load_b128 s[0:3], s[0:1], 0x0
	s_ashr_i32 s16, s8, 31
	s_not_b32 s17, s11
	v_and_b32_e32 v20, 15, v0
	v_add_nc_u32_e32 v13, v53, v21
	s_lshr_b32 s20, s16, 27
	s_add_co_i32 s16, s6, s17
	s_ashr_i32 s15, s5, 31
	v_cmp_lt_u32_e32 vcc_lo, 7, v20
	v_and_b32_e32 v13, 0x7f, v13
	v_dual_mov_b32 v42, 0 :: v_dual_and_b32 v39, 3, v0
	v_add_nc_u32_e32 v1, 8, v18
	s_mul_i32 s14, s14, s4
	s_delay_alu instid0(VALU_DEP_3)
	v_min_i32_e32 v22, s16, v13
	s_lshr_b32 s4, s15, 24
	v_add_nc_u32_e32 v4, 16, v18
	v_add_nc_u32_e32 v5, 24, v18
	s_wait_alu 0xfffe
	s_add_co_i32 s4, s5, s4
	v_add_nc_u32_e32 v6, 32, v18
	v_ashrrev_i32_e32 v17, 31, v22
	v_min_i32_e32 v2, s16, v18
	v_add_nc_u32_e32 v7, 40, v18
	s_wait_alu 0xfffd
	v_cndmask_b32_e64 v64, 0, 1, vcc_lo
	v_add_nc_u16 v75, v39, -2
	v_cmp_gt_u32_e32 vcc_lo, 2, v39
	v_lshlrev_b32_e32 v19, 2, v41
	s_wait_alu 0xfffe
	s_ashr_i32 s4, s4, 8
	v_min_i32_e32 v3, s16, v1
	v_add_nc_u32_e32 v8, 48, v18
	v_min_i32_e32 v4, s16, v4
	v_add_nc_u32_e32 v9, 56, v18
	s_wait_alu 0xfffe
	s_mul_i32 s18, s4, s11
	v_min_i32_e32 v5, s16, v5
	v_add_nc_u32_e32 v10, 64, v18
	v_min_i32_e32 v6, s16, v6
	v_add_nc_u32_e32 v11, 0x48, v18
	v_lshrrev_b32_e32 v17, 28, v17
	v_bfe_u32 v72, v0, 3, 7
	s_ashr_i32 s15, s14, 31
	s_ashr_i32 s19, s18, 31
	v_mul_lo_u32 v45, v2, s4
	v_min_i32_e32 v7, s16, v7
	v_add_nc_u32_e32 v12, 0x50, v18
	s_wait_alu 0xfffd
	v_cndmask_b32_e32 v76, v75, v39, vcc_lo
	v_mad_co_u64_u32 v[1:2], null, 0x84, v2, v[19:20]
	v_mul_lo_u32 v46, v3, s4
	v_mad_co_u64_u32 v[2:3], null, 0x84, v3, v[19:20]
	v_min_i32_e32 v8, s16, v8
	v_add_nc_u32_e32 v14, 0x58, v18
	s_mul_u64 s[18:19], s[18:19], 0x6e
	s_wait_kmcnt 0x0
	s_add_nc_u64 s[0:1], s[0:1], s[14:15]
	v_mul_lo_u32 v47, v4, s4
	v_mad_co_u64_u32 v[3:4], null, 0x84, v4, v[19:20]
	v_min_i32_e32 v9, s16, v9
	v_add_nc_u32_e32 v15, 0x60, v18
	v_mul_lo_u32 v48, v5, s4
	v_mad_co_u64_u32 v[4:5], null, 0x84, v5, v[19:20]
	v_min_i32_e32 v10, s16, v10
	v_add_nc_u32_e32 v16, 0x68, v18
	s_add_nc_u64 s[14:15], s[0:1], s[18:19]
	v_mul_lo_u32 v49, v6, s4
	v_mad_co_u64_u32 v[5:6], null, 0x84, v6, v[19:20]
	v_min_i32_e32 v11, s16, v11
	v_add_nc_u32_e32 v23, 0x70, v18
	v_add_nc_u32_e32 v17, v22, v17
	v_lshl_add_u32 v81, v18, 2, v72
	s_abs_i32 s1, s10
	v_mul_lo_u32 v50, v7, s4
	v_mad_co_u64_u32 v[6:7], null, 0x84, v7, v[19:20]
	v_min_i32_e32 v12, s16, v12
	v_mul_lo_u32 v51, v8, s4
	v_mad_co_u64_u32 v[7:8], null, 0x84, v8, v[19:20]
	v_min_i32_e32 v14, s16, v14
	s_cvt_f32_u32 s0, s1
	v_mul_lo_u32 v52, v9, s4
	v_mad_co_u64_u32 v[8:9], null, 0x84, v9, v[19:20]
	v_min_i32_e32 v15, s16, v15
	v_mul_lo_u32 v54, v10, s4
	v_mad_co_u64_u32 v[9:10], null, 0x84, v10, v[19:20]
	v_min_i32_e32 v16, s16, v16
	;; [unrolled: 3-line block ×3, first 2 shown]
	v_and_b32_e32 v61, 1, v0
	v_ashrrev_i32_e32 v17, 4, v17
	v_min_i32_e32 v82, s16, v81
	v_mul_lo_u32 v56, v12, s4
	v_mad_co_u64_u32 v[11:12], null, 0x84, v12, v[19:20]
	v_rcp_iflag_f32_e32 v85, s0
	v_mad_co_u64_u32 v[12:13], null, 0x84, v14, v[19:20]
	v_mul_lo_u32 v57, v14, s4
	v_mad_co_u64_u32 v[13:14], null, 0x84, v15, v[19:20]
	v_mul_lo_u32 v58, v15, s4
	;; [unrolled: 2-line block ×3, first 2 shown]
	v_mul_lo_u32 v60, v23, s4
	v_mad_co_u64_u32 v[15:16], null, 0x84, v23, v[19:20]
	v_lshlrev_b32_e32 v23, 2, v17
	v_lshlrev_b32_e32 v26, 2, v61
	v_ashrrev_i32_e32 v77, 31, v82
	v_add_nc_u32_e32 v78, 32, v81
	v_add_nc_u32_e32 v84, 64, v81
	;; [unrolled: 1-line block ×3, first 2 shown]
	v_add3_u32 v23, v23, v26, 0x7380
	v_and_b32_e32 v26, 7, v0
	v_lshrrev_b32_e32 v80, 30, v77
	v_min_i32_e32 v83, s16, v78
	v_min_i32_e32 v84, s16, v84
	v_readfirstlane_b32 s0, v85
	v_min_i32_e32 v87, s16, v81
	v_lshlrev_b32_e32 v65, 2, v26
	v_and_b32_e32 v79, 0xff, v76
	v_cmp_lt_u32_e32 vcc_lo, 3, v26
	v_add_nc_u32_e32 v26, v82, v80
	v_ashrrev_i32_e32 v80, 31, v83
	v_ashrrev_i32_e32 v86, 31, v84
	s_mul_f32 s0, s0, 0x4f7ffffe
	v_ashrrev_i32_e32 v85, 31, v87
	v_lshlrev_b32_e32 v78, 2, v79
	v_lshlrev_b32_e32 v79, 1, v39
	v_lshrrev_b32_e32 v39, 30, v80
	v_mul_lo_u32 v80, v82, s4
	v_lshlrev_b32_e32 v89, 5, v82
	v_lshrrev_b32_e32 v82, 30, v86
	s_wait_loadcnt 0x0
	v_sub_nc_u32_e32 v86, 0, v40
	s_wait_alu 0xfffe
	s_cvt_u32_f32 s0, s0
	s_add_co_i32 s6, s8, s20
	s_sub_co_i32 s8, 0, s1
	v_lshrrev_b32_e32 v85, 30, v85
	s_wait_alu 0xfffe
	s_mul_i32 s8, s8, s0
	v_max_i32_e32 v90, v40, v86
	s_mul_hi_u32 s8, s0, s8
	v_bfe_u32 v43, v0, 4, 6
	v_add_nc_u32_e32 v85, v87, v85
	s_add_co_i32 s0, s0, s8
	v_add_nc_u32_e32 v82, v84, v82
	s_wait_alu 0xfffe
	v_mul_hi_u32 v91, v90, s0
	v_add_nc_u32_e32 v24, 0x78, v18
	v_and_b32_e32 v85, -4, v85
	v_lshl_add_u32 v25, v18, 1, v43
	v_and_b32_e32 v26, -4, v26
	v_and_b32_e32 v88, -4, v82
	v_min_i32_e32 v24, s16, v24
	v_add3_u32 v113, v85, v65, 0x6300
	v_lshl_add_u32 v85, v18, 7, 0x77a0
	v_mul_lo_u32 v18, v91, s1
	v_add3_u32 v26, v26, v65, 0x6300
	v_add3_u32 v111, v88, v65, 0x6300
	v_and_b32_e32 v88, 31, v0
	v_add_nc_u32_e32 v86, 0x7ba0, v21
	v_mul_lo_u32 v82, v84, s4
	v_lshlrev_b32_e32 v112, 5, v84
	v_mul_lo_u32 v84, v87, s4
	v_sub_nc_u32_e32 v18, v90, v18
	v_lshlrev_b32_e32 v21, 5, v87
	v_and_b32_e32 v94, 28, v19
	v_lshl_add_u32 v87, v88, 2, v85
	v_add_nc_u32_e32 v88, v86, v19
	v_subrev_nc_u32_e32 v90, s1, v18
	v_cmp_le_u32_e64 s0, s1, v18
	v_add_nc_u32_e32 v109, v26, v89
	v_mov_b32_e32 v89, 0
	v_mad_co_u64_u32 v[16:17], null, 0x84, v24, v[19:20]
	v_add_nc_u32_e32 v19, 1, v91
	s_wait_alu 0xf1ff
	v_cndmask_b32_e64 v18, v18, v90, s0
	v_min_i32_e32 v27, s16, v25
	v_add_nc_u32_e32 v17, 16, v25
	v_add_nc_u32_e32 v28, 32, v25
	v_cndmask_b32_e64 v19, v91, v19, s0
	v_add_nc_u32_e32 v29, 48, v25
	v_add_nc_u32_e32 v31, 64, v25
	;; [unrolled: 1-line block ×5, first 2 shown]
	v_xor_b32_e32 v91, s10, v40
	v_add_nc_u32_e32 v90, 1, v19
	v_cmp_le_u32_e64 s0, s1, v18
	v_min_i32_e32 v17, s16, v17
	v_min_i32_e32 v28, s16, v28
	;; [unrolled: 1-line block ×7, first 2 shown]
	v_ashrrev_i32_e32 v91, 31, v91
	s_wait_alu 0xf1ff
	v_cndmask_b32_e64 v18, v19, v90, s0
	v_lshlrev_b32_e32 v44, 2, v20
	v_mul_lo_u32 v62, v24, s4
	v_lshrrev_b32_e32 v24, 31, v27
	v_lshrrev_b32_e32 v20, 31, v17
	;; [unrolled: 1-line block ×8, first 2 shown]
	v_add_nc_u32_e32 v39, v83, v39
	v_xor_b32_e32 v18, v18, v91
	v_add_lshl_u32 v24, v27, v24, 1
	v_add_lshl_u32 v20, v17, v20, 1
	;; [unrolled: 1-line block ×8, first 2 shown]
	v_and_b32_e32 v39, -4, v39
	v_add_nc_u32_e32 v19, 0x60, v41
	v_sub_nc_u32_e32 v18, v18, v91
	s_ashr_i32 s6, s6, 5
	v_and_b32_e32 v24, -4, v24
	v_and_b32_e32 v20, -4, v20
	;; [unrolled: 1-line block ×8, first 2 shown]
	v_mul_lo_u32 v81, v83, s4
	v_add3_u32 v39, v39, v65, 0x6300
	v_lshlrev_b32_e32 v83, 5, v83
	v_mul_u32_u24_e32 v95, 33, v41
	v_add_nc_u32_e32 v96, 32, v41
	v_lshlrev_b32_e32 v99, 5, v41
	v_add_nc_u32_e32 v97, 64, v41
	v_and_b32_e32 v98, 0x1fc, v19
	v_mul_lo_u32 v93, v18, s6
	v_mul_lo_u32 v63, v22, s4
	v_lshlrev_b32_e32 v22, 3, v22
	v_mul_lo_u32 v66, v27, s4
	v_lshlrev_b32_e32 v27, 6, v27
	;; [unrolled: 2-line block ×9, first 2 shown]
	v_lshlrev_b32_e32 v75, 1, v41
	v_lshlrev_b32_e32 v114, 4, v41
	;; [unrolled: 1-line block ×3, first 2 shown]
	v_lshrrev_b32_e32 v116, 1, v96
	v_lshlrev_b32_e32 v117, 1, v96
	v_lshrrev_b32_e32 v118, 4, v96
	v_lshlrev_b32_e32 v119, 4, v97
	;; [unrolled: 2-line block ×5, first 2 shown]
	v_lshrrev_b32_e32 v126, 4, v19
	v_lshrrev_b32_e32 v91, 3, v97
	v_cmp_gt_i32_e64 s0, s7, v18
	v_add_co_u32 v18, s1, s2, v94
	v_lshlrev_b32_e32 v94, 2, v95
	v_add_nc_u32_e32 v95, v99, v98
	v_and_b32_e32 v97, 0x1fc, v97
	v_and_b32_e32 v98, 0x1fc, v96
	;; [unrolled: 1-line block ×3, first 2 shown]
	v_dual_mov_b32 v83, 0 :: v_dual_add_nc_u32 v110, v39, v83
	v_add3_u32 v24, v24, v44, 0x4200
	v_add3_u32 v20, v20, v44, 0x4200
	;; [unrolled: 1-line block ×8, first 2 shown]
	s_wait_alu 0xfffd
	v_cndmask_b32_e64 v76, 0, 1, vcc_lo
	v_cmp_gt_u32_e32 vcc_lo, 4, v41
	v_and_b32_e32 v77, 4, v75
	v_lshrrev_b32_e32 v90, 3, v96
	v_lshrrev_b32_e32 v92, 3, v19
	s_wait_alu 0xf1ff
	v_add_co_ci_u32_e64 v19, null, s3, 0, s1
	v_ashrrev_i32_e32 v0, 31, v93
	v_add_nc_u32_e32 v96, 0x6f00, v95
	v_add_nc_u32_e32 v97, v99, v97
	;; [unrolled: 1-line block ×15, first 2 shown]
	v_lshlrev_b32_e32 v113, 2, v114
	v_lshlrev_b32_e32 v114, 2, v116
	;; [unrolled: 1-line block ×13, first 2 shown]
	v_mov_b32_e32 v17, 0
	s_mov_b32 s17, 0
	s_and_b32 s8, vcc_lo, s0
	s_wait_alu 0xfffe
	s_mov_b32 s16, s17
	s_branch .LBB230_5
.LBB230_4:                              ;   in Loop: Header=BB230_5 Depth=1
	s_add_co_i32 s16, s16, 2
	s_wait_alu 0xfffe
	s_cmp_ge_i32 s16, s4
	s_cbranch_scc1 .LBB230_37
.LBB230_5:                              ; =>This Loop Header: Depth=1
                                        ;     Child Loop BB230_11 Depth 2
                                        ;     Child Loop BB230_19 Depth 2
	;; [unrolled: 1-line block ×4, first 2 shown]
	s_wait_alu 0xfffe
	s_mul_u64 s[18:19], s[16:17], 0x6e
	s_wait_alu 0xfffe
	s_add_nc_u64 s[18:19], s[14:15], s[18:19]
	s_wait_alu 0xfffe
	v_mad_co_u64_u32 v[20:21], null, 0x6e, v43, s[18:19]
	s_delay_alu instid0(VALU_DEP_1) | instskip(SKIP_3) | instid1(VALU_DEP_4)
	v_mad_co_i64_i32 v[22:23], null, 0x6e, v45, v[20:21]
	v_mad_co_i64_i32 v[24:25], null, 0x6e, v46, v[20:21]
	;; [unrolled: 1-line block ×4, first 2 shown]
	v_add_co_u32 v22, s1, v22, v44
	v_mad_co_i64_i32 v[30:31], null, 0x6e, v49, v[20:21]
	s_wait_alu 0xf1ff
	v_add_co_ci_u32_e64 v23, null, 0, v23, s1
	v_add_co_u32 v24, s1, v24, v44
	v_mad_co_i64_i32 v[32:33], null, 0x6e, v50, v[20:21]
	s_wait_alu 0xf1ff
	v_add_co_ci_u32_e64 v25, null, 0, v25, s1
	v_add_co_u32 v26, s1, v26, v44
	v_mad_co_i64_i32 v[34:35], null, 0x6e, v51, v[20:21]
	s_wait_alu 0xf1ff
	v_add_co_ci_u32_e64 v27, null, 0, v27, s1
	v_add_co_u32 v28, s1, v28, v44
	v_mad_co_i64_i32 v[36:37], null, 0x6e, v52, v[20:21]
	s_wait_alu 0xf1ff
	v_add_co_ci_u32_e64 v29, null, 0, v29, s1
	v_add_co_u32 v30, s1, v30, v44
	s_wait_alu 0xf1ff
	v_add_co_ci_u32_e64 v31, null, 0, v31, s1
	v_add_co_u32 v32, s1, v32, v44
	s_wait_alu 0xf1ff
	v_add_co_ci_u32_e64 v33, null, 0, v33, s1
	;; [unrolled: 3-line block ×3, first 2 shown]
	v_add_co_u32 v36, s1, v36, v44
	v_mad_co_i64_i32 v[38:39], null, 0x6e, v54, v[20:21]
	s_wait_alu 0xf1ff
	v_add_co_ci_u32_e64 v37, null, 0, v37, s1
	s_clause 0x7
	global_load_b32 v128, v[22:23], off offset:32
	global_load_b32 v129, v[24:25], off offset:32
	;; [unrolled: 1-line block ×8, first 2 shown]
	v_mad_co_i64_i32 v[22:23], null, 0x6e, v55, v[20:21]
	v_mad_co_i64_i32 v[26:27], null, 0x6e, v56, v[20:21]
	;; [unrolled: 1-line block ×3, first 2 shown]
	v_add_co_u32 v24, s1, v38, v44
	v_mad_co_i64_i32 v[30:31], null, 0x6e, v58, v[20:21]
	s_wait_alu 0xf1ff
	v_add_co_ci_u32_e64 v25, null, 0, v39, s1
	v_add_co_u32 v22, s1, v22, v44
	v_mad_co_i64_i32 v[32:33], null, 0x6e, v59, v[20:21]
	s_wait_alu 0xf1ff
	v_add_co_ci_u32_e64 v23, null, 0, v23, s1
	;; [unrolled: 4-line block ×4, first 2 shown]
	v_add_co_u32 v30, s1, v30, v44
	v_mad_co_u64_u32 v[36:37], null, 0x6e, v64, s[18:19]
	s_wait_alu 0xf1ff
	v_add_co_ci_u32_e64 v31, null, 0, v31, s1
	v_add_co_u32 v32, s1, v32, v44
	s_wait_alu 0xf1ff
	v_add_co_ci_u32_e64 v33, null, 0, v33, s1
	v_add_co_u32 v34, s1, v34, v44
	;; [unrolled: 3-line block ×3, first 2 shown]
	v_mad_co_i64_i32 v[38:39], null, 0x6e, v63, s[18:19]
	s_wait_alu 0xf1ff
	v_add_co_ci_u32_e64 v21, null, 0, v21, s1
	v_add_co_u32 v36, s1, v36, v65
	s_wait_alu 0xf1ff
	v_add_co_ci_u32_e64 v37, null, 0, v37, s1
	s_clause 0x7
	global_load_b32 v136, v[24:25], off offset:32
	global_load_b32 v137, v[22:23], off offset:32
	;; [unrolled: 1-line block ×8, first 2 shown]
	v_mad_co_u64_u32 v[30:31], null, 0x6e, v76, s[18:19]
	v_mad_co_u64_u32 v[20:21], null, 0x6e, v61, v[38:39]
	v_mad_co_i64_i32 v[22:23], null, 0x6e, v66, v[36:37]
	v_mad_co_i64_i32 v[24:25], null, 0x6e, v67, v[36:37]
	;; [unrolled: 1-line block ×8, first 2 shown]
	s_clause 0x7
	global_load_u16 v144, v[20:21], off offset:108
	global_load_b32 v145, v[22:23], off
	global_load_b32 v146, v[24:25], off
	;; [unrolled: 1-line block ×7, first 2 shown]
	v_mad_co_i64_i32 v[22:23], null, 0x6e, v81, v[30:31]
	v_mad_co_i64_i32 v[26:27], null, 0x6e, v82, v[30:31]
	;; [unrolled: 1-line block ×4, first 2 shown]
	v_add_co_u32 v24, s1, v126, v78
	s_wait_alu 0xf1ff
	v_add_co_ci_u32_e64 v25, null, 0, v127, s1
	v_add_co_u32 v30, s1, v22, v78
	s_wait_alu 0xf1ff
	v_add_co_ci_u32_e64 v31, null, 0, v23, s1
	;; [unrolled: 3-line block ×4, first 2 shown]
	s_clause 0x8
	global_load_b32 v20, v[20:21], off
	global_load_b32 v21, v[24:25], off offset:96
	global_load_b32 v24, v[28:29], off offset:104
	;; [unrolled: 1-line block ×8, first 2 shown]
	s_lshl_b32 s18, s16, 8
	s_wait_loadcnt 0x20
	ds_store_b32 v1, v128
	s_wait_loadcnt 0x1f
	ds_store_b32 v2, v129
	;; [unrolled: 2-line block ×16, first 2 shown]
	s_wait_alu 0xfffe
	s_cmp_lt_i32 s18, s5
	s_wait_loadcnt 0x10
	v_cvt_f32_f16_e64 v29, v144
	s_wait_loadcnt 0xf
	v_not_b32_e32 v30, v145
	s_wait_loadcnt 0xe
	v_not_b32_e32 v31, v146
	;; [unrolled: 2-line block ×6, first 2 shown]
	ds_store_b32 v100, v29
	ds_store_b32 v101, v30
	;; [unrolled: 1-line block ×6, first 2 shown]
	s_wait_loadcnt 0x9
	v_not_b32_e32 v36, v38
	ds_store_b32 v106, v35
	ds_store_b32 v107, v36
	s_wait_loadcnt 0x8
	v_not_b32_e32 v20, v20
	s_wait_loadcnt 0x7
	v_ashrrev_i32_e32 v21, v77, v21
	s_wait_loadcnt 0x6
	v_ashrrev_i32_e32 v24, v79, v24
	;; [unrolled: 2-line block ×8, first 2 shown]
	v_and_b32_e32 v21, 0xf0f0f0f, v21
	v_lshlrev_b32_e32 v23, 4, v23
	v_and_b32_e32 v26, 0xf0f0f0f, v26
	v_lshlrev_b32_e32 v22, 4, v22
	;; [unrolled: 2-line block ×4, first 2 shown]
	v_and_or_b32 v21, 0x30303030, v23, v21
	v_and_or_b32 v22, 0x30303030, v22, v26
	;; [unrolled: 1-line block ×3, first 2 shown]
	s_delay_alu instid0(VALU_DEP_4) | instskip(NEXT) | instid1(VALU_DEP_4)
	v_and_or_b32 v24, 0x30303030, v24, v28
	v_lshrrev_b32_e32 v25, 16, v21
	v_and_b32_e32 v26, 0x3f00, v21
	v_lshlrev_b16 v21, 8, v21
	v_lshrrev_b32_e32 v27, 16, v22
	v_lshrrev_b32_e32 v29, 16, v23
	v_and_b32_e32 v28, 0x3f00, v22
	v_lshlrev_b16 v22, 8, v22
	v_lshrrev_b32_e32 v31, 16, v24
	v_and_b32_e32 v33, 0x3f00, v25
	v_lshlrev_b16 v25, 8, v25
	v_add_nc_u16 v21, 0xe000, v21
	v_and_b32_e32 v34, 0x3f00, v27
	v_lshlrev_b16 v27, 8, v27
	v_and_b32_e32 v30, 0x3f00, v23
	v_lshlrev_b16 v23, 8, v23
	;; [unrolled: 2-line block ×4, first 2 shown]
	v_add_nc_u16 v22, 0xe000, v22
	v_and_b32_e32 v37, 0x3f00, v31
	v_lshlrev_b16 v31, 8, v31
	v_add_nc_u16 v25, 0xe000, v25
	v_lshrrev_b16 v21, 8, v21
	v_add_nc_u16 v27, 0xe000, v27
	v_add_nc_u16 v23, 0xe000, v23
	;; [unrolled: 1-line block ×4, first 2 shown]
	v_lshrrev_b16 v22, 8, v22
	v_add_nc_u16 v31, 0xe000, v31
	v_lshrrev_b16 v25, 8, v25
	v_or_b32_e32 v21, v26, v21
	v_lshrrev_b16 v26, 8, v27
	v_lshrrev_b16 v23, 8, v23
	;; [unrolled: 1-line block ×4, first 2 shown]
	v_or_b32_e32 v22, v28, v22
	v_lshrrev_b16 v28, 8, v31
	v_or_b32_e32 v25, v33, v25
	v_or_b32_e32 v26, v34, v26
	;; [unrolled: 1-line block ×6, first 2 shown]
	v_add_nc_u16 v21, 0xe000, v21
	v_add_nc_u16 v25, 0xe000, v25
	;; [unrolled: 1-line block ×8, first 2 shown]
	v_and_b32_e32 v21, 0xffff, v21
	v_lshlrev_b32_e32 v25, 16, v25
	v_and_b32_e32 v22, 0xffff, v22
	v_lshlrev_b32_e32 v26, 16, v26
	v_and_b32_e32 v23, 0xffff, v23
	v_lshlrev_b32_e32 v27, 16, v27
	v_and_b32_e32 v24, 0xffff, v24
	v_lshlrev_b32_e32 v28, 16, v28
	v_or_b32_e32 v21, v21, v25
	v_or_b32_e32 v22, v22, v26
	;; [unrolled: 1-line block ×3, first 2 shown]
	s_delay_alu instid0(VALU_DEP_4)
	v_or_b32_e32 v24, v24, v28
	ds_store_b32 v108, v20
	ds_store_b32 v109, v21
	;; [unrolled: 1-line block ×5, first 2 shown]
	s_cbranch_scc0 .LBB230_4
; %bb.6:                                ;   in Loop: Header=BB230_5 Depth=1
	s_lshl_b32 s19, s16, 3
	s_wait_alu 0xfffe
	v_add_nc_u32_e32 v20, s19, v72
	s_delay_alu instid0(VALU_DEP_1)
	v_cmp_gt_i32_e64 s1, s6, v20
	s_and_b32 s20, s0, s1
	s_wait_alu 0xfffe
	s_and_saveexec_b32 s1, s20
	s_cbranch_execz .LBB230_8
; %bb.7:                                ;   in Loop: Header=BB230_5 Depth=1
	v_add_nc_u32_e32 v20, v93, v20
	s_delay_alu instid0(VALU_DEP_1)
	v_mad_co_i64_i32 v[20:21], null, v20, 36, v[18:19]
	global_load_b32 v20, v[20:21], off offset:4
	s_wait_loadcnt 0x0
	ds_store_b32 v87, v20
.LBB230_8:                              ;   in Loop: Header=BB230_5 Depth=1
	s_wait_alu 0xfffe
	s_or_b32 exec_lo, exec_lo, s1
	v_add_nc_u32_e32 v129, s19, v41
	s_delay_alu instid0(VALU_DEP_1)
	v_cmp_gt_i32_e64 s1, s6, v129
	s_and_b32 s20, s8, s1
	s_wait_alu 0xfffe
	s_and_saveexec_b32 s1, s20
	s_cbranch_execz .LBB230_10
; %bb.9:                                ;   in Loop: Header=BB230_5 Depth=1
	v_add_nc_u32_e32 v20, v93, v129
	s_delay_alu instid0(VALU_DEP_1)
	v_mad_co_i64_i32 v[20:21], null, v20, 36, s[2:3]
	global_load_b32 v20, v[20:21], off
	s_wait_loadcnt 0x0
	v_cvt_f32_f16_e32 v20, v20
	ds_store_b32 v88, v20
.LBB230_10:                             ;   in Loop: Header=BB230_5 Depth=1
	s_wait_alu 0xfffe
	s_or_b32 exec_lo, exec_lo, s1
	v_dual_mov_b32 v130, v86 :: v_dual_mov_b32 v131, v85
	s_mov_b32 s22, -2
	s_mov_b32 s1, 0
	s_mov_b32 s20, 0
	s_wait_dscnt 0x0
	s_barrier_signal -1
	s_barrier_wait -1
	global_inv scope:SCOPE_SE
.LBB230_11:                             ;   Parent Loop BB230_5 Depth=1
                                        ; =>  This Inner Loop Header: Depth=2
	ds_load_b128 v[20:23], v131
	ds_load_b128 v[33:36], v131 offset:16
	s_wait_alu 0xfffe
	s_add_co_i32 s21, s22, 2
	v_add_nc_u32_e32 v131, 32, v131
	s_wait_alu 0xfffe
	s_and_b32 s25, s21, 0x3ffffff8
	s_lshr_b32 s24, s21, 4
	s_wait_alu 0xfffe
	v_lshl_add_u32 v142, s25, 2, v94
	s_and_b32 s25, s20, -16
	s_lshl_b32 s23, s24, 5
	s_wait_alu 0xfffe
	s_add_co_i32 s22, s22, s25
	s_addk_co_i32 s23, 0x4200
	s_wait_alu 0xfffe
	v_add_nc_u32_e32 v37, s22, v96
	s_lshl_b32 s24, s24, 2
	v_add_nc_u32_e32 v39, 0x3198, v142
	s_wait_alu 0xfffe
	s_addk_co_i32 s24, 0x7380
	v_add3_u32 v181, s23, v114, v115
	v_add3_u32 v214, s23, v118, v119
	s_add_co_i32 s20, s20, 2
	s_wait_dscnt 0x1
	v_lshrrev_b16 v155, 8, v20
	v_ashrrev_i32_e32 v28, 24, v20
	v_bfe_i32 v26, v20, 16, 8
	v_bfe_i32 v158, v20, 0, 8
	v_perm_b32 v151, v20, v20, 0xc0c0302
	v_add_nc_u32_e32 v20, 0x3188, v142
	s_wait_dscnt 0x0
	v_lshrrev_b16 v127, 8, v33
	v_lshrrev_b16 v161, 8, v34
	v_ashrrev_i32_e32 v32, 24, v33
	v_bfe_i32 v30, v33, 16, 8
	v_bfe_i32 v162, v33, 0, 8
	v_perm_b32 v147, v33, v33, 0xc0c0302
	v_ashrrev_i32_e32 v33, 24, v34
	v_bfe_i32 v31, v34, 16, 8
	v_bfe_i32 v144, v34, 0, 8
	v_perm_b32 v140, v34, v34, 0xc030201
	v_add3_u32 v34, s23, v122, v123
	v_lshrrev_b16 v157, 8, v21
	v_lshrrev_b16 v153, 8, v22
	;; [unrolled: 1-line block ×3, first 2 shown]
	v_ashrrev_i32_e32 v29, 24, v21
	v_bfe_i32 v27, v21, 16, 8
	v_bfe_i32 v145, v21, 0, 8
	v_perm_b32 v141, v21, v21, 0xc030201
	v_ashrrev_i32_e32 v148, 24, v22
	v_bfe_i32 v150, v22, 16, 8
	v_bfe_i32 v139, v22, 0, 8
	v_perm_b32 v137, v22, v22, 0xc030201
	;; [unrolled: 4-line block ×3, first 2 shown]
	v_lshrrev_b16 v128, 8, v35
	v_lshrrev_b16 v146, 8, v36
	v_ashrrev_i32_e32 v154, 24, v35
	v_bfe_i32 v159, v35, 16, 8
	v_bfe_i32 v138, v35, 0, 8
	v_perm_b32 v136, v35, v35, 0xc030201
	v_ashrrev_i32_e32 v156, 24, v36
	v_bfe_i32 v160, v36, 16, 8
	v_bfe_i32 v134, v36, 0, 8
	v_perm_b32 v132, v36, v36, 0xc030201
	ds_load_2addr_b32 v[20:21], v20 offset1:1
	ds_load_2addr_b32 v[35:36], v34 offset0:4 offset1:5
	ds_load_2addr_b32 v[24:25], v34 offset0:6 offset1:7
	;; [unrolled: 1-line block ×3, first 2 shown]
	ds_load_u16 v166, v37 offset:2
	s_wait_alu 0xfffe
	v_add3_u32 v37, s24, v124, v125
	v_bfe_i32 v127, v127, 0, 8
	v_bfe_i32 v161, v161, 0, 8
	;; [unrolled: 1-line block ×4, first 2 shown]
	ds_load_b32 v163, v37
	v_add_nc_u32_e32 v37, 0x3190, v142
	ds_load_2addr_b32 v[37:38], v37 offset1:1
	ds_load_2addr_b32 v[164:165], v39 offset1:1
	v_bfe_i32 v155, v155, 0, 8
	v_bfe_i32 v153, v153, 0, 8
	;; [unrolled: 1-line block ×3, first 2 shown]
	s_wait_dscnt 0x7
	v_ashrrev_i32_e32 v204, s21, v20
	s_wait_dscnt 0x6
	v_ashrrev_i32_e32 v36, s1, v36
	v_ashrrev_i32_e32 v35, s1, v35
	s_wait_dscnt 0x5
	v_ashrrev_i32_e32 v24, s1, v24
	v_ashrrev_i32_e32 v25, s1, v25
	;; [unrolled: 1-line block ×3, first 2 shown]
	v_lshlrev_b32_e32 v36, 2, v36
	v_lshlrev_b32_e32 v35, 2, v35
	;; [unrolled: 1-line block ×4, first 2 shown]
	s_wait_dscnt 0x4
	v_ashrrev_i32_e32 v22, s1, v22
	v_and_b32_e32 v36, 0x4040404, v36
	v_and_b32_e32 v35, 0x4040404, v35
	;; [unrolled: 1-line block ×4, first 2 shown]
	s_wait_dscnt 0x1
	v_ashrrev_i32_e32 v38, s21, v38
	v_ashrrev_i32_e32 v37, s21, v37
	v_lshrrev_b32_e32 v126, 24, v36
	v_lshrrev_b32_e32 v167, 24, v35
	s_wait_dscnt 0x0
	v_ashrrev_i32_e32 v191, s21, v164
	v_bfe_u32 v39, v38, 24, 2
	v_and_b32_e32 v38, 0x3030303, v38
	v_ashrrev_i32_e32 v192, s21, v165
	v_ashrrev_i32_e32 v23, s1, v23
	v_and_b32_e32 v195, 0x3030303, v191
	v_sub_nc_u16 v39, v39, v126
	v_bfe_u32 v126, v37, 24, 2
	v_and_b32_e32 v37, 0x3030303, v37
	v_and_b32_e32 v196, 0x3030303, v192
	v_sub_nc_u16 v24, v195, v193
	v_bfe_i32 v39, v39, 0, 16
	v_sub_nc_u16 v126, v126, v167
	v_and_b32_e32 v208, 0x3030303, v204
	v_sub_nc_u16 v25, v196, v194
	v_bfe_i32 v24, v24, 0, 8
	v_mul_i32_i24_e32 v33, v39, v33
	v_bfe_i32 v39, v126, 0, 16
	v_and_b32_e32 v209, 0x3030303, v205
	v_bfe_i32 v25, v25, 0, 8
	v_mul_i32_i24_e32 v24, v24, v138
	v_lshlrev_b32_e32 v126, 2, v53
	v_mad_i32_i24 v189, v39, v32, v33
	v_lshrrev_b32_e32 v32, 16, v38
	v_lshrrev_b32_e32 v33, 16, v36
	;; [unrolled: 1-line block ×3, first 2 shown]
	v_mul_i32_i24_e32 v25, v25, v134
	v_add3_u32 v179, s23, v126, v113
	v_lshrrev_b16 v187, 8, v193
	v_sub_nc_u16 v32, v32, v33
	v_lshrrev_b32_e32 v33, 16, v37
	v_bfe_i32 v143, v143, 0, 8
	s_delay_alu instid0(VALU_DEP_3) | instskip(NEXT) | instid1(VALU_DEP_3)
	v_bfe_i32 v32, v32, 0, 8
	v_sub_nc_u16 v33, v33, v39
	s_delay_alu instid0(VALU_DEP_2) | instskip(NEXT) | instid1(VALU_DEP_2)
	v_mul_i32_i24_e32 v31, v32, v31
	v_bfe_i32 v32, v33, 0, 8
	s_delay_alu instid0(VALU_DEP_1) | instskip(SKIP_4) | instid1(VALU_DEP_4)
	v_mad_i32_i24 v190, v32, v30, v31
	v_sub_nc_u16 v30, v38, v36
	v_sub_nc_u16 v31, v37, v35
	v_add3_u32 v32, s24, v120, v121
	v_lshrrev_b16 v35, 8, v35
	v_bfe_i32 v30, v30, 0, 8
	s_delay_alu instid0(VALU_DEP_4) | instskip(NEXT) | instid1(VALU_DEP_2)
	v_bfe_i32 v31, v31, 0, 8
	v_mul_i32_i24_e32 v30, v30, v144
	s_delay_alu instid0(VALU_DEP_1) | instskip(NEXT) | instid1(VALU_DEP_1)
	v_mad_i32_i24 v30, v31, v162, v30
	v_add3_u32 v197, v30, v24, v25
	v_add_nc_u32_e32 v30, 0x3180, v142
	ds_load_2addr_b32 v[24:25], v34 offset1:1
	ds_load_2addr_b32 v[30:31], v30 offset1:1
	ds_load_b32 v164, v32
	s_wait_dscnt 0x2
	v_ashrrev_i32_e32 v25, s1, v25
	v_ashrrev_i32_e32 v24, s1, v24
	s_wait_dscnt 0x1
	v_ashrrev_i32_e32 v31, s21, v31
	v_ashrrev_i32_e32 v30, s21, v30
	v_lshlrev_b32_e32 v25, 2, v25
	v_lshlrev_b32_e32 v24, 2, v24
	s_delay_alu instid0(VALU_DEP_4) | instskip(NEXT) | instid1(VALU_DEP_4)
	v_and_b32_e32 v201, 0x3030303, v31
	v_and_b32_e32 v202, 0x3030303, v30
	s_delay_alu instid0(VALU_DEP_4) | instskip(NEXT) | instid1(VALU_DEP_4)
	v_and_b32_e32 v198, 0x4040404, v25
	v_and_b32_e32 v199, 0x4040404, v24
	v_bfe_u32 v25, v31, 24, 2
	v_bfe_u32 v24, v30, 24, 2
	s_delay_alu instid0(VALU_DEP_4) | instskip(NEXT) | instid1(VALU_DEP_4)
	v_sub_nc_u16 v20, v201, v198
	v_sub_nc_u16 v21, v202, v199
	v_lshrrev_b32_e32 v32, 24, v198
	s_delay_alu instid0(VALU_DEP_3) | instskip(NEXT) | instid1(VALU_DEP_3)
	v_bfe_i32 v20, v20, 0, 8
	v_bfe_i32 v21, v21, 0, 8
	s_delay_alu instid0(VALU_DEP_3) | instskip(SKIP_1) | instid1(VALU_DEP_4)
	v_sub_nc_u16 v25, v25, v32
	v_lshrrev_b32_e32 v32, 24, v199
	v_mul_i32_i24_e32 v20, v20, v145
	s_delay_alu instid0(VALU_DEP_3) | instskip(NEXT) | instid1(VALU_DEP_3)
	v_bfe_i32 v25, v25, 0, 16
	v_sub_nc_u16 v24, v24, v32
	s_delay_alu instid0(VALU_DEP_3) | instskip(SKIP_4) | instid1(VALU_DEP_4)
	v_mad_i32_i24 v20, v21, v158, v20
	v_lshlrev_b32_e32 v21, 2, v22
	v_lshlrev_b32_e32 v22, 2, v23
	v_mul_i32_i24_e32 v25, v25, v29
	v_bfe_i32 v24, v24, 0, 16
	v_and_b32_e32 v206, 0x4040404, v21
	s_delay_alu instid0(VALU_DEP_4) | instskip(NEXT) | instid1(VALU_DEP_3)
	v_and_b32_e32 v207, 0x4040404, v22
	v_mad_i32_i24 v200, v24, v28, v25
	v_lshrrev_b32_e32 v24, 16, v201
	s_delay_alu instid0(VALU_DEP_4) | instskip(NEXT) | instid1(VALU_DEP_4)
	v_sub_nc_u16 v21, v208, v206
	v_sub_nc_u16 v22, v209, v207
	v_lshrrev_b32_e32 v25, 16, v198
	v_lshrrev_b32_e32 v28, 16, v199
	v_lshrrev_b16 v199, 8, v199
	v_bfe_i32 v21, v21, 0, 8
	v_bfe_i32 v22, v22, 0, 8
	v_sub_nc_u16 v24, v24, v25
	v_lshrrev_b32_e32 v25, 16, v202
	v_lshrrev_b16 v202, 8, v202
	v_mul_i32_i24_e32 v21, v21, v139
	v_mul_i32_i24_e32 v22, v22, v135
	v_bfe_i32 v24, v24, 0, 8
	v_sub_nc_u16 v25, v25, v28
	v_lshrrev_b16 v201, 8, v201
	v_lshrrev_b16 v198, 8, v198
	v_add3_u32 v210, v20, v21, v22
	ds_load_2addr_b32 v[167:168], v179 offset0:4 offset1:5
	ds_load_2addr_b32 v[20:21], v179 offset0:6 offset1:7
	;; [unrolled: 1-line block ×3, first 2 shown]
	v_mul_i32_i24_e32 v24, v24, v27
	v_bfe_i32 v25, v25, 0, 8
	v_add_nc_u32_e32 v27, 0x1098, v142
	v_sub_nc_u16 v199, v202, v199
	v_sub_nc_u16 v198, v201, v198
	v_lshrrev_b16 v201, 8, v208
	v_mad_i32_i24 v203, v25, v26, v24
	v_lshrrev_b16 v202, 8, v206
	v_bfe_i32 v199, v199, 0, 16
	v_bfe_i32 v198, v198, 0, 16
	s_delay_alu instid0(VALU_DEP_3) | instskip(NEXT) | instid1(VALU_DEP_2)
	v_sub_nc_u16 v201, v201, v202
	v_mul_i32_i24_e32 v157, v198, v157
	s_wait_dscnt 0x2
	v_ashrrev_i32_e32 v22, s1, v167
	s_wait_dscnt 0x1
	v_ashrrev_i32_e32 v20, s1, v20
	;; [unrolled: 2-line block ×3, first 2 shown]
	v_ashrrev_i32_e32 v29, s1, v29
	v_lshlrev_b32_e32 v22, 2, v22
	v_lshlrev_b32_e32 v20, 2, v20
	s_delay_alu instid0(VALU_DEP_4) | instskip(NEXT) | instid1(VALU_DEP_4)
	v_lshlrev_b32_e32 v28, 2, v28
	v_lshlrev_b32_e32 v29, 2, v29
	s_delay_alu instid0(VALU_DEP_4)
	v_and_b32_e32 v211, 0x4040404, v22
	ds_load_2addr_b32 v[169:170], v142 offset0:4 offset1:5
	ds_load_2addr_b32 v[22:23], v142 offset0:6 offset1:7
	;; [unrolled: 1-line block ×3, first 2 shown]
	v_and_b32_e32 v28, 0x4040404, v28
	v_and_b32_e32 v20, 0x4040404, v20
	;; [unrolled: 1-line block ×3, first 2 shown]
	v_lshrrev_b16 v25, 8, v211
	s_wait_dscnt 0x2
	v_ashrrev_i32_e32 v169, s21, v169
	s_wait_dscnt 0x1
	v_ashrrev_i32_e32 v22, s21, v22
	s_wait_dscnt 0x0
	v_ashrrev_i32_e32 v30, s21, v30
	v_ashrrev_i32_e32 v23, s21, v23
	v_and_b32_e32 v212, 0x3030303, v169
	s_delay_alu instid0(VALU_DEP_1) | instskip(NEXT) | instid1(VALU_DEP_1)
	v_lshrrev_b16 v24, 8, v212
	v_sub_nc_u16 v180, v24, v25
	v_add_nc_u32_e32 v24, s22, v98
	s_delay_alu instid0(VALU_DEP_2)
	v_lshlrev_b16 v180, 8, v180
	ds_load_u16 v167, v24 offset:26370
	v_add3_u32 v24, s24, v116, v117
	v_bfe_i32 v180, v180, 8, 8
	ds_load_b32 v165, v24
	ds_load_2addr_b32 v[171:172], v181 offset0:4 offset1:5
	ds_load_2addr_b32 v[24:25], v181 offset0:6 offset1:7
	;; [unrolled: 1-line block ×3, first 2 shown]
	s_wait_dscnt 0x2
	v_ashrrev_i32_e32 v26, s1, v171
	s_wait_dscnt 0x1
	v_ashrrev_i32_e32 v24, s1, v24
	;; [unrolled: 2-line block ×3, first 2 shown]
	v_ashrrev_i32_e32 v33, s1, v33
	v_ashrrev_i32_e32 v25, s1, v25
	v_lshlrev_b32_e32 v26, 2, v26
	v_lshlrev_b32_e32 v24, 2, v24
	;; [unrolled: 1-line block ×5, first 2 shown]
	v_and_b32_e32 v171, 0x4040404, v26
	v_add_nc_u32_e32 v26, 0x1090, v142
	ds_load_2addr_b32 v[173:174], v26 offset1:1
	ds_load_2addr_b32 v[26:27], v27 offset1:1
	v_lshrrev_b16 v39, 8, v171
	v_and_b32_e32 v32, 0x4040404, v32
	v_and_b32_e32 v24, 0x4040404, v24
	v_and_b32_e32 v33, 0x4040404, v33
	v_and_b32_e32 v25, 0x4040404, v25
	s_wait_dscnt 0x1
	v_ashrrev_i32_e32 v173, s21, v173
	s_wait_dscnt 0x0
	v_ashrrev_i32_e32 v26, s21, v26
	v_ashrrev_i32_e32 v27, s21, v27
	s_delay_alu instid0(VALU_DEP_3) | instskip(NEXT) | instid1(VALU_DEP_1)
	v_and_b32_e32 v213, 0x3030303, v173
	v_lshrrev_b16 v34, 8, v213
	v_sub_nc_u16 v188, v213, v171
	s_delay_alu instid0(VALU_DEP_2) | instskip(SKIP_1) | instid1(VALU_DEP_3)
	v_sub_nc_u16 v182, v34, v39
	v_lshrrev_b16 v34, 8, v37
	v_bfe_i32 v188, v188, 0, 8
	s_delay_alu instid0(VALU_DEP_2)
	v_sub_nc_u16 v183, v34, v35
	v_lshrrev_b16 v35, 8, v36
	ds_load_2addr_b32 v[175:176], v214 offset0:4 offset1:5
	ds_load_2addr_b32 v[36:37], v214 offset0:2 offset1:3
	v_lshrrev_b16 v34, 8, v38
	v_add_nc_u32_e32 v38, 0x2108, v142
	v_mul_i32_i24_e32 v188, v162, v188
	s_delay_alu instid0(VALU_DEP_3) | instskip(SKIP_1) | instid1(VALU_DEP_2)
	v_sub_nc_u16 v184, v34, v35
	v_add_nc_u32_e32 v35, 0x2118, v142
	v_bfe_i32 v184, v184, 0, 16
	s_delay_alu instid0(VALU_DEP_1) | instskip(SKIP_4) | instid1(VALU_DEP_2)
	v_mul_i32_i24_e32 v161, v184, v161
	s_wait_dscnt 0x1
	v_ashrrev_i32_e32 v34, s1, v175
	s_wait_dscnt 0x0
	v_ashrrev_i32_e32 v36, s1, v36
	v_lshlrev_b32_e32 v34, 2, v34
	s_delay_alu instid0(VALU_DEP_2) | instskip(NEXT) | instid1(VALU_DEP_2)
	v_lshlrev_b32_e32 v36, 2, v36
	v_and_b32_e32 v175, 0x4040404, v34
	v_add_nc_u32_e32 v34, 0x2110, v142
	ds_load_2addr_b32 v[177:178], v34 offset1:1
	ds_load_2addr_b32 v[34:35], v35 offset1:1
	;; [unrolled: 1-line block ×3, first 2 shown]
	v_lshrrev_b16 v186, 8, v175
	v_and_b32_e32 v36, 0x4040404, v36
	s_wait_dscnt 0x2
	v_ashrrev_i32_e32 v177, s21, v177
	s_wait_dscnt 0x1
	v_ashrrev_i32_e32 v34, s21, v34
	;; [unrolled: 2-line block ×3, first 2 shown]
	v_ashrrev_i32_e32 v35, s21, v35
	v_and_b32_e32 v215, 0x3030303, v177
	s_delay_alu instid0(VALU_DEP_1) | instskip(SKIP_1) | instid1(VALU_DEP_2)
	v_lshrrev_b16 v185, 8, v215
	v_sub_nc_u16 v216, v215, v175
	v_sub_nc_u16 v185, v185, v186
	v_lshrrev_b16 v186, 8, v195
	s_delay_alu instid0(VALU_DEP_3) | instskip(NEXT) | instid1(VALU_DEP_2)
	v_bfe_i32 v216, v216, 0, 8
	v_sub_nc_u16 v186, v186, v187
	v_sub_nc_u16 v187, v212, v211
	s_delay_alu instid0(VALU_DEP_2) | instskip(NEXT) | instid1(VALU_DEP_2)
	v_bfe_i32 v184, v186, 0, 16
	v_bfe_i32 v187, v187, 0, 8
	s_delay_alu instid0(VALU_DEP_2) | instskip(NEXT) | instid1(VALU_DEP_2)
	v_mul_i32_i24_e32 v128, v184, v128
	v_mul_i32_i24_e32 v187, v162, v187
	;; [unrolled: 1-line block ×3, first 2 shown]
	s_delay_alu instid0(VALU_DEP_2) | instskip(SKIP_1) | instid1(VALU_DEP_1)
	v_mad_i32_i24 v216, v127, v180, v187
	v_lshlrev_b16 v180, 8, v182
	v_bfe_i32 v180, v180, 8, 8
	s_delay_alu instid0(VALU_DEP_1) | instskip(SKIP_1) | instid1(VALU_DEP_1)
	v_mad_i32_i24 v217, v127, v180, v188
	v_lshlrev_b16 v180, 8, v185
	v_bfe_i32 v180, v180, 8, 8
	s_delay_alu instid0(VALU_DEP_1) | instskip(SKIP_2) | instid1(VALU_DEP_2)
	v_mad_i32_i24 v218, v127, v180, v162
	v_bfe_i32 v162, v183, 0, 16
	v_add_nc_u32_e32 v183, 0x1080, v142
	v_mul_i32_i24_e32 v127, v162, v127
	s_delay_alu instid0(VALU_DEP_1)
	v_add3_u32 v219, v127, v161, v128
	ds_load_2addr_b32 v[161:162], v179 offset1:1
	ds_load_2addr_b32 v[179:180], v142 offset1:1
	s_wait_dscnt 0x1
	v_ashrrev_i32_e32 v127, s1, v161
	s_wait_dscnt 0x0
	v_ashrrev_i32_e32 v179, s21, v179
	s_delay_alu instid0(VALU_DEP_2) | instskip(NEXT) | instid1(VALU_DEP_2)
	v_lshlrev_b32_e32 v127, 2, v127
	v_and_b32_e32 v221, 0x3030303, v179
	s_delay_alu instid0(VALU_DEP_2) | instskip(NEXT) | instid1(VALU_DEP_2)
	v_and_b32_e32 v220, 0x4040404, v127
	v_lshrrev_b16 v127, 8, v221
	s_delay_alu instid0(VALU_DEP_2) | instskip(SKIP_1) | instid1(VALU_DEP_2)
	v_lshrrev_b16 v128, 8, v220
	v_sub_nc_u16 v202, v221, v220
	v_sub_nc_u16 v222, v127, v128
	v_lshlrev_b32_e32 v127, 2, v43
	v_lshlrev_b32_e32 v128, 2, v75
	s_delay_alu instid0(VALU_DEP_4) | instskip(NEXT) | instid1(VALU_DEP_4)
	v_bfe_i32 v202, v202, 0, 8
	v_lshlrev_b16 v198, 8, v222
	s_delay_alu instid0(VALU_DEP_3) | instskip(NEXT) | instid1(VALU_DEP_3)
	v_add3_u32 v161, s24, v127, v128
	v_mul_i32_i24_e32 v202, v158, v202
	s_delay_alu instid0(VALU_DEP_3)
	v_bfe_i32 v198, v198, 8, 8
	ds_load_b32 v161, v161
	ds_load_2addr_b32 v[181:182], v181 offset1:1
	ds_load_2addr_b32 v[183:184], v183 offset1:1
	v_mad_i32_i24 v198, v155, v198, v202
	s_wait_dscnt 0x1
	v_ashrrev_i32_e32 v181, s1, v181
	s_wait_dscnt 0x0
	v_ashrrev_i32_e32 v183, s21, v183
	s_delay_alu instid0(VALU_DEP_2) | instskip(NEXT) | instid1(VALU_DEP_2)
	v_lshlrev_b32_e32 v181, 2, v181
	v_and_b32_e32 v223, 0x3030303, v183
	s_delay_alu instid0(VALU_DEP_2) | instskip(NEXT) | instid1(VALU_DEP_2)
	v_and_b32_e32 v181, 0x4040404, v181
	v_lshrrev_b16 v185, 8, v223
	s_delay_alu instid0(VALU_DEP_2) | instskip(NEXT) | instid1(VALU_DEP_1)
	v_lshrrev_b16 v186, 8, v181
	v_sub_nc_u16 v224, v185, v186
	v_add_nc_u32_e32 v185, 0x2100, v142
	ds_load_2addr_b32 v[185:186], v185 offset1:1
	ds_load_2addr_b32 v[187:188], v214 offset1:1
	v_lshlrev_b16 v202, 8, v224
	s_delay_alu instid0(VALU_DEP_1) | instskip(SKIP_4) | instid1(VALU_DEP_2)
	v_bfe_i32 v202, v202, 8, 8
	s_wait_dscnt 0x1
	v_ashrrev_i32_e32 v185, s21, v185
	s_wait_dscnt 0x0
	v_ashrrev_i32_e32 v187, s1, v187
	v_and_b32_e32 v225, 0x3030303, v185
	s_delay_alu instid0(VALU_DEP_2) | instskip(NEXT) | instid1(VALU_DEP_2)
	v_lshlrev_b32_e32 v187, 2, v187
	v_lshrrev_b16 v226, 8, v225
	s_delay_alu instid0(VALU_DEP_2) | instskip(NEXT) | instid1(VALU_DEP_1)
	v_and_b32_e32 v187, 0x4040404, v187
	v_lshrrev_b16 v227, 8, v187
	v_sub_nc_u16 v228, v225, v187
	s_delay_alu instid0(VALU_DEP_2) | instskip(SKIP_1) | instid1(VALU_DEP_3)
	v_sub_nc_u16 v226, v226, v227
	v_sub_nc_u16 v227, v223, v181
	v_bfe_i32 v228, v228, 0, 8
	s_delay_alu instid0(VALU_DEP_3) | instskip(NEXT) | instid1(VALU_DEP_3)
	v_lshlrev_b16 v222, 8, v226
	v_bfe_i32 v227, v227, 0, 8
	s_delay_alu instid0(VALU_DEP_2) | instskip(NEXT) | instid1(VALU_DEP_2)
	v_bfe_i32 v222, v222, 8, 8
	v_mul_i32_i24_e32 v227, v158, v227
	v_mul_i32_i24_e32 v158, v158, v228
	s_delay_alu instid0(VALU_DEP_2) | instskip(NEXT) | instid1(VALU_DEP_2)
	v_mad_i32_i24 v202, v155, v202, v227
	v_mad_i32_i24 v158, v155, v222, v158
	v_mul_i32_i24_e32 v155, v199, v155
	v_bfe_i32 v199, v201, 0, 16
	s_delay_alu instid0(VALU_DEP_1) | instskip(NEXT) | instid1(VALU_DEP_1)
	v_mul_i32_i24_e32 v153, v199, v153
	v_add3_u32 v153, v155, v157, v153
	v_lshrrev_b32_e32 v155, 16, v195
	v_lshrrev_b32_e32 v157, 16, v193
	;; [unrolled: 1-line block ×3, first 2 shown]
	s_delay_alu instid0(VALU_DEP_2) | instskip(SKIP_1) | instid1(VALU_DEP_2)
	v_sub_nc_u16 v155, v155, v157
	v_lshrrev_b32_e32 v157, 16, v196
	v_bfe_i32 v155, v155, 0, 8
	s_delay_alu instid0(VALU_DEP_2) | instskip(NEXT) | instid1(VALU_DEP_2)
	v_sub_nc_u16 v157, v157, v195
	v_mul_i32_i24_e32 v155, v155, v159
	s_delay_alu instid0(VALU_DEP_2) | instskip(SKIP_1) | instid1(VALU_DEP_2)
	v_bfe_i32 v157, v157, 0, 8
	v_lshrrev_b32_e32 v159, 24, v193
	v_mul_i32_i24_e32 v157, v157, v160
	v_lshrrev_b32_e32 v160, 24, v194
	s_delay_alu instid0(VALU_DEP_2) | instskip(SKIP_1) | instid1(VALU_DEP_1)
	v_add3_u32 v155, v190, v155, v157
	v_bfe_u32 v157, v191, 24, 2
	v_sub_nc_u16 v157, v157, v159
	v_bfe_u32 v159, v192, 24, 2
	s_delay_alu instid0(VALU_DEP_2) | instskip(NEXT) | instid1(VALU_DEP_2)
	v_bfe_i32 v157, v157, 0, 16
	v_sub_nc_u16 v159, v159, v160
	v_lshrrev_b32_e32 v160, 24, v181
	s_delay_alu instid0(VALU_DEP_3) | instskip(NEXT) | instid1(VALU_DEP_3)
	v_mul_i32_i24_e32 v154, v157, v154
	v_bfe_i32 v157, v159, 0, 16
	v_lshrrev_b32_e32 v159, 16, v220
	s_delay_alu instid0(VALU_DEP_2) | instskip(SKIP_1) | instid1(VALU_DEP_2)
	v_mul_i32_i24_e32 v156, v157, v156
	v_lshrrev_b32_e32 v157, 24, v220
	v_add3_u32 v154, v189, v154, v156
	v_bfe_u32 v156, v179, 24, 2
	v_lshrrev_b32_e32 v179, 16, v181
	v_lshrrev_b32_e32 v181, 24, v187
	s_delay_alu instid0(VALU_DEP_3) | instskip(SKIP_1) | instid1(VALU_DEP_2)
	v_sub_nc_u16 v156, v156, v157
	v_lshrrev_b32_e32 v157, 16, v221
	v_lshlrev_b16 v156, 8, v156
	s_delay_alu instid0(VALU_DEP_2) | instskip(SKIP_2) | instid1(VALU_DEP_2)
	v_sub_nc_u16 v157, v157, v159
	v_bfe_u32 v159, v183, 24, 2
	v_lshrrev_b32_e32 v183, 16, v187
	v_sub_nc_u16 v159, v159, v160
	v_lshrrev_b32_e32 v160, 16, v223
	s_delay_alu instid0(VALU_DEP_2) | instskip(NEXT) | instid1(VALU_DEP_2)
	v_lshlrev_b16 v159, 8, v159
	v_sub_nc_u16 v160, v160, v179
	v_bfe_u32 v179, v185, 24, 2
	s_delay_alu instid0(VALU_DEP_1) | instskip(SKIP_1) | instid1(VALU_DEP_2)
	v_sub_nc_u16 v179, v179, v181
	v_lshrrev_b32_e32 v181, 16, v225
	v_lshlrev_b16 v179, 8, v179
	s_delay_alu instid0(VALU_DEP_2) | instskip(SKIP_1) | instid1(VALU_DEP_1)
	v_sub_nc_u16 v181, v181, v183
	v_and_b32_e32 v183, 0xff, v157
	v_or_b32_e32 v156, v183, v156
	v_and_b32_e32 v183, 0xff, v160
	s_delay_alu instid0(VALU_DEP_2) | instskip(NEXT) | instid1(VALU_DEP_2)
	v_perm_b32 v156, v156, v157, 0xc0c0500
	v_or_b32_e32 v159, v183, v159
	v_and_b32_e32 v183, 0xff, v181
	s_delay_alu instid0(VALU_DEP_3) | instskip(NEXT) | instid1(VALU_DEP_3)
	v_dot4_i32_iu8 v156, v151, v156, v198 neg_lo:[1,1,0]
	v_perm_b32 v157, v159, v160, 0xc0c0500
	s_delay_alu instid0(VALU_DEP_3) | instskip(SKIP_1) | instid1(VALU_DEP_3)
	v_or_b32_e32 v179, v183, v179
	v_lshrrev_b32_e32 v160, 16, v207
	v_dot4_i32_iu8 v157, v151, v157, v202 neg_lo:[1,1,0]
	s_delay_alu instid0(VALU_DEP_3) | instskip(NEXT) | instid1(VALU_DEP_1)
	v_perm_b32 v159, v179, v181, 0xc0c0500
	v_dot4_i32_iu8 v151, v151, v159, v158 neg_lo:[1,1,0]
	v_lshrrev_b32_e32 v158, 16, v208
	v_lshrrev_b32_e32 v159, 16, v206
	s_delay_alu instid0(VALU_DEP_1) | instskip(SKIP_1) | instid1(VALU_DEP_2)
	v_sub_nc_u16 v158, v158, v159
	v_lshrrev_b32_e32 v159, 16, v209
	v_bfe_i32 v158, v158, 0, 8
	s_delay_alu instid0(VALU_DEP_2) | instskip(SKIP_1) | instid1(VALU_DEP_3)
	v_sub_nc_u16 v159, v159, v160
	v_lshrrev_b32_e32 v160, 16, v171
	v_mul_i32_i24_e32 v150, v158, v150
	s_delay_alu instid0(VALU_DEP_3) | instskip(SKIP_1) | instid1(VALU_DEP_2)
	v_bfe_i32 v158, v159, 0, 8
	v_lshrrev_b32_e32 v159, 24, v207
	v_mul_i32_i24_e32 v152, v158, v152
	v_lshrrev_b32_e32 v158, 24, v206
	s_delay_alu instid0(VALU_DEP_2) | instskip(SKIP_1) | instid1(VALU_DEP_1)
	v_add3_u32 v150, v203, v150, v152
	v_bfe_u32 v152, v204, 24, 2
	v_sub_nc_u16 v152, v152, v158
	v_bfe_u32 v158, v205, 24, 2
	s_delay_alu instid0(VALU_DEP_2) | instskip(NEXT) | instid1(VALU_DEP_2)
	v_bfe_i32 v152, v152, 0, 16
	v_sub_nc_u16 v158, v158, v159
	v_lshrrev_b32_e32 v159, 24, v171
	v_lshrrev_b32_e32 v171, 16, v175
	s_delay_alu instid0(VALU_DEP_4) | instskip(NEXT) | instid1(VALU_DEP_4)
	v_mul_i32_i24_e32 v148, v152, v148
	v_bfe_i32 v152, v158, 0, 16
	v_lshrrev_b32_e32 v158, 16, v211
	s_delay_alu instid0(VALU_DEP_2) | instskip(SKIP_1) | instid1(VALU_DEP_2)
	v_mul_i32_i24_e32 v149, v152, v149
	v_lshrrev_b32_e32 v152, 24, v211
	v_add3_u32 v148, v200, v148, v149
	v_bfe_u32 v149, v169, 24, 2
	v_lshrrev_b32_e32 v169, 24, v175
	s_delay_alu instid0(VALU_DEP_2) | instskip(SKIP_1) | instid1(VALU_DEP_2)
	v_sub_nc_u16 v149, v149, v152
	v_lshrrev_b32_e32 v152, 16, v212
	v_lshlrev_b16 v149, 8, v149
	s_delay_alu instid0(VALU_DEP_2) | instskip(SKIP_1) | instid1(VALU_DEP_1)
	v_sub_nc_u16 v152, v152, v158
	v_bfe_u32 v158, v173, 24, 2
	v_sub_nc_u16 v158, v158, v159
	v_lshrrev_b32_e32 v159, 16, v213
	s_delay_alu instid0(VALU_DEP_2) | instskip(NEXT) | instid1(VALU_DEP_2)
	v_lshlrev_b16 v158, 8, v158
	v_sub_nc_u16 v159, v159, v160
	v_bfe_u32 v160, v177, 24, 2
	s_delay_alu instid0(VALU_DEP_1) | instskip(SKIP_1) | instid1(VALU_DEP_2)
	v_sub_nc_u16 v160, v160, v169
	v_lshrrev_b32_e32 v169, 16, v215
	v_lshlrev_b16 v160, 8, v160
	s_delay_alu instid0(VALU_DEP_2) | instskip(SKIP_1) | instid1(VALU_DEP_1)
	v_sub_nc_u16 v169, v169, v171
	v_and_b32_e32 v171, 0xff, v152
	v_or_b32_e32 v149, v171, v149
	v_and_b32_e32 v171, 0xff, v159
	s_delay_alu instid0(VALU_DEP_2) | instskip(NEXT) | instid1(VALU_DEP_2)
	v_perm_b32 v149, v149, v152, 0xc0c0500
	v_or_b32_e32 v158, v171, v158
	v_and_b32_e32 v171, 0xff, v169
	s_delay_alu instid0(VALU_DEP_3) | instskip(NEXT) | instid1(VALU_DEP_3)
	v_dot4_i32_iu8 v149, v147, v149, v216 neg_lo:[1,1,0]
	v_perm_b32 v152, v158, v159, 0xc0c0500
	s_delay_alu instid0(VALU_DEP_3) | instskip(SKIP_1) | instid1(VALU_DEP_3)
	v_or_b32_e32 v160, v171, v160
	v_lshrrev_b16 v159, 8, v194
	v_dot4_i32_iu8 v152, v147, v152, v217 neg_lo:[1,1,0]
	s_delay_alu instid0(VALU_DEP_3) | instskip(SKIP_2) | instid1(VALU_DEP_3)
	v_perm_b32 v158, v160, v169, 0xc0c0500
	v_ashrrev_i32_e32 v160, s1, v188
	v_ashrrev_i32_e32 v169, s21, v186
	v_dot4_i32_iu8 v147, v147, v158, v218 neg_lo:[1,1,0]
	v_lshrrev_b16 v158, 8, v196
	s_delay_alu instid0(VALU_DEP_4) | instskip(NEXT) | instid1(VALU_DEP_2)
	v_lshlrev_b32_e32 v160, 2, v160
	v_sub_nc_u16 v158, v158, v159
	v_ashrrev_i32_e32 v159, s1, v182
	s_delay_alu instid0(VALU_DEP_3) | instskip(NEXT) | instid1(VALU_DEP_3)
	v_and_b32_e32 v160, 0x4040404, v160
	v_bfe_i32 v158, v158, 0, 16
	s_delay_alu instid0(VALU_DEP_3) | instskip(NEXT) | instid1(VALU_DEP_2)
	v_lshlrev_b32_e32 v159, 2, v159
	v_mul_i32_i24_e32 v146, v158, v146
	v_ashrrev_i32_e32 v158, s1, v162
	v_ashrrev_i32_e32 v162, s21, v184
	s_delay_alu instid0(VALU_DEP_4) | instskip(NEXT) | instid1(VALU_DEP_4)
	v_and_b32_e32 v159, 0x4040404, v159
	v_add3_u32 v146, v219, v146, v154
	v_ashrrev_i32_e32 v154, s21, v180
	v_lshlrev_b32_e32 v158, 2, v158
	s_delay_alu instid0(VALU_DEP_3) | instskip(NEXT) | instid1(VALU_DEP_3)
	v_add3_u32 v146, v197, v155, v146
	v_and_b32_e32 v171, 0x3030303, v154
	s_delay_alu instid0(VALU_DEP_3) | instskip(NEXT) | instid1(VALU_DEP_1)
	v_and_b32_e32 v158, 0x4040404, v158
	v_sub_nc_u16 v173, v171, v158
	v_lshrrev_b32_e32 v155, 16, v158
	s_delay_alu instid0(VALU_DEP_2) | instskip(NEXT) | instid1(VALU_DEP_1)
	v_bfe_i32 v173, v173, 0, 8
	v_mad_i32_i24 v156, v145, v173, v156
	v_and_b32_e32 v173, 0x3030303, v162
	s_delay_alu instid0(VALU_DEP_1) | instskip(NEXT) | instid1(VALU_DEP_1)
	v_sub_nc_u16 v175, v173, v159
	v_bfe_i32 v175, v175, 0, 8
	s_delay_alu instid0(VALU_DEP_1) | instskip(SKIP_2) | instid1(VALU_DEP_2)
	v_mad_i32_i24 v157, v145, v175, v157
	v_and_b32_e32 v175, 0x3030303, v169
	v_bfe_u32 v169, v169, 24, 2
	v_sub_nc_u16 v177, v175, v160
	s_delay_alu instid0(VALU_DEP_1) | instskip(NEXT) | instid1(VALU_DEP_1)
	v_bfe_i32 v177, v177, 0, 8
	v_mad_i32_i24 v145, v145, v177, v151
	v_lshrrev_b16 v151, 8, v209
	v_lshrrev_b16 v177, 8, v207
	s_delay_alu instid0(VALU_DEP_1) | instskip(NEXT) | instid1(VALU_DEP_1)
	v_sub_nc_u16 v151, v151, v177
	v_bfe_i32 v151, v151, 0, 16
	s_delay_alu instid0(VALU_DEP_1) | instskip(SKIP_2) | instid1(VALU_DEP_3)
	v_mul_i32_i24_e32 v143, v151, v143
	v_ashrrev_i32_e32 v151, s1, v168
	v_ashrrev_i32_e32 v168, s1, v176
	v_add3_u32 v143, v153, v143, v148
	v_ashrrev_i32_e32 v148, s21, v170
	s_delay_alu instid0(VALU_DEP_4)
	v_lshlrev_b32_e32 v151, 2, v151
	v_ashrrev_i32_e32 v170, s21, v174
	v_ashrrev_i32_e32 v153, s1, v172
	;; [unrolled: 1-line block ×3, first 2 shown]
	v_and_b32_e32 v174, 0x3030303, v148
	v_and_b32_e32 v151, 0x4040404, v151
	v_lshlrev_b32_e32 v168, 2, v168
	v_lshlrev_b32_e32 v153, 2, v153
	v_add3_u32 v150, v210, v150, v143
	s_delay_alu instid0(VALU_DEP_4) | instskip(NEXT) | instid1(VALU_DEP_4)
	v_sub_nc_u16 v176, v174, v151
	v_and_b32_e32 v168, 0x4040404, v168
	s_delay_alu instid0(VALU_DEP_4) | instskip(SKIP_1) | instid1(VALU_DEP_4)
	v_and_b32_e32 v153, 0x4040404, v153
	v_lshrrev_b32_e32 v143, 24, v151
	v_bfe_i32 v176, v176, 0, 8
	s_delay_alu instid0(VALU_DEP_1) | instskip(SKIP_1) | instid1(VALU_DEP_1)
	v_mad_i32_i24 v149, v144, v176, v149
	v_and_b32_e32 v176, 0x3030303, v170
	v_sub_nc_u16 v177, v176, v153
	s_delay_alu instid0(VALU_DEP_1) | instskip(NEXT) | instid1(VALU_DEP_1)
	v_bfe_i32 v177, v177, 0, 8
	v_mad_i32_i24 v152, v144, v177, v152
	v_and_b32_e32 v177, 0x3030303, v172
	s_delay_alu instid0(VALU_DEP_1) | instskip(NEXT) | instid1(VALU_DEP_1)
	v_sub_nc_u16 v178, v177, v168
	v_bfe_i32 v178, v178, 0, 8
	s_delay_alu instid0(VALU_DEP_1) | instskip(SKIP_3) | instid1(VALU_DEP_2)
	v_mad_i32_i24 v144, v144, v178, v147
	v_bfe_u32 v147, v154, 24, 2
	v_lshrrev_b32_e32 v154, 24, v158
	v_lshrrev_b16 v158, 8, v158
	v_sub_nc_u16 v147, v147, v154
	v_lshrrev_b32_e32 v154, 16, v171
	s_delay_alu instid0(VALU_DEP_2) | instskip(NEXT) | instid1(VALU_DEP_2)
	v_lshlrev_b16 v147, 8, v147
	v_sub_nc_u16 v154, v154, v155
	v_lshrrev_b16 v155, 8, v171
	v_lshrrev_b32_e32 v171, 16, v159
	s_delay_alu instid0(VALU_DEP_2) | instskip(SKIP_3) | instid1(VALU_DEP_4)
	v_sub_nc_u16 v155, v155, v158
	v_bfe_u32 v158, v162, 24, 2
	v_lshrrev_b32_e32 v162, 24, v159
	v_lshrrev_b16 v159, 8, v159
	v_lshlrev_b16 v155, 8, v155
	s_delay_alu instid0(VALU_DEP_3) | instskip(SKIP_1) | instid1(VALU_DEP_3)
	v_sub_nc_u16 v158, v158, v162
	v_lshrrev_b32_e32 v162, 16, v173
	v_perm_b32 v155, v155, v155, 0xc0c0c01
	s_delay_alu instid0(VALU_DEP_3) | instskip(NEXT) | instid1(VALU_DEP_3)
	v_lshlrev_b16 v158, 8, v158
	v_sub_nc_u16 v162, v162, v171
	v_lshrrev_b16 v171, 8, v173
	v_lshrrev_b32_e32 v173, 16, v160
	s_delay_alu instid0(VALU_DEP_2) | instskip(SKIP_2) | instid1(VALU_DEP_2)
	v_sub_nc_u16 v159, v171, v159
	v_lshrrev_b32_e32 v171, 24, v160
	v_lshrrev_b16 v160, 8, v160
	v_sub_nc_u16 v169, v169, v171
	v_lshrrev_b32_e32 v171, 16, v175
	s_delay_alu instid0(VALU_DEP_2) | instskip(NEXT) | instid1(VALU_DEP_2)
	v_lshlrev_b16 v169, 8, v169
	v_sub_nc_u16 v171, v171, v173
	v_lshrrev_b16 v173, 8, v175
	s_delay_alu instid0(VALU_DEP_1) | instskip(SKIP_1) | instid1(VALU_DEP_1)
	v_sub_nc_u16 v160, v173, v160
	v_and_b32_e32 v173, 0xff, v154
	v_or_b32_e32 v147, v173, v147
	v_and_b32_e32 v173, 0xff, v162
	s_delay_alu instid0(VALU_DEP_2) | instskip(NEXT) | instid1(VALU_DEP_2)
	v_perm_b32 v147, v147, v154, 0xc05000c
	v_or_b32_e32 v158, v173, v158
	v_and_b32_e32 v173, 0xff, v171
	s_delay_alu instid0(VALU_DEP_3) | instskip(SKIP_1) | instid1(VALU_DEP_4)
	v_or_b32_e32 v147, v147, v155
	v_lshlrev_b16 v155, 8, v159
	v_perm_b32 v154, v158, v162, 0xc05000c
	s_delay_alu instid0(VALU_DEP_4)
	v_or_b32_e32 v169, v173, v169
	v_lshrrev_b16 v159, 8, v168
	v_dot4_i32_iu8 v147, v141, v147, v156 neg_lo:[1,1,0]
	v_perm_b32 v155, v155, v155, 0xc0c0c01
	v_lshrrev_b32_e32 v156, 16, v153
	v_perm_b32 v158, v169, v171, 0xc05000c
	s_delay_alu instid0(VALU_DEP_3) | instskip(SKIP_1) | instid1(VALU_DEP_2)
	v_or_b32_e32 v154, v154, v155
	v_lshlrev_b16 v155, 8, v160
	v_dot4_i32_iu8 v154, v141, v154, v157 neg_lo:[1,1,0]
	s_delay_alu instid0(VALU_DEP_2) | instskip(SKIP_1) | instid1(VALU_DEP_2)
	v_perm_b32 v155, v155, v155, 0xc0c0c01
	v_lshrrev_b32_e32 v157, 24, v168
	v_or_b32_e32 v155, v158, v155
	v_lshrrev_b32_e32 v158, 16, v168
	s_delay_alu instid0(VALU_DEP_2)
	v_dot4_i32_iu8 v145, v141, v155, v145 neg_lo:[1,1,0]
	v_bfe_u32 v141, v148, 24, 2
	v_lshrrev_b32_e32 v148, 16, v151
	v_lshrrev_b16 v151, 8, v151
	v_lshrrev_b32_e32 v155, 24, v153
	v_lshrrev_b16 v153, 8, v153
	v_sub_nc_u16 v141, v141, v143
	v_lshrrev_b32_e32 v143, 16, v174
	s_delay_alu instid0(VALU_DEP_2) | instskip(NEXT) | instid1(VALU_DEP_2)
	v_lshlrev_b16 v141, 8, v141
	v_sub_nc_u16 v143, v143, v148
	v_lshrrev_b16 v148, 8, v174
	s_delay_alu instid0(VALU_DEP_1) | instskip(SKIP_1) | instid1(VALU_DEP_2)
	v_sub_nc_u16 v148, v148, v151
	v_bfe_u32 v151, v170, 24, 2
	v_lshlrev_b16 v148, 8, v148
	s_delay_alu instid0(VALU_DEP_2) | instskip(SKIP_1) | instid1(VALU_DEP_3)
	v_sub_nc_u16 v151, v151, v155
	v_lshrrev_b32_e32 v155, 16, v176
	v_perm_b32 v148, v148, v148, 0xc0c0c01
	s_delay_alu instid0(VALU_DEP_3) | instskip(NEXT) | instid1(VALU_DEP_3)
	v_lshlrev_b16 v151, 8, v151
	v_sub_nc_u16 v155, v155, v156
	v_lshrrev_b16 v156, 8, v176
	s_delay_alu instid0(VALU_DEP_1) | instskip(SKIP_1) | instid1(VALU_DEP_1)
	v_sub_nc_u16 v153, v156, v153
	v_bfe_u32 v156, v172, 24, 2
	v_sub_nc_u16 v156, v156, v157
	v_lshrrev_b32_e32 v157, 16, v177
	s_delay_alu instid0(VALU_DEP_2) | instskip(NEXT) | instid1(VALU_DEP_2)
	v_lshlrev_b16 v156, 8, v156
	v_sub_nc_u16 v157, v157, v158
	v_lshrrev_b16 v158, 8, v177
	s_delay_alu instid0(VALU_DEP_1) | instskip(SKIP_1) | instid1(VALU_DEP_1)
	v_sub_nc_u16 v158, v158, v159
	v_and_b32_e32 v159, 0xff, v143
	v_or_b32_e32 v141, v159, v141
	v_and_b32_e32 v159, 0xff, v155
	s_delay_alu instid0(VALU_DEP_2) | instskip(NEXT) | instid1(VALU_DEP_2)
	v_perm_b32 v141, v141, v143, 0xc05000c
	v_or_b32_e32 v151, v159, v151
	v_and_b32_e32 v159, 0xff, v157
	s_delay_alu instid0(VALU_DEP_3) | instskip(SKIP_1) | instid1(VALU_DEP_4)
	v_or_b32_e32 v141, v141, v148
	v_lshlrev_b16 v148, 8, v153
	v_perm_b32 v143, v151, v155, 0xc05000c
	s_delay_alu instid0(VALU_DEP_4) | instskip(NEXT) | instid1(VALU_DEP_4)
	v_or_b32_e32 v156, v159, v156
	v_dot4_i32_iu8 v149, v140, v141, v149 neg_lo:[1,1,0]
	s_delay_alu instid0(VALU_DEP_4) | instskip(NEXT) | instid1(VALU_DEP_3)
	v_perm_b32 v148, v148, v148, 0xc0c0c01
	v_perm_b32 v151, v156, v157, 0xc05000c
	s_delay_alu instid0(VALU_DEP_2) | instskip(SKIP_1) | instid1(VALU_DEP_1)
	v_or_b32_e32 v143, v143, v148
	v_lshlrev_b16 v148, 8, v158
	v_perm_b32 v148, v148, v148, 0xc0c0c01
	s_delay_alu instid0(VALU_DEP_1) | instskip(NEXT) | instid1(VALU_DEP_4)
	v_or_b32_e32 v148, v151, v148
	v_dot4_i32_iu8 v151, v140, v143, v152 neg_lo:[1,1,0]
	s_delay_alu instid0(VALU_DEP_2) | instskip(SKIP_2) | instid1(VALU_DEP_2)
	v_dot4_i32_iu8 v144, v140, v148, v144 neg_lo:[1,1,0]
	v_and_b32_e32 v148, 0x3030303, v30
	v_bfe_u32 v30, v30, 24, 2
	v_sub_nc_u16 v140, v148, v28
	s_delay_alu instid0(VALU_DEP_1) | instskip(NEXT) | instid1(VALU_DEP_1)
	v_bfe_i32 v140, v140, 0, 8
	v_mad_i32_i24 v147, v139, v140, v147
	v_add_nc_u32_e32 v140, 0x1088, v142
	ds_load_2addr_b32 v[140:141], v140 offset1:1
	s_wait_dscnt 0x0
	v_ashrrev_i32_e32 v140, s21, v140
	s_delay_alu instid0(VALU_DEP_1) | instskip(SKIP_1) | instid1(VALU_DEP_2)
	v_and_b32_e32 v152, 0x3030303, v140
	v_bfe_u32 v140, v140, 24, 2
	v_sub_nc_u16 v142, v152, v32
	s_delay_alu instid0(VALU_DEP_1) | instskip(NEXT) | instid1(VALU_DEP_1)
	v_bfe_i32 v142, v142, 0, 8
	v_mad_i32_i24 v153, v139, v142, v154
	v_and_b32_e32 v154, 0x3030303, v38
	ds_load_2addr_b32 v[142:143], v214 offset0:6 offset1:7
	v_bfe_u32 v38, v38, 24, 2
	v_sub_nc_u16 v155, v154, v36
	s_delay_alu instid0(VALU_DEP_1) | instskip(NEXT) | instid1(VALU_DEP_1)
	v_bfe_i32 v155, v155, 0, 8
	v_mad_i32_i24 v139, v139, v155, v145
	v_and_b32_e32 v145, 0x3030303, v22
	v_bfe_u32 v22, v22, 24, 2
	s_delay_alu instid0(VALU_DEP_2) | instskip(SKIP_2) | instid1(VALU_DEP_2)
	v_sub_nc_u16 v155, v145, v20
	s_wait_dscnt 0x0
	v_ashrrev_i32_e32 v142, s1, v142
	v_bfe_i32 v155, v155, 0, 8
	s_delay_alu instid0(VALU_DEP_2) | instskip(NEXT) | instid1(VALU_DEP_2)
	v_lshlrev_b32_e32 v142, 2, v142
	v_mad_i32_i24 v149, v138, v155, v149
	v_and_b32_e32 v155, 0x3030303, v26
	s_delay_alu instid0(VALU_DEP_3) | instskip(SKIP_1) | instid1(VALU_DEP_3)
	v_and_b32_e32 v142, 0x4040404, v142
	v_bfe_u32 v26, v26, 24, 2
	v_sub_nc_u16 v156, v155, v24
	s_delay_alu instid0(VALU_DEP_1) | instskip(NEXT) | instid1(VALU_DEP_1)
	v_bfe_i32 v156, v156, 0, 8
	v_mad_i32_i24 v151, v138, v156, v151
	v_and_b32_e32 v156, 0x3030303, v34
	v_bfe_u32 v34, v34, 24, 2
	s_delay_alu instid0(VALU_DEP_2) | instskip(NEXT) | instid1(VALU_DEP_1)
	v_sub_nc_u16 v157, v156, v142
	v_bfe_i32 v157, v157, 0, 8
	s_delay_alu instid0(VALU_DEP_1) | instskip(SKIP_3) | instid1(VALU_DEP_3)
	v_mad_i32_i24 v138, v138, v157, v144
	v_lshrrev_b32_e32 v144, 24, v28
	v_lshrrev_b32_e32 v157, 16, v28
	v_lshrrev_b16 v28, 8, v28
	v_sub_nc_u16 v30, v30, v144
	v_lshrrev_b32_e32 v144, 16, v148
	v_lshrrev_b16 v148, 8, v148
	s_delay_alu instid0(VALU_DEP_3) | instskip(NEXT) | instid1(VALU_DEP_3)
	v_lshlrev_b16 v30, 8, v30
	v_sub_nc_u16 v144, v144, v157
	s_delay_alu instid0(VALU_DEP_3) | instskip(SKIP_3) | instid1(VALU_DEP_4)
	v_sub_nc_u16 v28, v148, v28
	v_lshrrev_b32_e32 v148, 24, v36
	v_lshrrev_b32_e32 v157, 16, v36
	v_lshrrev_b16 v36, 8, v36
	v_lshlrev_b16 v28, 8, v28
	s_delay_alu instid0(VALU_DEP_4) | instskip(SKIP_2) | instid1(VALU_DEP_4)
	v_sub_nc_u16 v38, v38, v148
	v_lshrrev_b32_e32 v148, 16, v154
	v_lshrrev_b16 v154, 8, v154
	v_perm_b32 v28, v28, v28, 0xc0c0c01
	s_delay_alu instid0(VALU_DEP_4) | instskip(NEXT) | instid1(VALU_DEP_4)
	v_lshlrev_b16 v38, 8, v38
	v_sub_nc_u16 v148, v148, v157
	s_delay_alu instid0(VALU_DEP_4) | instskip(SKIP_3) | instid1(VALU_DEP_3)
	v_sub_nc_u16 v36, v154, v36
	v_lshrrev_b32_e32 v154, 24, v32
	v_lshrrev_b32_e32 v157, 16, v32
	v_lshrrev_b16 v32, 8, v32
	v_sub_nc_u16 v140, v140, v154
	v_lshrrev_b32_e32 v154, 16, v152
	v_lshrrev_b16 v152, 8, v152
	s_delay_alu instid0(VALU_DEP_3) | instskip(NEXT) | instid1(VALU_DEP_3)
	v_lshlrev_b16 v140, 8, v140
	v_sub_nc_u16 v154, v154, v157
	s_delay_alu instid0(VALU_DEP_3) | instskip(SKIP_1) | instid1(VALU_DEP_2)
	v_sub_nc_u16 v32, v152, v32
	v_and_b32_e32 v152, 0xff, v144
	v_lshlrev_b16 v32, 8, v32
	s_delay_alu instid0(VALU_DEP_2) | instskip(SKIP_1) | instid1(VALU_DEP_3)
	v_or_b32_e32 v30, v152, v30
	v_and_b32_e32 v152, 0xff, v148
	v_perm_b32 v32, v32, v32, 0xc0c0c01
	s_delay_alu instid0(VALU_DEP_3) | instskip(NEXT) | instid1(VALU_DEP_3)
	v_perm_b32 v30, v30, v144, 0xc05000c
	v_or_b32_e32 v38, v152, v38
	v_and_b32_e32 v152, 0xff, v154
	s_delay_alu instid0(VALU_DEP_3) | instskip(SKIP_1) | instid1(VALU_DEP_4)
	v_or_b32_e32 v28, v30, v28
	v_lshlrev_b16 v30, 8, v36
	v_perm_b32 v38, v38, v148, 0xc05000c
	v_lshrrev_b32_e32 v36, 24, v20
	v_or_b32_e32 v140, v152, v140
	v_dot4_i32_iu8 v28, v137, v28, v147 neg_lo:[1,1,0]
	v_perm_b32 v30, v30, v30, 0xc0c0c01
	s_delay_alu instid0(VALU_DEP_4) | instskip(SKIP_2) | instid1(VALU_DEP_4)
	v_sub_nc_u16 v22, v22, v36
	v_lshrrev_b32_e32 v36, 16, v145
	v_perm_b32 v140, v140, v154, 0xc05000c
	v_or_b32_e32 v30, v38, v30
	v_lshrrev_b32_e32 v38, 16, v20
	v_lshrrev_b16 v20, 8, v20
	v_lshlrev_b16 v22, 8, v22
	v_or_b32_e32 v32, v140, v32
	v_dot4_i32_iu8 v30, v137, v30, v139 neg_lo:[1,1,0]
	v_sub_nc_u16 v36, v36, v38
	v_lshrrev_b16 v38, 8, v145
	v_lshrrev_b32_e32 v139, 16, v142
	v_dot4_i32_iu8 v32, v137, v32, v153 neg_lo:[1,1,0]
	v_lshrrev_b32_e32 v137, 16, v24
	v_lshrrev_b16 v140, 8, v142
	v_sub_nc_u16 v20, v38, v20
	v_lshrrev_b32_e32 v38, 24, v24
	v_lshrrev_b16 v24, 8, v24
	s_delay_alu instid0(VALU_DEP_3) | instskip(NEXT) | instid1(VALU_DEP_3)
	v_lshlrev_b16 v20, 8, v20
	v_sub_nc_u16 v26, v26, v38
	v_lshrrev_b32_e32 v38, 16, v155
	s_delay_alu instid0(VALU_DEP_3) | instskip(NEXT) | instid1(VALU_DEP_3)
	v_perm_b32 v20, v20, v20, 0xc0c0c01
	v_lshlrev_b16 v26, 8, v26
	s_delay_alu instid0(VALU_DEP_3) | instskip(SKIP_1) | instid1(VALU_DEP_1)
	v_sub_nc_u16 v38, v38, v137
	v_lshrrev_b16 v137, 8, v155
	v_sub_nc_u16 v24, v137, v24
	v_lshrrev_b32_e32 v137, 24, v142
	s_delay_alu instid0(VALU_DEP_1) | instskip(SKIP_1) | instid1(VALU_DEP_2)
	v_sub_nc_u16 v34, v34, v137
	v_lshrrev_b32_e32 v137, 16, v156
	v_lshlrev_b16 v34, 8, v34
	s_delay_alu instid0(VALU_DEP_2) | instskip(SKIP_1) | instid1(VALU_DEP_1)
	v_sub_nc_u16 v137, v137, v139
	v_lshrrev_b16 v139, 8, v156
	v_sub_nc_u16 v139, v139, v140
	v_and_b32_e32 v140, 0xff, v36
	s_delay_alu instid0(VALU_DEP_1) | instskip(SKIP_1) | instid1(VALU_DEP_2)
	v_or_b32_e32 v22, v140, v22
	v_and_b32_e32 v140, 0xff, v38
	v_perm_b32 v22, v22, v36, 0xc05000c
	s_delay_alu instid0(VALU_DEP_2) | instskip(SKIP_1) | instid1(VALU_DEP_3)
	v_or_b32_e32 v26, v140, v26
	v_and_b32_e32 v140, 0xff, v137
	v_or_b32_e32 v20, v22, v20
	v_lshlrev_b16 v22, 8, v24
	s_delay_alu instid0(VALU_DEP_3) | instskip(SKIP_2) | instid1(VALU_DEP_4)
	v_or_b32_e32 v34, v140, v34
	v_lshlrev_b16 v24, 8, v139
	v_perm_b32 v26, v26, v38, 0xc05000c
	v_perm_b32 v22, v22, v22, 0xc0c0c01
	s_delay_alu instid0(VALU_DEP_4) | instskip(NEXT) | instid1(VALU_DEP_4)
	v_perm_b32 v34, v34, v137, 0xc05000c
	v_perm_b32 v24, v24, v24, 0xc0c0c01
	s_delay_alu instid0(VALU_DEP_3) | instskip(SKIP_1) | instid1(VALU_DEP_3)
	v_or_b32_e32 v22, v26, v22
	v_dot4_i32_iu8 v26, v136, v20, v149 neg_lo:[1,1,0]
	v_or_b32_e32 v24, v34, v24
	v_lshrrev_b16 v20, 8, v166
	v_bfe_i32 v34, v166, 0, 8
	v_dot4_i32_iu8 v22, v136, v22, v151 neg_lo:[1,1,0]
	s_delay_alu instid0(VALU_DEP_4) | instskip(NEXT) | instid1(VALU_DEP_4)
	v_dot4_i32_iu8 v24, v136, v24, v138 neg_lo:[1,1,0]
	v_bfe_i32 v36, v20, 0, 8
	s_delay_alu instid0(VALU_DEP_4) | instskip(SKIP_1) | instid1(VALU_DEP_2)
	v_mul_lo_u32 v20, v150, v34
	v_ashrrev_i32_e32 v34, s21, v141
	v_mad_co_u64_u32 v[136:137], null, v146, v36, v[20:21]
	v_ashrrev_i32_e32 v20, s21, v31
	v_ashrrev_i32_e32 v31, s1, v37
	;; [unrolled: 1-line block ×4, first 2 shown]
	s_delay_alu instid0(VALU_DEP_4) | instskip(NEXT) | instid1(VALU_DEP_4)
	v_and_b32_e32 v37, 0x3030303, v20
	v_lshlrev_b32_e32 v31, 2, v31
	v_bfe_u32 v20, v20, 24, 2
	s_delay_alu instid0(VALU_DEP_4) | instskip(NEXT) | instid1(VALU_DEP_4)
	v_lshlrev_b32_e32 v21, 2, v21
	v_sub_nc_u16 v38, v37, v29
	s_delay_alu instid0(VALU_DEP_4) | instskip(NEXT) | instid1(VALU_DEP_3)
	v_and_b32_e32 v31, 0x4040404, v31
	v_and_b32_e32 v21, 0x4040404, v21
	s_delay_alu instid0(VALU_DEP_3) | instskip(NEXT) | instid1(VALU_DEP_1)
	v_bfe_i32 v38, v38, 0, 8
	v_mad_i32_i24 v28, v135, v38, v28
	v_and_b32_e32 v38, 0x3030303, v34
	v_bfe_u32 v34, v34, 24, 2
	s_delay_alu instid0(VALU_DEP_2) | instskip(NEXT) | instid1(VALU_DEP_1)
	v_sub_nc_u16 v39, v38, v33
	v_bfe_i32 v39, v39, 0, 8
	s_delay_alu instid0(VALU_DEP_1) | instskip(SKIP_2) | instid1(VALU_DEP_2)
	v_mad_i32_i24 v32, v135, v39, v32
	v_and_b32_e32 v39, 0x3030303, v36
	v_bfe_u32 v36, v36, 24, 2
	v_sub_nc_u16 v137, v39, v31
	s_delay_alu instid0(VALU_DEP_1) | instskip(NEXT) | instid1(VALU_DEP_1)
	v_bfe_i32 v137, v137, 0, 8
	v_mad_i32_i24 v30, v135, v137, v30
	v_and_b32_e32 v137, 0x3030303, v23
	v_ashrrev_i32_e32 v135, s1, v143
	v_bfe_u32 v23, v23, 24, 2
	s_add_co_i32 s1, s1, 1
	s_cmp_lt_u32 s21, 6
	v_sub_nc_u16 v138, v137, v21
	v_lshlrev_b32_e32 v135, 2, v135
	s_delay_alu instid0(VALU_DEP_2) | instskip(NEXT) | instid1(VALU_DEP_2)
	v_bfe_i32 v138, v138, 0, 8
	v_and_b32_e32 v135, 0x4040404, v135
	s_delay_alu instid0(VALU_DEP_2) | instskip(SKIP_2) | instid1(VALU_DEP_2)
	v_mad_i32_i24 v26, v134, v138, v26
	v_and_b32_e32 v138, 0x3030303, v27
	v_bfe_u32 v27, v27, 24, 2
	v_sub_nc_u16 v139, v138, v25
	s_delay_alu instid0(VALU_DEP_1) | instskip(NEXT) | instid1(VALU_DEP_1)
	v_bfe_i32 v139, v139, 0, 8
	v_mad_i32_i24 v22, v134, v139, v22
	v_and_b32_e32 v139, 0x3030303, v35
	s_delay_alu instid0(VALU_DEP_1) | instskip(NEXT) | instid1(VALU_DEP_1)
	v_sub_nc_u16 v140, v139, v135
	v_bfe_i32 v140, v140, 0, 8
	s_delay_alu instid0(VALU_DEP_1) | instskip(SKIP_3) | instid1(VALU_DEP_3)
	v_mad_i32_i24 v24, v134, v140, v24
	v_lshrrev_b32_e32 v134, 24, v29
	v_lshrrev_b32_e32 v140, 16, v29
	v_lshrrev_b16 v29, 8, v29
	v_sub_nc_u16 v20, v20, v134
	v_lshrrev_b32_e32 v134, 16, v37
	v_lshrrev_b16 v37, 8, v37
	s_delay_alu instid0(VALU_DEP_3) | instskip(NEXT) | instid1(VALU_DEP_3)
	v_lshlrev_b16 v20, 8, v20
	v_sub_nc_u16 v134, v134, v140
	s_delay_alu instid0(VALU_DEP_3) | instskip(SKIP_3) | instid1(VALU_DEP_4)
	v_sub_nc_u16 v29, v37, v29
	v_lshrrev_b32_e32 v37, 24, v31
	v_lshrrev_b32_e32 v140, 16, v31
	v_lshrrev_b16 v31, 8, v31
	v_lshlrev_b16 v29, 8, v29
	s_delay_alu instid0(VALU_DEP_4) | instskip(SKIP_2) | instid1(VALU_DEP_4)
	v_sub_nc_u16 v36, v36, v37
	v_lshrrev_b32_e32 v37, 16, v39
	v_lshrrev_b16 v39, 8, v39
	v_perm_b32 v29, v29, v29, 0xc0c0c01
	s_delay_alu instid0(VALU_DEP_4) | instskip(NEXT) | instid1(VALU_DEP_4)
	v_lshlrev_b16 v36, 8, v36
	v_sub_nc_u16 v37, v37, v140
	s_delay_alu instid0(VALU_DEP_4) | instskip(SKIP_3) | instid1(VALU_DEP_3)
	v_sub_nc_u16 v31, v39, v31
	v_lshrrev_b32_e32 v39, 24, v33
	v_lshrrev_b32_e32 v140, 16, v33
	v_lshrrev_b16 v33, 8, v33
	v_sub_nc_u16 v34, v34, v39
	v_lshrrev_b32_e32 v39, 16, v38
	v_lshrrev_b16 v38, 8, v38
	s_delay_alu instid0(VALU_DEP_3) | instskip(NEXT) | instid1(VALU_DEP_3)
	v_lshlrev_b16 v34, 8, v34
	v_sub_nc_u16 v39, v39, v140
	s_delay_alu instid0(VALU_DEP_3) | instskip(SKIP_1) | instid1(VALU_DEP_1)
	v_sub_nc_u16 v33, v38, v33
	v_and_b32_e32 v38, 0xff, v134
	v_or_b32_e32 v20, v38, v20
	v_and_b32_e32 v38, 0xff, v37
	s_delay_alu instid0(VALU_DEP_2) | instskip(NEXT) | instid1(VALU_DEP_2)
	v_perm_b32 v20, v20, v134, 0xc05000c
	v_or_b32_e32 v36, v38, v36
	v_and_b32_e32 v38, 0xff, v39
	s_delay_alu instid0(VALU_DEP_3) | instskip(SKIP_1) | instid1(VALU_DEP_3)
	v_or_b32_e32 v20, v20, v29
	v_lshlrev_b16 v29, 8, v31
	v_or_b32_e32 v34, v38, v34
	v_perm_b32 v36, v36, v37, 0xc05000c
	v_lshlrev_b16 v31, 8, v33
	v_dot4_i32_iu8 v20, v133, v20, v28 neg_lo:[1,1,0]
	v_perm_b32 v29, v29, v29, 0xc0c0c01
	v_perm_b32 v34, v34, v39, 0xc05000c
	v_lshrrev_b32_e32 v33, 24, v135
	v_perm_b32 v31, v31, v31, 0xc0c0c01
	s_delay_alu instid0(VALU_DEP_4) | instskip(NEXT) | instid1(VALU_DEP_2)
	v_or_b32_e32 v29, v36, v29
	v_or_b32_e32 v31, v34, v31
	v_lshrrev_b32_e32 v34, 16, v135
	s_delay_alu instid0(VALU_DEP_3) | instskip(SKIP_1) | instid1(VALU_DEP_4)
	v_dot4_i32_iu8 v29, v133, v29, v30 neg_lo:[1,1,0]
	v_lshrrev_b32_e32 v30, 24, v21
	v_dot4_i32_iu8 v28, v133, v31, v32 neg_lo:[1,1,0]
	v_lshrrev_b32_e32 v31, 16, v21
	v_lshrrev_b16 v21, 8, v21
	s_delay_alu instid0(VALU_DEP_4) | instskip(SKIP_2) | instid1(VALU_DEP_3)
	v_sub_nc_u16 v23, v23, v30
	v_lshrrev_b32_e32 v30, 16, v137
	v_lshrrev_b32_e32 v32, 16, v25
	v_lshlrev_b16 v23, 8, v23
	s_delay_alu instid0(VALU_DEP_3) | instskip(SKIP_1) | instid1(VALU_DEP_1)
	v_sub_nc_u16 v30, v30, v31
	v_lshrrev_b16 v31, 8, v137
	v_sub_nc_u16 v21, v31, v21
	v_lshrrev_b32_e32 v31, 24, v25
	v_lshrrev_b16 v25, 8, v25
	s_delay_alu instid0(VALU_DEP_3) | instskip(NEXT) | instid1(VALU_DEP_3)
	v_lshlrev_b16 v21, 8, v21
	v_sub_nc_u16 v27, v27, v31
	v_lshrrev_b32_e32 v31, 16, v138
	s_delay_alu instid0(VALU_DEP_3) | instskip(NEXT) | instid1(VALU_DEP_3)
	v_perm_b32 v21, v21, v21, 0xc0c0c01
	v_lshlrev_b16 v27, 8, v27
	s_delay_alu instid0(VALU_DEP_3) | instskip(SKIP_1) | instid1(VALU_DEP_1)
	v_sub_nc_u16 v31, v31, v32
	v_lshrrev_b16 v32, 8, v138
	v_sub_nc_u16 v25, v32, v25
	v_bfe_u32 v32, v35, 24, 2
	v_lshrrev_b16 v35, 8, v135
	s_delay_alu instid0(VALU_DEP_2) | instskip(SKIP_1) | instid1(VALU_DEP_2)
	v_sub_nc_u16 v32, v32, v33
	v_lshrrev_b32_e32 v33, 16, v139
	v_lshlrev_b16 v32, 8, v32
	s_delay_alu instid0(VALU_DEP_2) | instskip(SKIP_1) | instid1(VALU_DEP_1)
	v_sub_nc_u16 v33, v33, v34
	v_lshrrev_b16 v34, 8, v139
	v_sub_nc_u16 v34, v34, v35
	v_and_b32_e32 v35, 0xff, v30
	s_delay_alu instid0(VALU_DEP_1) | instskip(SKIP_1) | instid1(VALU_DEP_2)
	v_or_b32_e32 v23, v35, v23
	v_and_b32_e32 v35, 0xff, v31
	v_perm_b32 v23, v23, v30, 0xc05000c
	s_delay_alu instid0(VALU_DEP_2) | instskip(SKIP_1) | instid1(VALU_DEP_3)
	v_or_b32_e32 v27, v35, v27
	v_and_b32_e32 v35, 0xff, v33
	v_or_b32_e32 v21, v23, v21
	v_lshlrev_b16 v23, 8, v25
	s_delay_alu instid0(VALU_DEP_3)
	v_or_b32_e32 v32, v35, v32
	v_lshlrev_b16 v25, 8, v34
	v_perm_b32 v27, v27, v31, 0xc05000c
	v_dot4_i32_iu8 v21, v132, v21, v26 neg_lo:[1,1,0]
	v_perm_b32 v23, v23, v23, 0xc0c0c01
	v_perm_b32 v30, v32, v33, 0xc05000c
	;; [unrolled: 1-line block ×3, first 2 shown]
	s_delay_alu instid0(VALU_DEP_3) | instskip(SKIP_1) | instid1(VALU_DEP_3)
	v_or_b32_e32 v23, v27, v23
	v_cvt_f32_i32_e32 v27, v136
	v_or_b32_e32 v25, v30, v25
	s_delay_alu instid0(VALU_DEP_3) | instskip(NEXT) | instid1(VALU_DEP_2)
	v_dot4_i32_iu8 v22, v132, v23, v22 neg_lo:[1,1,0]
	v_dot4_i32_iu8 v23, v132, v25, v24 neg_lo:[1,1,0]
	v_add_nc_u32_e32 v24, s22, v99
	ds_load_u16 v24, v24 offset:25346
	s_wait_dscnt 0x0
	v_lshrrev_b16 v25, 8, v24
	v_bfe_i32 v24, v24, 0, 8
	s_delay_alu instid0(VALU_DEP_2) | instskip(NEXT) | instid1(VALU_DEP_2)
	v_bfe_i32 v25, v25, 0, 8
	v_mul_lo_u32 v20, v20, v24
	v_bfe_i32 v24, v167, 0, 8
	s_delay_alu instid0(VALU_DEP_2) | instskip(SKIP_1) | instid1(VALU_DEP_1)
	v_mad_co_u64_u32 v[20:21], null, v21, v25, v[20:21]
	v_lshrrev_b16 v21, 8, v167
	v_bfe_i32 v25, v21, 0, 8
	s_delay_alu instid0(VALU_DEP_4) | instskip(NEXT) | instid1(VALU_DEP_4)
	v_mul_lo_u32 v21, v28, v24
	v_cvt_f32_i32_e32 v20, v20
	s_delay_alu instid0(VALU_DEP_2)
	v_mad_co_u64_u32 v[21:22], null, v22, v25, v[21:22]
	v_add_nc_u32_e32 v22, s22, v97
	s_mov_b32 s22, s21
	ds_load_u16 v22, v22 offset:27394
	v_cvt_f32_i32_e32 v21, v21
	s_wait_dscnt 0x0
	v_lshrrev_b16 v24, 8, v22
	v_bfe_i32 v22, v22, 0, 8
	s_delay_alu instid0(VALU_DEP_2) | instskip(NEXT) | instid1(VALU_DEP_2)
	v_bfe_i32 v24, v24, 0, 8
	v_mul_lo_u32 v22, v29, v22
	s_delay_alu instid0(VALU_DEP_1)
	v_mad_co_u64_u32 v[22:23], null, v23, v24, v[22:23]
	ds_load_b32 v23, v130
	v_add_nc_u32_e32 v130, 4, v130
	v_cvt_f32_i32_e32 v22, v22
	s_wait_dscnt 0x0
	v_mul_f32_e32 v24, v23, v163
	v_mul_f32_e32 v25, v23, v161
	;; [unrolled: 1-line block ×4, first 2 shown]
	s_delay_alu instid0(VALU_DEP_3) | instskip(NEXT) | instid1(VALU_DEP_3)
	v_dual_fmac_f32 v17, v24, v27 :: v_dual_fmac_f32 v42, v25, v20
	v_fmac_f32_e32 v89, v26, v21
	s_delay_alu instid0(VALU_DEP_3)
	v_fmac_f32_e32 v83, v23, v22
	s_cbranch_scc1 .LBB230_11
; %bb.12:                               ;   in Loop: Header=BB230_5 Depth=1
	s_or_b32 s1, s18, 0x80
	s_wait_loadcnt 0x0
	s_wait_alu 0xfffe
	s_cmp_ge_i32 s1, s5
	s_barrier_signal -1
	s_barrier_wait -1
	global_inv scope:SCOPE_SE
	s_cbranch_scc1 .LBB230_4
; %bb.13:                               ;   in Loop: Header=BB230_5 Depth=1
	v_add_nc_u32_e32 v20, s19, v90
	s_delay_alu instid0(VALU_DEP_1)
	v_cmp_gt_i32_e64 s1, s6, v20
	s_and_b32 s20, s0, s1
	s_wait_alu 0xfffe
	s_and_saveexec_b32 s1, s20
	s_cbranch_execz .LBB230_15
; %bb.14:                               ;   in Loop: Header=BB230_5 Depth=1
	v_add_nc_u32_e32 v20, v93, v20
	s_delay_alu instid0(VALU_DEP_1)
	v_mad_co_i64_i32 v[20:21], null, v20, 36, v[18:19]
	global_load_b32 v20, v[20:21], off offset:4
	s_wait_loadcnt 0x0
	ds_store_b32 v87, v20
.LBB230_15:                             ;   in Loop: Header=BB230_5 Depth=1
	s_wait_alu 0xfffe
	s_or_b32 exec_lo, exec_lo, s1
	s_and_saveexec_b32 s20, vcc_lo
	s_cbranch_execz .LBB230_18
; %bb.16:                               ;   in Loop: Header=BB230_5 Depth=1
	v_or_b32_e32 v20, 4, v129
	s_delay_alu instid0(VALU_DEP_1)
	v_cmp_gt_i32_e64 s1, s6, v20
	s_and_b32 s1, s0, s1
	s_wait_alu 0xfffe
	s_and_b32 exec_lo, exec_lo, s1
	s_cbranch_execz .LBB230_18
; %bb.17:                               ;   in Loop: Header=BB230_5 Depth=1
	v_ashrrev_i32_e32 v20, 31, v129
	v_add_co_u32 v21, s1, v93, v129
	s_wait_alu 0xf1ff
	s_delay_alu instid0(VALU_DEP_2) | instskip(NEXT) | instid1(VALU_DEP_2)
	v_add_co_ci_u32_e64 v22, null, v0, v20, s1
	v_mad_co_u64_u32 v[20:21], null, v21, 36, s[2:3]
	s_delay_alu instid0(VALU_DEP_1)
	v_mad_i32_i24 v21, v22, 36, v21
	global_load_b32 v20, v[20:21], off offset:144
	s_wait_loadcnt 0x0
	v_cvt_f32_f16_e32 v20, v20
	ds_store_b32 v88, v20
.LBB230_18:                             ;   in Loop: Header=BB230_5 Depth=1
	s_wait_alu 0xfffe
	s_or_b32 exec_lo, exec_lo, s20
	v_dual_mov_b32 v130, v85 :: v_dual_mov_b32 v131, v86
	s_mov_b32 s1, 8
	s_mov_b32 s21, 6
	;; [unrolled: 1-line block ×3, first 2 shown]
	s_wait_loadcnt_dscnt 0x0
	s_barrier_signal -1
	s_barrier_wait -1
	global_inv scope:SCOPE_SE
.LBB230_19:                             ;   Parent Loop BB230_5 Depth=1
                                        ; =>  This Inner Loop Header: Depth=2
	ds_load_b128 v[20:23], v130
	ds_load_b128 v[33:36], v130 offset:16
	s_wait_alu 0xfffe
	s_add_co_i32 s22, s21, 2
	s_and_b32 s26, s1, -16
	s_wait_alu 0xfffe
	s_and_b32 s25, s22, 0x3ffffff8
	s_lshr_b32 s24, s22, 4
	s_wait_alu 0xfffe
	v_lshl_add_u32 v142, s25, 2, v94
	s_lshl_b32 s23, s24, 5
	s_add_co_i32 s25, s21, -6
	s_add_co_i32 s21, s21, s26
	s_wait_alu 0xfffe
	s_addk_co_i32 s23, 0x4200
	v_add_nc_u32_e32 v37, s21, v95
	s_lshl_b32 s24, s24, 2
	v_add_nc_u32_e32 v39, 0x3198, v142
	s_wait_alu 0xfffe
	s_addk_co_i32 s24, 0x7380
	v_add3_u32 v182, s23, v126, v113
	v_add3_u32 v184, s23, v114, v115
	v_add3_u32 v214, s23, v118, v119
	v_add_nc_u32_e32 v130, 32, v130
	s_add_co_i32 s1, s1, 2
	s_wait_dscnt 0x1
	v_lshrrev_b16 v157, 8, v20
	v_ashrrev_i32_e32 v28, 24, v20
	v_bfe_i32 v26, v20, 16, 8
	v_bfe_i32 v158, v20, 0, 8
	v_perm_b32 v151, v20, v20, 0xc0c0302
	v_add_nc_u32_e32 v20, 0x3188, v142
	s_wait_dscnt 0x0
	v_lshrrev_b16 v163, 8, v33
	v_lshrrev_b16 v162, 8, v34
	v_ashrrev_i32_e32 v32, 24, v33
	v_bfe_i32 v30, v33, 16, 8
	v_bfe_i32 v164, v33, 0, 8
	v_perm_b32 v147, v33, v33, 0xc0c0302
	v_ashrrev_i32_e32 v33, 24, v34
	v_bfe_i32 v31, v34, 16, 8
	v_bfe_i32 v144, v34, 0, 8
	v_perm_b32 v140, v34, v34, 0xc030201
	v_add3_u32 v34, s23, v122, v123
	v_lshrrev_b16 v154, 8, v21
	v_lshrrev_b16 v153, 8, v22
	;; [unrolled: 1-line block ×3, first 2 shown]
	v_ashrrev_i32_e32 v29, 24, v21
	v_bfe_i32 v27, v21, 16, 8
	v_bfe_i32 v145, v21, 0, 8
	v_perm_b32 v141, v21, v21, 0xc030201
	v_ashrrev_i32_e32 v148, 24, v22
	v_bfe_i32 v150, v22, 16, 8
	v_bfe_i32 v139, v22, 0, 8
	v_perm_b32 v137, v22, v22, 0xc030201
	;; [unrolled: 4-line block ×3, first 2 shown]
	v_lshrrev_b16 v161, 8, v35
	v_lshrrev_b16 v146, 8, v36
	v_ashrrev_i32_e32 v155, 24, v35
	v_bfe_i32 v159, v35, 16, 8
	v_bfe_i32 v138, v35, 0, 8
	v_perm_b32 v136, v35, v35, 0xc030201
	v_ashrrev_i32_e32 v156, 24, v36
	v_bfe_i32 v160, v36, 16, 8
	v_bfe_i32 v134, v36, 0, 8
	v_perm_b32 v132, v36, v36, 0xc030201
	ds_load_2addr_b32 v[20:21], v20 offset1:1
	ds_load_2addr_b32 v[35:36], v34 offset0:4 offset1:5
	ds_load_2addr_b32 v[24:25], v34 offset0:6 offset1:7
	;; [unrolled: 1-line block ×3, first 2 shown]
	ds_load_u16 v169, v37 offset:28418
	s_wait_alu 0xfffe
	v_add3_u32 v37, s24, v124, v125
	v_bfe_i32 v163, v163, 0, 8
	v_bfe_i32 v162, v162, 0, 8
	;; [unrolled: 1-line block ×4, first 2 shown]
	ds_load_b32 v165, v37
	v_add_nc_u32_e32 v37, 0x3190, v142
	ds_load_2addr_b32 v[37:38], v37 offset1:1
	ds_load_2addr_b32 v[166:167], v39 offset1:1
	v_bfe_i32 v154, v154, 0, 8
	v_bfe_i32 v153, v153, 0, 8
	;; [unrolled: 1-line block ×3, first 2 shown]
	s_wait_dscnt 0x7
	v_ashrrev_i32_e32 v205, s25, v20
	s_wait_dscnt 0x6
	v_ashrrev_i32_e32 v36, s20, v36
	v_ashrrev_i32_e32 v35, s20, v35
	s_wait_dscnt 0x5
	v_ashrrev_i32_e32 v24, s20, v24
	v_ashrrev_i32_e32 v25, s20, v25
	;; [unrolled: 1-line block ×3, first 2 shown]
	v_lshlrev_b32_e32 v36, 2, v36
	v_lshlrev_b32_e32 v35, 2, v35
	;; [unrolled: 1-line block ×4, first 2 shown]
	s_wait_dscnt 0x4
	v_ashrrev_i32_e32 v22, s20, v22
	v_and_b32_e32 v36, 0x4040404, v36
	v_and_b32_e32 v35, 0x4040404, v35
	;; [unrolled: 1-line block ×4, first 2 shown]
	s_wait_dscnt 0x1
	v_ashrrev_i32_e32 v38, s25, v38
	v_ashrrev_i32_e32 v37, s25, v37
	v_lshrrev_b32_e32 v168, 24, v36
	v_lshrrev_b32_e32 v170, 24, v35
	s_wait_dscnt 0x0
	v_ashrrev_i32_e32 v192, s25, v166
	v_bfe_u32 v39, v38, 24, 2
	v_and_b32_e32 v38, 0x3030303, v38
	v_ashrrev_i32_e32 v193, s25, v167
	v_ashrrev_i32_e32 v23, s20, v23
	v_and_b32_e32 v196, 0x3030303, v192
	v_sub_nc_u16 v39, v39, v168
	v_bfe_u32 v168, v37, 24, 2
	v_and_b32_e32 v37, 0x3030303, v37
	v_and_b32_e32 v197, 0x3030303, v193
	v_sub_nc_u16 v24, v196, v194
	v_bfe_i32 v39, v39, 0, 16
	v_sub_nc_u16 v168, v168, v170
	v_and_b32_e32 v209, 0x3030303, v205
	v_sub_nc_u16 v25, v197, v195
	v_bfe_i32 v24, v24, 0, 8
	v_mul_i32_i24_e32 v33, v39, v33
	v_bfe_i32 v39, v168, 0, 16
	v_and_b32_e32 v210, 0x3030303, v206
	v_bfe_i32 v25, v25, 0, 8
	v_mul_i32_i24_e32 v24, v24, v138
	v_lshrrev_b16 v216, 8, v194
	v_mad_i32_i24 v190, v39, v32, v33
	v_lshrrev_b32_e32 v32, 16, v38
	v_lshrrev_b32_e32 v33, 16, v36
	;; [unrolled: 1-line block ×3, first 2 shown]
	v_mul_i32_i24_e32 v25, v25, v134
	v_bfe_i32 v143, v143, 0, 8
	s_delay_alu instid0(VALU_DEP_4) | instskip(SKIP_1) | instid1(VALU_DEP_2)
	v_sub_nc_u16 v32, v32, v33
	v_lshrrev_b32_e32 v33, 16, v37
	v_bfe_i32 v32, v32, 0, 8
	s_delay_alu instid0(VALU_DEP_2) | instskip(NEXT) | instid1(VALU_DEP_2)
	v_sub_nc_u16 v33, v33, v39
	v_mul_i32_i24_e32 v31, v32, v31
	s_delay_alu instid0(VALU_DEP_2) | instskip(NEXT) | instid1(VALU_DEP_1)
	v_bfe_i32 v32, v33, 0, 8
	v_mad_i32_i24 v191, v32, v30, v31
	v_sub_nc_u16 v30, v38, v36
	v_sub_nc_u16 v31, v37, v35
	v_add3_u32 v32, s24, v120, v121
	v_lshrrev_b16 v35, 8, v35
	s_delay_alu instid0(VALU_DEP_4) | instskip(NEXT) | instid1(VALU_DEP_4)
	v_bfe_i32 v30, v30, 0, 8
	v_bfe_i32 v31, v31, 0, 8
	s_delay_alu instid0(VALU_DEP_2) | instskip(NEXT) | instid1(VALU_DEP_1)
	v_mul_i32_i24_e32 v30, v30, v144
	v_mad_i32_i24 v30, v31, v164, v30
	s_delay_alu instid0(VALU_DEP_1)
	v_add3_u32 v198, v30, v24, v25
	v_add_nc_u32_e32 v30, 0x3180, v142
	ds_load_2addr_b32 v[24:25], v34 offset1:1
	ds_load_2addr_b32 v[30:31], v30 offset1:1
	ds_load_b32 v166, v32
	s_wait_dscnt 0x2
	v_ashrrev_i32_e32 v25, s20, v25
	v_ashrrev_i32_e32 v24, s20, v24
	s_wait_dscnt 0x1
	v_ashrrev_i32_e32 v31, s25, v31
	v_ashrrev_i32_e32 v30, s25, v30
	v_lshlrev_b32_e32 v25, 2, v25
	v_lshlrev_b32_e32 v24, 2, v24
	s_delay_alu instid0(VALU_DEP_4) | instskip(NEXT) | instid1(VALU_DEP_4)
	v_and_b32_e32 v202, 0x3030303, v31
	v_and_b32_e32 v203, 0x3030303, v30
	s_delay_alu instid0(VALU_DEP_4) | instskip(NEXT) | instid1(VALU_DEP_4)
	v_and_b32_e32 v199, 0x4040404, v25
	v_and_b32_e32 v200, 0x4040404, v24
	v_bfe_u32 v25, v31, 24, 2
	v_bfe_u32 v24, v30, 24, 2
	s_delay_alu instid0(VALU_DEP_4) | instskip(NEXT) | instid1(VALU_DEP_4)
	v_sub_nc_u16 v20, v202, v199
	v_sub_nc_u16 v21, v203, v200
	v_lshrrev_b32_e32 v32, 24, v199
	s_delay_alu instid0(VALU_DEP_3) | instskip(NEXT) | instid1(VALU_DEP_3)
	v_bfe_i32 v20, v20, 0, 8
	v_bfe_i32 v21, v21, 0, 8
	s_delay_alu instid0(VALU_DEP_3) | instskip(SKIP_1) | instid1(VALU_DEP_4)
	v_sub_nc_u16 v25, v25, v32
	v_lshrrev_b32_e32 v32, 24, v200
	v_mul_i32_i24_e32 v20, v20, v145
	s_delay_alu instid0(VALU_DEP_3) | instskip(NEXT) | instid1(VALU_DEP_3)
	v_bfe_i32 v25, v25, 0, 16
	v_sub_nc_u16 v24, v24, v32
	s_delay_alu instid0(VALU_DEP_3) | instskip(SKIP_4) | instid1(VALU_DEP_4)
	v_mad_i32_i24 v20, v21, v158, v20
	v_lshlrev_b32_e32 v21, 2, v22
	v_lshlrev_b32_e32 v22, 2, v23
	v_mul_i32_i24_e32 v25, v25, v29
	v_bfe_i32 v24, v24, 0, 16
	v_and_b32_e32 v207, 0x4040404, v21
	s_delay_alu instid0(VALU_DEP_4) | instskip(NEXT) | instid1(VALU_DEP_3)
	v_and_b32_e32 v208, 0x4040404, v22
	v_mad_i32_i24 v201, v24, v28, v25
	v_lshrrev_b32_e32 v24, 16, v202
	s_delay_alu instid0(VALU_DEP_4) | instskip(NEXT) | instid1(VALU_DEP_4)
	v_sub_nc_u16 v21, v209, v207
	v_sub_nc_u16 v22, v210, v208
	v_lshrrev_b32_e32 v25, 16, v199
	v_lshrrev_b32_e32 v28, 16, v200
	v_lshrrev_b16 v200, 8, v200
	v_bfe_i32 v21, v21, 0, 8
	v_bfe_i32 v22, v22, 0, 8
	v_sub_nc_u16 v24, v24, v25
	v_lshrrev_b32_e32 v25, 16, v203
	v_lshrrev_b16 v203, 8, v203
	v_mul_i32_i24_e32 v21, v21, v139
	v_mul_i32_i24_e32 v22, v22, v135
	v_bfe_i32 v24, v24, 0, 8
	v_sub_nc_u16 v25, v25, v28
	v_lshrrev_b16 v202, 8, v202
	v_lshrrev_b16 v199, 8, v199
	v_add3_u32 v211, v20, v21, v22
	ds_load_2addr_b32 v[170:171], v182 offset0:4 offset1:5
	ds_load_2addr_b32 v[20:21], v182 offset0:6 offset1:7
	;; [unrolled: 1-line block ×3, first 2 shown]
	v_mul_i32_i24_e32 v24, v24, v27
	v_bfe_i32 v25, v25, 0, 8
	v_add_nc_u32_e32 v27, 0x1098, v142
	v_sub_nc_u16 v200, v203, v200
	v_sub_nc_u16 v199, v202, v199
	v_lshrrev_b16 v202, 8, v209
	v_mad_i32_i24 v204, v25, v26, v24
	v_lshrrev_b16 v203, 8, v207
	v_bfe_i32 v200, v200, 0, 16
	v_bfe_i32 v199, v199, 0, 16
	s_delay_alu instid0(VALU_DEP_3) | instskip(NEXT) | instid1(VALU_DEP_2)
	v_sub_nc_u16 v202, v202, v203
	v_mul_i32_i24_e32 v154, v199, v154
	s_wait_dscnt 0x2
	v_ashrrev_i32_e32 v22, s20, v170
	s_delay_alu instid0(VALU_DEP_3)
	v_bfe_i32 v199, v202, 0, 16
	s_wait_dscnt 0x0
	v_ashrrev_i32_e32 v28, s20, v28
	v_ashrrev_i32_e32 v20, s20, v20
	v_ashrrev_i32_e32 v29, s20, v29
	v_lshlrev_b32_e32 v22, 2, v22
	v_mul_i32_i24_e32 v153, v199, v153
	v_lshlrev_b32_e32 v28, 2, v28
	v_lshlrev_b32_e32 v20, 2, v20
	;; [unrolled: 1-line block ×3, first 2 shown]
	v_and_b32_e32 v170, 0x4040404, v22
	ds_load_2addr_b32 v[172:173], v142 offset0:4 offset1:5
	ds_load_2addr_b32 v[22:23], v142 offset0:6 offset1:7
	;; [unrolled: 1-line block ×3, first 2 shown]
	v_and_b32_e32 v28, 0x4040404, v28
	v_and_b32_e32 v20, 0x4040404, v20
	;; [unrolled: 1-line block ×3, first 2 shown]
	v_lshrrev_b16 v25, 8, v170
	s_wait_dscnt 0x2
	v_ashrrev_i32_e32 v172, s25, v172
	s_wait_dscnt 0x1
	v_ashrrev_i32_e32 v22, s25, v22
	;; [unrolled: 2-line block ×3, first 2 shown]
	v_ashrrev_i32_e32 v23, s25, v23
	v_and_b32_e32 v212, 0x3030303, v172
	s_delay_alu instid0(VALU_DEP_1) | instskip(NEXT) | instid1(VALU_DEP_1)
	v_lshrrev_b16 v24, 8, v212
	v_sub_nc_u16 v183, v24, v25
	v_add_nc_u32_e32 v24, s21, v98
	s_delay_alu instid0(VALU_DEP_2)
	v_lshlrev_b16 v183, 8, v183
	ds_load_u16 v168, v24 offset:26370
	v_add3_u32 v24, s24, v116, v117
	v_bfe_i32 v183, v183, 8, 8
	ds_load_b32 v167, v24
	ds_load_2addr_b32 v[174:175], v184 offset0:4 offset1:5
	ds_load_2addr_b32 v[24:25], v184 offset0:6 offset1:7
	;; [unrolled: 1-line block ×3, first 2 shown]
	s_wait_dscnt 0x2
	v_ashrrev_i32_e32 v26, s20, v174
	s_wait_dscnt 0x1
	v_ashrrev_i32_e32 v24, s20, v24
	;; [unrolled: 2-line block ×3, first 2 shown]
	v_ashrrev_i32_e32 v33, s20, v33
	v_ashrrev_i32_e32 v25, s20, v25
	v_lshlrev_b32_e32 v26, 2, v26
	v_lshlrev_b32_e32 v24, 2, v24
	;; [unrolled: 1-line block ×5, first 2 shown]
	v_and_b32_e32 v174, 0x4040404, v26
	v_add_nc_u32_e32 v26, 0x1090, v142
	ds_load_2addr_b32 v[176:177], v26 offset1:1
	ds_load_2addr_b32 v[26:27], v27 offset1:1
	v_lshrrev_b16 v39, 8, v174
	v_and_b32_e32 v32, 0x4040404, v32
	v_and_b32_e32 v24, 0x4040404, v24
	;; [unrolled: 1-line block ×4, first 2 shown]
	s_wait_dscnt 0x1
	v_ashrrev_i32_e32 v176, s25, v176
	s_wait_dscnt 0x0
	v_ashrrev_i32_e32 v26, s25, v26
	v_ashrrev_i32_e32 v27, s25, v27
	s_delay_alu instid0(VALU_DEP_3) | instskip(NEXT) | instid1(VALU_DEP_1)
	v_and_b32_e32 v213, 0x3030303, v176
	v_lshrrev_b16 v34, 8, v213
	v_sub_nc_u16 v217, v213, v174
	s_delay_alu instid0(VALU_DEP_2) | instskip(SKIP_1) | instid1(VALU_DEP_3)
	v_sub_nc_u16 v185, v34, v39
	v_lshrrev_b16 v34, 8, v37
	v_bfe_i32 v217, v217, 0, 8
	s_delay_alu instid0(VALU_DEP_2)
	v_sub_nc_u16 v186, v34, v35
	v_lshrrev_b16 v35, 8, v36
	ds_load_2addr_b32 v[178:179], v214 offset0:4 offset1:5
	ds_load_2addr_b32 v[36:37], v214 offset0:2 offset1:3
	v_lshrrev_b16 v34, 8, v38
	v_add_nc_u32_e32 v38, 0x2108, v142
	v_mul_i32_i24_e32 v217, v164, v217
	s_delay_alu instid0(VALU_DEP_3)
	v_sub_nc_u16 v187, v34, v35
	v_add_nc_u32_e32 v35, 0x2118, v142
	s_wait_dscnt 0x1
	v_ashrrev_i32_e32 v34, s20, v178
	s_wait_dscnt 0x0
	v_ashrrev_i32_e32 v36, s20, v36
	s_delay_alu instid0(VALU_DEP_2) | instskip(NEXT) | instid1(VALU_DEP_2)
	v_lshlrev_b32_e32 v34, 2, v34
	v_lshlrev_b32_e32 v36, 2, v36
	s_delay_alu instid0(VALU_DEP_2)
	v_and_b32_e32 v178, 0x4040404, v34
	v_add_nc_u32_e32 v34, 0x2110, v142
	ds_load_2addr_b32 v[180:181], v34 offset1:1
	ds_load_2addr_b32 v[34:35], v35 offset1:1
	;; [unrolled: 1-line block ×3, first 2 shown]
	v_lshrrev_b16 v189, 8, v178
	v_and_b32_e32 v36, 0x4040404, v36
	s_wait_dscnt 0x2
	v_ashrrev_i32_e32 v180, s25, v180
	s_wait_dscnt 0x1
	v_ashrrev_i32_e32 v34, s25, v34
	;; [unrolled: 2-line block ×3, first 2 shown]
	v_ashrrev_i32_e32 v35, s25, v35
	v_and_b32_e32 v215, 0x3030303, v180
	s_delay_alu instid0(VALU_DEP_1) | instskip(SKIP_1) | instid1(VALU_DEP_2)
	v_lshrrev_b16 v188, 8, v215
	v_sub_nc_u16 v218, v215, v178
	v_sub_nc_u16 v188, v188, v189
	v_lshrrev_b16 v189, 8, v196
	s_delay_alu instid0(VALU_DEP_3) | instskip(NEXT) | instid1(VALU_DEP_2)
	v_bfe_i32 v218, v218, 0, 8
	v_sub_nc_u16 v189, v189, v216
	v_sub_nc_u16 v216, v212, v170
	s_delay_alu instid0(VALU_DEP_1) | instskip(NEXT) | instid1(VALU_DEP_1)
	v_bfe_i32 v216, v216, 0, 8
	v_mul_i32_i24_e32 v216, v164, v216
	v_mul_i32_i24_e32 v164, v164, v218
	s_delay_alu instid0(VALU_DEP_2) | instskip(SKIP_2) | instid1(VALU_DEP_2)
	v_mad_i32_i24 v216, v163, v183, v216
	v_lshlrev_b16 v183, 8, v185
	v_add_nc_u32_e32 v185, 0x1080, v142
	v_bfe_i32 v183, v183, 8, 8
	s_delay_alu instid0(VALU_DEP_1) | instskip(SKIP_1) | instid1(VALU_DEP_1)
	v_mad_i32_i24 v217, v163, v183, v217
	v_lshlrev_b16 v183, 8, v188
	v_bfe_i32 v183, v183, 8, 8
	s_delay_alu instid0(VALU_DEP_1) | instskip(SKIP_1) | instid1(VALU_DEP_1)
	v_mad_i32_i24 v218, v163, v183, v164
	v_bfe_i32 v164, v186, 0, 16
	v_mul_i32_i24_e32 v163, v164, v163
	v_bfe_i32 v164, v187, 0, 16
	s_delay_alu instid0(VALU_DEP_1) | instskip(SKIP_1) | instid1(VALU_DEP_1)
	v_mul_i32_i24_e32 v162, v164, v162
	v_bfe_i32 v164, v189, 0, 16
	v_mul_i32_i24_e32 v161, v164, v161
	s_delay_alu instid0(VALU_DEP_1)
	v_add3_u32 v219, v163, v162, v161
	ds_load_2addr_b32 v[161:162], v182 offset1:1
	ds_load_2addr_b32 v[163:164], v142 offset1:1
	s_wait_dscnt 0x1
	v_ashrrev_i32_e32 v161, s20, v161
	s_wait_dscnt 0x0
	v_ashrrev_i32_e32 v163, s25, v163
	s_delay_alu instid0(VALU_DEP_2) | instskip(NEXT) | instid1(VALU_DEP_2)
	v_lshlrev_b32_e32 v161, 2, v161
	v_and_b32_e32 v221, 0x3030303, v163
	s_delay_alu instid0(VALU_DEP_2) | instskip(NEXT) | instid1(VALU_DEP_2)
	v_and_b32_e32 v220, 0x4040404, v161
	v_lshrrev_b16 v161, 8, v221
	s_delay_alu instid0(VALU_DEP_2) | instskip(SKIP_1) | instid1(VALU_DEP_2)
	v_lshrrev_b16 v182, 8, v220
	v_sub_nc_u16 v203, v221, v220
	v_sub_nc_u16 v222, v161, v182
	v_add3_u32 v161, s24, v127, v128
	s_delay_alu instid0(VALU_DEP_3) | instskip(NEXT) | instid1(VALU_DEP_3)
	v_bfe_i32 v203, v203, 0, 8
	v_lshlrev_b16 v222, 8, v222
	ds_load_b32 v161, v161
	ds_load_2addr_b32 v[182:183], v184 offset1:1
	ds_load_2addr_b32 v[184:185], v185 offset1:1
	v_mul_i32_i24_e32 v203, v158, v203
	v_bfe_i32 v222, v222, 8, 8
	s_delay_alu instid0(VALU_DEP_1) | instskip(SKIP_4) | instid1(VALU_DEP_2)
	v_mad_i32_i24 v203, v157, v222, v203
	s_wait_dscnt 0x1
	v_ashrrev_i32_e32 v182, s20, v182
	s_wait_dscnt 0x0
	v_ashrrev_i32_e32 v184, s25, v184
	v_lshlrev_b32_e32 v182, 2, v182
	s_delay_alu instid0(VALU_DEP_2) | instskip(NEXT) | instid1(VALU_DEP_2)
	v_and_b32_e32 v223, 0x3030303, v184
	v_and_b32_e32 v182, 0x4040404, v182
	s_delay_alu instid0(VALU_DEP_2) | instskip(NEXT) | instid1(VALU_DEP_2)
	v_lshrrev_b16 v186, 8, v223
	v_lshrrev_b16 v187, 8, v182
	s_delay_alu instid0(VALU_DEP_1) | instskip(SKIP_4) | instid1(VALU_DEP_1)
	v_sub_nc_u16 v224, v186, v187
	v_add_nc_u32_e32 v186, 0x2100, v142
	ds_load_2addr_b32 v[186:187], v186 offset1:1
	ds_load_2addr_b32 v[188:189], v214 offset1:1
	v_lshlrev_b16 v222, 8, v224
	v_bfe_i32 v222, v222, 8, 8
	s_wait_dscnt 0x1
	v_ashrrev_i32_e32 v186, s25, v186
	s_wait_dscnt 0x0
	v_ashrrev_i32_e32 v188, s20, v188
	s_delay_alu instid0(VALU_DEP_2) | instskip(NEXT) | instid1(VALU_DEP_2)
	v_and_b32_e32 v225, 0x3030303, v186
	v_lshlrev_b32_e32 v188, 2, v188
	s_delay_alu instid0(VALU_DEP_2) | instskip(NEXT) | instid1(VALU_DEP_2)
	v_lshrrev_b16 v226, 8, v225
	v_and_b32_e32 v188, 0x4040404, v188
	s_delay_alu instid0(VALU_DEP_1) | instskip(SKIP_1) | instid1(VALU_DEP_2)
	v_lshrrev_b16 v227, 8, v188
	v_sub_nc_u16 v228, v225, v188
	v_sub_nc_u16 v226, v226, v227
	;; [unrolled: 1-line block ×3, first 2 shown]
	s_delay_alu instid0(VALU_DEP_3) | instskip(NEXT) | instid1(VALU_DEP_3)
	v_bfe_i32 v228, v228, 0, 8
	v_lshlrev_b16 v224, 8, v226
	s_delay_alu instid0(VALU_DEP_3) | instskip(NEXT) | instid1(VALU_DEP_2)
	v_bfe_i32 v227, v227, 0, 8
	v_bfe_i32 v224, v224, 8, 8
	s_delay_alu instid0(VALU_DEP_2) | instskip(SKIP_1) | instid1(VALU_DEP_2)
	v_mul_i32_i24_e32 v227, v158, v227
	v_mul_i32_i24_e32 v158, v158, v228
	v_mad_i32_i24 v222, v157, v222, v227
	s_delay_alu instid0(VALU_DEP_2) | instskip(SKIP_1) | instid1(VALU_DEP_1)
	v_mad_i32_i24 v158, v157, v224, v158
	v_mul_i32_i24_e32 v157, v200, v157
	v_add3_u32 v153, v157, v154, v153
	v_lshrrev_b32_e32 v154, 16, v196
	v_lshrrev_b32_e32 v157, 16, v194
	;; [unrolled: 1-line block ×3, first 2 shown]
	s_delay_alu instid0(VALU_DEP_2) | instskip(SKIP_1) | instid1(VALU_DEP_2)
	v_sub_nc_u16 v154, v154, v157
	v_lshrrev_b32_e32 v157, 16, v197
	v_bfe_i32 v154, v154, 0, 8
	s_delay_alu instid0(VALU_DEP_2) | instskip(NEXT) | instid1(VALU_DEP_2)
	v_sub_nc_u16 v157, v157, v196
	v_mul_i32_i24_e32 v154, v154, v159
	s_delay_alu instid0(VALU_DEP_2) | instskip(SKIP_1) | instid1(VALU_DEP_2)
	v_bfe_i32 v157, v157, 0, 8
	v_lshrrev_b32_e32 v159, 24, v194
	v_mul_i32_i24_e32 v157, v157, v160
	v_lshrrev_b32_e32 v160, 24, v195
	s_delay_alu instid0(VALU_DEP_2) | instskip(SKIP_1) | instid1(VALU_DEP_1)
	v_add3_u32 v154, v191, v154, v157
	v_bfe_u32 v157, v192, 24, 2
	v_sub_nc_u16 v157, v157, v159
	v_bfe_u32 v159, v193, 24, 2
	s_delay_alu instid0(VALU_DEP_2) | instskip(NEXT) | instid1(VALU_DEP_2)
	v_bfe_i32 v157, v157, 0, 16
	v_sub_nc_u16 v159, v159, v160
	v_lshrrev_b32_e32 v160, 24, v182
	s_delay_alu instid0(VALU_DEP_3) | instskip(NEXT) | instid1(VALU_DEP_3)
	v_mul_i32_i24_e32 v155, v157, v155
	v_bfe_i32 v157, v159, 0, 16
	v_lshrrev_b32_e32 v159, 16, v220
	s_delay_alu instid0(VALU_DEP_2) | instskip(SKIP_1) | instid1(VALU_DEP_2)
	v_mul_i32_i24_e32 v156, v157, v156
	v_lshrrev_b32_e32 v157, 24, v220
	v_add3_u32 v155, v190, v155, v156
	v_bfe_u32 v156, v163, 24, 2
	v_lshrrev_b32_e32 v163, 16, v182
	v_lshrrev_b32_e32 v182, 24, v188
	s_delay_alu instid0(VALU_DEP_3) | instskip(SKIP_1) | instid1(VALU_DEP_2)
	v_sub_nc_u16 v156, v156, v157
	v_lshrrev_b32_e32 v157, 16, v221
	v_lshlrev_b16 v156, 8, v156
	s_delay_alu instid0(VALU_DEP_2) | instskip(SKIP_2) | instid1(VALU_DEP_2)
	v_sub_nc_u16 v157, v157, v159
	v_bfe_u32 v159, v184, 24, 2
	v_lshrrev_b32_e32 v184, 16, v188
	v_sub_nc_u16 v159, v159, v160
	v_lshrrev_b32_e32 v160, 16, v223
	s_delay_alu instid0(VALU_DEP_2) | instskip(NEXT) | instid1(VALU_DEP_2)
	v_lshlrev_b16 v159, 8, v159
	v_sub_nc_u16 v160, v160, v163
	v_bfe_u32 v163, v186, 24, 2
	s_delay_alu instid0(VALU_DEP_1) | instskip(SKIP_1) | instid1(VALU_DEP_2)
	v_sub_nc_u16 v163, v163, v182
	v_lshrrev_b32_e32 v182, 16, v225
	v_lshlrev_b16 v163, 8, v163
	s_delay_alu instid0(VALU_DEP_2) | instskip(SKIP_1) | instid1(VALU_DEP_1)
	v_sub_nc_u16 v182, v182, v184
	v_and_b32_e32 v184, 0xff, v157
	v_or_b32_e32 v156, v184, v156
	v_and_b32_e32 v184, 0xff, v160
	s_delay_alu instid0(VALU_DEP_2) | instskip(NEXT) | instid1(VALU_DEP_2)
	v_perm_b32 v156, v156, v157, 0xc0c0500
	v_or_b32_e32 v159, v184, v159
	v_and_b32_e32 v184, 0xff, v182
	s_delay_alu instid0(VALU_DEP_3) | instskip(NEXT) | instid1(VALU_DEP_3)
	v_dot4_i32_iu8 v156, v151, v156, v203 neg_lo:[1,1,0]
	v_perm_b32 v157, v159, v160, 0xc0c0500
	s_delay_alu instid0(VALU_DEP_3) | instskip(SKIP_1) | instid1(VALU_DEP_3)
	v_or_b32_e32 v163, v184, v163
	v_lshrrev_b32_e32 v160, 16, v208
	v_dot4_i32_iu8 v157, v151, v157, v222 neg_lo:[1,1,0]
	s_delay_alu instid0(VALU_DEP_3) | instskip(SKIP_1) | instid1(VALU_DEP_2)
	v_perm_b32 v159, v163, v182, 0xc0c0500
	v_lshrrev_b32_e32 v163, 24, v178
	v_dot4_i32_iu8 v151, v151, v159, v158 neg_lo:[1,1,0]
	v_lshrrev_b32_e32 v158, 16, v209
	v_lshrrev_b32_e32 v159, 16, v207
	s_delay_alu instid0(VALU_DEP_1) | instskip(SKIP_1) | instid1(VALU_DEP_2)
	v_sub_nc_u16 v158, v158, v159
	v_lshrrev_b32_e32 v159, 16, v210
	v_bfe_i32 v158, v158, 0, 8
	s_delay_alu instid0(VALU_DEP_2) | instskip(SKIP_1) | instid1(VALU_DEP_3)
	v_sub_nc_u16 v159, v159, v160
	v_lshrrev_b32_e32 v160, 16, v174
	v_mul_i32_i24_e32 v150, v158, v150
	s_delay_alu instid0(VALU_DEP_3) | instskip(SKIP_1) | instid1(VALU_DEP_2)
	v_bfe_i32 v158, v159, 0, 8
	v_lshrrev_b32_e32 v159, 24, v208
	v_mul_i32_i24_e32 v152, v158, v152
	v_lshrrev_b32_e32 v158, 24, v207
	s_delay_alu instid0(VALU_DEP_2) | instskip(SKIP_1) | instid1(VALU_DEP_1)
	v_add3_u32 v150, v204, v150, v152
	v_bfe_u32 v152, v205, 24, 2
	v_sub_nc_u16 v152, v152, v158
	v_bfe_u32 v158, v206, 24, 2
	s_delay_alu instid0(VALU_DEP_2) | instskip(NEXT) | instid1(VALU_DEP_2)
	v_bfe_i32 v152, v152, 0, 16
	v_sub_nc_u16 v158, v158, v159
	v_lshrrev_b32_e32 v159, 24, v174
	s_delay_alu instid0(VALU_DEP_3) | instskip(NEXT) | instid1(VALU_DEP_3)
	v_mul_i32_i24_e32 v148, v152, v148
	v_bfe_i32 v152, v158, 0, 16
	v_lshrrev_b32_e32 v158, 16, v170
	s_delay_alu instid0(VALU_DEP_2) | instskip(SKIP_2) | instid1(VALU_DEP_3)
	v_mul_i32_i24_e32 v149, v152, v149
	v_lshrrev_b32_e32 v152, 24, v170
	v_lshrrev_b32_e32 v170, 16, v178
	v_add3_u32 v148, v201, v148, v149
	v_bfe_u32 v149, v172, 24, 2
	s_delay_alu instid0(VALU_DEP_1) | instskip(SKIP_1) | instid1(VALU_DEP_2)
	v_sub_nc_u16 v149, v149, v152
	v_lshrrev_b32_e32 v152, 16, v212
	v_lshlrev_b16 v149, 8, v149
	s_delay_alu instid0(VALU_DEP_2) | instskip(SKIP_1) | instid1(VALU_DEP_1)
	v_sub_nc_u16 v152, v152, v158
	v_bfe_u32 v158, v176, 24, 2
	v_sub_nc_u16 v158, v158, v159
	v_lshrrev_b32_e32 v159, 16, v213
	s_delay_alu instid0(VALU_DEP_2) | instskip(NEXT) | instid1(VALU_DEP_2)
	v_lshlrev_b16 v158, 8, v158
	v_sub_nc_u16 v159, v159, v160
	v_bfe_u32 v160, v180, 24, 2
	s_delay_alu instid0(VALU_DEP_1) | instskip(SKIP_1) | instid1(VALU_DEP_2)
	v_sub_nc_u16 v160, v160, v163
	v_lshrrev_b32_e32 v163, 16, v215
	v_lshlrev_b16 v160, 8, v160
	s_delay_alu instid0(VALU_DEP_2) | instskip(SKIP_1) | instid1(VALU_DEP_1)
	v_sub_nc_u16 v163, v163, v170
	v_and_b32_e32 v170, 0xff, v152
	v_or_b32_e32 v149, v170, v149
	v_and_b32_e32 v170, 0xff, v159
	s_delay_alu instid0(VALU_DEP_2) | instskip(NEXT) | instid1(VALU_DEP_2)
	v_perm_b32 v149, v149, v152, 0xc0c0500
	v_or_b32_e32 v158, v170, v158
	v_and_b32_e32 v170, 0xff, v163
	s_delay_alu instid0(VALU_DEP_3) | instskip(NEXT) | instid1(VALU_DEP_3)
	v_dot4_i32_iu8 v149, v147, v149, v216 neg_lo:[1,1,0]
	v_perm_b32 v152, v158, v159, 0xc0c0500
	s_delay_alu instid0(VALU_DEP_3) | instskip(SKIP_1) | instid1(VALU_DEP_3)
	v_or_b32_e32 v160, v170, v160
	v_lshrrev_b16 v159, 8, v195
	v_dot4_i32_iu8 v152, v147, v152, v217 neg_lo:[1,1,0]
	s_delay_alu instid0(VALU_DEP_3) | instskip(SKIP_2) | instid1(VALU_DEP_3)
	v_perm_b32 v158, v160, v163, 0xc0c0500
	v_ashrrev_i32_e32 v160, s20, v189
	v_ashrrev_i32_e32 v163, s25, v187
	v_dot4_i32_iu8 v147, v147, v158, v218 neg_lo:[1,1,0]
	v_lshrrev_b16 v158, 8, v197
	s_delay_alu instid0(VALU_DEP_4) | instskip(NEXT) | instid1(VALU_DEP_2)
	v_lshlrev_b32_e32 v160, 2, v160
	v_sub_nc_u16 v158, v158, v159
	v_ashrrev_i32_e32 v159, s20, v183
	s_delay_alu instid0(VALU_DEP_3) | instskip(NEXT) | instid1(VALU_DEP_3)
	v_and_b32_e32 v160, 0x4040404, v160
	v_bfe_i32 v158, v158, 0, 16
	s_delay_alu instid0(VALU_DEP_3) | instskip(NEXT) | instid1(VALU_DEP_2)
	v_lshlrev_b32_e32 v159, 2, v159
	v_mul_i32_i24_e32 v146, v158, v146
	v_ashrrev_i32_e32 v158, s20, v162
	v_ashrrev_i32_e32 v162, s25, v185
	s_delay_alu instid0(VALU_DEP_4) | instskip(NEXT) | instid1(VALU_DEP_4)
	v_and_b32_e32 v159, 0x4040404, v159
	v_add3_u32 v146, v219, v146, v155
	v_ashrrev_i32_e32 v155, s25, v164
	v_lshlrev_b32_e32 v158, 2, v158
	s_delay_alu instid0(VALU_DEP_3) | instskip(NEXT) | instid1(VALU_DEP_3)
	v_add3_u32 v146, v198, v154, v146
	v_and_b32_e32 v164, 0x3030303, v155
	s_delay_alu instid0(VALU_DEP_3) | instskip(NEXT) | instid1(VALU_DEP_1)
	v_and_b32_e32 v158, 0x4040404, v158
	v_sub_nc_u16 v170, v164, v158
	v_lshrrev_b32_e32 v154, 24, v158
	s_delay_alu instid0(VALU_DEP_2) | instskip(NEXT) | instid1(VALU_DEP_1)
	v_bfe_i32 v170, v170, 0, 8
	v_mad_i32_i24 v156, v145, v170, v156
	v_and_b32_e32 v170, 0x3030303, v162
	s_delay_alu instid0(VALU_DEP_1) | instskip(NEXT) | instid1(VALU_DEP_1)
	v_sub_nc_u16 v172, v170, v159
	v_bfe_i32 v172, v172, 0, 8
	s_delay_alu instid0(VALU_DEP_1) | instskip(SKIP_2) | instid1(VALU_DEP_2)
	v_mad_i32_i24 v157, v145, v172, v157
	v_and_b32_e32 v172, 0x3030303, v163
	v_bfe_u32 v163, v163, 24, 2
	v_sub_nc_u16 v174, v172, v160
	s_delay_alu instid0(VALU_DEP_1) | instskip(NEXT) | instid1(VALU_DEP_1)
	v_bfe_i32 v174, v174, 0, 8
	v_mad_i32_i24 v145, v145, v174, v151
	v_lshrrev_b16 v151, 8, v210
	v_lshrrev_b16 v174, 8, v208
	s_delay_alu instid0(VALU_DEP_1) | instskip(SKIP_1) | instid1(VALU_DEP_2)
	v_sub_nc_u16 v151, v151, v174
	v_ashrrev_i32_e32 v174, s25, v181
	v_bfe_i32 v151, v151, 0, 16
	s_delay_alu instid0(VALU_DEP_1) | instskip(SKIP_2) | instid1(VALU_DEP_3)
	v_mul_i32_i24_e32 v143, v151, v143
	v_ashrrev_i32_e32 v151, s20, v171
	v_ashrrev_i32_e32 v171, s20, v179
	v_add3_u32 v143, v153, v143, v148
	v_ashrrev_i32_e32 v148, s25, v173
	s_delay_alu instid0(VALU_DEP_4)
	v_lshlrev_b32_e32 v151, 2, v151
	v_ashrrev_i32_e32 v153, s20, v175
	v_ashrrev_i32_e32 v173, s25, v177
	v_lshlrev_b32_e32 v171, 2, v171
	v_and_b32_e32 v175, 0x3030303, v148
	v_and_b32_e32 v151, 0x4040404, v151
	v_lshlrev_b32_e32 v153, 2, v153
	v_add3_u32 v150, v211, v150, v143
	v_and_b32_e32 v171, 0x4040404, v171
	s_delay_alu instid0(VALU_DEP_4) | instskip(NEXT) | instid1(VALU_DEP_4)
	v_sub_nc_u16 v176, v175, v151
	v_and_b32_e32 v153, 0x4040404, v153
	v_lshrrev_b32_e32 v143, 24, v151
	s_delay_alu instid0(VALU_DEP_3) | instskip(NEXT) | instid1(VALU_DEP_1)
	v_bfe_i32 v176, v176, 0, 8
	v_mad_i32_i24 v149, v144, v176, v149
	v_and_b32_e32 v176, 0x3030303, v173
	s_delay_alu instid0(VALU_DEP_1) | instskip(NEXT) | instid1(VALU_DEP_1)
	v_sub_nc_u16 v177, v176, v153
	v_bfe_i32 v177, v177, 0, 8
	s_delay_alu instid0(VALU_DEP_1) | instskip(SKIP_1) | instid1(VALU_DEP_1)
	v_mad_i32_i24 v152, v144, v177, v152
	v_and_b32_e32 v177, 0x3030303, v174
	v_sub_nc_u16 v178, v177, v171
	s_delay_alu instid0(VALU_DEP_1) | instskip(NEXT) | instid1(VALU_DEP_1)
	v_bfe_i32 v178, v178, 0, 8
	v_mad_i32_i24 v144, v144, v178, v147
	v_bfe_u32 v147, v155, 24, 2
	v_lshrrev_b32_e32 v155, 16, v158
	v_lshrrev_b16 v158, 8, v158
	s_delay_alu instid0(VALU_DEP_3) | instskip(SKIP_1) | instid1(VALU_DEP_2)
	v_sub_nc_u16 v147, v147, v154
	v_lshrrev_b32_e32 v154, 16, v164
	v_lshlrev_b16 v147, 8, v147
	s_delay_alu instid0(VALU_DEP_2) | instskip(SKIP_2) | instid1(VALU_DEP_2)
	v_sub_nc_u16 v154, v154, v155
	v_lshrrev_b16 v155, 8, v164
	v_lshrrev_b32_e32 v164, 16, v159
	v_sub_nc_u16 v155, v155, v158
	v_bfe_u32 v158, v162, 24, 2
	v_lshrrev_b32_e32 v162, 24, v159
	v_lshrrev_b16 v159, 8, v159
	s_delay_alu instid0(VALU_DEP_4) | instskip(NEXT) | instid1(VALU_DEP_3)
	v_lshlrev_b16 v155, 8, v155
	v_sub_nc_u16 v158, v158, v162
	v_lshrrev_b32_e32 v162, 16, v170
	s_delay_alu instid0(VALU_DEP_3) | instskip(NEXT) | instid1(VALU_DEP_3)
	v_perm_b32 v155, v155, v155, 0xc0c0c01
	v_lshlrev_b16 v158, 8, v158
	s_delay_alu instid0(VALU_DEP_3) | instskip(SKIP_2) | instid1(VALU_DEP_2)
	v_sub_nc_u16 v162, v162, v164
	v_lshrrev_b16 v164, 8, v170
	v_lshrrev_b32_e32 v170, 16, v160
	v_sub_nc_u16 v159, v164, v159
	v_lshrrev_b32_e32 v164, 24, v160
	v_lshrrev_b16 v160, 8, v160
	s_delay_alu instid0(VALU_DEP_2) | instskip(SKIP_1) | instid1(VALU_DEP_2)
	v_sub_nc_u16 v163, v163, v164
	v_lshrrev_b32_e32 v164, 16, v172
	v_lshlrev_b16 v163, 8, v163
	s_delay_alu instid0(VALU_DEP_2) | instskip(SKIP_1) | instid1(VALU_DEP_1)
	v_sub_nc_u16 v164, v164, v170
	v_lshrrev_b16 v170, 8, v172
	v_sub_nc_u16 v160, v170, v160
	v_and_b32_e32 v170, 0xff, v154
	s_delay_alu instid0(VALU_DEP_1) | instskip(SKIP_1) | instid1(VALU_DEP_2)
	v_or_b32_e32 v147, v170, v147
	v_and_b32_e32 v170, 0xff, v162
	v_perm_b32 v147, v147, v154, 0xc05000c
	s_delay_alu instid0(VALU_DEP_2) | instskip(SKIP_1) | instid1(VALU_DEP_3)
	v_or_b32_e32 v158, v170, v158
	v_and_b32_e32 v170, 0xff, v164
	v_or_b32_e32 v147, v147, v155
	v_lshlrev_b16 v155, 8, v159
	s_delay_alu instid0(VALU_DEP_4) | instskip(NEXT) | instid1(VALU_DEP_4)
	v_perm_b32 v154, v158, v162, 0xc05000c
	v_or_b32_e32 v163, v170, v163
	v_lshrrev_b16 v159, 8, v171
	v_dot4_i32_iu8 v147, v141, v147, v156 neg_lo:[1,1,0]
	v_perm_b32 v155, v155, v155, 0xc0c0c01
	v_lshrrev_b32_e32 v156, 16, v153
	v_perm_b32 v158, v163, v164, 0xc05000c
	s_delay_alu instid0(VALU_DEP_3) | instskip(SKIP_1) | instid1(VALU_DEP_2)
	v_or_b32_e32 v154, v154, v155
	v_lshlrev_b16 v155, 8, v160
	v_dot4_i32_iu8 v154, v141, v154, v157 neg_lo:[1,1,0]
	s_delay_alu instid0(VALU_DEP_2) | instskip(SKIP_1) | instid1(VALU_DEP_2)
	v_perm_b32 v155, v155, v155, 0xc0c0c01
	v_lshrrev_b32_e32 v157, 24, v171
	v_or_b32_e32 v155, v158, v155
	v_lshrrev_b32_e32 v158, 16, v171
	s_delay_alu instid0(VALU_DEP_2)
	v_dot4_i32_iu8 v145, v141, v155, v145 neg_lo:[1,1,0]
	v_bfe_u32 v141, v148, 24, 2
	v_lshrrev_b32_e32 v148, 16, v151
	v_lshrrev_b16 v151, 8, v151
	v_lshrrev_b32_e32 v155, 24, v153
	v_lshrrev_b16 v153, 8, v153
	v_sub_nc_u16 v141, v141, v143
	v_lshrrev_b32_e32 v143, 16, v175
	s_delay_alu instid0(VALU_DEP_2) | instskip(NEXT) | instid1(VALU_DEP_2)
	v_lshlrev_b16 v141, 8, v141
	v_sub_nc_u16 v143, v143, v148
	v_lshrrev_b16 v148, 8, v175
	s_delay_alu instid0(VALU_DEP_1) | instskip(SKIP_1) | instid1(VALU_DEP_2)
	v_sub_nc_u16 v148, v148, v151
	v_bfe_u32 v151, v173, 24, 2
	v_lshlrev_b16 v148, 8, v148
	s_delay_alu instid0(VALU_DEP_2) | instskip(SKIP_1) | instid1(VALU_DEP_3)
	v_sub_nc_u16 v151, v151, v155
	v_lshrrev_b32_e32 v155, 16, v176
	v_perm_b32 v148, v148, v148, 0xc0c0c01
	s_delay_alu instid0(VALU_DEP_3) | instskip(NEXT) | instid1(VALU_DEP_3)
	v_lshlrev_b16 v151, 8, v151
	v_sub_nc_u16 v155, v155, v156
	v_lshrrev_b16 v156, 8, v176
	s_delay_alu instid0(VALU_DEP_1) | instskip(SKIP_1) | instid1(VALU_DEP_1)
	v_sub_nc_u16 v153, v156, v153
	v_bfe_u32 v156, v174, 24, 2
	v_sub_nc_u16 v156, v156, v157
	v_lshrrev_b32_e32 v157, 16, v177
	s_delay_alu instid0(VALU_DEP_2) | instskip(NEXT) | instid1(VALU_DEP_2)
	v_lshlrev_b16 v156, 8, v156
	v_sub_nc_u16 v157, v157, v158
	v_lshrrev_b16 v158, 8, v177
	s_delay_alu instid0(VALU_DEP_1) | instskip(SKIP_1) | instid1(VALU_DEP_1)
	v_sub_nc_u16 v158, v158, v159
	v_and_b32_e32 v159, 0xff, v143
	v_or_b32_e32 v141, v159, v141
	v_and_b32_e32 v159, 0xff, v155
	s_delay_alu instid0(VALU_DEP_2) | instskip(NEXT) | instid1(VALU_DEP_2)
	v_perm_b32 v141, v141, v143, 0xc05000c
	v_or_b32_e32 v151, v159, v151
	v_and_b32_e32 v159, 0xff, v157
	s_delay_alu instid0(VALU_DEP_3) | instskip(SKIP_1) | instid1(VALU_DEP_4)
	v_or_b32_e32 v141, v141, v148
	v_lshlrev_b16 v148, 8, v153
	v_perm_b32 v143, v151, v155, 0xc05000c
	s_delay_alu instid0(VALU_DEP_4) | instskip(NEXT) | instid1(VALU_DEP_4)
	v_or_b32_e32 v156, v159, v156
	v_dot4_i32_iu8 v149, v140, v141, v149 neg_lo:[1,1,0]
	s_delay_alu instid0(VALU_DEP_4) | instskip(NEXT) | instid1(VALU_DEP_3)
	v_perm_b32 v148, v148, v148, 0xc0c0c01
	v_perm_b32 v151, v156, v157, 0xc05000c
	s_delay_alu instid0(VALU_DEP_2) | instskip(SKIP_1) | instid1(VALU_DEP_1)
	v_or_b32_e32 v143, v143, v148
	v_lshlrev_b16 v148, 8, v158
	v_perm_b32 v148, v148, v148, 0xc0c0c01
	s_delay_alu instid0(VALU_DEP_1) | instskip(NEXT) | instid1(VALU_DEP_4)
	v_or_b32_e32 v148, v151, v148
	v_dot4_i32_iu8 v151, v140, v143, v152 neg_lo:[1,1,0]
	s_delay_alu instid0(VALU_DEP_2) | instskip(SKIP_2) | instid1(VALU_DEP_2)
	v_dot4_i32_iu8 v144, v140, v148, v144 neg_lo:[1,1,0]
	v_and_b32_e32 v148, 0x3030303, v30
	v_bfe_u32 v30, v30, 24, 2
	v_sub_nc_u16 v140, v148, v28
	s_delay_alu instid0(VALU_DEP_1) | instskip(NEXT) | instid1(VALU_DEP_1)
	v_bfe_i32 v140, v140, 0, 8
	v_mad_i32_i24 v147, v139, v140, v147
	v_add_nc_u32_e32 v140, 0x1088, v142
	ds_load_2addr_b32 v[140:141], v140 offset1:1
	s_wait_dscnt 0x0
	v_ashrrev_i32_e32 v140, s25, v140
	s_delay_alu instid0(VALU_DEP_1) | instskip(SKIP_1) | instid1(VALU_DEP_2)
	v_and_b32_e32 v152, 0x3030303, v140
	v_bfe_u32 v140, v140, 24, 2
	v_sub_nc_u16 v142, v152, v32
	s_delay_alu instid0(VALU_DEP_1) | instskip(NEXT) | instid1(VALU_DEP_1)
	v_bfe_i32 v142, v142, 0, 8
	v_mad_i32_i24 v153, v139, v142, v154
	v_and_b32_e32 v154, 0x3030303, v38
	ds_load_2addr_b32 v[142:143], v214 offset0:6 offset1:7
	v_bfe_u32 v38, v38, 24, 2
	v_sub_nc_u16 v155, v154, v36
	s_delay_alu instid0(VALU_DEP_1) | instskip(NEXT) | instid1(VALU_DEP_1)
	v_bfe_i32 v155, v155, 0, 8
	v_mad_i32_i24 v139, v139, v155, v145
	v_and_b32_e32 v145, 0x3030303, v22
	v_bfe_u32 v22, v22, 24, 2
	s_delay_alu instid0(VALU_DEP_2) | instskip(SKIP_2) | instid1(VALU_DEP_2)
	v_sub_nc_u16 v155, v145, v20
	s_wait_dscnt 0x0
	v_ashrrev_i32_e32 v142, s20, v142
	v_bfe_i32 v155, v155, 0, 8
	s_delay_alu instid0(VALU_DEP_2) | instskip(NEXT) | instid1(VALU_DEP_2)
	v_lshlrev_b32_e32 v142, 2, v142
	v_mad_i32_i24 v149, v138, v155, v149
	v_and_b32_e32 v155, 0x3030303, v26
	s_delay_alu instid0(VALU_DEP_3) | instskip(SKIP_1) | instid1(VALU_DEP_3)
	v_and_b32_e32 v142, 0x4040404, v142
	v_bfe_u32 v26, v26, 24, 2
	v_sub_nc_u16 v156, v155, v24
	s_delay_alu instid0(VALU_DEP_1) | instskip(NEXT) | instid1(VALU_DEP_1)
	v_bfe_i32 v156, v156, 0, 8
	v_mad_i32_i24 v151, v138, v156, v151
	v_and_b32_e32 v156, 0x3030303, v34
	v_bfe_u32 v34, v34, 24, 2
	s_delay_alu instid0(VALU_DEP_2) | instskip(NEXT) | instid1(VALU_DEP_1)
	v_sub_nc_u16 v157, v156, v142
	v_bfe_i32 v157, v157, 0, 8
	s_delay_alu instid0(VALU_DEP_1) | instskip(SKIP_3) | instid1(VALU_DEP_3)
	v_mad_i32_i24 v138, v138, v157, v144
	v_lshrrev_b32_e32 v144, 24, v28
	v_lshrrev_b32_e32 v157, 16, v28
	v_lshrrev_b16 v28, 8, v28
	v_sub_nc_u16 v30, v30, v144
	v_lshrrev_b32_e32 v144, 16, v148
	v_lshrrev_b16 v148, 8, v148
	s_delay_alu instid0(VALU_DEP_3) | instskip(NEXT) | instid1(VALU_DEP_3)
	v_lshlrev_b16 v30, 8, v30
	v_sub_nc_u16 v144, v144, v157
	s_delay_alu instid0(VALU_DEP_3) | instskip(SKIP_3) | instid1(VALU_DEP_4)
	v_sub_nc_u16 v28, v148, v28
	v_lshrrev_b32_e32 v148, 24, v36
	v_lshrrev_b32_e32 v157, 16, v36
	v_lshrrev_b16 v36, 8, v36
	v_lshlrev_b16 v28, 8, v28
	s_delay_alu instid0(VALU_DEP_4) | instskip(SKIP_2) | instid1(VALU_DEP_4)
	v_sub_nc_u16 v38, v38, v148
	v_lshrrev_b32_e32 v148, 16, v154
	v_lshrrev_b16 v154, 8, v154
	v_perm_b32 v28, v28, v28, 0xc0c0c01
	s_delay_alu instid0(VALU_DEP_4) | instskip(NEXT) | instid1(VALU_DEP_4)
	v_lshlrev_b16 v38, 8, v38
	v_sub_nc_u16 v148, v148, v157
	s_delay_alu instid0(VALU_DEP_4) | instskip(SKIP_3) | instid1(VALU_DEP_3)
	v_sub_nc_u16 v36, v154, v36
	v_lshrrev_b32_e32 v154, 24, v32
	v_lshrrev_b32_e32 v157, 16, v32
	v_lshrrev_b16 v32, 8, v32
	v_sub_nc_u16 v140, v140, v154
	v_lshrrev_b32_e32 v154, 16, v152
	v_lshrrev_b16 v152, 8, v152
	s_delay_alu instid0(VALU_DEP_3) | instskip(NEXT) | instid1(VALU_DEP_3)
	v_lshlrev_b16 v140, 8, v140
	v_sub_nc_u16 v154, v154, v157
	s_delay_alu instid0(VALU_DEP_3) | instskip(SKIP_1) | instid1(VALU_DEP_2)
	v_sub_nc_u16 v32, v152, v32
	v_and_b32_e32 v152, 0xff, v144
	v_lshlrev_b16 v32, 8, v32
	s_delay_alu instid0(VALU_DEP_2) | instskip(SKIP_1) | instid1(VALU_DEP_3)
	v_or_b32_e32 v30, v152, v30
	v_and_b32_e32 v152, 0xff, v148
	v_perm_b32 v32, v32, v32, 0xc0c0c01
	s_delay_alu instid0(VALU_DEP_3) | instskip(NEXT) | instid1(VALU_DEP_3)
	v_perm_b32 v30, v30, v144, 0xc05000c
	v_or_b32_e32 v38, v152, v38
	v_and_b32_e32 v152, 0xff, v154
	s_delay_alu instid0(VALU_DEP_3) | instskip(SKIP_1) | instid1(VALU_DEP_4)
	v_or_b32_e32 v28, v30, v28
	v_lshlrev_b16 v30, 8, v36
	v_perm_b32 v38, v38, v148, 0xc05000c
	v_lshrrev_b32_e32 v36, 24, v20
	v_or_b32_e32 v140, v152, v140
	v_dot4_i32_iu8 v28, v137, v28, v147 neg_lo:[1,1,0]
	v_perm_b32 v30, v30, v30, 0xc0c0c01
	s_delay_alu instid0(VALU_DEP_4) | instskip(SKIP_2) | instid1(VALU_DEP_4)
	v_sub_nc_u16 v22, v22, v36
	v_lshrrev_b32_e32 v36, 16, v145
	v_perm_b32 v140, v140, v154, 0xc05000c
	v_or_b32_e32 v30, v38, v30
	v_lshrrev_b32_e32 v38, 16, v20
	v_lshrrev_b16 v20, 8, v20
	v_lshlrev_b16 v22, 8, v22
	v_or_b32_e32 v32, v140, v32
	v_dot4_i32_iu8 v30, v137, v30, v139 neg_lo:[1,1,0]
	v_sub_nc_u16 v36, v36, v38
	v_lshrrev_b16 v38, 8, v145
	v_lshrrev_b32_e32 v139, 16, v142
	v_dot4_i32_iu8 v32, v137, v32, v153 neg_lo:[1,1,0]
	v_lshrrev_b32_e32 v137, 16, v24
	v_lshrrev_b16 v140, 8, v142
	v_sub_nc_u16 v20, v38, v20
	v_lshrrev_b32_e32 v38, 24, v24
	v_lshrrev_b16 v24, 8, v24
	s_delay_alu instid0(VALU_DEP_3) | instskip(NEXT) | instid1(VALU_DEP_3)
	v_lshlrev_b16 v20, 8, v20
	v_sub_nc_u16 v26, v26, v38
	v_lshrrev_b32_e32 v38, 16, v155
	s_delay_alu instid0(VALU_DEP_3) | instskip(NEXT) | instid1(VALU_DEP_3)
	v_perm_b32 v20, v20, v20, 0xc0c0c01
	v_lshlrev_b16 v26, 8, v26
	s_delay_alu instid0(VALU_DEP_3) | instskip(SKIP_1) | instid1(VALU_DEP_1)
	v_sub_nc_u16 v38, v38, v137
	v_lshrrev_b16 v137, 8, v155
	v_sub_nc_u16 v24, v137, v24
	v_lshrrev_b32_e32 v137, 24, v142
	s_delay_alu instid0(VALU_DEP_1) | instskip(SKIP_1) | instid1(VALU_DEP_2)
	v_sub_nc_u16 v34, v34, v137
	v_lshrrev_b32_e32 v137, 16, v156
	v_lshlrev_b16 v34, 8, v34
	s_delay_alu instid0(VALU_DEP_2) | instskip(SKIP_1) | instid1(VALU_DEP_1)
	v_sub_nc_u16 v137, v137, v139
	v_lshrrev_b16 v139, 8, v156
	v_sub_nc_u16 v139, v139, v140
	v_and_b32_e32 v140, 0xff, v36
	s_delay_alu instid0(VALU_DEP_1) | instskip(SKIP_1) | instid1(VALU_DEP_2)
	v_or_b32_e32 v22, v140, v22
	v_and_b32_e32 v140, 0xff, v38
	v_perm_b32 v22, v22, v36, 0xc05000c
	s_delay_alu instid0(VALU_DEP_2) | instskip(SKIP_1) | instid1(VALU_DEP_3)
	v_or_b32_e32 v26, v140, v26
	v_and_b32_e32 v140, 0xff, v137
	v_or_b32_e32 v20, v22, v20
	v_lshlrev_b16 v22, 8, v24
	s_delay_alu instid0(VALU_DEP_3) | instskip(SKIP_2) | instid1(VALU_DEP_4)
	v_or_b32_e32 v34, v140, v34
	v_lshlrev_b16 v24, 8, v139
	v_perm_b32 v26, v26, v38, 0xc05000c
	v_perm_b32 v22, v22, v22, 0xc0c0c01
	s_delay_alu instid0(VALU_DEP_4) | instskip(NEXT) | instid1(VALU_DEP_4)
	v_perm_b32 v34, v34, v137, 0xc05000c
	v_perm_b32 v24, v24, v24, 0xc0c0c01
	s_delay_alu instid0(VALU_DEP_3) | instskip(SKIP_1) | instid1(VALU_DEP_3)
	v_or_b32_e32 v22, v26, v22
	v_dot4_i32_iu8 v26, v136, v20, v149 neg_lo:[1,1,0]
	v_or_b32_e32 v24, v34, v24
	v_lshrrev_b16 v20, 8, v169
	v_bfe_i32 v34, v169, 0, 8
	v_dot4_i32_iu8 v22, v136, v22, v151 neg_lo:[1,1,0]
	s_delay_alu instid0(VALU_DEP_4) | instskip(NEXT) | instid1(VALU_DEP_4)
	v_dot4_i32_iu8 v24, v136, v24, v138 neg_lo:[1,1,0]
	v_bfe_i32 v36, v20, 0, 8
	s_delay_alu instid0(VALU_DEP_4) | instskip(SKIP_1) | instid1(VALU_DEP_2)
	v_mul_lo_u32 v20, v150, v34
	v_ashrrev_i32_e32 v34, s25, v141
	v_mad_co_u64_u32 v[136:137], null, v146, v36, v[20:21]
	v_ashrrev_i32_e32 v20, s25, v31
	v_ashrrev_i32_e32 v31, s20, v37
	;; [unrolled: 1-line block ×4, first 2 shown]
	s_delay_alu instid0(VALU_DEP_4) | instskip(NEXT) | instid1(VALU_DEP_4)
	v_and_b32_e32 v37, 0x3030303, v20
	v_lshlrev_b32_e32 v31, 2, v31
	v_bfe_u32 v20, v20, 24, 2
	s_delay_alu instid0(VALU_DEP_4) | instskip(NEXT) | instid1(VALU_DEP_4)
	v_lshlrev_b32_e32 v21, 2, v21
	v_sub_nc_u16 v38, v37, v29
	s_delay_alu instid0(VALU_DEP_4) | instskip(NEXT) | instid1(VALU_DEP_3)
	v_and_b32_e32 v31, 0x4040404, v31
	v_and_b32_e32 v21, 0x4040404, v21
	s_delay_alu instid0(VALU_DEP_3) | instskip(NEXT) | instid1(VALU_DEP_1)
	v_bfe_i32 v38, v38, 0, 8
	v_mad_i32_i24 v28, v135, v38, v28
	v_and_b32_e32 v38, 0x3030303, v34
	v_bfe_u32 v34, v34, 24, 2
	s_delay_alu instid0(VALU_DEP_2) | instskip(NEXT) | instid1(VALU_DEP_1)
	v_sub_nc_u16 v39, v38, v33
	v_bfe_i32 v39, v39, 0, 8
	s_delay_alu instid0(VALU_DEP_1) | instskip(SKIP_2) | instid1(VALU_DEP_2)
	v_mad_i32_i24 v32, v135, v39, v32
	v_and_b32_e32 v39, 0x3030303, v36
	v_bfe_u32 v36, v36, 24, 2
	v_sub_nc_u16 v137, v39, v31
	s_delay_alu instid0(VALU_DEP_1) | instskip(NEXT) | instid1(VALU_DEP_1)
	v_bfe_i32 v137, v137, 0, 8
	v_mad_i32_i24 v30, v135, v137, v30
	v_and_b32_e32 v137, 0x3030303, v23
	v_ashrrev_i32_e32 v135, s20, v143
	v_bfe_u32 v23, v23, 24, 2
	s_add_co_i32 s20, s20, 1
	s_cmp_lt_u32 s22, 14
	v_sub_nc_u16 v138, v137, v21
	v_lshlrev_b32_e32 v135, 2, v135
	s_delay_alu instid0(VALU_DEP_2) | instskip(NEXT) | instid1(VALU_DEP_2)
	v_bfe_i32 v138, v138, 0, 8
	v_and_b32_e32 v135, 0x4040404, v135
	s_delay_alu instid0(VALU_DEP_2) | instskip(SKIP_2) | instid1(VALU_DEP_2)
	v_mad_i32_i24 v26, v134, v138, v26
	v_and_b32_e32 v138, 0x3030303, v27
	v_bfe_u32 v27, v27, 24, 2
	v_sub_nc_u16 v139, v138, v25
	s_delay_alu instid0(VALU_DEP_1) | instskip(NEXT) | instid1(VALU_DEP_1)
	v_bfe_i32 v139, v139, 0, 8
	v_mad_i32_i24 v22, v134, v139, v22
	v_and_b32_e32 v139, 0x3030303, v35
	s_delay_alu instid0(VALU_DEP_1) | instskip(NEXT) | instid1(VALU_DEP_1)
	v_sub_nc_u16 v140, v139, v135
	v_bfe_i32 v140, v140, 0, 8
	s_delay_alu instid0(VALU_DEP_1) | instskip(SKIP_3) | instid1(VALU_DEP_3)
	v_mad_i32_i24 v24, v134, v140, v24
	v_lshrrev_b32_e32 v134, 24, v29
	v_lshrrev_b32_e32 v140, 16, v29
	v_lshrrev_b16 v29, 8, v29
	v_sub_nc_u16 v20, v20, v134
	v_lshrrev_b32_e32 v134, 16, v37
	v_lshrrev_b16 v37, 8, v37
	s_delay_alu instid0(VALU_DEP_3) | instskip(NEXT) | instid1(VALU_DEP_3)
	v_lshlrev_b16 v20, 8, v20
	v_sub_nc_u16 v134, v134, v140
	s_delay_alu instid0(VALU_DEP_3) | instskip(SKIP_3) | instid1(VALU_DEP_4)
	v_sub_nc_u16 v29, v37, v29
	v_lshrrev_b32_e32 v37, 24, v31
	v_lshrrev_b32_e32 v140, 16, v31
	v_lshrrev_b16 v31, 8, v31
	v_lshlrev_b16 v29, 8, v29
	s_delay_alu instid0(VALU_DEP_4) | instskip(SKIP_2) | instid1(VALU_DEP_4)
	v_sub_nc_u16 v36, v36, v37
	v_lshrrev_b32_e32 v37, 16, v39
	v_lshrrev_b16 v39, 8, v39
	v_perm_b32 v29, v29, v29, 0xc0c0c01
	s_delay_alu instid0(VALU_DEP_4) | instskip(NEXT) | instid1(VALU_DEP_4)
	v_lshlrev_b16 v36, 8, v36
	v_sub_nc_u16 v37, v37, v140
	s_delay_alu instid0(VALU_DEP_4) | instskip(SKIP_3) | instid1(VALU_DEP_3)
	v_sub_nc_u16 v31, v39, v31
	v_lshrrev_b32_e32 v39, 24, v33
	v_lshrrev_b32_e32 v140, 16, v33
	v_lshrrev_b16 v33, 8, v33
	v_sub_nc_u16 v34, v34, v39
	v_lshrrev_b32_e32 v39, 16, v38
	v_lshrrev_b16 v38, 8, v38
	s_delay_alu instid0(VALU_DEP_3) | instskip(NEXT) | instid1(VALU_DEP_3)
	v_lshlrev_b16 v34, 8, v34
	v_sub_nc_u16 v39, v39, v140
	s_delay_alu instid0(VALU_DEP_3) | instskip(SKIP_1) | instid1(VALU_DEP_1)
	v_sub_nc_u16 v33, v38, v33
	v_and_b32_e32 v38, 0xff, v134
	v_or_b32_e32 v20, v38, v20
	v_and_b32_e32 v38, 0xff, v37
	s_delay_alu instid0(VALU_DEP_2) | instskip(NEXT) | instid1(VALU_DEP_2)
	v_perm_b32 v20, v20, v134, 0xc05000c
	v_or_b32_e32 v36, v38, v36
	v_and_b32_e32 v38, 0xff, v39
	s_delay_alu instid0(VALU_DEP_3) | instskip(SKIP_1) | instid1(VALU_DEP_3)
	v_or_b32_e32 v20, v20, v29
	v_lshlrev_b16 v29, 8, v31
	v_or_b32_e32 v34, v38, v34
	v_perm_b32 v36, v36, v37, 0xc05000c
	v_lshlrev_b16 v31, 8, v33
	v_dot4_i32_iu8 v20, v133, v20, v28 neg_lo:[1,1,0]
	v_perm_b32 v29, v29, v29, 0xc0c0c01
	v_perm_b32 v34, v34, v39, 0xc05000c
	v_lshrrev_b32_e32 v33, 24, v135
	v_perm_b32 v31, v31, v31, 0xc0c0c01
	s_delay_alu instid0(VALU_DEP_4) | instskip(NEXT) | instid1(VALU_DEP_2)
	v_or_b32_e32 v29, v36, v29
	v_or_b32_e32 v31, v34, v31
	v_lshrrev_b32_e32 v34, 16, v135
	s_delay_alu instid0(VALU_DEP_3) | instskip(SKIP_1) | instid1(VALU_DEP_4)
	v_dot4_i32_iu8 v29, v133, v29, v30 neg_lo:[1,1,0]
	v_lshrrev_b32_e32 v30, 24, v21
	v_dot4_i32_iu8 v28, v133, v31, v32 neg_lo:[1,1,0]
	v_lshrrev_b32_e32 v31, 16, v21
	v_lshrrev_b16 v21, 8, v21
	s_delay_alu instid0(VALU_DEP_4) | instskip(SKIP_2) | instid1(VALU_DEP_3)
	v_sub_nc_u16 v23, v23, v30
	v_lshrrev_b32_e32 v30, 16, v137
	v_lshrrev_b32_e32 v32, 16, v25
	v_lshlrev_b16 v23, 8, v23
	s_delay_alu instid0(VALU_DEP_3) | instskip(SKIP_1) | instid1(VALU_DEP_1)
	v_sub_nc_u16 v30, v30, v31
	v_lshrrev_b16 v31, 8, v137
	v_sub_nc_u16 v21, v31, v21
	v_lshrrev_b32_e32 v31, 24, v25
	v_lshrrev_b16 v25, 8, v25
	s_delay_alu instid0(VALU_DEP_3) | instskip(NEXT) | instid1(VALU_DEP_3)
	v_lshlrev_b16 v21, 8, v21
	v_sub_nc_u16 v27, v27, v31
	v_lshrrev_b32_e32 v31, 16, v138
	s_delay_alu instid0(VALU_DEP_3) | instskip(NEXT) | instid1(VALU_DEP_3)
	v_perm_b32 v21, v21, v21, 0xc0c0c01
	v_lshlrev_b16 v27, 8, v27
	s_delay_alu instid0(VALU_DEP_3) | instskip(SKIP_1) | instid1(VALU_DEP_1)
	v_sub_nc_u16 v31, v31, v32
	v_lshrrev_b16 v32, 8, v138
	v_sub_nc_u16 v25, v32, v25
	v_bfe_u32 v32, v35, 24, 2
	v_lshrrev_b16 v35, 8, v135
	s_delay_alu instid0(VALU_DEP_2) | instskip(SKIP_1) | instid1(VALU_DEP_2)
	v_sub_nc_u16 v32, v32, v33
	v_lshrrev_b32_e32 v33, 16, v139
	v_lshlrev_b16 v32, 8, v32
	s_delay_alu instid0(VALU_DEP_2) | instskip(SKIP_1) | instid1(VALU_DEP_1)
	v_sub_nc_u16 v33, v33, v34
	v_lshrrev_b16 v34, 8, v139
	v_sub_nc_u16 v34, v34, v35
	v_and_b32_e32 v35, 0xff, v30
	s_delay_alu instid0(VALU_DEP_1) | instskip(SKIP_1) | instid1(VALU_DEP_2)
	v_or_b32_e32 v23, v35, v23
	v_and_b32_e32 v35, 0xff, v31
	v_perm_b32 v23, v23, v30, 0xc05000c
	s_delay_alu instid0(VALU_DEP_2) | instskip(SKIP_1) | instid1(VALU_DEP_3)
	v_or_b32_e32 v27, v35, v27
	v_and_b32_e32 v35, 0xff, v33
	v_or_b32_e32 v21, v23, v21
	v_lshlrev_b16 v23, 8, v25
	s_delay_alu instid0(VALU_DEP_4) | instskip(NEXT) | instid1(VALU_DEP_4)
	v_perm_b32 v27, v27, v31, 0xc05000c
	v_or_b32_e32 v32, v35, v32
	v_lshlrev_b16 v25, 8, v34
	v_dot4_i32_iu8 v21, v132, v21, v26 neg_lo:[1,1,0]
	v_perm_b32 v23, v23, v23, 0xc0c0c01
	s_delay_alu instid0(VALU_DEP_4) | instskip(NEXT) | instid1(VALU_DEP_4)
	v_perm_b32 v30, v32, v33, 0xc05000c
	v_perm_b32 v25, v25, v25, 0xc0c0c01
	s_delay_alu instid0(VALU_DEP_3) | instskip(NEXT) | instid1(VALU_DEP_2)
	v_or_b32_e32 v23, v27, v23
	v_or_b32_e32 v25, v30, v25
	s_delay_alu instid0(VALU_DEP_2) | instskip(SKIP_1) | instid1(VALU_DEP_3)
	v_dot4_i32_iu8 v22, v132, v23, v22 neg_lo:[1,1,0]
	v_add_nc_u32_e32 v23, s21, v99
	v_dot4_i32_iu8 v24, v132, v25, v24 neg_lo:[1,1,0]
	v_add_nc_u32_e32 v25, s21, v97
	s_mov_b32 s21, s22
	ds_load_u16 v23, v23 offset:25346
	ds_load_u16 v25, v25 offset:27394
	s_wait_dscnt 0x1
	v_lshrrev_b16 v26, 8, v23
	v_bfe_i32 v23, v23, 0, 8
	s_delay_alu instid0(VALU_DEP_2) | instskip(NEXT) | instid1(VALU_DEP_2)
	v_bfe_i32 v26, v26, 0, 8
	v_mul_lo_u32 v20, v20, v23
	s_wait_dscnt 0x0
	v_bfe_i32 v23, v25, 0, 8
	v_lshrrev_b16 v25, 8, v25
	s_delay_alu instid0(VALU_DEP_3) | instskip(SKIP_2) | instid1(VALU_DEP_2)
	v_mad_co_u64_u32 v[20:21], null, v21, v26, v[20:21]
	v_lshrrev_b16 v21, 8, v168
	v_bfe_i32 v26, v168, 0, 8
	v_bfe_i32 v27, v21, 0, 8
	s_delay_alu instid0(VALU_DEP_2)
	v_mul_lo_u32 v21, v28, v26
	ds_load_b32 v26, v131
	v_cvt_f32_i32_e32 v20, v20
	v_add_nc_u32_e32 v131, 4, v131
	v_mad_co_u64_u32 v[21:22], null, v22, v27, v[21:22]
	v_mul_lo_u32 v22, v29, v23
	v_bfe_i32 v23, v25, 0, 8
	v_cvt_f32_i32_e32 v27, v136
	s_delay_alu instid0(VALU_DEP_4) | instskip(NEXT) | instid1(VALU_DEP_3)
	v_cvt_f32_i32_e32 v21, v21
	v_mad_co_u64_u32 v[22:23], null, v24, v23, v[22:23]
	s_wait_dscnt 0x0
	v_mul_f32_e32 v23, v26, v161
	v_mul_f32_e32 v24, v26, v167
	;; [unrolled: 1-line block ×4, first 2 shown]
	v_cvt_f32_i32_e32 v22, v22
	s_delay_alu instid0(VALU_DEP_4) | instskip(NEXT) | instid1(VALU_DEP_3)
	v_dual_fmac_f32 v42, v23, v20 :: v_dual_fmac_f32 v89, v24, v21
	v_fmac_f32_e32 v17, v26, v27
	s_delay_alu instid0(VALU_DEP_3)
	v_fmac_f32_e32 v83, v25, v22
	s_cbranch_scc1 .LBB230_19
; %bb.20:                               ;   in Loop: Header=BB230_5 Depth=1
	s_or_b32 s1, s18, 0x100
	s_wait_loadcnt 0x0
	s_wait_alu 0xfffe
	s_cmp_ge_i32 s1, s5
	s_barrier_signal -1
	s_barrier_wait -1
	global_inv scope:SCOPE_SE
	s_cbranch_scc1 .LBB230_4
; %bb.21:                               ;   in Loop: Header=BB230_5 Depth=1
	v_add_nc_u32_e32 v20, s19, v91
	s_delay_alu instid0(VALU_DEP_1)
	v_cmp_gt_i32_e64 s1, s6, v20
	s_and_b32 s20, s0, s1
	s_wait_alu 0xfffe
	s_and_saveexec_b32 s1, s20
	s_cbranch_execz .LBB230_23
; %bb.22:                               ;   in Loop: Header=BB230_5 Depth=1
	v_add_nc_u32_e32 v20, v93, v20
	s_delay_alu instid0(VALU_DEP_1)
	v_mad_co_i64_i32 v[20:21], null, v20, 36, v[18:19]
	global_load_b32 v20, v[20:21], off offset:4
	s_wait_loadcnt 0x0
	ds_store_b32 v87, v20
.LBB230_23:                             ;   in Loop: Header=BB230_5 Depth=1
	s_wait_alu 0xfffe
	s_or_b32 exec_lo, exec_lo, s1
	s_and_saveexec_b32 s20, vcc_lo
	s_cbranch_execz .LBB230_26
; %bb.24:                               ;   in Loop: Header=BB230_5 Depth=1
	v_or_b32_e32 v20, 8, v129
	s_delay_alu instid0(VALU_DEP_1)
	v_cmp_gt_i32_e64 s1, s6, v20
	s_and_b32 s1, s0, s1
	s_wait_alu 0xfffe
	s_and_b32 exec_lo, exec_lo, s1
	s_cbranch_execz .LBB230_26
; %bb.25:                               ;   in Loop: Header=BB230_5 Depth=1
	v_ashrrev_i32_e32 v20, 31, v129
	v_add_co_u32 v21, s1, v93, v129
	s_wait_alu 0xf1ff
	s_delay_alu instid0(VALU_DEP_2) | instskip(NEXT) | instid1(VALU_DEP_2)
	v_add_co_ci_u32_e64 v22, null, v0, v20, s1
	v_mad_co_u64_u32 v[20:21], null, v21, 36, s[2:3]
	s_delay_alu instid0(VALU_DEP_1)
	v_mad_i32_i24 v21, v22, 36, v21
	global_load_b32 v20, v[20:21], off offset:288
	s_wait_loadcnt 0x0
	v_cvt_f32_f16_e32 v20, v20
	ds_store_b32 v88, v20
.LBB230_26:                             ;   in Loop: Header=BB230_5 Depth=1
	s_wait_alu 0xfffe
	s_or_b32 exec_lo, exec_lo, s20
	v_dual_mov_b32 v130, v85 :: v_dual_mov_b32 v131, v86
	s_mov_b32 s1, 16
	s_mov_b32 s21, 14
	;; [unrolled: 1-line block ×3, first 2 shown]
	s_wait_loadcnt_dscnt 0x0
	s_barrier_signal -1
	s_barrier_wait -1
	global_inv scope:SCOPE_SE
.LBB230_27:                             ;   Parent Loop BB230_5 Depth=1
                                        ; =>  This Inner Loop Header: Depth=2
	ds_load_b128 v[20:23], v130
	ds_load_b128 v[33:36], v130 offset:16
	s_wait_alu 0xfffe
	s_add_co_i32 s22, s21, 2
	s_and_b32 s26, s1, -16
	s_wait_alu 0xfffe
	s_and_b32 s25, s22, 0x3ffffff8
	s_lshr_b32 s24, s22, 4
	s_wait_alu 0xfffe
	v_lshl_add_u32 v142, s25, 2, v94
	s_lshl_b32 s23, s24, 5
	s_add_co_i32 s25, s21, -14
	s_add_co_i32 s21, s21, s26
	s_wait_alu 0xfffe
	s_addk_co_i32 s23, 0x4200
	v_add_nc_u32_e32 v37, s21, v95
	s_lshl_b32 s24, s24, 2
	v_add_nc_u32_e32 v39, 0x3198, v142
	s_wait_alu 0xfffe
	s_addk_co_i32 s24, 0x7380
	v_add3_u32 v182, s23, v126, v113
	v_add3_u32 v184, s23, v114, v115
	;; [unrolled: 1-line block ×3, first 2 shown]
	v_add_nc_u32_e32 v130, 32, v130
	s_add_co_i32 s1, s1, 2
	s_wait_dscnt 0x1
	v_lshrrev_b16 v157, 8, v20
	v_ashrrev_i32_e32 v28, 24, v20
	v_bfe_i32 v26, v20, 16, 8
	v_bfe_i32 v158, v20, 0, 8
	v_perm_b32 v151, v20, v20, 0xc0c0302
	v_add_nc_u32_e32 v20, 0x3188, v142
	s_wait_dscnt 0x0
	v_lshrrev_b16 v163, 8, v33
	v_lshrrev_b16 v162, 8, v34
	v_ashrrev_i32_e32 v32, 24, v33
	v_bfe_i32 v30, v33, 16, 8
	v_bfe_i32 v164, v33, 0, 8
	v_perm_b32 v147, v33, v33, 0xc0c0302
	v_ashrrev_i32_e32 v33, 24, v34
	v_bfe_i32 v31, v34, 16, 8
	v_bfe_i32 v144, v34, 0, 8
	v_perm_b32 v140, v34, v34, 0xc030201
	v_add3_u32 v34, s23, v122, v123
	v_lshrrev_b16 v154, 8, v21
	v_lshrrev_b16 v153, 8, v22
	;; [unrolled: 1-line block ×3, first 2 shown]
	v_ashrrev_i32_e32 v29, 24, v21
	v_bfe_i32 v27, v21, 16, 8
	v_bfe_i32 v145, v21, 0, 8
	v_perm_b32 v141, v21, v21, 0xc030201
	v_ashrrev_i32_e32 v148, 24, v22
	v_bfe_i32 v150, v22, 16, 8
	v_bfe_i32 v139, v22, 0, 8
	v_perm_b32 v137, v22, v22, 0xc030201
	;; [unrolled: 4-line block ×3, first 2 shown]
	v_lshrrev_b16 v161, 8, v35
	v_lshrrev_b16 v146, 8, v36
	v_ashrrev_i32_e32 v155, 24, v35
	v_bfe_i32 v159, v35, 16, 8
	v_bfe_i32 v138, v35, 0, 8
	v_perm_b32 v136, v35, v35, 0xc030201
	v_ashrrev_i32_e32 v156, 24, v36
	v_bfe_i32 v160, v36, 16, 8
	v_bfe_i32 v134, v36, 0, 8
	v_perm_b32 v132, v36, v36, 0xc030201
	ds_load_2addr_b32 v[20:21], v20 offset1:1
	ds_load_2addr_b32 v[35:36], v34 offset0:4 offset1:5
	ds_load_2addr_b32 v[24:25], v34 offset0:6 offset1:7
	;; [unrolled: 1-line block ×3, first 2 shown]
	ds_load_u16 v169, v37 offset:28402
	s_wait_alu 0xfffe
	v_add3_u32 v37, s24, v124, v125
	v_bfe_i32 v163, v163, 0, 8
	v_bfe_i32 v162, v162, 0, 8
	;; [unrolled: 1-line block ×4, first 2 shown]
	ds_load_b32 v165, v37
	v_add_nc_u32_e32 v37, 0x3190, v142
	ds_load_2addr_b32 v[37:38], v37 offset1:1
	ds_load_2addr_b32 v[166:167], v39 offset1:1
	v_bfe_i32 v154, v154, 0, 8
	v_bfe_i32 v153, v153, 0, 8
	;; [unrolled: 1-line block ×3, first 2 shown]
	s_wait_dscnt 0x7
	v_ashrrev_i32_e32 v205, s25, v20
	s_wait_dscnt 0x6
	v_ashrrev_i32_e32 v36, s20, v36
	v_ashrrev_i32_e32 v35, s20, v35
	s_wait_dscnt 0x5
	v_ashrrev_i32_e32 v24, s20, v24
	v_ashrrev_i32_e32 v25, s20, v25
	;; [unrolled: 1-line block ×3, first 2 shown]
	v_lshlrev_b32_e32 v36, 2, v36
	v_lshlrev_b32_e32 v35, 2, v35
	;; [unrolled: 1-line block ×4, first 2 shown]
	s_wait_dscnt 0x4
	v_ashrrev_i32_e32 v22, s20, v22
	v_and_b32_e32 v36, 0x4040404, v36
	v_and_b32_e32 v35, 0x4040404, v35
	;; [unrolled: 1-line block ×4, first 2 shown]
	s_wait_dscnt 0x1
	v_ashrrev_i32_e32 v38, s25, v38
	v_ashrrev_i32_e32 v37, s25, v37
	v_lshrrev_b32_e32 v168, 24, v36
	v_lshrrev_b32_e32 v170, 24, v35
	s_wait_dscnt 0x0
	v_ashrrev_i32_e32 v192, s25, v166
	v_bfe_u32 v39, v38, 24, 2
	v_and_b32_e32 v38, 0x3030303, v38
	v_ashrrev_i32_e32 v193, s25, v167
	v_ashrrev_i32_e32 v23, s20, v23
	v_and_b32_e32 v196, 0x3030303, v192
	v_sub_nc_u16 v39, v39, v168
	v_bfe_u32 v168, v37, 24, 2
	v_and_b32_e32 v37, 0x3030303, v37
	v_and_b32_e32 v197, 0x3030303, v193
	v_sub_nc_u16 v24, v196, v194
	v_bfe_i32 v39, v39, 0, 16
	v_sub_nc_u16 v168, v168, v170
	v_and_b32_e32 v209, 0x3030303, v205
	v_sub_nc_u16 v25, v197, v195
	v_bfe_i32 v24, v24, 0, 8
	v_mul_i32_i24_e32 v33, v39, v33
	v_bfe_i32 v39, v168, 0, 16
	v_and_b32_e32 v210, 0x3030303, v206
	v_bfe_i32 v25, v25, 0, 8
	v_mul_i32_i24_e32 v24, v24, v138
	v_lshrrev_b16 v216, 8, v194
	v_mad_i32_i24 v190, v39, v32, v33
	v_lshrrev_b32_e32 v32, 16, v38
	v_lshrrev_b32_e32 v33, 16, v36
	;; [unrolled: 1-line block ×3, first 2 shown]
	v_mul_i32_i24_e32 v25, v25, v134
	v_bfe_i32 v143, v143, 0, 8
	s_delay_alu instid0(VALU_DEP_4) | instskip(SKIP_1) | instid1(VALU_DEP_2)
	v_sub_nc_u16 v32, v32, v33
	v_lshrrev_b32_e32 v33, 16, v37
	v_bfe_i32 v32, v32, 0, 8
	s_delay_alu instid0(VALU_DEP_2) | instskip(NEXT) | instid1(VALU_DEP_2)
	v_sub_nc_u16 v33, v33, v39
	v_mul_i32_i24_e32 v31, v32, v31
	s_delay_alu instid0(VALU_DEP_2) | instskip(NEXT) | instid1(VALU_DEP_1)
	v_bfe_i32 v32, v33, 0, 8
	v_mad_i32_i24 v191, v32, v30, v31
	v_sub_nc_u16 v30, v38, v36
	v_sub_nc_u16 v31, v37, v35
	v_add3_u32 v32, s24, v120, v121
	v_lshrrev_b16 v35, 8, v35
	s_delay_alu instid0(VALU_DEP_4) | instskip(NEXT) | instid1(VALU_DEP_4)
	v_bfe_i32 v30, v30, 0, 8
	v_bfe_i32 v31, v31, 0, 8
	s_delay_alu instid0(VALU_DEP_2) | instskip(NEXT) | instid1(VALU_DEP_1)
	v_mul_i32_i24_e32 v30, v30, v144
	v_mad_i32_i24 v30, v31, v164, v30
	s_delay_alu instid0(VALU_DEP_1)
	v_add3_u32 v198, v30, v24, v25
	v_add_nc_u32_e32 v30, 0x3180, v142
	ds_load_2addr_b32 v[24:25], v34 offset1:1
	ds_load_2addr_b32 v[30:31], v30 offset1:1
	ds_load_b32 v166, v32
	s_wait_dscnt 0x2
	v_ashrrev_i32_e32 v25, s20, v25
	v_ashrrev_i32_e32 v24, s20, v24
	s_wait_dscnt 0x1
	v_ashrrev_i32_e32 v31, s25, v31
	v_ashrrev_i32_e32 v30, s25, v30
	v_lshlrev_b32_e32 v25, 2, v25
	v_lshlrev_b32_e32 v24, 2, v24
	s_delay_alu instid0(VALU_DEP_4) | instskip(NEXT) | instid1(VALU_DEP_4)
	v_and_b32_e32 v202, 0x3030303, v31
	v_and_b32_e32 v203, 0x3030303, v30
	s_delay_alu instid0(VALU_DEP_4) | instskip(NEXT) | instid1(VALU_DEP_4)
	v_and_b32_e32 v199, 0x4040404, v25
	v_and_b32_e32 v200, 0x4040404, v24
	v_bfe_u32 v25, v31, 24, 2
	v_bfe_u32 v24, v30, 24, 2
	s_delay_alu instid0(VALU_DEP_4) | instskip(NEXT) | instid1(VALU_DEP_4)
	v_sub_nc_u16 v20, v202, v199
	v_sub_nc_u16 v21, v203, v200
	v_lshrrev_b32_e32 v32, 24, v199
	s_delay_alu instid0(VALU_DEP_3) | instskip(NEXT) | instid1(VALU_DEP_3)
	v_bfe_i32 v20, v20, 0, 8
	v_bfe_i32 v21, v21, 0, 8
	s_delay_alu instid0(VALU_DEP_3) | instskip(SKIP_1) | instid1(VALU_DEP_4)
	v_sub_nc_u16 v25, v25, v32
	v_lshrrev_b32_e32 v32, 24, v200
	v_mul_i32_i24_e32 v20, v20, v145
	s_delay_alu instid0(VALU_DEP_3) | instskip(NEXT) | instid1(VALU_DEP_3)
	v_bfe_i32 v25, v25, 0, 16
	v_sub_nc_u16 v24, v24, v32
	s_delay_alu instid0(VALU_DEP_3) | instskip(SKIP_4) | instid1(VALU_DEP_4)
	v_mad_i32_i24 v20, v21, v158, v20
	v_lshlrev_b32_e32 v21, 2, v22
	v_lshlrev_b32_e32 v22, 2, v23
	v_mul_i32_i24_e32 v25, v25, v29
	v_bfe_i32 v24, v24, 0, 16
	v_and_b32_e32 v207, 0x4040404, v21
	s_delay_alu instid0(VALU_DEP_4) | instskip(NEXT) | instid1(VALU_DEP_3)
	v_and_b32_e32 v208, 0x4040404, v22
	v_mad_i32_i24 v201, v24, v28, v25
	v_lshrrev_b32_e32 v24, 16, v202
	s_delay_alu instid0(VALU_DEP_4) | instskip(NEXT) | instid1(VALU_DEP_4)
	v_sub_nc_u16 v21, v209, v207
	v_sub_nc_u16 v22, v210, v208
	v_lshrrev_b32_e32 v25, 16, v199
	v_lshrrev_b32_e32 v28, 16, v200
	v_lshrrev_b16 v200, 8, v200
	v_bfe_i32 v21, v21, 0, 8
	v_bfe_i32 v22, v22, 0, 8
	v_sub_nc_u16 v24, v24, v25
	v_lshrrev_b32_e32 v25, 16, v203
	v_lshrrev_b16 v203, 8, v203
	v_mul_i32_i24_e32 v21, v21, v139
	v_mul_i32_i24_e32 v22, v22, v135
	v_bfe_i32 v24, v24, 0, 8
	v_sub_nc_u16 v25, v25, v28
	v_lshrrev_b16 v202, 8, v202
	v_lshrrev_b16 v199, 8, v199
	v_add3_u32 v211, v20, v21, v22
	ds_load_2addr_b32 v[170:171], v182 offset0:4 offset1:5
	ds_load_2addr_b32 v[20:21], v182 offset0:6 offset1:7
	;; [unrolled: 1-line block ×3, first 2 shown]
	v_mul_i32_i24_e32 v24, v24, v27
	v_bfe_i32 v25, v25, 0, 8
	v_add_nc_u32_e32 v27, 0x1098, v142
	v_sub_nc_u16 v200, v203, v200
	v_sub_nc_u16 v199, v202, v199
	v_lshrrev_b16 v202, 8, v209
	v_mad_i32_i24 v204, v25, v26, v24
	v_lshrrev_b16 v203, 8, v207
	v_bfe_i32 v200, v200, 0, 16
	v_bfe_i32 v199, v199, 0, 16
	s_delay_alu instid0(VALU_DEP_3) | instskip(NEXT) | instid1(VALU_DEP_2)
	v_sub_nc_u16 v202, v202, v203
	v_mul_i32_i24_e32 v154, v199, v154
	s_wait_dscnt 0x2
	v_ashrrev_i32_e32 v22, s20, v170
	s_delay_alu instid0(VALU_DEP_3)
	v_bfe_i32 v199, v202, 0, 16
	s_wait_dscnt 0x0
	v_ashrrev_i32_e32 v28, s20, v28
	v_ashrrev_i32_e32 v20, s20, v20
	;; [unrolled: 1-line block ×3, first 2 shown]
	v_lshlrev_b32_e32 v22, 2, v22
	v_mul_i32_i24_e32 v153, v199, v153
	v_lshlrev_b32_e32 v28, 2, v28
	v_lshlrev_b32_e32 v20, 2, v20
	;; [unrolled: 1-line block ×3, first 2 shown]
	v_and_b32_e32 v170, 0x4040404, v22
	ds_load_2addr_b32 v[172:173], v142 offset0:4 offset1:5
	ds_load_2addr_b32 v[22:23], v142 offset0:6 offset1:7
	;; [unrolled: 1-line block ×3, first 2 shown]
	v_and_b32_e32 v28, 0x4040404, v28
	v_and_b32_e32 v20, 0x4040404, v20
	;; [unrolled: 1-line block ×3, first 2 shown]
	v_lshrrev_b16 v25, 8, v170
	s_wait_dscnt 0x2
	v_ashrrev_i32_e32 v172, s25, v172
	s_wait_dscnt 0x1
	v_ashrrev_i32_e32 v22, s25, v22
	;; [unrolled: 2-line block ×3, first 2 shown]
	v_ashrrev_i32_e32 v23, s25, v23
	v_and_b32_e32 v212, 0x3030303, v172
	s_delay_alu instid0(VALU_DEP_1) | instskip(NEXT) | instid1(VALU_DEP_1)
	v_lshrrev_b16 v24, 8, v212
	v_sub_nc_u16 v183, v24, v25
	v_add_nc_u32_e32 v24, s21, v98
	s_delay_alu instid0(VALU_DEP_2)
	v_lshlrev_b16 v183, 8, v183
	ds_load_u16 v168, v24 offset:26354
	v_add3_u32 v24, s24, v116, v117
	v_bfe_i32 v183, v183, 8, 8
	ds_load_b32 v167, v24
	ds_load_2addr_b32 v[174:175], v184 offset0:4 offset1:5
	ds_load_2addr_b32 v[24:25], v184 offset0:6 offset1:7
	;; [unrolled: 1-line block ×3, first 2 shown]
	s_wait_dscnt 0x2
	v_ashrrev_i32_e32 v26, s20, v174
	s_wait_dscnt 0x1
	v_ashrrev_i32_e32 v24, s20, v24
	;; [unrolled: 2-line block ×3, first 2 shown]
	v_ashrrev_i32_e32 v33, s20, v33
	v_ashrrev_i32_e32 v25, s20, v25
	v_lshlrev_b32_e32 v26, 2, v26
	v_lshlrev_b32_e32 v24, 2, v24
	;; [unrolled: 1-line block ×5, first 2 shown]
	v_and_b32_e32 v174, 0x4040404, v26
	v_add_nc_u32_e32 v26, 0x1090, v142
	ds_load_2addr_b32 v[176:177], v26 offset1:1
	ds_load_2addr_b32 v[26:27], v27 offset1:1
	v_lshrrev_b16 v39, 8, v174
	v_and_b32_e32 v32, 0x4040404, v32
	v_and_b32_e32 v24, 0x4040404, v24
	;; [unrolled: 1-line block ×4, first 2 shown]
	s_wait_dscnt 0x1
	v_ashrrev_i32_e32 v176, s25, v176
	s_wait_dscnt 0x0
	v_ashrrev_i32_e32 v26, s25, v26
	v_ashrrev_i32_e32 v27, s25, v27
	s_delay_alu instid0(VALU_DEP_3) | instskip(NEXT) | instid1(VALU_DEP_1)
	v_and_b32_e32 v213, 0x3030303, v176
	v_lshrrev_b16 v34, 8, v213
	v_sub_nc_u16 v217, v213, v174
	s_delay_alu instid0(VALU_DEP_2) | instskip(SKIP_1) | instid1(VALU_DEP_3)
	v_sub_nc_u16 v185, v34, v39
	v_lshrrev_b16 v34, 8, v37
	v_bfe_i32 v217, v217, 0, 8
	s_delay_alu instid0(VALU_DEP_2)
	v_sub_nc_u16 v186, v34, v35
	v_lshrrev_b16 v35, 8, v36
	ds_load_2addr_b32 v[178:179], v214 offset0:4 offset1:5
	ds_load_2addr_b32 v[36:37], v214 offset0:2 offset1:3
	v_lshrrev_b16 v34, 8, v38
	v_add_nc_u32_e32 v38, 0x2108, v142
	v_mul_i32_i24_e32 v217, v164, v217
	s_delay_alu instid0(VALU_DEP_3)
	v_sub_nc_u16 v187, v34, v35
	v_add_nc_u32_e32 v35, 0x2118, v142
	s_wait_dscnt 0x1
	v_ashrrev_i32_e32 v34, s20, v178
	s_wait_dscnt 0x0
	v_ashrrev_i32_e32 v36, s20, v36
	s_delay_alu instid0(VALU_DEP_2) | instskip(NEXT) | instid1(VALU_DEP_2)
	v_lshlrev_b32_e32 v34, 2, v34
	v_lshlrev_b32_e32 v36, 2, v36
	s_delay_alu instid0(VALU_DEP_2)
	v_and_b32_e32 v178, 0x4040404, v34
	v_add_nc_u32_e32 v34, 0x2110, v142
	ds_load_2addr_b32 v[180:181], v34 offset1:1
	ds_load_2addr_b32 v[34:35], v35 offset1:1
	;; [unrolled: 1-line block ×3, first 2 shown]
	v_lshrrev_b16 v189, 8, v178
	v_and_b32_e32 v36, 0x4040404, v36
	s_wait_dscnt 0x2
	v_ashrrev_i32_e32 v180, s25, v180
	s_wait_dscnt 0x1
	v_ashrrev_i32_e32 v34, s25, v34
	;; [unrolled: 2-line block ×3, first 2 shown]
	v_ashrrev_i32_e32 v35, s25, v35
	v_and_b32_e32 v215, 0x3030303, v180
	s_delay_alu instid0(VALU_DEP_1) | instskip(SKIP_1) | instid1(VALU_DEP_2)
	v_lshrrev_b16 v188, 8, v215
	v_sub_nc_u16 v218, v215, v178
	v_sub_nc_u16 v188, v188, v189
	v_lshrrev_b16 v189, 8, v196
	s_delay_alu instid0(VALU_DEP_3) | instskip(NEXT) | instid1(VALU_DEP_2)
	v_bfe_i32 v218, v218, 0, 8
	v_sub_nc_u16 v189, v189, v216
	v_sub_nc_u16 v216, v212, v170
	s_delay_alu instid0(VALU_DEP_1) | instskip(NEXT) | instid1(VALU_DEP_1)
	v_bfe_i32 v216, v216, 0, 8
	v_mul_i32_i24_e32 v216, v164, v216
	v_mul_i32_i24_e32 v164, v164, v218
	s_delay_alu instid0(VALU_DEP_2) | instskip(SKIP_2) | instid1(VALU_DEP_2)
	v_mad_i32_i24 v216, v163, v183, v216
	v_lshlrev_b16 v183, 8, v185
	v_add_nc_u32_e32 v185, 0x1080, v142
	v_bfe_i32 v183, v183, 8, 8
	s_delay_alu instid0(VALU_DEP_1) | instskip(SKIP_1) | instid1(VALU_DEP_1)
	v_mad_i32_i24 v217, v163, v183, v217
	v_lshlrev_b16 v183, 8, v188
	v_bfe_i32 v183, v183, 8, 8
	s_delay_alu instid0(VALU_DEP_1) | instskip(SKIP_1) | instid1(VALU_DEP_1)
	v_mad_i32_i24 v218, v163, v183, v164
	v_bfe_i32 v164, v186, 0, 16
	v_mul_i32_i24_e32 v163, v164, v163
	v_bfe_i32 v164, v187, 0, 16
	s_delay_alu instid0(VALU_DEP_1) | instskip(SKIP_1) | instid1(VALU_DEP_1)
	v_mul_i32_i24_e32 v162, v164, v162
	v_bfe_i32 v164, v189, 0, 16
	v_mul_i32_i24_e32 v161, v164, v161
	s_delay_alu instid0(VALU_DEP_1)
	v_add3_u32 v219, v163, v162, v161
	ds_load_2addr_b32 v[161:162], v182 offset1:1
	ds_load_2addr_b32 v[163:164], v142 offset1:1
	s_wait_dscnt 0x1
	v_ashrrev_i32_e32 v161, s20, v161
	s_wait_dscnt 0x0
	v_ashrrev_i32_e32 v163, s25, v163
	s_delay_alu instid0(VALU_DEP_2) | instskip(NEXT) | instid1(VALU_DEP_2)
	v_lshlrev_b32_e32 v161, 2, v161
	v_and_b32_e32 v221, 0x3030303, v163
	s_delay_alu instid0(VALU_DEP_2) | instskip(NEXT) | instid1(VALU_DEP_2)
	v_and_b32_e32 v220, 0x4040404, v161
	v_lshrrev_b16 v161, 8, v221
	s_delay_alu instid0(VALU_DEP_2) | instskip(SKIP_1) | instid1(VALU_DEP_2)
	v_lshrrev_b16 v182, 8, v220
	v_sub_nc_u16 v203, v221, v220
	v_sub_nc_u16 v222, v161, v182
	v_add3_u32 v161, s24, v127, v128
	s_delay_alu instid0(VALU_DEP_3) | instskip(NEXT) | instid1(VALU_DEP_3)
	v_bfe_i32 v203, v203, 0, 8
	v_lshlrev_b16 v222, 8, v222
	ds_load_b32 v161, v161
	ds_load_2addr_b32 v[182:183], v184 offset1:1
	ds_load_2addr_b32 v[184:185], v185 offset1:1
	v_mul_i32_i24_e32 v203, v158, v203
	v_bfe_i32 v222, v222, 8, 8
	s_delay_alu instid0(VALU_DEP_1) | instskip(SKIP_4) | instid1(VALU_DEP_2)
	v_mad_i32_i24 v203, v157, v222, v203
	s_wait_dscnt 0x1
	v_ashrrev_i32_e32 v182, s20, v182
	s_wait_dscnt 0x0
	v_ashrrev_i32_e32 v184, s25, v184
	v_lshlrev_b32_e32 v182, 2, v182
	s_delay_alu instid0(VALU_DEP_2) | instskip(NEXT) | instid1(VALU_DEP_2)
	v_and_b32_e32 v223, 0x3030303, v184
	v_and_b32_e32 v182, 0x4040404, v182
	s_delay_alu instid0(VALU_DEP_2) | instskip(NEXT) | instid1(VALU_DEP_2)
	v_lshrrev_b16 v186, 8, v223
	v_lshrrev_b16 v187, 8, v182
	s_delay_alu instid0(VALU_DEP_1) | instskip(SKIP_4) | instid1(VALU_DEP_1)
	v_sub_nc_u16 v224, v186, v187
	v_add_nc_u32_e32 v186, 0x2100, v142
	ds_load_2addr_b32 v[186:187], v186 offset1:1
	ds_load_2addr_b32 v[188:189], v214 offset1:1
	v_lshlrev_b16 v222, 8, v224
	v_bfe_i32 v222, v222, 8, 8
	s_wait_dscnt 0x1
	v_ashrrev_i32_e32 v186, s25, v186
	s_wait_dscnt 0x0
	v_ashrrev_i32_e32 v188, s20, v188
	s_delay_alu instid0(VALU_DEP_2) | instskip(NEXT) | instid1(VALU_DEP_2)
	v_and_b32_e32 v225, 0x3030303, v186
	v_lshlrev_b32_e32 v188, 2, v188
	s_delay_alu instid0(VALU_DEP_2) | instskip(NEXT) | instid1(VALU_DEP_2)
	v_lshrrev_b16 v226, 8, v225
	v_and_b32_e32 v188, 0x4040404, v188
	s_delay_alu instid0(VALU_DEP_1) | instskip(SKIP_1) | instid1(VALU_DEP_2)
	v_lshrrev_b16 v227, 8, v188
	v_sub_nc_u16 v228, v225, v188
	v_sub_nc_u16 v226, v226, v227
	;; [unrolled: 1-line block ×3, first 2 shown]
	s_delay_alu instid0(VALU_DEP_3) | instskip(NEXT) | instid1(VALU_DEP_3)
	v_bfe_i32 v228, v228, 0, 8
	v_lshlrev_b16 v224, 8, v226
	s_delay_alu instid0(VALU_DEP_3) | instskip(NEXT) | instid1(VALU_DEP_2)
	v_bfe_i32 v227, v227, 0, 8
	v_bfe_i32 v224, v224, 8, 8
	s_delay_alu instid0(VALU_DEP_2) | instskip(SKIP_1) | instid1(VALU_DEP_2)
	v_mul_i32_i24_e32 v227, v158, v227
	v_mul_i32_i24_e32 v158, v158, v228
	v_mad_i32_i24 v222, v157, v222, v227
	s_delay_alu instid0(VALU_DEP_2) | instskip(SKIP_1) | instid1(VALU_DEP_1)
	v_mad_i32_i24 v158, v157, v224, v158
	v_mul_i32_i24_e32 v157, v200, v157
	v_add3_u32 v153, v157, v154, v153
	v_lshrrev_b32_e32 v154, 16, v196
	v_lshrrev_b32_e32 v157, 16, v194
	;; [unrolled: 1-line block ×3, first 2 shown]
	s_delay_alu instid0(VALU_DEP_2) | instskip(SKIP_1) | instid1(VALU_DEP_2)
	v_sub_nc_u16 v154, v154, v157
	v_lshrrev_b32_e32 v157, 16, v197
	v_bfe_i32 v154, v154, 0, 8
	s_delay_alu instid0(VALU_DEP_2) | instskip(NEXT) | instid1(VALU_DEP_2)
	v_sub_nc_u16 v157, v157, v196
	v_mul_i32_i24_e32 v154, v154, v159
	s_delay_alu instid0(VALU_DEP_2) | instskip(SKIP_1) | instid1(VALU_DEP_2)
	v_bfe_i32 v157, v157, 0, 8
	v_lshrrev_b32_e32 v159, 24, v194
	v_mul_i32_i24_e32 v157, v157, v160
	v_lshrrev_b32_e32 v160, 24, v195
	s_delay_alu instid0(VALU_DEP_2) | instskip(SKIP_1) | instid1(VALU_DEP_1)
	v_add3_u32 v154, v191, v154, v157
	v_bfe_u32 v157, v192, 24, 2
	v_sub_nc_u16 v157, v157, v159
	v_bfe_u32 v159, v193, 24, 2
	s_delay_alu instid0(VALU_DEP_2) | instskip(NEXT) | instid1(VALU_DEP_2)
	v_bfe_i32 v157, v157, 0, 16
	v_sub_nc_u16 v159, v159, v160
	v_lshrrev_b32_e32 v160, 24, v182
	s_delay_alu instid0(VALU_DEP_3) | instskip(NEXT) | instid1(VALU_DEP_3)
	v_mul_i32_i24_e32 v155, v157, v155
	v_bfe_i32 v157, v159, 0, 16
	v_lshrrev_b32_e32 v159, 16, v220
	s_delay_alu instid0(VALU_DEP_2) | instskip(SKIP_1) | instid1(VALU_DEP_2)
	v_mul_i32_i24_e32 v156, v157, v156
	v_lshrrev_b32_e32 v157, 24, v220
	v_add3_u32 v155, v190, v155, v156
	v_bfe_u32 v156, v163, 24, 2
	v_lshrrev_b32_e32 v163, 16, v182
	v_lshrrev_b32_e32 v182, 24, v188
	s_delay_alu instid0(VALU_DEP_3) | instskip(SKIP_1) | instid1(VALU_DEP_2)
	v_sub_nc_u16 v156, v156, v157
	v_lshrrev_b32_e32 v157, 16, v221
	v_lshlrev_b16 v156, 8, v156
	s_delay_alu instid0(VALU_DEP_2) | instskip(SKIP_2) | instid1(VALU_DEP_2)
	v_sub_nc_u16 v157, v157, v159
	v_bfe_u32 v159, v184, 24, 2
	v_lshrrev_b32_e32 v184, 16, v188
	v_sub_nc_u16 v159, v159, v160
	v_lshrrev_b32_e32 v160, 16, v223
	s_delay_alu instid0(VALU_DEP_2) | instskip(NEXT) | instid1(VALU_DEP_2)
	v_lshlrev_b16 v159, 8, v159
	v_sub_nc_u16 v160, v160, v163
	v_bfe_u32 v163, v186, 24, 2
	s_delay_alu instid0(VALU_DEP_1) | instskip(SKIP_1) | instid1(VALU_DEP_2)
	v_sub_nc_u16 v163, v163, v182
	v_lshrrev_b32_e32 v182, 16, v225
	v_lshlrev_b16 v163, 8, v163
	s_delay_alu instid0(VALU_DEP_2) | instskip(SKIP_1) | instid1(VALU_DEP_1)
	v_sub_nc_u16 v182, v182, v184
	v_and_b32_e32 v184, 0xff, v157
	v_or_b32_e32 v156, v184, v156
	v_and_b32_e32 v184, 0xff, v160
	s_delay_alu instid0(VALU_DEP_2) | instskip(NEXT) | instid1(VALU_DEP_2)
	v_perm_b32 v156, v156, v157, 0xc0c0500
	v_or_b32_e32 v159, v184, v159
	v_and_b32_e32 v184, 0xff, v182
	s_delay_alu instid0(VALU_DEP_3) | instskip(NEXT) | instid1(VALU_DEP_3)
	v_dot4_i32_iu8 v156, v151, v156, v203 neg_lo:[1,1,0]
	v_perm_b32 v157, v159, v160, 0xc0c0500
	s_delay_alu instid0(VALU_DEP_3) | instskip(SKIP_1) | instid1(VALU_DEP_3)
	v_or_b32_e32 v163, v184, v163
	v_lshrrev_b32_e32 v160, 16, v208
	v_dot4_i32_iu8 v157, v151, v157, v222 neg_lo:[1,1,0]
	s_delay_alu instid0(VALU_DEP_3) | instskip(SKIP_1) | instid1(VALU_DEP_2)
	v_perm_b32 v159, v163, v182, 0xc0c0500
	v_lshrrev_b32_e32 v163, 24, v178
	v_dot4_i32_iu8 v151, v151, v159, v158 neg_lo:[1,1,0]
	v_lshrrev_b32_e32 v158, 16, v209
	v_lshrrev_b32_e32 v159, 16, v207
	s_delay_alu instid0(VALU_DEP_1) | instskip(SKIP_1) | instid1(VALU_DEP_2)
	v_sub_nc_u16 v158, v158, v159
	v_lshrrev_b32_e32 v159, 16, v210
	v_bfe_i32 v158, v158, 0, 8
	s_delay_alu instid0(VALU_DEP_2) | instskip(SKIP_1) | instid1(VALU_DEP_3)
	v_sub_nc_u16 v159, v159, v160
	v_lshrrev_b32_e32 v160, 16, v174
	v_mul_i32_i24_e32 v150, v158, v150
	s_delay_alu instid0(VALU_DEP_3) | instskip(SKIP_1) | instid1(VALU_DEP_2)
	v_bfe_i32 v158, v159, 0, 8
	v_lshrrev_b32_e32 v159, 24, v208
	v_mul_i32_i24_e32 v152, v158, v152
	v_lshrrev_b32_e32 v158, 24, v207
	s_delay_alu instid0(VALU_DEP_2) | instskip(SKIP_1) | instid1(VALU_DEP_1)
	v_add3_u32 v150, v204, v150, v152
	v_bfe_u32 v152, v205, 24, 2
	v_sub_nc_u16 v152, v152, v158
	v_bfe_u32 v158, v206, 24, 2
	s_delay_alu instid0(VALU_DEP_2) | instskip(NEXT) | instid1(VALU_DEP_2)
	v_bfe_i32 v152, v152, 0, 16
	v_sub_nc_u16 v158, v158, v159
	v_lshrrev_b32_e32 v159, 24, v174
	s_delay_alu instid0(VALU_DEP_3) | instskip(NEXT) | instid1(VALU_DEP_3)
	v_mul_i32_i24_e32 v148, v152, v148
	v_bfe_i32 v152, v158, 0, 16
	v_lshrrev_b32_e32 v158, 16, v170
	s_delay_alu instid0(VALU_DEP_2) | instskip(SKIP_2) | instid1(VALU_DEP_3)
	v_mul_i32_i24_e32 v149, v152, v149
	v_lshrrev_b32_e32 v152, 24, v170
	v_lshrrev_b32_e32 v170, 16, v178
	v_add3_u32 v148, v201, v148, v149
	v_bfe_u32 v149, v172, 24, 2
	s_delay_alu instid0(VALU_DEP_1) | instskip(SKIP_1) | instid1(VALU_DEP_2)
	v_sub_nc_u16 v149, v149, v152
	v_lshrrev_b32_e32 v152, 16, v212
	v_lshlrev_b16 v149, 8, v149
	s_delay_alu instid0(VALU_DEP_2) | instskip(SKIP_1) | instid1(VALU_DEP_1)
	v_sub_nc_u16 v152, v152, v158
	v_bfe_u32 v158, v176, 24, 2
	v_sub_nc_u16 v158, v158, v159
	v_lshrrev_b32_e32 v159, 16, v213
	s_delay_alu instid0(VALU_DEP_2) | instskip(NEXT) | instid1(VALU_DEP_2)
	v_lshlrev_b16 v158, 8, v158
	v_sub_nc_u16 v159, v159, v160
	v_bfe_u32 v160, v180, 24, 2
	s_delay_alu instid0(VALU_DEP_1) | instskip(SKIP_1) | instid1(VALU_DEP_2)
	v_sub_nc_u16 v160, v160, v163
	v_lshrrev_b32_e32 v163, 16, v215
	v_lshlrev_b16 v160, 8, v160
	s_delay_alu instid0(VALU_DEP_2) | instskip(SKIP_1) | instid1(VALU_DEP_1)
	v_sub_nc_u16 v163, v163, v170
	v_and_b32_e32 v170, 0xff, v152
	v_or_b32_e32 v149, v170, v149
	v_and_b32_e32 v170, 0xff, v159
	s_delay_alu instid0(VALU_DEP_2) | instskip(NEXT) | instid1(VALU_DEP_2)
	v_perm_b32 v149, v149, v152, 0xc0c0500
	v_or_b32_e32 v158, v170, v158
	v_and_b32_e32 v170, 0xff, v163
	s_delay_alu instid0(VALU_DEP_3) | instskip(NEXT) | instid1(VALU_DEP_3)
	v_dot4_i32_iu8 v149, v147, v149, v216 neg_lo:[1,1,0]
	v_perm_b32 v152, v158, v159, 0xc0c0500
	s_delay_alu instid0(VALU_DEP_3) | instskip(SKIP_1) | instid1(VALU_DEP_3)
	v_or_b32_e32 v160, v170, v160
	v_lshrrev_b16 v159, 8, v195
	v_dot4_i32_iu8 v152, v147, v152, v217 neg_lo:[1,1,0]
	s_delay_alu instid0(VALU_DEP_3) | instskip(SKIP_2) | instid1(VALU_DEP_3)
	v_perm_b32 v158, v160, v163, 0xc0c0500
	v_ashrrev_i32_e32 v160, s20, v189
	v_ashrrev_i32_e32 v163, s25, v187
	v_dot4_i32_iu8 v147, v147, v158, v218 neg_lo:[1,1,0]
	v_lshrrev_b16 v158, 8, v197
	s_delay_alu instid0(VALU_DEP_4) | instskip(NEXT) | instid1(VALU_DEP_2)
	v_lshlrev_b32_e32 v160, 2, v160
	v_sub_nc_u16 v158, v158, v159
	v_ashrrev_i32_e32 v159, s20, v183
	s_delay_alu instid0(VALU_DEP_3) | instskip(NEXT) | instid1(VALU_DEP_3)
	v_and_b32_e32 v160, 0x4040404, v160
	v_bfe_i32 v158, v158, 0, 16
	s_delay_alu instid0(VALU_DEP_3) | instskip(NEXT) | instid1(VALU_DEP_2)
	v_lshlrev_b32_e32 v159, 2, v159
	v_mul_i32_i24_e32 v146, v158, v146
	v_ashrrev_i32_e32 v158, s20, v162
	v_ashrrev_i32_e32 v162, s25, v185
	s_delay_alu instid0(VALU_DEP_4) | instskip(NEXT) | instid1(VALU_DEP_4)
	v_and_b32_e32 v159, 0x4040404, v159
	v_add3_u32 v146, v219, v146, v155
	v_ashrrev_i32_e32 v155, s25, v164
	v_lshlrev_b32_e32 v158, 2, v158
	s_delay_alu instid0(VALU_DEP_3) | instskip(NEXT) | instid1(VALU_DEP_3)
	v_add3_u32 v146, v198, v154, v146
	v_and_b32_e32 v164, 0x3030303, v155
	s_delay_alu instid0(VALU_DEP_3) | instskip(NEXT) | instid1(VALU_DEP_1)
	v_and_b32_e32 v158, 0x4040404, v158
	v_sub_nc_u16 v170, v164, v158
	v_lshrrev_b32_e32 v154, 24, v158
	s_delay_alu instid0(VALU_DEP_2) | instskip(NEXT) | instid1(VALU_DEP_1)
	v_bfe_i32 v170, v170, 0, 8
	v_mad_i32_i24 v156, v145, v170, v156
	v_and_b32_e32 v170, 0x3030303, v162
	s_delay_alu instid0(VALU_DEP_1) | instskip(NEXT) | instid1(VALU_DEP_1)
	v_sub_nc_u16 v172, v170, v159
	v_bfe_i32 v172, v172, 0, 8
	s_delay_alu instid0(VALU_DEP_1) | instskip(SKIP_2) | instid1(VALU_DEP_2)
	v_mad_i32_i24 v157, v145, v172, v157
	v_and_b32_e32 v172, 0x3030303, v163
	v_bfe_u32 v163, v163, 24, 2
	v_sub_nc_u16 v174, v172, v160
	s_delay_alu instid0(VALU_DEP_1) | instskip(NEXT) | instid1(VALU_DEP_1)
	v_bfe_i32 v174, v174, 0, 8
	v_mad_i32_i24 v145, v145, v174, v151
	v_lshrrev_b16 v151, 8, v210
	v_lshrrev_b16 v174, 8, v208
	s_delay_alu instid0(VALU_DEP_1) | instskip(SKIP_1) | instid1(VALU_DEP_2)
	v_sub_nc_u16 v151, v151, v174
	v_ashrrev_i32_e32 v174, s25, v181
	v_bfe_i32 v151, v151, 0, 16
	s_delay_alu instid0(VALU_DEP_1) | instskip(SKIP_2) | instid1(VALU_DEP_3)
	v_mul_i32_i24_e32 v143, v151, v143
	v_ashrrev_i32_e32 v151, s20, v171
	v_ashrrev_i32_e32 v171, s20, v179
	v_add3_u32 v143, v153, v143, v148
	v_ashrrev_i32_e32 v148, s25, v173
	s_delay_alu instid0(VALU_DEP_4)
	v_lshlrev_b32_e32 v151, 2, v151
	v_ashrrev_i32_e32 v153, s20, v175
	v_ashrrev_i32_e32 v173, s25, v177
	v_lshlrev_b32_e32 v171, 2, v171
	v_and_b32_e32 v175, 0x3030303, v148
	v_and_b32_e32 v151, 0x4040404, v151
	v_lshlrev_b32_e32 v153, 2, v153
	v_add3_u32 v150, v211, v150, v143
	v_and_b32_e32 v171, 0x4040404, v171
	s_delay_alu instid0(VALU_DEP_4) | instskip(NEXT) | instid1(VALU_DEP_4)
	v_sub_nc_u16 v176, v175, v151
	v_and_b32_e32 v153, 0x4040404, v153
	v_lshrrev_b32_e32 v143, 24, v151
	s_delay_alu instid0(VALU_DEP_3) | instskip(NEXT) | instid1(VALU_DEP_1)
	v_bfe_i32 v176, v176, 0, 8
	v_mad_i32_i24 v149, v144, v176, v149
	v_and_b32_e32 v176, 0x3030303, v173
	s_delay_alu instid0(VALU_DEP_1) | instskip(NEXT) | instid1(VALU_DEP_1)
	v_sub_nc_u16 v177, v176, v153
	v_bfe_i32 v177, v177, 0, 8
	s_delay_alu instid0(VALU_DEP_1) | instskip(SKIP_1) | instid1(VALU_DEP_1)
	v_mad_i32_i24 v152, v144, v177, v152
	v_and_b32_e32 v177, 0x3030303, v174
	v_sub_nc_u16 v178, v177, v171
	s_delay_alu instid0(VALU_DEP_1) | instskip(NEXT) | instid1(VALU_DEP_1)
	v_bfe_i32 v178, v178, 0, 8
	v_mad_i32_i24 v144, v144, v178, v147
	v_bfe_u32 v147, v155, 24, 2
	v_lshrrev_b32_e32 v155, 16, v158
	v_lshrrev_b16 v158, 8, v158
	s_delay_alu instid0(VALU_DEP_3) | instskip(SKIP_1) | instid1(VALU_DEP_2)
	v_sub_nc_u16 v147, v147, v154
	v_lshrrev_b32_e32 v154, 16, v164
	v_lshlrev_b16 v147, 8, v147
	s_delay_alu instid0(VALU_DEP_2) | instskip(SKIP_2) | instid1(VALU_DEP_2)
	v_sub_nc_u16 v154, v154, v155
	v_lshrrev_b16 v155, 8, v164
	v_lshrrev_b32_e32 v164, 16, v159
	v_sub_nc_u16 v155, v155, v158
	v_bfe_u32 v158, v162, 24, 2
	v_lshrrev_b32_e32 v162, 24, v159
	v_lshrrev_b16 v159, 8, v159
	s_delay_alu instid0(VALU_DEP_4) | instskip(NEXT) | instid1(VALU_DEP_3)
	v_lshlrev_b16 v155, 8, v155
	v_sub_nc_u16 v158, v158, v162
	v_lshrrev_b32_e32 v162, 16, v170
	s_delay_alu instid0(VALU_DEP_3) | instskip(NEXT) | instid1(VALU_DEP_3)
	v_perm_b32 v155, v155, v155, 0xc0c0c01
	v_lshlrev_b16 v158, 8, v158
	s_delay_alu instid0(VALU_DEP_3) | instskip(SKIP_2) | instid1(VALU_DEP_2)
	v_sub_nc_u16 v162, v162, v164
	v_lshrrev_b16 v164, 8, v170
	v_lshrrev_b32_e32 v170, 16, v160
	v_sub_nc_u16 v159, v164, v159
	v_lshrrev_b32_e32 v164, 24, v160
	v_lshrrev_b16 v160, 8, v160
	s_delay_alu instid0(VALU_DEP_2) | instskip(SKIP_1) | instid1(VALU_DEP_2)
	v_sub_nc_u16 v163, v163, v164
	v_lshrrev_b32_e32 v164, 16, v172
	v_lshlrev_b16 v163, 8, v163
	s_delay_alu instid0(VALU_DEP_2) | instskip(SKIP_1) | instid1(VALU_DEP_1)
	v_sub_nc_u16 v164, v164, v170
	v_lshrrev_b16 v170, 8, v172
	v_sub_nc_u16 v160, v170, v160
	v_and_b32_e32 v170, 0xff, v154
	s_delay_alu instid0(VALU_DEP_1) | instskip(SKIP_1) | instid1(VALU_DEP_2)
	v_or_b32_e32 v147, v170, v147
	v_and_b32_e32 v170, 0xff, v162
	v_perm_b32 v147, v147, v154, 0xc05000c
	s_delay_alu instid0(VALU_DEP_2) | instskip(SKIP_1) | instid1(VALU_DEP_3)
	v_or_b32_e32 v158, v170, v158
	v_and_b32_e32 v170, 0xff, v164
	v_or_b32_e32 v147, v147, v155
	v_lshlrev_b16 v155, 8, v159
	s_delay_alu instid0(VALU_DEP_4) | instskip(NEXT) | instid1(VALU_DEP_4)
	v_perm_b32 v154, v158, v162, 0xc05000c
	v_or_b32_e32 v163, v170, v163
	v_lshrrev_b16 v159, 8, v171
	v_dot4_i32_iu8 v147, v141, v147, v156 neg_lo:[1,1,0]
	v_perm_b32 v155, v155, v155, 0xc0c0c01
	v_lshrrev_b32_e32 v156, 16, v153
	v_perm_b32 v158, v163, v164, 0xc05000c
	s_delay_alu instid0(VALU_DEP_3) | instskip(SKIP_1) | instid1(VALU_DEP_2)
	v_or_b32_e32 v154, v154, v155
	v_lshlrev_b16 v155, 8, v160
	v_dot4_i32_iu8 v154, v141, v154, v157 neg_lo:[1,1,0]
	s_delay_alu instid0(VALU_DEP_2) | instskip(SKIP_1) | instid1(VALU_DEP_2)
	v_perm_b32 v155, v155, v155, 0xc0c0c01
	v_lshrrev_b32_e32 v157, 24, v171
	v_or_b32_e32 v155, v158, v155
	v_lshrrev_b32_e32 v158, 16, v171
	s_delay_alu instid0(VALU_DEP_2)
	v_dot4_i32_iu8 v145, v141, v155, v145 neg_lo:[1,1,0]
	v_bfe_u32 v141, v148, 24, 2
	v_lshrrev_b32_e32 v148, 16, v151
	v_lshrrev_b16 v151, 8, v151
	v_lshrrev_b32_e32 v155, 24, v153
	v_lshrrev_b16 v153, 8, v153
	v_sub_nc_u16 v141, v141, v143
	v_lshrrev_b32_e32 v143, 16, v175
	s_delay_alu instid0(VALU_DEP_2) | instskip(NEXT) | instid1(VALU_DEP_2)
	v_lshlrev_b16 v141, 8, v141
	v_sub_nc_u16 v143, v143, v148
	v_lshrrev_b16 v148, 8, v175
	s_delay_alu instid0(VALU_DEP_1) | instskip(SKIP_1) | instid1(VALU_DEP_2)
	v_sub_nc_u16 v148, v148, v151
	v_bfe_u32 v151, v173, 24, 2
	v_lshlrev_b16 v148, 8, v148
	s_delay_alu instid0(VALU_DEP_2) | instskip(SKIP_1) | instid1(VALU_DEP_3)
	v_sub_nc_u16 v151, v151, v155
	v_lshrrev_b32_e32 v155, 16, v176
	v_perm_b32 v148, v148, v148, 0xc0c0c01
	s_delay_alu instid0(VALU_DEP_3) | instskip(NEXT) | instid1(VALU_DEP_3)
	v_lshlrev_b16 v151, 8, v151
	v_sub_nc_u16 v155, v155, v156
	v_lshrrev_b16 v156, 8, v176
	s_delay_alu instid0(VALU_DEP_1) | instskip(SKIP_1) | instid1(VALU_DEP_1)
	v_sub_nc_u16 v153, v156, v153
	v_bfe_u32 v156, v174, 24, 2
	v_sub_nc_u16 v156, v156, v157
	v_lshrrev_b32_e32 v157, 16, v177
	s_delay_alu instid0(VALU_DEP_2) | instskip(NEXT) | instid1(VALU_DEP_2)
	v_lshlrev_b16 v156, 8, v156
	v_sub_nc_u16 v157, v157, v158
	v_lshrrev_b16 v158, 8, v177
	s_delay_alu instid0(VALU_DEP_1) | instskip(SKIP_1) | instid1(VALU_DEP_1)
	v_sub_nc_u16 v158, v158, v159
	v_and_b32_e32 v159, 0xff, v143
	v_or_b32_e32 v141, v159, v141
	v_and_b32_e32 v159, 0xff, v155
	s_delay_alu instid0(VALU_DEP_2) | instskip(NEXT) | instid1(VALU_DEP_2)
	v_perm_b32 v141, v141, v143, 0xc05000c
	v_or_b32_e32 v151, v159, v151
	v_and_b32_e32 v159, 0xff, v157
	s_delay_alu instid0(VALU_DEP_3) | instskip(SKIP_1) | instid1(VALU_DEP_4)
	v_or_b32_e32 v141, v141, v148
	v_lshlrev_b16 v148, 8, v153
	v_perm_b32 v143, v151, v155, 0xc05000c
	s_delay_alu instid0(VALU_DEP_4) | instskip(NEXT) | instid1(VALU_DEP_4)
	v_or_b32_e32 v156, v159, v156
	v_dot4_i32_iu8 v149, v140, v141, v149 neg_lo:[1,1,0]
	s_delay_alu instid0(VALU_DEP_4) | instskip(NEXT) | instid1(VALU_DEP_3)
	v_perm_b32 v148, v148, v148, 0xc0c0c01
	v_perm_b32 v151, v156, v157, 0xc05000c
	s_delay_alu instid0(VALU_DEP_2) | instskip(SKIP_1) | instid1(VALU_DEP_1)
	v_or_b32_e32 v143, v143, v148
	v_lshlrev_b16 v148, 8, v158
	v_perm_b32 v148, v148, v148, 0xc0c0c01
	s_delay_alu instid0(VALU_DEP_1) | instskip(NEXT) | instid1(VALU_DEP_4)
	v_or_b32_e32 v148, v151, v148
	v_dot4_i32_iu8 v151, v140, v143, v152 neg_lo:[1,1,0]
	s_delay_alu instid0(VALU_DEP_2) | instskip(SKIP_2) | instid1(VALU_DEP_2)
	v_dot4_i32_iu8 v144, v140, v148, v144 neg_lo:[1,1,0]
	v_and_b32_e32 v148, 0x3030303, v30
	v_bfe_u32 v30, v30, 24, 2
	v_sub_nc_u16 v140, v148, v28
	s_delay_alu instid0(VALU_DEP_1) | instskip(NEXT) | instid1(VALU_DEP_1)
	v_bfe_i32 v140, v140, 0, 8
	v_mad_i32_i24 v147, v139, v140, v147
	v_add_nc_u32_e32 v140, 0x1088, v142
	ds_load_2addr_b32 v[140:141], v140 offset1:1
	s_wait_dscnt 0x0
	v_ashrrev_i32_e32 v140, s25, v140
	s_delay_alu instid0(VALU_DEP_1) | instskip(SKIP_1) | instid1(VALU_DEP_2)
	v_and_b32_e32 v152, 0x3030303, v140
	v_bfe_u32 v140, v140, 24, 2
	v_sub_nc_u16 v142, v152, v32
	s_delay_alu instid0(VALU_DEP_1) | instskip(NEXT) | instid1(VALU_DEP_1)
	v_bfe_i32 v142, v142, 0, 8
	v_mad_i32_i24 v153, v139, v142, v154
	v_and_b32_e32 v154, 0x3030303, v38
	ds_load_2addr_b32 v[142:143], v214 offset0:6 offset1:7
	v_bfe_u32 v38, v38, 24, 2
	v_sub_nc_u16 v155, v154, v36
	s_delay_alu instid0(VALU_DEP_1) | instskip(NEXT) | instid1(VALU_DEP_1)
	v_bfe_i32 v155, v155, 0, 8
	v_mad_i32_i24 v139, v139, v155, v145
	v_and_b32_e32 v145, 0x3030303, v22
	v_bfe_u32 v22, v22, 24, 2
	s_delay_alu instid0(VALU_DEP_2) | instskip(SKIP_2) | instid1(VALU_DEP_2)
	v_sub_nc_u16 v155, v145, v20
	s_wait_dscnt 0x0
	v_ashrrev_i32_e32 v142, s20, v142
	v_bfe_i32 v155, v155, 0, 8
	s_delay_alu instid0(VALU_DEP_2) | instskip(NEXT) | instid1(VALU_DEP_2)
	v_lshlrev_b32_e32 v142, 2, v142
	v_mad_i32_i24 v149, v138, v155, v149
	v_and_b32_e32 v155, 0x3030303, v26
	s_delay_alu instid0(VALU_DEP_3) | instskip(SKIP_1) | instid1(VALU_DEP_3)
	v_and_b32_e32 v142, 0x4040404, v142
	v_bfe_u32 v26, v26, 24, 2
	v_sub_nc_u16 v156, v155, v24
	s_delay_alu instid0(VALU_DEP_1) | instskip(NEXT) | instid1(VALU_DEP_1)
	v_bfe_i32 v156, v156, 0, 8
	v_mad_i32_i24 v151, v138, v156, v151
	v_and_b32_e32 v156, 0x3030303, v34
	v_bfe_u32 v34, v34, 24, 2
	s_delay_alu instid0(VALU_DEP_2) | instskip(NEXT) | instid1(VALU_DEP_1)
	v_sub_nc_u16 v157, v156, v142
	v_bfe_i32 v157, v157, 0, 8
	s_delay_alu instid0(VALU_DEP_1) | instskip(SKIP_3) | instid1(VALU_DEP_3)
	v_mad_i32_i24 v138, v138, v157, v144
	v_lshrrev_b32_e32 v144, 24, v28
	v_lshrrev_b32_e32 v157, 16, v28
	v_lshrrev_b16 v28, 8, v28
	v_sub_nc_u16 v30, v30, v144
	v_lshrrev_b32_e32 v144, 16, v148
	v_lshrrev_b16 v148, 8, v148
	s_delay_alu instid0(VALU_DEP_3) | instskip(NEXT) | instid1(VALU_DEP_3)
	v_lshlrev_b16 v30, 8, v30
	v_sub_nc_u16 v144, v144, v157
	s_delay_alu instid0(VALU_DEP_3) | instskip(SKIP_3) | instid1(VALU_DEP_4)
	v_sub_nc_u16 v28, v148, v28
	v_lshrrev_b32_e32 v148, 24, v36
	v_lshrrev_b32_e32 v157, 16, v36
	v_lshrrev_b16 v36, 8, v36
	v_lshlrev_b16 v28, 8, v28
	s_delay_alu instid0(VALU_DEP_4) | instskip(SKIP_2) | instid1(VALU_DEP_4)
	v_sub_nc_u16 v38, v38, v148
	v_lshrrev_b32_e32 v148, 16, v154
	v_lshrrev_b16 v154, 8, v154
	v_perm_b32 v28, v28, v28, 0xc0c0c01
	s_delay_alu instid0(VALU_DEP_4) | instskip(NEXT) | instid1(VALU_DEP_4)
	v_lshlrev_b16 v38, 8, v38
	v_sub_nc_u16 v148, v148, v157
	s_delay_alu instid0(VALU_DEP_4) | instskip(SKIP_3) | instid1(VALU_DEP_3)
	v_sub_nc_u16 v36, v154, v36
	v_lshrrev_b32_e32 v154, 24, v32
	v_lshrrev_b32_e32 v157, 16, v32
	v_lshrrev_b16 v32, 8, v32
	v_sub_nc_u16 v140, v140, v154
	v_lshrrev_b32_e32 v154, 16, v152
	v_lshrrev_b16 v152, 8, v152
	s_delay_alu instid0(VALU_DEP_3) | instskip(NEXT) | instid1(VALU_DEP_3)
	v_lshlrev_b16 v140, 8, v140
	v_sub_nc_u16 v154, v154, v157
	s_delay_alu instid0(VALU_DEP_3) | instskip(SKIP_1) | instid1(VALU_DEP_2)
	v_sub_nc_u16 v32, v152, v32
	v_and_b32_e32 v152, 0xff, v144
	v_lshlrev_b16 v32, 8, v32
	s_delay_alu instid0(VALU_DEP_2) | instskip(SKIP_1) | instid1(VALU_DEP_3)
	v_or_b32_e32 v30, v152, v30
	v_and_b32_e32 v152, 0xff, v148
	v_perm_b32 v32, v32, v32, 0xc0c0c01
	s_delay_alu instid0(VALU_DEP_3) | instskip(NEXT) | instid1(VALU_DEP_3)
	v_perm_b32 v30, v30, v144, 0xc05000c
	v_or_b32_e32 v38, v152, v38
	v_and_b32_e32 v152, 0xff, v154
	s_delay_alu instid0(VALU_DEP_3) | instskip(SKIP_1) | instid1(VALU_DEP_4)
	v_or_b32_e32 v28, v30, v28
	v_lshlrev_b16 v30, 8, v36
	v_perm_b32 v38, v38, v148, 0xc05000c
	v_lshrrev_b32_e32 v36, 24, v20
	v_or_b32_e32 v140, v152, v140
	v_dot4_i32_iu8 v28, v137, v28, v147 neg_lo:[1,1,0]
	v_perm_b32 v30, v30, v30, 0xc0c0c01
	s_delay_alu instid0(VALU_DEP_4) | instskip(SKIP_2) | instid1(VALU_DEP_4)
	v_sub_nc_u16 v22, v22, v36
	v_lshrrev_b32_e32 v36, 16, v145
	v_perm_b32 v140, v140, v154, 0xc05000c
	v_or_b32_e32 v30, v38, v30
	v_lshrrev_b32_e32 v38, 16, v20
	v_lshrrev_b16 v20, 8, v20
	v_lshlrev_b16 v22, 8, v22
	v_or_b32_e32 v32, v140, v32
	v_dot4_i32_iu8 v30, v137, v30, v139 neg_lo:[1,1,0]
	v_sub_nc_u16 v36, v36, v38
	v_lshrrev_b16 v38, 8, v145
	v_lshrrev_b32_e32 v139, 16, v142
	v_dot4_i32_iu8 v32, v137, v32, v153 neg_lo:[1,1,0]
	v_lshrrev_b32_e32 v137, 16, v24
	v_lshrrev_b16 v140, 8, v142
	v_sub_nc_u16 v20, v38, v20
	v_lshrrev_b32_e32 v38, 24, v24
	v_lshrrev_b16 v24, 8, v24
	s_delay_alu instid0(VALU_DEP_3) | instskip(NEXT) | instid1(VALU_DEP_3)
	v_lshlrev_b16 v20, 8, v20
	v_sub_nc_u16 v26, v26, v38
	v_lshrrev_b32_e32 v38, 16, v155
	s_delay_alu instid0(VALU_DEP_3) | instskip(NEXT) | instid1(VALU_DEP_3)
	v_perm_b32 v20, v20, v20, 0xc0c0c01
	v_lshlrev_b16 v26, 8, v26
	s_delay_alu instid0(VALU_DEP_3) | instskip(SKIP_1) | instid1(VALU_DEP_1)
	v_sub_nc_u16 v38, v38, v137
	v_lshrrev_b16 v137, 8, v155
	v_sub_nc_u16 v24, v137, v24
	v_lshrrev_b32_e32 v137, 24, v142
	s_delay_alu instid0(VALU_DEP_1) | instskip(SKIP_1) | instid1(VALU_DEP_2)
	v_sub_nc_u16 v34, v34, v137
	v_lshrrev_b32_e32 v137, 16, v156
	v_lshlrev_b16 v34, 8, v34
	s_delay_alu instid0(VALU_DEP_2) | instskip(SKIP_1) | instid1(VALU_DEP_1)
	v_sub_nc_u16 v137, v137, v139
	v_lshrrev_b16 v139, 8, v156
	v_sub_nc_u16 v139, v139, v140
	v_and_b32_e32 v140, 0xff, v36
	s_delay_alu instid0(VALU_DEP_1) | instskip(SKIP_1) | instid1(VALU_DEP_2)
	v_or_b32_e32 v22, v140, v22
	v_and_b32_e32 v140, 0xff, v38
	v_perm_b32 v22, v22, v36, 0xc05000c
	s_delay_alu instid0(VALU_DEP_2) | instskip(SKIP_1) | instid1(VALU_DEP_3)
	v_or_b32_e32 v26, v140, v26
	v_and_b32_e32 v140, 0xff, v137
	v_or_b32_e32 v20, v22, v20
	v_lshlrev_b16 v22, 8, v24
	s_delay_alu instid0(VALU_DEP_3) | instskip(SKIP_2) | instid1(VALU_DEP_4)
	v_or_b32_e32 v34, v140, v34
	v_lshlrev_b16 v24, 8, v139
	v_perm_b32 v26, v26, v38, 0xc05000c
	v_perm_b32 v22, v22, v22, 0xc0c0c01
	s_delay_alu instid0(VALU_DEP_4) | instskip(NEXT) | instid1(VALU_DEP_4)
	v_perm_b32 v34, v34, v137, 0xc05000c
	v_perm_b32 v24, v24, v24, 0xc0c0c01
	s_delay_alu instid0(VALU_DEP_3) | instskip(SKIP_1) | instid1(VALU_DEP_3)
	v_or_b32_e32 v22, v26, v22
	v_dot4_i32_iu8 v26, v136, v20, v149 neg_lo:[1,1,0]
	v_or_b32_e32 v24, v34, v24
	v_lshrrev_b16 v20, 8, v169
	v_bfe_i32 v34, v169, 0, 8
	v_dot4_i32_iu8 v22, v136, v22, v151 neg_lo:[1,1,0]
	s_delay_alu instid0(VALU_DEP_4) | instskip(NEXT) | instid1(VALU_DEP_4)
	v_dot4_i32_iu8 v24, v136, v24, v138 neg_lo:[1,1,0]
	v_bfe_i32 v36, v20, 0, 8
	s_delay_alu instid0(VALU_DEP_4) | instskip(SKIP_1) | instid1(VALU_DEP_2)
	v_mul_lo_u32 v20, v150, v34
	v_ashrrev_i32_e32 v34, s25, v141
	v_mad_co_u64_u32 v[136:137], null, v146, v36, v[20:21]
	v_ashrrev_i32_e32 v20, s25, v31
	v_ashrrev_i32_e32 v31, s20, v37
	;; [unrolled: 1-line block ×4, first 2 shown]
	s_delay_alu instid0(VALU_DEP_4) | instskip(NEXT) | instid1(VALU_DEP_4)
	v_and_b32_e32 v37, 0x3030303, v20
	v_lshlrev_b32_e32 v31, 2, v31
	v_bfe_u32 v20, v20, 24, 2
	s_delay_alu instid0(VALU_DEP_4) | instskip(NEXT) | instid1(VALU_DEP_4)
	v_lshlrev_b32_e32 v21, 2, v21
	v_sub_nc_u16 v38, v37, v29
	s_delay_alu instid0(VALU_DEP_4) | instskip(NEXT) | instid1(VALU_DEP_3)
	v_and_b32_e32 v31, 0x4040404, v31
	v_and_b32_e32 v21, 0x4040404, v21
	s_delay_alu instid0(VALU_DEP_3) | instskip(NEXT) | instid1(VALU_DEP_1)
	v_bfe_i32 v38, v38, 0, 8
	v_mad_i32_i24 v28, v135, v38, v28
	v_and_b32_e32 v38, 0x3030303, v34
	v_bfe_u32 v34, v34, 24, 2
	s_delay_alu instid0(VALU_DEP_2) | instskip(NEXT) | instid1(VALU_DEP_1)
	v_sub_nc_u16 v39, v38, v33
	v_bfe_i32 v39, v39, 0, 8
	s_delay_alu instid0(VALU_DEP_1) | instskip(SKIP_2) | instid1(VALU_DEP_2)
	v_mad_i32_i24 v32, v135, v39, v32
	v_and_b32_e32 v39, 0x3030303, v36
	v_bfe_u32 v36, v36, 24, 2
	v_sub_nc_u16 v137, v39, v31
	s_delay_alu instid0(VALU_DEP_1) | instskip(NEXT) | instid1(VALU_DEP_1)
	v_bfe_i32 v137, v137, 0, 8
	v_mad_i32_i24 v30, v135, v137, v30
	v_and_b32_e32 v137, 0x3030303, v23
	v_ashrrev_i32_e32 v135, s20, v143
	v_bfe_u32 v23, v23, 24, 2
	s_add_co_i32 s20, s20, 1
	s_cmp_lt_u32 s22, 22
	v_sub_nc_u16 v138, v137, v21
	v_lshlrev_b32_e32 v135, 2, v135
	s_delay_alu instid0(VALU_DEP_2) | instskip(NEXT) | instid1(VALU_DEP_2)
	v_bfe_i32 v138, v138, 0, 8
	v_and_b32_e32 v135, 0x4040404, v135
	s_delay_alu instid0(VALU_DEP_2) | instskip(SKIP_2) | instid1(VALU_DEP_2)
	v_mad_i32_i24 v26, v134, v138, v26
	v_and_b32_e32 v138, 0x3030303, v27
	v_bfe_u32 v27, v27, 24, 2
	v_sub_nc_u16 v139, v138, v25
	s_delay_alu instid0(VALU_DEP_1) | instskip(NEXT) | instid1(VALU_DEP_1)
	v_bfe_i32 v139, v139, 0, 8
	v_mad_i32_i24 v22, v134, v139, v22
	v_and_b32_e32 v139, 0x3030303, v35
	s_delay_alu instid0(VALU_DEP_1) | instskip(NEXT) | instid1(VALU_DEP_1)
	v_sub_nc_u16 v140, v139, v135
	v_bfe_i32 v140, v140, 0, 8
	s_delay_alu instid0(VALU_DEP_1) | instskip(SKIP_3) | instid1(VALU_DEP_3)
	v_mad_i32_i24 v24, v134, v140, v24
	v_lshrrev_b32_e32 v134, 24, v29
	v_lshrrev_b32_e32 v140, 16, v29
	v_lshrrev_b16 v29, 8, v29
	v_sub_nc_u16 v20, v20, v134
	v_lshrrev_b32_e32 v134, 16, v37
	v_lshrrev_b16 v37, 8, v37
	s_delay_alu instid0(VALU_DEP_3) | instskip(NEXT) | instid1(VALU_DEP_3)
	v_lshlrev_b16 v20, 8, v20
	v_sub_nc_u16 v134, v134, v140
	s_delay_alu instid0(VALU_DEP_3) | instskip(SKIP_3) | instid1(VALU_DEP_4)
	v_sub_nc_u16 v29, v37, v29
	v_lshrrev_b32_e32 v37, 24, v31
	v_lshrrev_b32_e32 v140, 16, v31
	v_lshrrev_b16 v31, 8, v31
	v_lshlrev_b16 v29, 8, v29
	s_delay_alu instid0(VALU_DEP_4) | instskip(SKIP_2) | instid1(VALU_DEP_4)
	v_sub_nc_u16 v36, v36, v37
	v_lshrrev_b32_e32 v37, 16, v39
	v_lshrrev_b16 v39, 8, v39
	v_perm_b32 v29, v29, v29, 0xc0c0c01
	s_delay_alu instid0(VALU_DEP_4) | instskip(NEXT) | instid1(VALU_DEP_4)
	v_lshlrev_b16 v36, 8, v36
	v_sub_nc_u16 v37, v37, v140
	s_delay_alu instid0(VALU_DEP_4) | instskip(SKIP_3) | instid1(VALU_DEP_3)
	v_sub_nc_u16 v31, v39, v31
	v_lshrrev_b32_e32 v39, 24, v33
	v_lshrrev_b32_e32 v140, 16, v33
	v_lshrrev_b16 v33, 8, v33
	v_sub_nc_u16 v34, v34, v39
	v_lshrrev_b32_e32 v39, 16, v38
	v_lshrrev_b16 v38, 8, v38
	s_delay_alu instid0(VALU_DEP_3) | instskip(NEXT) | instid1(VALU_DEP_3)
	v_lshlrev_b16 v34, 8, v34
	v_sub_nc_u16 v39, v39, v140
	s_delay_alu instid0(VALU_DEP_3) | instskip(SKIP_1) | instid1(VALU_DEP_1)
	v_sub_nc_u16 v33, v38, v33
	v_and_b32_e32 v38, 0xff, v134
	v_or_b32_e32 v20, v38, v20
	v_and_b32_e32 v38, 0xff, v37
	s_delay_alu instid0(VALU_DEP_2) | instskip(NEXT) | instid1(VALU_DEP_2)
	v_perm_b32 v20, v20, v134, 0xc05000c
	v_or_b32_e32 v36, v38, v36
	v_and_b32_e32 v38, 0xff, v39
	s_delay_alu instid0(VALU_DEP_3) | instskip(SKIP_1) | instid1(VALU_DEP_3)
	v_or_b32_e32 v20, v20, v29
	v_lshlrev_b16 v29, 8, v31
	v_or_b32_e32 v34, v38, v34
	v_perm_b32 v36, v36, v37, 0xc05000c
	v_lshlrev_b16 v31, 8, v33
	v_dot4_i32_iu8 v20, v133, v20, v28 neg_lo:[1,1,0]
	v_perm_b32 v29, v29, v29, 0xc0c0c01
	v_perm_b32 v34, v34, v39, 0xc05000c
	v_lshrrev_b32_e32 v33, 24, v135
	v_perm_b32 v31, v31, v31, 0xc0c0c01
	s_delay_alu instid0(VALU_DEP_4) | instskip(NEXT) | instid1(VALU_DEP_2)
	v_or_b32_e32 v29, v36, v29
	v_or_b32_e32 v31, v34, v31
	v_lshrrev_b32_e32 v34, 16, v135
	s_delay_alu instid0(VALU_DEP_3) | instskip(SKIP_1) | instid1(VALU_DEP_4)
	v_dot4_i32_iu8 v29, v133, v29, v30 neg_lo:[1,1,0]
	v_lshrrev_b32_e32 v30, 24, v21
	v_dot4_i32_iu8 v28, v133, v31, v32 neg_lo:[1,1,0]
	v_lshrrev_b32_e32 v31, 16, v21
	v_lshrrev_b16 v21, 8, v21
	s_delay_alu instid0(VALU_DEP_4) | instskip(SKIP_2) | instid1(VALU_DEP_3)
	v_sub_nc_u16 v23, v23, v30
	v_lshrrev_b32_e32 v30, 16, v137
	v_lshrrev_b32_e32 v32, 16, v25
	v_lshlrev_b16 v23, 8, v23
	s_delay_alu instid0(VALU_DEP_3) | instskip(SKIP_1) | instid1(VALU_DEP_1)
	v_sub_nc_u16 v30, v30, v31
	v_lshrrev_b16 v31, 8, v137
	v_sub_nc_u16 v21, v31, v21
	v_lshrrev_b32_e32 v31, 24, v25
	v_lshrrev_b16 v25, 8, v25
	s_delay_alu instid0(VALU_DEP_3) | instskip(NEXT) | instid1(VALU_DEP_3)
	v_lshlrev_b16 v21, 8, v21
	v_sub_nc_u16 v27, v27, v31
	v_lshrrev_b32_e32 v31, 16, v138
	s_delay_alu instid0(VALU_DEP_3) | instskip(NEXT) | instid1(VALU_DEP_3)
	v_perm_b32 v21, v21, v21, 0xc0c0c01
	v_lshlrev_b16 v27, 8, v27
	s_delay_alu instid0(VALU_DEP_3) | instskip(SKIP_1) | instid1(VALU_DEP_1)
	v_sub_nc_u16 v31, v31, v32
	v_lshrrev_b16 v32, 8, v138
	v_sub_nc_u16 v25, v32, v25
	v_bfe_u32 v32, v35, 24, 2
	v_lshrrev_b16 v35, 8, v135
	s_delay_alu instid0(VALU_DEP_2) | instskip(SKIP_1) | instid1(VALU_DEP_2)
	v_sub_nc_u16 v32, v32, v33
	v_lshrrev_b32_e32 v33, 16, v139
	v_lshlrev_b16 v32, 8, v32
	s_delay_alu instid0(VALU_DEP_2) | instskip(SKIP_1) | instid1(VALU_DEP_1)
	v_sub_nc_u16 v33, v33, v34
	v_lshrrev_b16 v34, 8, v139
	v_sub_nc_u16 v34, v34, v35
	v_and_b32_e32 v35, 0xff, v30
	s_delay_alu instid0(VALU_DEP_1) | instskip(SKIP_1) | instid1(VALU_DEP_2)
	v_or_b32_e32 v23, v35, v23
	v_and_b32_e32 v35, 0xff, v31
	v_perm_b32 v23, v23, v30, 0xc05000c
	s_delay_alu instid0(VALU_DEP_2) | instskip(SKIP_1) | instid1(VALU_DEP_3)
	v_or_b32_e32 v27, v35, v27
	v_and_b32_e32 v35, 0xff, v33
	v_or_b32_e32 v21, v23, v21
	v_lshlrev_b16 v23, 8, v25
	s_delay_alu instid0(VALU_DEP_4) | instskip(NEXT) | instid1(VALU_DEP_4)
	v_perm_b32 v27, v27, v31, 0xc05000c
	v_or_b32_e32 v32, v35, v32
	v_lshlrev_b16 v25, 8, v34
	v_dot4_i32_iu8 v21, v132, v21, v26 neg_lo:[1,1,0]
	v_perm_b32 v23, v23, v23, 0xc0c0c01
	s_delay_alu instid0(VALU_DEP_4) | instskip(NEXT) | instid1(VALU_DEP_4)
	v_perm_b32 v30, v32, v33, 0xc05000c
	v_perm_b32 v25, v25, v25, 0xc0c0c01
	s_delay_alu instid0(VALU_DEP_3) | instskip(NEXT) | instid1(VALU_DEP_2)
	v_or_b32_e32 v23, v27, v23
	v_or_b32_e32 v25, v30, v25
	s_delay_alu instid0(VALU_DEP_2) | instskip(SKIP_1) | instid1(VALU_DEP_3)
	v_dot4_i32_iu8 v22, v132, v23, v22 neg_lo:[1,1,0]
	v_add_nc_u32_e32 v23, s21, v99
	v_dot4_i32_iu8 v24, v132, v25, v24 neg_lo:[1,1,0]
	v_add_nc_u32_e32 v25, s21, v97
	s_mov_b32 s21, s22
	ds_load_u16 v23, v23 offset:25330
	ds_load_u16 v25, v25 offset:27378
	s_wait_dscnt 0x1
	v_lshrrev_b16 v26, 8, v23
	v_bfe_i32 v23, v23, 0, 8
	s_delay_alu instid0(VALU_DEP_2) | instskip(NEXT) | instid1(VALU_DEP_2)
	v_bfe_i32 v26, v26, 0, 8
	v_mul_lo_u32 v20, v20, v23
	s_wait_dscnt 0x0
	v_bfe_i32 v23, v25, 0, 8
	v_lshrrev_b16 v25, 8, v25
	s_delay_alu instid0(VALU_DEP_3) | instskip(SKIP_2) | instid1(VALU_DEP_2)
	v_mad_co_u64_u32 v[20:21], null, v21, v26, v[20:21]
	v_lshrrev_b16 v21, 8, v168
	v_bfe_i32 v26, v168, 0, 8
	v_bfe_i32 v27, v21, 0, 8
	s_delay_alu instid0(VALU_DEP_2)
	v_mul_lo_u32 v21, v28, v26
	ds_load_b32 v26, v131
	v_cvt_f32_i32_e32 v20, v20
	v_add_nc_u32_e32 v131, 4, v131
	v_mad_co_u64_u32 v[21:22], null, v22, v27, v[21:22]
	v_mul_lo_u32 v22, v29, v23
	v_bfe_i32 v23, v25, 0, 8
	v_cvt_f32_i32_e32 v27, v136
	s_delay_alu instid0(VALU_DEP_4) | instskip(NEXT) | instid1(VALU_DEP_3)
	v_cvt_f32_i32_e32 v21, v21
	v_mad_co_u64_u32 v[22:23], null, v24, v23, v[22:23]
	s_wait_dscnt 0x0
	v_mul_f32_e32 v23, v26, v161
	v_mul_f32_e32 v24, v26, v167
	;; [unrolled: 1-line block ×4, first 2 shown]
	v_cvt_f32_i32_e32 v22, v22
	s_delay_alu instid0(VALU_DEP_4) | instskip(NEXT) | instid1(VALU_DEP_3)
	v_dual_fmac_f32 v42, v23, v20 :: v_dual_fmac_f32 v89, v24, v21
	v_fmac_f32_e32 v17, v26, v27
	s_delay_alu instid0(VALU_DEP_3)
	v_fmac_f32_e32 v83, v25, v22
	s_cbranch_scc1 .LBB230_27
; %bb.28:                               ;   in Loop: Header=BB230_5 Depth=1
	s_or_b32 s1, s18, 0x180
	s_wait_loadcnt 0x0
	s_wait_alu 0xfffe
	s_cmp_ge_i32 s1, s5
	s_barrier_signal -1
	s_barrier_wait -1
	global_inv scope:SCOPE_SE
	s_cbranch_scc1 .LBB230_4
; %bb.29:                               ;   in Loop: Header=BB230_5 Depth=1
	v_add_nc_u32_e32 v20, s19, v92
	s_delay_alu instid0(VALU_DEP_1)
	v_cmp_gt_i32_e64 s1, s6, v20
	s_and_b32 s18, s0, s1
	s_wait_alu 0xfffe
	s_and_saveexec_b32 s1, s18
	s_cbranch_execz .LBB230_31
; %bb.30:                               ;   in Loop: Header=BB230_5 Depth=1
	v_add_nc_u32_e32 v20, v93, v20
	s_delay_alu instid0(VALU_DEP_1)
	v_mad_co_i64_i32 v[20:21], null, v20, 36, v[18:19]
	global_load_b32 v20, v[20:21], off offset:4
	s_wait_loadcnt 0x0
	ds_store_b32 v87, v20
.LBB230_31:                             ;   in Loop: Header=BB230_5 Depth=1
	s_wait_alu 0xfffe
	s_or_b32 exec_lo, exec_lo, s1
	s_and_saveexec_b32 s18, vcc_lo
	s_cbranch_execz .LBB230_34
; %bb.32:                               ;   in Loop: Header=BB230_5 Depth=1
	v_or_b32_e32 v20, 12, v129
	s_delay_alu instid0(VALU_DEP_1)
	v_cmp_gt_i32_e64 s1, s6, v20
	s_and_b32 s1, s0, s1
	s_wait_alu 0xfffe
	s_and_b32 exec_lo, exec_lo, s1
	s_cbranch_execz .LBB230_34
; %bb.33:                               ;   in Loop: Header=BB230_5 Depth=1
	v_ashrrev_i32_e32 v20, 31, v129
	v_add_co_u32 v21, s1, v93, v129
	s_wait_alu 0xf1ff
	s_delay_alu instid0(VALU_DEP_2) | instskip(NEXT) | instid1(VALU_DEP_2)
	v_add_co_ci_u32_e64 v22, null, v0, v20, s1
	v_mad_co_u64_u32 v[20:21], null, v21, 36, s[2:3]
	s_delay_alu instid0(VALU_DEP_1)
	v_mad_i32_i24 v21, v22, 36, v21
	global_load_b32 v20, v[20:21], off offset:432
	s_wait_loadcnt 0x0
	v_cvt_f32_f16_e32 v20, v20
	ds_store_b32 v88, v20
.LBB230_34:                             ;   in Loop: Header=BB230_5 Depth=1
	s_wait_alu 0xfffe
	s_or_b32 exec_lo, exec_lo, s18
	v_dual_mov_b32 v129, v85 :: v_dual_mov_b32 v130, v86
	s_mov_b32 s1, 24
	s_mov_b32 s19, 22
	;; [unrolled: 1-line block ×3, first 2 shown]
	s_wait_loadcnt_dscnt 0x0
	s_barrier_signal -1
	s_barrier_wait -1
	global_inv scope:SCOPE_SE
.LBB230_35:                             ;   Parent Loop BB230_5 Depth=1
                                        ; =>  This Inner Loop Header: Depth=2
	ds_load_b128 v[20:23], v129
	ds_load_b128 v[33:36], v129 offset:16
	s_wait_alu 0xfffe
	s_add_co_i32 s20, s19, 2
	s_and_b32 s24, s1, -16
	s_wait_alu 0xfffe
	s_and_b32 s23, s20, 0x3ffffff8
	s_lshr_b32 s22, s20, 4
	s_wait_alu 0xfffe
	v_lshl_add_u32 v141, s23, 2, v94
	s_lshl_b32 s21, s22, 5
	s_sub_co_i32 s23, s19, 22
	s_add_co_i32 s19, s19, s24
	s_wait_alu 0xfffe
	s_addk_co_i32 s21, 0x4200
	v_add_nc_u32_e32 v37, s19, v95
	s_lshl_b32 s22, s22, 2
	v_add_nc_u32_e32 v39, 0x3198, v141
	s_wait_alu 0xfffe
	s_addk_co_i32 s22, 0x7380
	v_add3_u32 v181, s21, v126, v113
	v_add3_u32 v183, s21, v114, v115
	;; [unrolled: 1-line block ×3, first 2 shown]
	v_add_nc_u32_e32 v129, 32, v129
	s_add_co_i32 s1, s1, 2
	s_wait_dscnt 0x1
	v_lshrrev_b16 v156, 8, v20
	v_ashrrev_i32_e32 v28, 24, v20
	v_bfe_i32 v26, v20, 16, 8
	v_bfe_i32 v157, v20, 0, 8
	v_perm_b32 v150, v20, v20, 0xc0c0302
	v_add_nc_u32_e32 v20, 0x3188, v141
	s_wait_dscnt 0x0
	v_lshrrev_b16 v162, 8, v33
	v_lshrrev_b16 v161, 8, v34
	v_ashrrev_i32_e32 v32, 24, v33
	v_bfe_i32 v30, v33, 16, 8
	v_bfe_i32 v163, v33, 0, 8
	v_perm_b32 v146, v33, v33, 0xc0c0302
	v_ashrrev_i32_e32 v33, 24, v34
	v_bfe_i32 v31, v34, 16, 8
	v_bfe_i32 v143, v34, 0, 8
	v_perm_b32 v139, v34, v34, 0xc030201
	v_add3_u32 v34, s21, v122, v123
	v_lshrrev_b16 v153, 8, v21
	v_lshrrev_b16 v152, 8, v22
	;; [unrolled: 1-line block ×3, first 2 shown]
	v_ashrrev_i32_e32 v29, 24, v21
	v_bfe_i32 v27, v21, 16, 8
	v_bfe_i32 v144, v21, 0, 8
	v_perm_b32 v140, v21, v21, 0xc030201
	v_ashrrev_i32_e32 v147, 24, v22
	v_bfe_i32 v149, v22, 16, 8
	v_bfe_i32 v138, v22, 0, 8
	v_perm_b32 v136, v22, v22, 0xc030201
	;; [unrolled: 4-line block ×3, first 2 shown]
	v_lshrrev_b16 v160, 8, v35
	v_lshrrev_b16 v145, 8, v36
	v_ashrrev_i32_e32 v154, 24, v35
	v_bfe_i32 v158, v35, 16, 8
	v_bfe_i32 v137, v35, 0, 8
	v_perm_b32 v135, v35, v35, 0xc030201
	v_ashrrev_i32_e32 v155, 24, v36
	v_bfe_i32 v159, v36, 16, 8
	v_bfe_i32 v133, v36, 0, 8
	v_perm_b32 v131, v36, v36, 0xc030201
	ds_load_2addr_b32 v[20:21], v20 offset1:1
	ds_load_2addr_b32 v[35:36], v34 offset0:4 offset1:5
	ds_load_2addr_b32 v[24:25], v34 offset0:6 offset1:7
	;; [unrolled: 1-line block ×3, first 2 shown]
	ds_load_u16 v168, v37 offset:28402
	s_wait_alu 0xfffe
	v_add3_u32 v37, s22, v124, v125
	v_bfe_i32 v162, v162, 0, 8
	v_bfe_i32 v161, v161, 0, 8
	;; [unrolled: 1-line block ×4, first 2 shown]
	ds_load_b32 v164, v37
	v_add_nc_u32_e32 v37, 0x3190, v141
	ds_load_2addr_b32 v[37:38], v37 offset1:1
	ds_load_2addr_b32 v[165:166], v39 offset1:1
	v_bfe_i32 v153, v153, 0, 8
	v_bfe_i32 v152, v152, 0, 8
	;; [unrolled: 1-line block ×3, first 2 shown]
	s_wait_dscnt 0x7
	v_ashrrev_i32_e32 v204, s23, v20
	s_wait_dscnt 0x6
	v_ashrrev_i32_e32 v36, s18, v36
	v_ashrrev_i32_e32 v35, s18, v35
	s_wait_dscnt 0x5
	v_ashrrev_i32_e32 v24, s18, v24
	v_ashrrev_i32_e32 v25, s18, v25
	;; [unrolled: 1-line block ×3, first 2 shown]
	v_lshlrev_b32_e32 v36, 2, v36
	v_lshlrev_b32_e32 v35, 2, v35
	v_lshlrev_b32_e32 v24, 2, v24
	v_lshlrev_b32_e32 v25, 2, v25
	s_wait_dscnt 0x4
	v_ashrrev_i32_e32 v22, s18, v22
	v_and_b32_e32 v36, 0x4040404, v36
	v_and_b32_e32 v35, 0x4040404, v35
	;; [unrolled: 1-line block ×4, first 2 shown]
	s_wait_dscnt 0x1
	v_ashrrev_i32_e32 v38, s23, v38
	v_ashrrev_i32_e32 v37, s23, v37
	v_lshrrev_b32_e32 v167, 24, v36
	v_lshrrev_b32_e32 v169, 24, v35
	s_wait_dscnt 0x0
	v_ashrrev_i32_e32 v191, s23, v165
	v_bfe_u32 v39, v38, 24, 2
	v_and_b32_e32 v38, 0x3030303, v38
	v_ashrrev_i32_e32 v192, s23, v166
	v_ashrrev_i32_e32 v23, s18, v23
	v_and_b32_e32 v195, 0x3030303, v191
	v_sub_nc_u16 v39, v39, v167
	v_bfe_u32 v167, v37, 24, 2
	v_and_b32_e32 v37, 0x3030303, v37
	v_and_b32_e32 v196, 0x3030303, v192
	v_sub_nc_u16 v24, v195, v193
	v_bfe_i32 v39, v39, 0, 16
	v_sub_nc_u16 v167, v167, v169
	v_and_b32_e32 v208, 0x3030303, v204
	v_sub_nc_u16 v25, v196, v194
	v_bfe_i32 v24, v24, 0, 8
	v_mul_i32_i24_e32 v33, v39, v33
	v_bfe_i32 v39, v167, 0, 16
	v_and_b32_e32 v209, 0x3030303, v205
	v_bfe_i32 v25, v25, 0, 8
	v_mul_i32_i24_e32 v24, v24, v137
	v_lshrrev_b16 v215, 8, v193
	v_mad_i32_i24 v189, v39, v32, v33
	v_lshrrev_b32_e32 v32, 16, v38
	v_lshrrev_b32_e32 v33, 16, v36
	;; [unrolled: 1-line block ×3, first 2 shown]
	v_mul_i32_i24_e32 v25, v25, v133
	v_bfe_i32 v142, v142, 0, 8
	s_delay_alu instid0(VALU_DEP_4) | instskip(SKIP_1) | instid1(VALU_DEP_2)
	v_sub_nc_u16 v32, v32, v33
	v_lshrrev_b32_e32 v33, 16, v37
	v_bfe_i32 v32, v32, 0, 8
	s_delay_alu instid0(VALU_DEP_2) | instskip(NEXT) | instid1(VALU_DEP_2)
	v_sub_nc_u16 v33, v33, v39
	v_mul_i32_i24_e32 v31, v32, v31
	s_delay_alu instid0(VALU_DEP_2) | instskip(NEXT) | instid1(VALU_DEP_1)
	v_bfe_i32 v32, v33, 0, 8
	v_mad_i32_i24 v190, v32, v30, v31
	v_sub_nc_u16 v30, v38, v36
	v_sub_nc_u16 v31, v37, v35
	v_add3_u32 v32, s22, v120, v121
	v_lshrrev_b16 v35, 8, v35
	s_delay_alu instid0(VALU_DEP_4) | instskip(NEXT) | instid1(VALU_DEP_4)
	v_bfe_i32 v30, v30, 0, 8
	v_bfe_i32 v31, v31, 0, 8
	s_delay_alu instid0(VALU_DEP_2) | instskip(NEXT) | instid1(VALU_DEP_1)
	v_mul_i32_i24_e32 v30, v30, v143
	v_mad_i32_i24 v30, v31, v163, v30
	s_delay_alu instid0(VALU_DEP_1)
	v_add3_u32 v197, v30, v24, v25
	v_add_nc_u32_e32 v30, 0x3180, v141
	ds_load_2addr_b32 v[24:25], v34 offset1:1
	ds_load_2addr_b32 v[30:31], v30 offset1:1
	ds_load_b32 v165, v32
	s_wait_dscnt 0x2
	v_ashrrev_i32_e32 v25, s18, v25
	v_ashrrev_i32_e32 v24, s18, v24
	s_wait_dscnt 0x1
	v_ashrrev_i32_e32 v31, s23, v31
	v_ashrrev_i32_e32 v30, s23, v30
	v_lshlrev_b32_e32 v25, 2, v25
	v_lshlrev_b32_e32 v24, 2, v24
	s_delay_alu instid0(VALU_DEP_4) | instskip(NEXT) | instid1(VALU_DEP_4)
	v_and_b32_e32 v201, 0x3030303, v31
	v_and_b32_e32 v202, 0x3030303, v30
	s_delay_alu instid0(VALU_DEP_4) | instskip(NEXT) | instid1(VALU_DEP_4)
	v_and_b32_e32 v198, 0x4040404, v25
	v_and_b32_e32 v199, 0x4040404, v24
	v_bfe_u32 v25, v31, 24, 2
	v_bfe_u32 v24, v30, 24, 2
	s_delay_alu instid0(VALU_DEP_4) | instskip(NEXT) | instid1(VALU_DEP_4)
	v_sub_nc_u16 v20, v201, v198
	v_sub_nc_u16 v21, v202, v199
	v_lshrrev_b32_e32 v32, 24, v198
	s_delay_alu instid0(VALU_DEP_3) | instskip(NEXT) | instid1(VALU_DEP_3)
	v_bfe_i32 v20, v20, 0, 8
	v_bfe_i32 v21, v21, 0, 8
	s_delay_alu instid0(VALU_DEP_3) | instskip(SKIP_1) | instid1(VALU_DEP_4)
	v_sub_nc_u16 v25, v25, v32
	v_lshrrev_b32_e32 v32, 24, v199
	v_mul_i32_i24_e32 v20, v20, v144
	s_delay_alu instid0(VALU_DEP_3) | instskip(NEXT) | instid1(VALU_DEP_3)
	v_bfe_i32 v25, v25, 0, 16
	v_sub_nc_u16 v24, v24, v32
	s_delay_alu instid0(VALU_DEP_3) | instskip(SKIP_4) | instid1(VALU_DEP_4)
	v_mad_i32_i24 v20, v21, v157, v20
	v_lshlrev_b32_e32 v21, 2, v22
	v_lshlrev_b32_e32 v22, 2, v23
	v_mul_i32_i24_e32 v25, v25, v29
	v_bfe_i32 v24, v24, 0, 16
	v_and_b32_e32 v206, 0x4040404, v21
	s_delay_alu instid0(VALU_DEP_4) | instskip(NEXT) | instid1(VALU_DEP_3)
	v_and_b32_e32 v207, 0x4040404, v22
	v_mad_i32_i24 v200, v24, v28, v25
	v_lshrrev_b32_e32 v24, 16, v201
	s_delay_alu instid0(VALU_DEP_4) | instskip(NEXT) | instid1(VALU_DEP_4)
	v_sub_nc_u16 v21, v208, v206
	v_sub_nc_u16 v22, v209, v207
	v_lshrrev_b32_e32 v25, 16, v198
	v_lshrrev_b32_e32 v28, 16, v199
	v_lshrrev_b16 v199, 8, v199
	v_bfe_i32 v21, v21, 0, 8
	v_bfe_i32 v22, v22, 0, 8
	v_sub_nc_u16 v24, v24, v25
	v_lshrrev_b32_e32 v25, 16, v202
	v_lshrrev_b16 v202, 8, v202
	v_mul_i32_i24_e32 v21, v21, v138
	v_mul_i32_i24_e32 v22, v22, v134
	v_bfe_i32 v24, v24, 0, 8
	v_sub_nc_u16 v25, v25, v28
	v_lshrrev_b16 v201, 8, v201
	v_lshrrev_b16 v198, 8, v198
	v_add3_u32 v210, v20, v21, v22
	ds_load_2addr_b32 v[169:170], v181 offset0:4 offset1:5
	ds_load_2addr_b32 v[20:21], v181 offset0:6 offset1:7
	;; [unrolled: 1-line block ×3, first 2 shown]
	v_mul_i32_i24_e32 v24, v24, v27
	v_bfe_i32 v25, v25, 0, 8
	v_add_nc_u32_e32 v27, 0x1098, v141
	v_sub_nc_u16 v199, v202, v199
	v_sub_nc_u16 v198, v201, v198
	v_lshrrev_b16 v201, 8, v208
	v_mad_i32_i24 v203, v25, v26, v24
	v_lshrrev_b16 v202, 8, v206
	v_bfe_i32 v199, v199, 0, 16
	v_bfe_i32 v198, v198, 0, 16
	s_delay_alu instid0(VALU_DEP_3) | instskip(NEXT) | instid1(VALU_DEP_2)
	v_sub_nc_u16 v201, v201, v202
	v_mul_i32_i24_e32 v153, v198, v153
	s_wait_dscnt 0x2
	v_ashrrev_i32_e32 v22, s18, v169
	s_delay_alu instid0(VALU_DEP_3)
	v_bfe_i32 v198, v201, 0, 16
	s_wait_dscnt 0x0
	v_ashrrev_i32_e32 v28, s18, v28
	v_ashrrev_i32_e32 v20, s18, v20
	;; [unrolled: 1-line block ×3, first 2 shown]
	v_lshlrev_b32_e32 v22, 2, v22
	v_mul_i32_i24_e32 v152, v198, v152
	v_lshlrev_b32_e32 v28, 2, v28
	v_lshlrev_b32_e32 v20, 2, v20
	;; [unrolled: 1-line block ×3, first 2 shown]
	v_and_b32_e32 v169, 0x4040404, v22
	ds_load_2addr_b32 v[171:172], v141 offset0:4 offset1:5
	ds_load_2addr_b32 v[22:23], v141 offset0:6 offset1:7
	ds_load_2addr_b32 v[30:31], v141 offset0:2 offset1:3
	v_and_b32_e32 v28, 0x4040404, v28
	v_and_b32_e32 v20, 0x4040404, v20
	;; [unrolled: 1-line block ×3, first 2 shown]
	v_lshrrev_b16 v25, 8, v169
	s_wait_dscnt 0x2
	v_ashrrev_i32_e32 v171, s23, v171
	s_wait_dscnt 0x1
	v_ashrrev_i32_e32 v22, s23, v22
	;; [unrolled: 2-line block ×3, first 2 shown]
	v_ashrrev_i32_e32 v23, s23, v23
	v_and_b32_e32 v211, 0x3030303, v171
	s_delay_alu instid0(VALU_DEP_1) | instskip(NEXT) | instid1(VALU_DEP_1)
	v_lshrrev_b16 v24, 8, v211
	v_sub_nc_u16 v182, v24, v25
	v_add_nc_u32_e32 v24, s19, v98
	s_delay_alu instid0(VALU_DEP_2)
	v_lshlrev_b16 v182, 8, v182
	ds_load_u16 v167, v24 offset:26354
	v_add3_u32 v24, s22, v116, v117
	v_bfe_i32 v182, v182, 8, 8
	ds_load_b32 v166, v24
	ds_load_2addr_b32 v[173:174], v183 offset0:4 offset1:5
	ds_load_2addr_b32 v[24:25], v183 offset0:6 offset1:7
	;; [unrolled: 1-line block ×3, first 2 shown]
	s_wait_dscnt 0x2
	v_ashrrev_i32_e32 v26, s18, v173
	s_wait_dscnt 0x1
	v_ashrrev_i32_e32 v24, s18, v24
	;; [unrolled: 2-line block ×3, first 2 shown]
	v_ashrrev_i32_e32 v33, s18, v33
	v_ashrrev_i32_e32 v25, s18, v25
	v_lshlrev_b32_e32 v26, 2, v26
	v_lshlrev_b32_e32 v24, 2, v24
	;; [unrolled: 1-line block ×5, first 2 shown]
	v_and_b32_e32 v173, 0x4040404, v26
	v_add_nc_u32_e32 v26, 0x1090, v141
	ds_load_2addr_b32 v[175:176], v26 offset1:1
	ds_load_2addr_b32 v[26:27], v27 offset1:1
	v_lshrrev_b16 v39, 8, v173
	v_and_b32_e32 v32, 0x4040404, v32
	v_and_b32_e32 v24, 0x4040404, v24
	;; [unrolled: 1-line block ×4, first 2 shown]
	s_wait_dscnt 0x1
	v_ashrrev_i32_e32 v175, s23, v175
	s_wait_dscnt 0x0
	v_ashrrev_i32_e32 v26, s23, v26
	v_ashrrev_i32_e32 v27, s23, v27
	s_delay_alu instid0(VALU_DEP_3) | instskip(NEXT) | instid1(VALU_DEP_1)
	v_and_b32_e32 v212, 0x3030303, v175
	v_lshrrev_b16 v34, 8, v212
	v_sub_nc_u16 v216, v212, v173
	s_delay_alu instid0(VALU_DEP_2) | instskip(SKIP_1) | instid1(VALU_DEP_3)
	v_sub_nc_u16 v184, v34, v39
	v_lshrrev_b16 v34, 8, v37
	v_bfe_i32 v216, v216, 0, 8
	s_delay_alu instid0(VALU_DEP_2)
	v_sub_nc_u16 v185, v34, v35
	v_lshrrev_b16 v35, 8, v36
	ds_load_2addr_b32 v[177:178], v213 offset0:4 offset1:5
	ds_load_2addr_b32 v[36:37], v213 offset0:2 offset1:3
	v_lshrrev_b16 v34, 8, v38
	v_add_nc_u32_e32 v38, 0x2108, v141
	v_mul_i32_i24_e32 v216, v163, v216
	s_delay_alu instid0(VALU_DEP_3)
	v_sub_nc_u16 v186, v34, v35
	v_add_nc_u32_e32 v35, 0x2118, v141
	s_wait_dscnt 0x1
	v_ashrrev_i32_e32 v34, s18, v177
	s_wait_dscnt 0x0
	v_ashrrev_i32_e32 v36, s18, v36
	s_delay_alu instid0(VALU_DEP_2) | instskip(NEXT) | instid1(VALU_DEP_2)
	v_lshlrev_b32_e32 v34, 2, v34
	v_lshlrev_b32_e32 v36, 2, v36
	s_delay_alu instid0(VALU_DEP_2)
	v_and_b32_e32 v177, 0x4040404, v34
	v_add_nc_u32_e32 v34, 0x2110, v141
	ds_load_2addr_b32 v[179:180], v34 offset1:1
	ds_load_2addr_b32 v[34:35], v35 offset1:1
	;; [unrolled: 1-line block ×3, first 2 shown]
	v_lshrrev_b16 v188, 8, v177
	v_and_b32_e32 v36, 0x4040404, v36
	s_wait_dscnt 0x2
	v_ashrrev_i32_e32 v179, s23, v179
	s_wait_dscnt 0x1
	v_ashrrev_i32_e32 v34, s23, v34
	;; [unrolled: 2-line block ×3, first 2 shown]
	v_ashrrev_i32_e32 v35, s23, v35
	v_and_b32_e32 v214, 0x3030303, v179
	s_delay_alu instid0(VALU_DEP_1) | instskip(SKIP_1) | instid1(VALU_DEP_2)
	v_lshrrev_b16 v187, 8, v214
	v_sub_nc_u16 v217, v214, v177
	v_sub_nc_u16 v187, v187, v188
	v_lshrrev_b16 v188, 8, v195
	s_delay_alu instid0(VALU_DEP_3) | instskip(NEXT) | instid1(VALU_DEP_2)
	v_bfe_i32 v217, v217, 0, 8
	v_sub_nc_u16 v188, v188, v215
	v_sub_nc_u16 v215, v211, v169
	s_delay_alu instid0(VALU_DEP_1) | instskip(NEXT) | instid1(VALU_DEP_1)
	v_bfe_i32 v215, v215, 0, 8
	v_mul_i32_i24_e32 v215, v163, v215
	v_mul_i32_i24_e32 v163, v163, v217
	s_delay_alu instid0(VALU_DEP_2) | instskip(SKIP_2) | instid1(VALU_DEP_2)
	v_mad_i32_i24 v215, v162, v182, v215
	v_lshlrev_b16 v182, 8, v184
	v_add_nc_u32_e32 v184, 0x1080, v141
	v_bfe_i32 v182, v182, 8, 8
	s_delay_alu instid0(VALU_DEP_1) | instskip(SKIP_1) | instid1(VALU_DEP_1)
	v_mad_i32_i24 v216, v162, v182, v216
	v_lshlrev_b16 v182, 8, v187
	v_bfe_i32 v182, v182, 8, 8
	s_delay_alu instid0(VALU_DEP_1) | instskip(SKIP_1) | instid1(VALU_DEP_1)
	v_mad_i32_i24 v217, v162, v182, v163
	v_bfe_i32 v163, v185, 0, 16
	v_mul_i32_i24_e32 v162, v163, v162
	v_bfe_i32 v163, v186, 0, 16
	s_delay_alu instid0(VALU_DEP_1) | instskip(SKIP_1) | instid1(VALU_DEP_1)
	v_mul_i32_i24_e32 v161, v163, v161
	v_bfe_i32 v163, v188, 0, 16
	v_mul_i32_i24_e32 v160, v163, v160
	s_delay_alu instid0(VALU_DEP_1)
	v_add3_u32 v218, v162, v161, v160
	ds_load_2addr_b32 v[160:161], v181 offset1:1
	ds_load_2addr_b32 v[162:163], v141 offset1:1
	s_wait_dscnt 0x1
	v_ashrrev_i32_e32 v160, s18, v160
	s_wait_dscnt 0x0
	v_ashrrev_i32_e32 v162, s23, v162
	s_delay_alu instid0(VALU_DEP_2) | instskip(NEXT) | instid1(VALU_DEP_2)
	v_lshlrev_b32_e32 v160, 2, v160
	v_and_b32_e32 v220, 0x3030303, v162
	s_delay_alu instid0(VALU_DEP_2) | instskip(NEXT) | instid1(VALU_DEP_2)
	v_and_b32_e32 v219, 0x4040404, v160
	v_lshrrev_b16 v160, 8, v220
	s_delay_alu instid0(VALU_DEP_2) | instskip(SKIP_1) | instid1(VALU_DEP_2)
	v_lshrrev_b16 v181, 8, v219
	v_sub_nc_u16 v202, v220, v219
	v_sub_nc_u16 v221, v160, v181
	v_add3_u32 v160, s22, v127, v128
	s_delay_alu instid0(VALU_DEP_3) | instskip(NEXT) | instid1(VALU_DEP_3)
	v_bfe_i32 v202, v202, 0, 8
	v_lshlrev_b16 v221, 8, v221
	ds_load_b32 v160, v160
	ds_load_2addr_b32 v[181:182], v183 offset1:1
	ds_load_2addr_b32 v[183:184], v184 offset1:1
	v_mul_i32_i24_e32 v202, v157, v202
	v_bfe_i32 v221, v221, 8, 8
	s_delay_alu instid0(VALU_DEP_1) | instskip(SKIP_4) | instid1(VALU_DEP_2)
	v_mad_i32_i24 v202, v156, v221, v202
	s_wait_dscnt 0x1
	v_ashrrev_i32_e32 v181, s18, v181
	s_wait_dscnt 0x0
	v_ashrrev_i32_e32 v183, s23, v183
	v_lshlrev_b32_e32 v181, 2, v181
	s_delay_alu instid0(VALU_DEP_2) | instskip(NEXT) | instid1(VALU_DEP_2)
	v_and_b32_e32 v222, 0x3030303, v183
	v_and_b32_e32 v181, 0x4040404, v181
	s_delay_alu instid0(VALU_DEP_2) | instskip(NEXT) | instid1(VALU_DEP_2)
	v_lshrrev_b16 v185, 8, v222
	v_lshrrev_b16 v186, 8, v181
	s_delay_alu instid0(VALU_DEP_1) | instskip(SKIP_4) | instid1(VALU_DEP_1)
	v_sub_nc_u16 v223, v185, v186
	v_add_nc_u32_e32 v185, 0x2100, v141
	ds_load_2addr_b32 v[185:186], v185 offset1:1
	ds_load_2addr_b32 v[187:188], v213 offset1:1
	v_lshlrev_b16 v221, 8, v223
	v_bfe_i32 v221, v221, 8, 8
	s_wait_dscnt 0x1
	v_ashrrev_i32_e32 v185, s23, v185
	s_wait_dscnt 0x0
	v_ashrrev_i32_e32 v187, s18, v187
	s_delay_alu instid0(VALU_DEP_2) | instskip(NEXT) | instid1(VALU_DEP_2)
	v_and_b32_e32 v224, 0x3030303, v185
	v_lshlrev_b32_e32 v187, 2, v187
	s_delay_alu instid0(VALU_DEP_2) | instskip(NEXT) | instid1(VALU_DEP_2)
	v_lshrrev_b16 v225, 8, v224
	v_and_b32_e32 v187, 0x4040404, v187
	s_delay_alu instid0(VALU_DEP_1) | instskip(SKIP_1) | instid1(VALU_DEP_2)
	v_lshrrev_b16 v226, 8, v187
	v_sub_nc_u16 v227, v224, v187
	v_sub_nc_u16 v225, v225, v226
	;; [unrolled: 1-line block ×3, first 2 shown]
	s_delay_alu instid0(VALU_DEP_3) | instskip(NEXT) | instid1(VALU_DEP_3)
	v_bfe_i32 v227, v227, 0, 8
	v_lshlrev_b16 v223, 8, v225
	s_delay_alu instid0(VALU_DEP_3) | instskip(NEXT) | instid1(VALU_DEP_2)
	v_bfe_i32 v226, v226, 0, 8
	v_bfe_i32 v223, v223, 8, 8
	s_delay_alu instid0(VALU_DEP_2) | instskip(SKIP_1) | instid1(VALU_DEP_2)
	v_mul_i32_i24_e32 v226, v157, v226
	v_mul_i32_i24_e32 v157, v157, v227
	v_mad_i32_i24 v221, v156, v221, v226
	s_delay_alu instid0(VALU_DEP_2) | instskip(SKIP_1) | instid1(VALU_DEP_1)
	v_mad_i32_i24 v157, v156, v223, v157
	v_mul_i32_i24_e32 v156, v199, v156
	v_add3_u32 v152, v156, v153, v152
	v_lshrrev_b32_e32 v153, 16, v195
	v_lshrrev_b32_e32 v156, 16, v193
	;; [unrolled: 1-line block ×3, first 2 shown]
	s_delay_alu instid0(VALU_DEP_2) | instskip(SKIP_1) | instid1(VALU_DEP_2)
	v_sub_nc_u16 v153, v153, v156
	v_lshrrev_b32_e32 v156, 16, v196
	v_bfe_i32 v153, v153, 0, 8
	s_delay_alu instid0(VALU_DEP_2) | instskip(NEXT) | instid1(VALU_DEP_2)
	v_sub_nc_u16 v156, v156, v195
	v_mul_i32_i24_e32 v153, v153, v158
	s_delay_alu instid0(VALU_DEP_2) | instskip(SKIP_1) | instid1(VALU_DEP_2)
	v_bfe_i32 v156, v156, 0, 8
	v_lshrrev_b32_e32 v158, 24, v193
	v_mul_i32_i24_e32 v156, v156, v159
	v_lshrrev_b32_e32 v159, 24, v194
	s_delay_alu instid0(VALU_DEP_2) | instskip(SKIP_1) | instid1(VALU_DEP_1)
	v_add3_u32 v153, v190, v153, v156
	v_bfe_u32 v156, v191, 24, 2
	v_sub_nc_u16 v156, v156, v158
	v_bfe_u32 v158, v192, 24, 2
	s_delay_alu instid0(VALU_DEP_2) | instskip(NEXT) | instid1(VALU_DEP_2)
	v_bfe_i32 v156, v156, 0, 16
	v_sub_nc_u16 v158, v158, v159
	v_lshrrev_b32_e32 v159, 24, v181
	s_delay_alu instid0(VALU_DEP_3) | instskip(NEXT) | instid1(VALU_DEP_3)
	v_mul_i32_i24_e32 v154, v156, v154
	v_bfe_i32 v156, v158, 0, 16
	v_lshrrev_b32_e32 v158, 16, v219
	s_delay_alu instid0(VALU_DEP_2) | instskip(SKIP_1) | instid1(VALU_DEP_2)
	v_mul_i32_i24_e32 v155, v156, v155
	v_lshrrev_b32_e32 v156, 24, v219
	v_add3_u32 v154, v189, v154, v155
	v_bfe_u32 v155, v162, 24, 2
	v_lshrrev_b32_e32 v162, 16, v181
	v_lshrrev_b32_e32 v181, 24, v187
	s_delay_alu instid0(VALU_DEP_3) | instskip(SKIP_1) | instid1(VALU_DEP_2)
	v_sub_nc_u16 v155, v155, v156
	v_lshrrev_b32_e32 v156, 16, v220
	v_lshlrev_b16 v155, 8, v155
	s_delay_alu instid0(VALU_DEP_2) | instskip(SKIP_2) | instid1(VALU_DEP_2)
	v_sub_nc_u16 v156, v156, v158
	v_bfe_u32 v158, v183, 24, 2
	v_lshrrev_b32_e32 v183, 16, v187
	v_sub_nc_u16 v158, v158, v159
	v_lshrrev_b32_e32 v159, 16, v222
	s_delay_alu instid0(VALU_DEP_2) | instskip(NEXT) | instid1(VALU_DEP_2)
	v_lshlrev_b16 v158, 8, v158
	v_sub_nc_u16 v159, v159, v162
	v_bfe_u32 v162, v185, 24, 2
	s_delay_alu instid0(VALU_DEP_1) | instskip(SKIP_1) | instid1(VALU_DEP_2)
	v_sub_nc_u16 v162, v162, v181
	v_lshrrev_b32_e32 v181, 16, v224
	v_lshlrev_b16 v162, 8, v162
	s_delay_alu instid0(VALU_DEP_2) | instskip(SKIP_1) | instid1(VALU_DEP_1)
	v_sub_nc_u16 v181, v181, v183
	v_and_b32_e32 v183, 0xff, v156
	v_or_b32_e32 v155, v183, v155
	v_and_b32_e32 v183, 0xff, v159
	s_delay_alu instid0(VALU_DEP_2) | instskip(NEXT) | instid1(VALU_DEP_2)
	v_perm_b32 v155, v155, v156, 0xc0c0500
	v_or_b32_e32 v158, v183, v158
	v_and_b32_e32 v183, 0xff, v181
	s_delay_alu instid0(VALU_DEP_3) | instskip(NEXT) | instid1(VALU_DEP_3)
	v_dot4_i32_iu8 v155, v150, v155, v202 neg_lo:[1,1,0]
	v_perm_b32 v156, v158, v159, 0xc0c0500
	s_delay_alu instid0(VALU_DEP_3) | instskip(SKIP_1) | instid1(VALU_DEP_3)
	v_or_b32_e32 v162, v183, v162
	v_lshrrev_b32_e32 v159, 16, v207
	v_dot4_i32_iu8 v156, v150, v156, v221 neg_lo:[1,1,0]
	s_delay_alu instid0(VALU_DEP_3) | instskip(SKIP_1) | instid1(VALU_DEP_2)
	v_perm_b32 v158, v162, v181, 0xc0c0500
	v_lshrrev_b32_e32 v162, 24, v177
	v_dot4_i32_iu8 v150, v150, v158, v157 neg_lo:[1,1,0]
	v_lshrrev_b32_e32 v157, 16, v208
	v_lshrrev_b32_e32 v158, 16, v206
	s_delay_alu instid0(VALU_DEP_1) | instskip(SKIP_1) | instid1(VALU_DEP_2)
	v_sub_nc_u16 v157, v157, v158
	v_lshrrev_b32_e32 v158, 16, v209
	v_bfe_i32 v157, v157, 0, 8
	s_delay_alu instid0(VALU_DEP_2) | instskip(SKIP_1) | instid1(VALU_DEP_3)
	v_sub_nc_u16 v158, v158, v159
	v_lshrrev_b32_e32 v159, 16, v173
	v_mul_i32_i24_e32 v149, v157, v149
	s_delay_alu instid0(VALU_DEP_3) | instskip(SKIP_1) | instid1(VALU_DEP_2)
	v_bfe_i32 v157, v158, 0, 8
	v_lshrrev_b32_e32 v158, 24, v207
	v_mul_i32_i24_e32 v151, v157, v151
	v_lshrrev_b32_e32 v157, 24, v206
	s_delay_alu instid0(VALU_DEP_2) | instskip(SKIP_1) | instid1(VALU_DEP_1)
	v_add3_u32 v149, v203, v149, v151
	v_bfe_u32 v151, v204, 24, 2
	v_sub_nc_u16 v151, v151, v157
	v_bfe_u32 v157, v205, 24, 2
	s_delay_alu instid0(VALU_DEP_2) | instskip(NEXT) | instid1(VALU_DEP_2)
	v_bfe_i32 v151, v151, 0, 16
	v_sub_nc_u16 v157, v157, v158
	v_lshrrev_b32_e32 v158, 24, v173
	s_delay_alu instid0(VALU_DEP_3) | instskip(NEXT) | instid1(VALU_DEP_3)
	v_mul_i32_i24_e32 v147, v151, v147
	v_bfe_i32 v151, v157, 0, 16
	v_lshrrev_b32_e32 v157, 16, v169
	s_delay_alu instid0(VALU_DEP_2) | instskip(SKIP_2) | instid1(VALU_DEP_3)
	v_mul_i32_i24_e32 v148, v151, v148
	v_lshrrev_b32_e32 v151, 24, v169
	v_lshrrev_b32_e32 v169, 16, v177
	v_add3_u32 v147, v200, v147, v148
	v_bfe_u32 v148, v171, 24, 2
	s_delay_alu instid0(VALU_DEP_1) | instskip(SKIP_1) | instid1(VALU_DEP_2)
	v_sub_nc_u16 v148, v148, v151
	v_lshrrev_b32_e32 v151, 16, v211
	v_lshlrev_b16 v148, 8, v148
	s_delay_alu instid0(VALU_DEP_2) | instskip(SKIP_1) | instid1(VALU_DEP_1)
	v_sub_nc_u16 v151, v151, v157
	v_bfe_u32 v157, v175, 24, 2
	v_sub_nc_u16 v157, v157, v158
	v_lshrrev_b32_e32 v158, 16, v212
	s_delay_alu instid0(VALU_DEP_2) | instskip(NEXT) | instid1(VALU_DEP_2)
	v_lshlrev_b16 v157, 8, v157
	v_sub_nc_u16 v158, v158, v159
	v_bfe_u32 v159, v179, 24, 2
	s_delay_alu instid0(VALU_DEP_1) | instskip(SKIP_1) | instid1(VALU_DEP_2)
	v_sub_nc_u16 v159, v159, v162
	v_lshrrev_b32_e32 v162, 16, v214
	v_lshlrev_b16 v159, 8, v159
	s_delay_alu instid0(VALU_DEP_2) | instskip(SKIP_1) | instid1(VALU_DEP_1)
	v_sub_nc_u16 v162, v162, v169
	v_and_b32_e32 v169, 0xff, v151
	v_or_b32_e32 v148, v169, v148
	v_and_b32_e32 v169, 0xff, v158
	s_delay_alu instid0(VALU_DEP_2) | instskip(NEXT) | instid1(VALU_DEP_2)
	v_perm_b32 v148, v148, v151, 0xc0c0500
	v_or_b32_e32 v157, v169, v157
	v_and_b32_e32 v169, 0xff, v162
	s_delay_alu instid0(VALU_DEP_3) | instskip(NEXT) | instid1(VALU_DEP_3)
	v_dot4_i32_iu8 v148, v146, v148, v215 neg_lo:[1,1,0]
	v_perm_b32 v151, v157, v158, 0xc0c0500
	s_delay_alu instid0(VALU_DEP_3) | instskip(SKIP_1) | instid1(VALU_DEP_3)
	v_or_b32_e32 v159, v169, v159
	v_lshrrev_b16 v158, 8, v194
	v_dot4_i32_iu8 v151, v146, v151, v216 neg_lo:[1,1,0]
	s_delay_alu instid0(VALU_DEP_3) | instskip(SKIP_2) | instid1(VALU_DEP_3)
	v_perm_b32 v157, v159, v162, 0xc0c0500
	v_ashrrev_i32_e32 v159, s18, v188
	v_ashrrev_i32_e32 v162, s23, v186
	v_dot4_i32_iu8 v146, v146, v157, v217 neg_lo:[1,1,0]
	v_lshrrev_b16 v157, 8, v196
	s_delay_alu instid0(VALU_DEP_4) | instskip(NEXT) | instid1(VALU_DEP_2)
	v_lshlrev_b32_e32 v159, 2, v159
	v_sub_nc_u16 v157, v157, v158
	v_ashrrev_i32_e32 v158, s18, v182
	s_delay_alu instid0(VALU_DEP_3) | instskip(NEXT) | instid1(VALU_DEP_3)
	v_and_b32_e32 v159, 0x4040404, v159
	v_bfe_i32 v157, v157, 0, 16
	s_delay_alu instid0(VALU_DEP_3) | instskip(NEXT) | instid1(VALU_DEP_2)
	v_lshlrev_b32_e32 v158, 2, v158
	v_mul_i32_i24_e32 v145, v157, v145
	v_ashrrev_i32_e32 v157, s18, v161
	v_ashrrev_i32_e32 v161, s23, v184
	s_delay_alu instid0(VALU_DEP_4) | instskip(NEXT) | instid1(VALU_DEP_4)
	v_and_b32_e32 v158, 0x4040404, v158
	v_add3_u32 v145, v218, v145, v154
	v_ashrrev_i32_e32 v154, s23, v163
	v_lshlrev_b32_e32 v157, 2, v157
	s_delay_alu instid0(VALU_DEP_3) | instskip(NEXT) | instid1(VALU_DEP_3)
	v_add3_u32 v145, v197, v153, v145
	v_and_b32_e32 v163, 0x3030303, v154
	s_delay_alu instid0(VALU_DEP_3) | instskip(NEXT) | instid1(VALU_DEP_1)
	v_and_b32_e32 v157, 0x4040404, v157
	v_sub_nc_u16 v169, v163, v157
	v_lshrrev_b32_e32 v153, 24, v157
	s_delay_alu instid0(VALU_DEP_2) | instskip(NEXT) | instid1(VALU_DEP_1)
	v_bfe_i32 v169, v169, 0, 8
	v_mad_i32_i24 v155, v144, v169, v155
	v_and_b32_e32 v169, 0x3030303, v161
	s_delay_alu instid0(VALU_DEP_1) | instskip(NEXT) | instid1(VALU_DEP_1)
	v_sub_nc_u16 v171, v169, v158
	v_bfe_i32 v171, v171, 0, 8
	s_delay_alu instid0(VALU_DEP_1) | instskip(SKIP_2) | instid1(VALU_DEP_2)
	v_mad_i32_i24 v156, v144, v171, v156
	v_and_b32_e32 v171, 0x3030303, v162
	v_bfe_u32 v162, v162, 24, 2
	v_sub_nc_u16 v173, v171, v159
	s_delay_alu instid0(VALU_DEP_1) | instskip(NEXT) | instid1(VALU_DEP_1)
	v_bfe_i32 v173, v173, 0, 8
	v_mad_i32_i24 v144, v144, v173, v150
	v_lshrrev_b16 v150, 8, v209
	v_lshrrev_b16 v173, 8, v207
	s_delay_alu instid0(VALU_DEP_1) | instskip(SKIP_1) | instid1(VALU_DEP_2)
	v_sub_nc_u16 v150, v150, v173
	v_ashrrev_i32_e32 v173, s23, v180
	v_bfe_i32 v150, v150, 0, 16
	s_delay_alu instid0(VALU_DEP_1) | instskip(SKIP_2) | instid1(VALU_DEP_3)
	v_mul_i32_i24_e32 v142, v150, v142
	v_ashrrev_i32_e32 v150, s18, v170
	v_ashrrev_i32_e32 v170, s18, v178
	v_add3_u32 v142, v152, v142, v147
	v_ashrrev_i32_e32 v147, s23, v172
	s_delay_alu instid0(VALU_DEP_4)
	v_lshlrev_b32_e32 v150, 2, v150
	v_ashrrev_i32_e32 v152, s18, v174
	v_ashrrev_i32_e32 v172, s23, v176
	v_lshlrev_b32_e32 v170, 2, v170
	v_and_b32_e32 v174, 0x3030303, v147
	v_and_b32_e32 v150, 0x4040404, v150
	v_lshlrev_b32_e32 v152, 2, v152
	v_add3_u32 v149, v210, v149, v142
	v_and_b32_e32 v170, 0x4040404, v170
	s_delay_alu instid0(VALU_DEP_4) | instskip(NEXT) | instid1(VALU_DEP_4)
	v_sub_nc_u16 v175, v174, v150
	v_and_b32_e32 v152, 0x4040404, v152
	v_lshrrev_b32_e32 v142, 24, v150
	s_delay_alu instid0(VALU_DEP_3) | instskip(NEXT) | instid1(VALU_DEP_1)
	v_bfe_i32 v175, v175, 0, 8
	v_mad_i32_i24 v148, v143, v175, v148
	v_and_b32_e32 v175, 0x3030303, v172
	s_delay_alu instid0(VALU_DEP_1) | instskip(NEXT) | instid1(VALU_DEP_1)
	v_sub_nc_u16 v176, v175, v152
	v_bfe_i32 v176, v176, 0, 8
	s_delay_alu instid0(VALU_DEP_1) | instskip(SKIP_1) | instid1(VALU_DEP_1)
	v_mad_i32_i24 v151, v143, v176, v151
	v_and_b32_e32 v176, 0x3030303, v173
	v_sub_nc_u16 v177, v176, v170
	s_delay_alu instid0(VALU_DEP_1) | instskip(NEXT) | instid1(VALU_DEP_1)
	v_bfe_i32 v177, v177, 0, 8
	v_mad_i32_i24 v143, v143, v177, v146
	v_bfe_u32 v146, v154, 24, 2
	v_lshrrev_b32_e32 v154, 16, v157
	v_lshrrev_b16 v157, 8, v157
	s_delay_alu instid0(VALU_DEP_3) | instskip(SKIP_1) | instid1(VALU_DEP_2)
	v_sub_nc_u16 v146, v146, v153
	v_lshrrev_b32_e32 v153, 16, v163
	v_lshlrev_b16 v146, 8, v146
	s_delay_alu instid0(VALU_DEP_2) | instskip(SKIP_2) | instid1(VALU_DEP_2)
	v_sub_nc_u16 v153, v153, v154
	v_lshrrev_b16 v154, 8, v163
	v_lshrrev_b32_e32 v163, 16, v158
	v_sub_nc_u16 v154, v154, v157
	v_bfe_u32 v157, v161, 24, 2
	v_lshrrev_b32_e32 v161, 24, v158
	v_lshrrev_b16 v158, 8, v158
	s_delay_alu instid0(VALU_DEP_4) | instskip(NEXT) | instid1(VALU_DEP_3)
	v_lshlrev_b16 v154, 8, v154
	v_sub_nc_u16 v157, v157, v161
	v_lshrrev_b32_e32 v161, 16, v169
	s_delay_alu instid0(VALU_DEP_3) | instskip(NEXT) | instid1(VALU_DEP_3)
	v_perm_b32 v154, v154, v154, 0xc0c0c01
	v_lshlrev_b16 v157, 8, v157
	s_delay_alu instid0(VALU_DEP_3) | instskip(SKIP_2) | instid1(VALU_DEP_2)
	v_sub_nc_u16 v161, v161, v163
	v_lshrrev_b16 v163, 8, v169
	v_lshrrev_b32_e32 v169, 16, v159
	v_sub_nc_u16 v158, v163, v158
	v_lshrrev_b32_e32 v163, 24, v159
	v_lshrrev_b16 v159, 8, v159
	s_delay_alu instid0(VALU_DEP_2) | instskip(SKIP_1) | instid1(VALU_DEP_2)
	v_sub_nc_u16 v162, v162, v163
	v_lshrrev_b32_e32 v163, 16, v171
	v_lshlrev_b16 v162, 8, v162
	s_delay_alu instid0(VALU_DEP_2) | instskip(SKIP_1) | instid1(VALU_DEP_1)
	v_sub_nc_u16 v163, v163, v169
	v_lshrrev_b16 v169, 8, v171
	v_sub_nc_u16 v159, v169, v159
	v_and_b32_e32 v169, 0xff, v153
	s_delay_alu instid0(VALU_DEP_1) | instskip(SKIP_1) | instid1(VALU_DEP_2)
	v_or_b32_e32 v146, v169, v146
	v_and_b32_e32 v169, 0xff, v161
	v_perm_b32 v146, v146, v153, 0xc05000c
	s_delay_alu instid0(VALU_DEP_2) | instskip(SKIP_1) | instid1(VALU_DEP_3)
	v_or_b32_e32 v157, v169, v157
	v_and_b32_e32 v169, 0xff, v163
	v_or_b32_e32 v146, v146, v154
	v_lshlrev_b16 v154, 8, v158
	s_delay_alu instid0(VALU_DEP_4) | instskip(NEXT) | instid1(VALU_DEP_4)
	v_perm_b32 v153, v157, v161, 0xc05000c
	v_or_b32_e32 v162, v169, v162
	v_lshrrev_b16 v158, 8, v170
	v_dot4_i32_iu8 v146, v140, v146, v155 neg_lo:[1,1,0]
	v_perm_b32 v154, v154, v154, 0xc0c0c01
	v_lshrrev_b32_e32 v155, 16, v152
	v_perm_b32 v157, v162, v163, 0xc05000c
	s_delay_alu instid0(VALU_DEP_3) | instskip(SKIP_1) | instid1(VALU_DEP_2)
	v_or_b32_e32 v153, v153, v154
	v_lshlrev_b16 v154, 8, v159
	v_dot4_i32_iu8 v153, v140, v153, v156 neg_lo:[1,1,0]
	s_delay_alu instid0(VALU_DEP_2) | instskip(SKIP_1) | instid1(VALU_DEP_2)
	v_perm_b32 v154, v154, v154, 0xc0c0c01
	v_lshrrev_b32_e32 v156, 24, v170
	v_or_b32_e32 v154, v157, v154
	v_lshrrev_b32_e32 v157, 16, v170
	s_delay_alu instid0(VALU_DEP_2)
	v_dot4_i32_iu8 v144, v140, v154, v144 neg_lo:[1,1,0]
	v_bfe_u32 v140, v147, 24, 2
	v_lshrrev_b32_e32 v147, 16, v150
	v_lshrrev_b16 v150, 8, v150
	v_lshrrev_b32_e32 v154, 24, v152
	v_lshrrev_b16 v152, 8, v152
	v_sub_nc_u16 v140, v140, v142
	v_lshrrev_b32_e32 v142, 16, v174
	s_delay_alu instid0(VALU_DEP_2) | instskip(NEXT) | instid1(VALU_DEP_2)
	v_lshlrev_b16 v140, 8, v140
	v_sub_nc_u16 v142, v142, v147
	v_lshrrev_b16 v147, 8, v174
	s_delay_alu instid0(VALU_DEP_1) | instskip(SKIP_1) | instid1(VALU_DEP_2)
	v_sub_nc_u16 v147, v147, v150
	v_bfe_u32 v150, v172, 24, 2
	v_lshlrev_b16 v147, 8, v147
	s_delay_alu instid0(VALU_DEP_2) | instskip(SKIP_1) | instid1(VALU_DEP_3)
	v_sub_nc_u16 v150, v150, v154
	v_lshrrev_b32_e32 v154, 16, v175
	v_perm_b32 v147, v147, v147, 0xc0c0c01
	s_delay_alu instid0(VALU_DEP_3) | instskip(NEXT) | instid1(VALU_DEP_3)
	v_lshlrev_b16 v150, 8, v150
	v_sub_nc_u16 v154, v154, v155
	v_lshrrev_b16 v155, 8, v175
	s_delay_alu instid0(VALU_DEP_1) | instskip(SKIP_1) | instid1(VALU_DEP_1)
	v_sub_nc_u16 v152, v155, v152
	v_bfe_u32 v155, v173, 24, 2
	v_sub_nc_u16 v155, v155, v156
	v_lshrrev_b32_e32 v156, 16, v176
	s_delay_alu instid0(VALU_DEP_2) | instskip(NEXT) | instid1(VALU_DEP_2)
	v_lshlrev_b16 v155, 8, v155
	v_sub_nc_u16 v156, v156, v157
	v_lshrrev_b16 v157, 8, v176
	s_delay_alu instid0(VALU_DEP_1) | instskip(SKIP_1) | instid1(VALU_DEP_1)
	v_sub_nc_u16 v157, v157, v158
	v_and_b32_e32 v158, 0xff, v142
	v_or_b32_e32 v140, v158, v140
	v_and_b32_e32 v158, 0xff, v154
	s_delay_alu instid0(VALU_DEP_2) | instskip(NEXT) | instid1(VALU_DEP_2)
	v_perm_b32 v140, v140, v142, 0xc05000c
	v_or_b32_e32 v150, v158, v150
	v_and_b32_e32 v158, 0xff, v156
	s_delay_alu instid0(VALU_DEP_3) | instskip(SKIP_1) | instid1(VALU_DEP_4)
	v_or_b32_e32 v140, v140, v147
	v_lshlrev_b16 v147, 8, v152
	v_perm_b32 v142, v150, v154, 0xc05000c
	s_delay_alu instid0(VALU_DEP_4) | instskip(NEXT) | instid1(VALU_DEP_4)
	v_or_b32_e32 v155, v158, v155
	v_dot4_i32_iu8 v148, v139, v140, v148 neg_lo:[1,1,0]
	s_delay_alu instid0(VALU_DEP_4) | instskip(NEXT) | instid1(VALU_DEP_3)
	v_perm_b32 v147, v147, v147, 0xc0c0c01
	v_perm_b32 v150, v155, v156, 0xc05000c
	s_delay_alu instid0(VALU_DEP_2) | instskip(SKIP_1) | instid1(VALU_DEP_1)
	v_or_b32_e32 v142, v142, v147
	v_lshlrev_b16 v147, 8, v157
	v_perm_b32 v147, v147, v147, 0xc0c0c01
	s_delay_alu instid0(VALU_DEP_1) | instskip(NEXT) | instid1(VALU_DEP_4)
	v_or_b32_e32 v147, v150, v147
	v_dot4_i32_iu8 v150, v139, v142, v151 neg_lo:[1,1,0]
	s_delay_alu instid0(VALU_DEP_2) | instskip(SKIP_2) | instid1(VALU_DEP_2)
	v_dot4_i32_iu8 v143, v139, v147, v143 neg_lo:[1,1,0]
	v_and_b32_e32 v147, 0x3030303, v30
	v_bfe_u32 v30, v30, 24, 2
	v_sub_nc_u16 v139, v147, v28
	s_delay_alu instid0(VALU_DEP_1) | instskip(NEXT) | instid1(VALU_DEP_1)
	v_bfe_i32 v139, v139, 0, 8
	v_mad_i32_i24 v146, v138, v139, v146
	v_add_nc_u32_e32 v139, 0x1088, v141
	ds_load_2addr_b32 v[139:140], v139 offset1:1
	s_wait_dscnt 0x0
	v_ashrrev_i32_e32 v139, s23, v139
	s_delay_alu instid0(VALU_DEP_1) | instskip(SKIP_1) | instid1(VALU_DEP_2)
	v_and_b32_e32 v151, 0x3030303, v139
	v_bfe_u32 v139, v139, 24, 2
	v_sub_nc_u16 v141, v151, v32
	s_delay_alu instid0(VALU_DEP_1) | instskip(NEXT) | instid1(VALU_DEP_1)
	v_bfe_i32 v141, v141, 0, 8
	v_mad_i32_i24 v152, v138, v141, v153
	v_and_b32_e32 v153, 0x3030303, v38
	ds_load_2addr_b32 v[141:142], v213 offset0:6 offset1:7
	v_bfe_u32 v38, v38, 24, 2
	v_sub_nc_u16 v154, v153, v36
	s_delay_alu instid0(VALU_DEP_1) | instskip(NEXT) | instid1(VALU_DEP_1)
	v_bfe_i32 v154, v154, 0, 8
	v_mad_i32_i24 v138, v138, v154, v144
	v_and_b32_e32 v144, 0x3030303, v22
	v_bfe_u32 v22, v22, 24, 2
	s_delay_alu instid0(VALU_DEP_2) | instskip(SKIP_2) | instid1(VALU_DEP_2)
	v_sub_nc_u16 v154, v144, v20
	s_wait_dscnt 0x0
	v_ashrrev_i32_e32 v141, s18, v141
	v_bfe_i32 v154, v154, 0, 8
	s_delay_alu instid0(VALU_DEP_2) | instskip(NEXT) | instid1(VALU_DEP_2)
	v_lshlrev_b32_e32 v141, 2, v141
	v_mad_i32_i24 v148, v137, v154, v148
	v_and_b32_e32 v154, 0x3030303, v26
	s_delay_alu instid0(VALU_DEP_3) | instskip(SKIP_1) | instid1(VALU_DEP_3)
	v_and_b32_e32 v141, 0x4040404, v141
	v_bfe_u32 v26, v26, 24, 2
	v_sub_nc_u16 v155, v154, v24
	s_delay_alu instid0(VALU_DEP_1) | instskip(NEXT) | instid1(VALU_DEP_1)
	v_bfe_i32 v155, v155, 0, 8
	v_mad_i32_i24 v150, v137, v155, v150
	v_and_b32_e32 v155, 0x3030303, v34
	v_bfe_u32 v34, v34, 24, 2
	s_delay_alu instid0(VALU_DEP_2) | instskip(NEXT) | instid1(VALU_DEP_1)
	v_sub_nc_u16 v156, v155, v141
	v_bfe_i32 v156, v156, 0, 8
	s_delay_alu instid0(VALU_DEP_1) | instskip(SKIP_3) | instid1(VALU_DEP_3)
	v_mad_i32_i24 v137, v137, v156, v143
	v_lshrrev_b32_e32 v143, 24, v28
	v_lshrrev_b32_e32 v156, 16, v28
	v_lshrrev_b16 v28, 8, v28
	v_sub_nc_u16 v30, v30, v143
	v_lshrrev_b32_e32 v143, 16, v147
	v_lshrrev_b16 v147, 8, v147
	s_delay_alu instid0(VALU_DEP_3) | instskip(NEXT) | instid1(VALU_DEP_3)
	v_lshlrev_b16 v30, 8, v30
	v_sub_nc_u16 v143, v143, v156
	s_delay_alu instid0(VALU_DEP_3) | instskip(SKIP_3) | instid1(VALU_DEP_4)
	v_sub_nc_u16 v28, v147, v28
	v_lshrrev_b32_e32 v147, 24, v36
	v_lshrrev_b32_e32 v156, 16, v36
	v_lshrrev_b16 v36, 8, v36
	v_lshlrev_b16 v28, 8, v28
	s_delay_alu instid0(VALU_DEP_4) | instskip(SKIP_2) | instid1(VALU_DEP_4)
	v_sub_nc_u16 v38, v38, v147
	v_lshrrev_b32_e32 v147, 16, v153
	v_lshrrev_b16 v153, 8, v153
	v_perm_b32 v28, v28, v28, 0xc0c0c01
	s_delay_alu instid0(VALU_DEP_4) | instskip(NEXT) | instid1(VALU_DEP_4)
	v_lshlrev_b16 v38, 8, v38
	v_sub_nc_u16 v147, v147, v156
	s_delay_alu instid0(VALU_DEP_4) | instskip(SKIP_3) | instid1(VALU_DEP_3)
	v_sub_nc_u16 v36, v153, v36
	v_lshrrev_b32_e32 v153, 24, v32
	v_lshrrev_b32_e32 v156, 16, v32
	v_lshrrev_b16 v32, 8, v32
	v_sub_nc_u16 v139, v139, v153
	v_lshrrev_b32_e32 v153, 16, v151
	v_lshrrev_b16 v151, 8, v151
	s_delay_alu instid0(VALU_DEP_3) | instskip(NEXT) | instid1(VALU_DEP_3)
	v_lshlrev_b16 v139, 8, v139
	v_sub_nc_u16 v153, v153, v156
	s_delay_alu instid0(VALU_DEP_3) | instskip(SKIP_1) | instid1(VALU_DEP_2)
	v_sub_nc_u16 v32, v151, v32
	v_and_b32_e32 v151, 0xff, v143
	v_lshlrev_b16 v32, 8, v32
	s_delay_alu instid0(VALU_DEP_2) | instskip(SKIP_1) | instid1(VALU_DEP_3)
	v_or_b32_e32 v30, v151, v30
	v_and_b32_e32 v151, 0xff, v147
	v_perm_b32 v32, v32, v32, 0xc0c0c01
	s_delay_alu instid0(VALU_DEP_3) | instskip(NEXT) | instid1(VALU_DEP_3)
	v_perm_b32 v30, v30, v143, 0xc05000c
	v_or_b32_e32 v38, v151, v38
	v_and_b32_e32 v151, 0xff, v153
	s_delay_alu instid0(VALU_DEP_3) | instskip(SKIP_1) | instid1(VALU_DEP_4)
	v_or_b32_e32 v28, v30, v28
	v_lshlrev_b16 v30, 8, v36
	v_perm_b32 v38, v38, v147, 0xc05000c
	v_lshrrev_b32_e32 v36, 24, v20
	v_or_b32_e32 v139, v151, v139
	v_dot4_i32_iu8 v28, v136, v28, v146 neg_lo:[1,1,0]
	v_perm_b32 v30, v30, v30, 0xc0c0c01
	s_delay_alu instid0(VALU_DEP_4) | instskip(SKIP_2) | instid1(VALU_DEP_4)
	v_sub_nc_u16 v22, v22, v36
	v_lshrrev_b32_e32 v36, 16, v144
	v_perm_b32 v139, v139, v153, 0xc05000c
	v_or_b32_e32 v30, v38, v30
	v_lshrrev_b32_e32 v38, 16, v20
	v_lshrrev_b16 v20, 8, v20
	v_lshlrev_b16 v22, 8, v22
	v_or_b32_e32 v32, v139, v32
	v_dot4_i32_iu8 v30, v136, v30, v138 neg_lo:[1,1,0]
	v_sub_nc_u16 v36, v36, v38
	v_lshrrev_b16 v38, 8, v144
	v_lshrrev_b32_e32 v138, 16, v141
	v_dot4_i32_iu8 v32, v136, v32, v152 neg_lo:[1,1,0]
	v_lshrrev_b32_e32 v136, 16, v24
	v_lshrrev_b16 v139, 8, v141
	v_sub_nc_u16 v20, v38, v20
	v_lshrrev_b32_e32 v38, 24, v24
	v_lshrrev_b16 v24, 8, v24
	s_delay_alu instid0(VALU_DEP_3) | instskip(NEXT) | instid1(VALU_DEP_3)
	v_lshlrev_b16 v20, 8, v20
	v_sub_nc_u16 v26, v26, v38
	v_lshrrev_b32_e32 v38, 16, v154
	s_delay_alu instid0(VALU_DEP_3) | instskip(NEXT) | instid1(VALU_DEP_3)
	v_perm_b32 v20, v20, v20, 0xc0c0c01
	v_lshlrev_b16 v26, 8, v26
	s_delay_alu instid0(VALU_DEP_3) | instskip(SKIP_1) | instid1(VALU_DEP_1)
	v_sub_nc_u16 v38, v38, v136
	v_lshrrev_b16 v136, 8, v154
	v_sub_nc_u16 v24, v136, v24
	v_lshrrev_b32_e32 v136, 24, v141
	s_delay_alu instid0(VALU_DEP_1) | instskip(SKIP_1) | instid1(VALU_DEP_2)
	v_sub_nc_u16 v34, v34, v136
	v_lshrrev_b32_e32 v136, 16, v155
	v_lshlrev_b16 v34, 8, v34
	s_delay_alu instid0(VALU_DEP_2) | instskip(SKIP_1) | instid1(VALU_DEP_1)
	v_sub_nc_u16 v136, v136, v138
	v_lshrrev_b16 v138, 8, v155
	v_sub_nc_u16 v138, v138, v139
	v_and_b32_e32 v139, 0xff, v36
	s_delay_alu instid0(VALU_DEP_1) | instskip(SKIP_1) | instid1(VALU_DEP_2)
	v_or_b32_e32 v22, v139, v22
	v_and_b32_e32 v139, 0xff, v38
	v_perm_b32 v22, v22, v36, 0xc05000c
	s_delay_alu instid0(VALU_DEP_2) | instskip(SKIP_1) | instid1(VALU_DEP_3)
	v_or_b32_e32 v26, v139, v26
	v_and_b32_e32 v139, 0xff, v136
	v_or_b32_e32 v20, v22, v20
	v_lshlrev_b16 v22, 8, v24
	s_delay_alu instid0(VALU_DEP_3) | instskip(SKIP_2) | instid1(VALU_DEP_4)
	v_or_b32_e32 v34, v139, v34
	v_lshlrev_b16 v24, 8, v138
	v_perm_b32 v26, v26, v38, 0xc05000c
	v_perm_b32 v22, v22, v22, 0xc0c0c01
	s_delay_alu instid0(VALU_DEP_4) | instskip(NEXT) | instid1(VALU_DEP_4)
	v_perm_b32 v34, v34, v136, 0xc05000c
	v_perm_b32 v24, v24, v24, 0xc0c0c01
	s_delay_alu instid0(VALU_DEP_3) | instskip(SKIP_1) | instid1(VALU_DEP_3)
	v_or_b32_e32 v22, v26, v22
	v_dot4_i32_iu8 v26, v135, v20, v148 neg_lo:[1,1,0]
	v_or_b32_e32 v24, v34, v24
	v_lshrrev_b16 v20, 8, v168
	v_bfe_i32 v34, v168, 0, 8
	v_dot4_i32_iu8 v22, v135, v22, v150 neg_lo:[1,1,0]
	s_delay_alu instid0(VALU_DEP_4) | instskip(NEXT) | instid1(VALU_DEP_4)
	v_dot4_i32_iu8 v24, v135, v24, v137 neg_lo:[1,1,0]
	v_bfe_i32 v36, v20, 0, 8
	s_delay_alu instid0(VALU_DEP_4) | instskip(SKIP_1) | instid1(VALU_DEP_2)
	v_mul_lo_u32 v20, v149, v34
	v_ashrrev_i32_e32 v34, s23, v140
	v_mad_co_u64_u32 v[135:136], null, v145, v36, v[20:21]
	v_ashrrev_i32_e32 v20, s23, v31
	v_ashrrev_i32_e32 v31, s18, v37
	;; [unrolled: 1-line block ×4, first 2 shown]
	s_delay_alu instid0(VALU_DEP_4) | instskip(NEXT) | instid1(VALU_DEP_4)
	v_and_b32_e32 v37, 0x3030303, v20
	v_lshlrev_b32_e32 v31, 2, v31
	v_bfe_u32 v20, v20, 24, 2
	s_delay_alu instid0(VALU_DEP_4) | instskip(NEXT) | instid1(VALU_DEP_4)
	v_lshlrev_b32_e32 v21, 2, v21
	v_sub_nc_u16 v38, v37, v29
	s_delay_alu instid0(VALU_DEP_4) | instskip(NEXT) | instid1(VALU_DEP_3)
	v_and_b32_e32 v31, 0x4040404, v31
	v_and_b32_e32 v21, 0x4040404, v21
	s_delay_alu instid0(VALU_DEP_3) | instskip(NEXT) | instid1(VALU_DEP_1)
	v_bfe_i32 v38, v38, 0, 8
	v_mad_i32_i24 v28, v134, v38, v28
	v_and_b32_e32 v38, 0x3030303, v34
	v_bfe_u32 v34, v34, 24, 2
	s_delay_alu instid0(VALU_DEP_2) | instskip(NEXT) | instid1(VALU_DEP_1)
	v_sub_nc_u16 v39, v38, v33
	v_bfe_i32 v39, v39, 0, 8
	s_delay_alu instid0(VALU_DEP_1) | instskip(SKIP_2) | instid1(VALU_DEP_2)
	v_mad_i32_i24 v32, v134, v39, v32
	v_and_b32_e32 v39, 0x3030303, v36
	v_bfe_u32 v36, v36, 24, 2
	v_sub_nc_u16 v136, v39, v31
	s_delay_alu instid0(VALU_DEP_1) | instskip(NEXT) | instid1(VALU_DEP_1)
	v_bfe_i32 v136, v136, 0, 8
	v_mad_i32_i24 v30, v134, v136, v30
	v_and_b32_e32 v136, 0x3030303, v23
	v_ashrrev_i32_e32 v134, s18, v142
	v_bfe_u32 v23, v23, 24, 2
	s_add_co_i32 s18, s18, 1
	s_cmp_lt_u32 s20, 30
	v_sub_nc_u16 v137, v136, v21
	v_lshlrev_b32_e32 v134, 2, v134
	s_delay_alu instid0(VALU_DEP_2) | instskip(NEXT) | instid1(VALU_DEP_2)
	v_bfe_i32 v137, v137, 0, 8
	v_and_b32_e32 v134, 0x4040404, v134
	s_delay_alu instid0(VALU_DEP_2) | instskip(SKIP_2) | instid1(VALU_DEP_2)
	v_mad_i32_i24 v26, v133, v137, v26
	v_and_b32_e32 v137, 0x3030303, v27
	v_bfe_u32 v27, v27, 24, 2
	v_sub_nc_u16 v138, v137, v25
	s_delay_alu instid0(VALU_DEP_1) | instskip(NEXT) | instid1(VALU_DEP_1)
	v_bfe_i32 v138, v138, 0, 8
	v_mad_i32_i24 v22, v133, v138, v22
	v_and_b32_e32 v138, 0x3030303, v35
	s_delay_alu instid0(VALU_DEP_1) | instskip(NEXT) | instid1(VALU_DEP_1)
	v_sub_nc_u16 v139, v138, v134
	v_bfe_i32 v139, v139, 0, 8
	s_delay_alu instid0(VALU_DEP_1) | instskip(SKIP_3) | instid1(VALU_DEP_3)
	v_mad_i32_i24 v24, v133, v139, v24
	v_lshrrev_b32_e32 v133, 24, v29
	v_lshrrev_b32_e32 v139, 16, v29
	v_lshrrev_b16 v29, 8, v29
	v_sub_nc_u16 v20, v20, v133
	v_lshrrev_b32_e32 v133, 16, v37
	v_lshrrev_b16 v37, 8, v37
	s_delay_alu instid0(VALU_DEP_3) | instskip(NEXT) | instid1(VALU_DEP_3)
	v_lshlrev_b16 v20, 8, v20
	v_sub_nc_u16 v133, v133, v139
	s_delay_alu instid0(VALU_DEP_3) | instskip(SKIP_3) | instid1(VALU_DEP_4)
	v_sub_nc_u16 v29, v37, v29
	v_lshrrev_b32_e32 v37, 24, v31
	v_lshrrev_b32_e32 v139, 16, v31
	v_lshrrev_b16 v31, 8, v31
	v_lshlrev_b16 v29, 8, v29
	s_delay_alu instid0(VALU_DEP_4) | instskip(SKIP_2) | instid1(VALU_DEP_4)
	v_sub_nc_u16 v36, v36, v37
	v_lshrrev_b32_e32 v37, 16, v39
	v_lshrrev_b16 v39, 8, v39
	v_perm_b32 v29, v29, v29, 0xc0c0c01
	s_delay_alu instid0(VALU_DEP_4) | instskip(NEXT) | instid1(VALU_DEP_4)
	v_lshlrev_b16 v36, 8, v36
	v_sub_nc_u16 v37, v37, v139
	s_delay_alu instid0(VALU_DEP_4) | instskip(SKIP_3) | instid1(VALU_DEP_3)
	v_sub_nc_u16 v31, v39, v31
	v_lshrrev_b32_e32 v39, 24, v33
	v_lshrrev_b32_e32 v139, 16, v33
	v_lshrrev_b16 v33, 8, v33
	v_sub_nc_u16 v34, v34, v39
	v_lshrrev_b32_e32 v39, 16, v38
	v_lshrrev_b16 v38, 8, v38
	s_delay_alu instid0(VALU_DEP_3) | instskip(NEXT) | instid1(VALU_DEP_3)
	v_lshlrev_b16 v34, 8, v34
	v_sub_nc_u16 v39, v39, v139
	s_delay_alu instid0(VALU_DEP_3) | instskip(SKIP_1) | instid1(VALU_DEP_1)
	v_sub_nc_u16 v33, v38, v33
	v_and_b32_e32 v38, 0xff, v133
	v_or_b32_e32 v20, v38, v20
	v_and_b32_e32 v38, 0xff, v37
	s_delay_alu instid0(VALU_DEP_2) | instskip(NEXT) | instid1(VALU_DEP_2)
	v_perm_b32 v20, v20, v133, 0xc05000c
	v_or_b32_e32 v36, v38, v36
	v_and_b32_e32 v38, 0xff, v39
	s_delay_alu instid0(VALU_DEP_3) | instskip(SKIP_1) | instid1(VALU_DEP_3)
	v_or_b32_e32 v20, v20, v29
	v_lshlrev_b16 v29, 8, v31
	v_or_b32_e32 v34, v38, v34
	v_perm_b32 v36, v36, v37, 0xc05000c
	v_lshlrev_b16 v31, 8, v33
	v_dot4_i32_iu8 v20, v132, v20, v28 neg_lo:[1,1,0]
	v_perm_b32 v29, v29, v29, 0xc0c0c01
	v_perm_b32 v34, v34, v39, 0xc05000c
	v_lshrrev_b32_e32 v33, 24, v134
	v_perm_b32 v31, v31, v31, 0xc0c0c01
	s_delay_alu instid0(VALU_DEP_4) | instskip(NEXT) | instid1(VALU_DEP_2)
	v_or_b32_e32 v29, v36, v29
	v_or_b32_e32 v31, v34, v31
	v_lshrrev_b32_e32 v34, 16, v134
	s_delay_alu instid0(VALU_DEP_3) | instskip(SKIP_1) | instid1(VALU_DEP_4)
	v_dot4_i32_iu8 v29, v132, v29, v30 neg_lo:[1,1,0]
	v_lshrrev_b32_e32 v30, 24, v21
	v_dot4_i32_iu8 v28, v132, v31, v32 neg_lo:[1,1,0]
	v_lshrrev_b32_e32 v31, 16, v21
	v_lshrrev_b16 v21, 8, v21
	s_delay_alu instid0(VALU_DEP_4) | instskip(SKIP_2) | instid1(VALU_DEP_3)
	v_sub_nc_u16 v23, v23, v30
	v_lshrrev_b32_e32 v30, 16, v136
	v_lshrrev_b32_e32 v32, 16, v25
	v_lshlrev_b16 v23, 8, v23
	s_delay_alu instid0(VALU_DEP_3) | instskip(SKIP_1) | instid1(VALU_DEP_1)
	v_sub_nc_u16 v30, v30, v31
	v_lshrrev_b16 v31, 8, v136
	v_sub_nc_u16 v21, v31, v21
	v_lshrrev_b32_e32 v31, 24, v25
	v_lshrrev_b16 v25, 8, v25
	s_delay_alu instid0(VALU_DEP_3) | instskip(NEXT) | instid1(VALU_DEP_3)
	v_lshlrev_b16 v21, 8, v21
	v_sub_nc_u16 v27, v27, v31
	v_lshrrev_b32_e32 v31, 16, v137
	s_delay_alu instid0(VALU_DEP_3) | instskip(NEXT) | instid1(VALU_DEP_3)
	v_perm_b32 v21, v21, v21, 0xc0c0c01
	v_lshlrev_b16 v27, 8, v27
	s_delay_alu instid0(VALU_DEP_3) | instskip(SKIP_1) | instid1(VALU_DEP_1)
	v_sub_nc_u16 v31, v31, v32
	v_lshrrev_b16 v32, 8, v137
	v_sub_nc_u16 v25, v32, v25
	v_bfe_u32 v32, v35, 24, 2
	v_lshrrev_b16 v35, 8, v134
	s_delay_alu instid0(VALU_DEP_2) | instskip(SKIP_1) | instid1(VALU_DEP_2)
	v_sub_nc_u16 v32, v32, v33
	v_lshrrev_b32_e32 v33, 16, v138
	v_lshlrev_b16 v32, 8, v32
	s_delay_alu instid0(VALU_DEP_2) | instskip(SKIP_1) | instid1(VALU_DEP_1)
	v_sub_nc_u16 v33, v33, v34
	v_lshrrev_b16 v34, 8, v138
	v_sub_nc_u16 v34, v34, v35
	v_and_b32_e32 v35, 0xff, v30
	s_delay_alu instid0(VALU_DEP_1) | instskip(SKIP_1) | instid1(VALU_DEP_2)
	v_or_b32_e32 v23, v35, v23
	v_and_b32_e32 v35, 0xff, v31
	v_perm_b32 v23, v23, v30, 0xc05000c
	s_delay_alu instid0(VALU_DEP_2) | instskip(SKIP_1) | instid1(VALU_DEP_3)
	v_or_b32_e32 v27, v35, v27
	v_and_b32_e32 v35, 0xff, v33
	v_or_b32_e32 v21, v23, v21
	v_lshlrev_b16 v23, 8, v25
	s_delay_alu instid0(VALU_DEP_4) | instskip(NEXT) | instid1(VALU_DEP_4)
	v_perm_b32 v27, v27, v31, 0xc05000c
	v_or_b32_e32 v32, v35, v32
	v_lshlrev_b16 v25, 8, v34
	v_dot4_i32_iu8 v21, v131, v21, v26 neg_lo:[1,1,0]
	v_perm_b32 v23, v23, v23, 0xc0c0c01
	s_delay_alu instid0(VALU_DEP_4) | instskip(NEXT) | instid1(VALU_DEP_4)
	v_perm_b32 v30, v32, v33, 0xc05000c
	v_perm_b32 v25, v25, v25, 0xc0c0c01
	s_delay_alu instid0(VALU_DEP_3) | instskip(NEXT) | instid1(VALU_DEP_2)
	v_or_b32_e32 v23, v27, v23
	v_or_b32_e32 v25, v30, v25
	s_delay_alu instid0(VALU_DEP_2) | instskip(SKIP_1) | instid1(VALU_DEP_3)
	v_dot4_i32_iu8 v22, v131, v23, v22 neg_lo:[1,1,0]
	v_add_nc_u32_e32 v23, s19, v99
	v_dot4_i32_iu8 v24, v131, v25, v24 neg_lo:[1,1,0]
	v_add_nc_u32_e32 v25, s19, v97
	s_mov_b32 s19, s20
	ds_load_u16 v23, v23 offset:25330
	ds_load_u16 v25, v25 offset:27378
	s_wait_dscnt 0x1
	v_lshrrev_b16 v26, 8, v23
	v_bfe_i32 v23, v23, 0, 8
	s_delay_alu instid0(VALU_DEP_2) | instskip(NEXT) | instid1(VALU_DEP_2)
	v_bfe_i32 v26, v26, 0, 8
	v_mul_lo_u32 v20, v20, v23
	s_wait_dscnt 0x0
	v_bfe_i32 v23, v25, 0, 8
	v_lshrrev_b16 v25, 8, v25
	s_delay_alu instid0(VALU_DEP_3) | instskip(SKIP_2) | instid1(VALU_DEP_2)
	v_mad_co_u64_u32 v[20:21], null, v21, v26, v[20:21]
	v_lshrrev_b16 v21, 8, v167
	v_bfe_i32 v26, v167, 0, 8
	v_bfe_i32 v27, v21, 0, 8
	s_delay_alu instid0(VALU_DEP_2)
	v_mul_lo_u32 v21, v28, v26
	ds_load_b32 v26, v130
	v_cvt_f32_i32_e32 v20, v20
	v_add_nc_u32_e32 v130, 4, v130
	v_mad_co_u64_u32 v[21:22], null, v22, v27, v[21:22]
	v_mul_lo_u32 v22, v29, v23
	v_bfe_i32 v23, v25, 0, 8
	v_cvt_f32_i32_e32 v27, v135
	s_delay_alu instid0(VALU_DEP_4) | instskip(NEXT) | instid1(VALU_DEP_3)
	v_cvt_f32_i32_e32 v21, v21
	v_mad_co_u64_u32 v[22:23], null, v24, v23, v[22:23]
	s_wait_dscnt 0x0
	v_mul_f32_e32 v23, v26, v160
	v_mul_f32_e32 v24, v26, v166
	;; [unrolled: 1-line block ×4, first 2 shown]
	v_cvt_f32_i32_e32 v22, v22
	s_delay_alu instid0(VALU_DEP_4) | instskip(NEXT) | instid1(VALU_DEP_3)
	v_dual_fmac_f32 v42, v23, v20 :: v_dual_fmac_f32 v89, v24, v21
	v_fmac_f32_e32 v17, v26, v27
	s_delay_alu instid0(VALU_DEP_3)
	v_fmac_f32_e32 v83, v25, v22
	s_cbranch_scc1 .LBB230_35
; %bb.36:                               ;   in Loop: Header=BB230_5 Depth=1
	s_wait_loadcnt 0x0
	s_barrier_signal -1
	s_barrier_wait -1
	global_inv scope:SCOPE_SE
	s_branch .LBB230_4
.LBB230_37:
	s_mul_i32 s0, s10, s7
	s_wait_loadcnt 0x0
	s_wait_alu 0xfffe
	v_cmp_gt_i32_e32 vcc_lo, s0, v40
	s_and_saveexec_b32 s0, vcc_lo
	s_cbranch_execz .LBB230_46
; %bb.38:
	v_mul_lo_u32 v0, v40, s9
	v_add_nc_u32_e32 v1, s11, v41
	s_mov_b32 s0, exec_lo
	s_delay_alu instid0(VALU_DEP_1)
	v_cmpx_gt_u32_e64 s9, v1
	s_cbranch_execz .LBB230_40
; %bb.39:
	v_bfe_u32 v3, v42, 16, 1
	s_delay_alu instid0(VALU_DEP_4) | instskip(SKIP_1) | instid1(VALU_DEP_3)
	v_add_nc_u32_e32 v2, v0, v1
	v_cmp_o_f32_e32 vcc_lo, v42, v42
	v_add3_u32 v4, v42, v3, 0x7fff
	v_mov_b32_e32 v3, 0
	s_delay_alu instid0(VALU_DEP_2) | instskip(NEXT) | instid1(VALU_DEP_2)
	v_lshrrev_b32_e32 v4, 16, v4
	v_lshlrev_b64_e32 v[2:3], 1, v[2:3]
	s_wait_alu 0xfffd
	s_delay_alu instid0(VALU_DEP_2) | instskip(NEXT) | instid1(VALU_DEP_2)
	v_cndmask_b32_e32 v4, 0x7fc0, v4, vcc_lo
	v_add_co_u32 v2, vcc_lo, s12, v2
	s_wait_alu 0xfffd
	s_delay_alu instid0(VALU_DEP_3)
	v_add_co_ci_u32_e64 v3, null, s13, v3, vcc_lo
	global_store_b16 v[2:3], v4, off
.LBB230_40:
	s_wait_alu 0xfffe
	s_or_b32 exec_lo, exec_lo, s0
	v_add_nc_u32_e32 v2, 32, v1
	s_mov_b32 s0, exec_lo
	s_delay_alu instid0(VALU_DEP_1)
	v_cmpx_gt_u32_e64 s9, v2
	s_cbranch_execz .LBB230_42
; %bb.41:
	v_bfe_u32 v3, v89, 16, 1
	v_add_nc_u32_e32 v2, v0, v2
	v_cmp_o_f32_e32 vcc_lo, v89, v89
	s_delay_alu instid0(VALU_DEP_3) | instskip(SKIP_1) | instid1(VALU_DEP_2)
	v_add3_u32 v4, v89, v3, 0x7fff
	v_mov_b32_e32 v3, 0
	v_lshrrev_b32_e32 v4, 16, v4
	s_delay_alu instid0(VALU_DEP_2) | instskip(SKIP_1) | instid1(VALU_DEP_2)
	v_lshlrev_b64_e32 v[2:3], 1, v[2:3]
	s_wait_alu 0xfffd
	v_cndmask_b32_e32 v4, 0x7fc0, v4, vcc_lo
	s_delay_alu instid0(VALU_DEP_2) | instskip(SKIP_1) | instid1(VALU_DEP_3)
	v_add_co_u32 v2, vcc_lo, s12, v2
	s_wait_alu 0xfffd
	v_add_co_ci_u32_e64 v3, null, s13, v3, vcc_lo
	global_store_b16 v[2:3], v4, off
.LBB230_42:
	s_wait_alu 0xfffe
	s_or_b32 exec_lo, exec_lo, s0
	v_add_nc_u32_e32 v2, 64, v1
	s_mov_b32 s0, exec_lo
	s_delay_alu instid0(VALU_DEP_1)
	v_cmpx_gt_u32_e64 s9, v2
	s_cbranch_execz .LBB230_44
; %bb.43:
	v_bfe_u32 v3, v83, 16, 1
	v_add_nc_u32_e32 v2, v0, v2
	v_cmp_o_f32_e32 vcc_lo, v83, v83
	s_delay_alu instid0(VALU_DEP_3) | instskip(SKIP_1) | instid1(VALU_DEP_2)
	v_add3_u32 v4, v83, v3, 0x7fff
	v_mov_b32_e32 v3, 0
	v_lshrrev_b32_e32 v4, 16, v4
	s_delay_alu instid0(VALU_DEP_2) | instskip(SKIP_1) | instid1(VALU_DEP_2)
	v_lshlrev_b64_e32 v[2:3], 1, v[2:3]
	s_wait_alu 0xfffd
	v_cndmask_b32_e32 v4, 0x7fc0, v4, vcc_lo
	s_delay_alu instid0(VALU_DEP_2) | instskip(SKIP_1) | instid1(VALU_DEP_3)
	v_add_co_u32 v2, vcc_lo, s12, v2
	s_wait_alu 0xfffd
	v_add_co_ci_u32_e64 v3, null, s13, v3, vcc_lo
	global_store_b16 v[2:3], v4, off
.LBB230_44:
	s_wait_alu 0xfffe
	s_or_b32 exec_lo, exec_lo, s0
	v_add_nc_u32_e32 v1, 0x60, v1
	s_delay_alu instid0(VALU_DEP_1)
	v_cmp_gt_u32_e32 vcc_lo, s9, v1
	s_and_b32 exec_lo, exec_lo, vcc_lo
	s_cbranch_execz .LBB230_46
; %bb.45:
	v_bfe_u32 v2, v17, 16, 1
	v_dual_mov_b32 v1, 0 :: v_dual_add_nc_u32 v0, v0, v1
	v_cmp_o_f32_e32 vcc_lo, v17, v17
	s_delay_alu instid0(VALU_DEP_3) | instskip(NEXT) | instid1(VALU_DEP_3)
	v_add3_u32 v2, v17, v2, 0x7fff
	v_lshlrev_b64_e32 v[0:1], 1, v[0:1]
	s_delay_alu instid0(VALU_DEP_2) | instskip(SKIP_1) | instid1(VALU_DEP_1)
	v_lshrrev_b32_e32 v2, 16, v2
	s_wait_alu 0xfffd
	v_cndmask_b32_e32 v2, 0x7fc0, v2, vcc_lo
	s_delay_alu instid0(VALU_DEP_3)
	v_add_co_u32 v0, vcc_lo, s12, v0
	s_wait_alu 0xfffd
	v_add_co_ci_u32_e64 v1, null, s13, v1, vcc_lo
	global_store_b16 v[0:1], v2, off
.LBB230_46:
	s_nop 0
	s_sendmsg sendmsg(MSG_DEALLOC_VGPRS)
	s_endpgm
	.section	.rodata,"a",@progbits
	.p2align	6, 0x0
	.amdhsa_kernel _ZL8moe_q3_KIN3c108BFloat16ELb1EEvPKvS3_PT_PKiS7_S7_iiiiiii
		.amdhsa_group_segment_fixed_size 31776
		.amdhsa_private_segment_fixed_size 0
		.amdhsa_kernarg_size 76
		.amdhsa_user_sgpr_count 2
		.amdhsa_user_sgpr_dispatch_ptr 0
		.amdhsa_user_sgpr_queue_ptr 0
		.amdhsa_user_sgpr_kernarg_segment_ptr 1
		.amdhsa_user_sgpr_dispatch_id 0
		.amdhsa_user_sgpr_private_segment_size 0
		.amdhsa_wavefront_size32 1
		.amdhsa_uses_dynamic_stack 0
		.amdhsa_enable_private_segment 0
		.amdhsa_system_sgpr_workgroup_id_x 1
		.amdhsa_system_sgpr_workgroup_id_y 1
		.amdhsa_system_sgpr_workgroup_id_z 0
		.amdhsa_system_sgpr_workgroup_info 0
		.amdhsa_system_vgpr_workitem_id 1
		.amdhsa_next_free_vgpr 229
		.amdhsa_next_free_sgpr 27
		.amdhsa_reserve_vcc 1
		.amdhsa_float_round_mode_32 0
		.amdhsa_float_round_mode_16_64 0
		.amdhsa_float_denorm_mode_32 3
		.amdhsa_float_denorm_mode_16_64 3
		.amdhsa_fp16_overflow 0
		.amdhsa_workgroup_processor_mode 1
		.amdhsa_memory_ordered 1
		.amdhsa_forward_progress 1
		.amdhsa_inst_pref_size 255
		.amdhsa_round_robin_scheduling 0
		.amdhsa_exception_fp_ieee_invalid_op 0
		.amdhsa_exception_fp_denorm_src 0
		.amdhsa_exception_fp_ieee_div_zero 0
		.amdhsa_exception_fp_ieee_overflow 0
		.amdhsa_exception_fp_ieee_underflow 0
		.amdhsa_exception_fp_ieee_inexact 0
		.amdhsa_exception_int_div_zero 0
	.end_amdhsa_kernel
	.section	.text._ZL8moe_q3_KIN3c108BFloat16ELb1EEvPKvS3_PT_PKiS7_S7_iiiiiii,"axG",@progbits,_ZL8moe_q3_KIN3c108BFloat16ELb1EEvPKvS3_PT_PKiS7_S7_iiiiiii,comdat
.Lfunc_end230:
	.size	_ZL8moe_q3_KIN3c108BFloat16ELb1EEvPKvS3_PT_PKiS7_S7_iiiiiii, .Lfunc_end230-_ZL8moe_q3_KIN3c108BFloat16ELb1EEvPKvS3_PT_PKiS7_S7_iiiiiii
                                        ; -- End function
	.set _ZL8moe_q3_KIN3c108BFloat16ELb1EEvPKvS3_PT_PKiS7_S7_iiiiiii.num_vgpr, 229
	.set _ZL8moe_q3_KIN3c108BFloat16ELb1EEvPKvS3_PT_PKiS7_S7_iiiiiii.num_agpr, 0
	.set _ZL8moe_q3_KIN3c108BFloat16ELb1EEvPKvS3_PT_PKiS7_S7_iiiiiii.numbered_sgpr, 27
	.set _ZL8moe_q3_KIN3c108BFloat16ELb1EEvPKvS3_PT_PKiS7_S7_iiiiiii.num_named_barrier, 0
	.set _ZL8moe_q3_KIN3c108BFloat16ELb1EEvPKvS3_PT_PKiS7_S7_iiiiiii.private_seg_size, 0
	.set _ZL8moe_q3_KIN3c108BFloat16ELb1EEvPKvS3_PT_PKiS7_S7_iiiiiii.uses_vcc, 1
	.set _ZL8moe_q3_KIN3c108BFloat16ELb1EEvPKvS3_PT_PKiS7_S7_iiiiiii.uses_flat_scratch, 0
	.set _ZL8moe_q3_KIN3c108BFloat16ELb1EEvPKvS3_PT_PKiS7_S7_iiiiiii.has_dyn_sized_stack, 0
	.set _ZL8moe_q3_KIN3c108BFloat16ELb1EEvPKvS3_PT_PKiS7_S7_iiiiiii.has_recursion, 0
	.set _ZL8moe_q3_KIN3c108BFloat16ELb1EEvPKvS3_PT_PKiS7_S7_iiiiiii.has_indirect_call, 0
	.section	.AMDGPU.csdata,"",@progbits
; Kernel info:
; codeLenInByte = 36680
; TotalNumSgprs: 29
; NumVgprs: 229
; ScratchSize: 0
; MemoryBound: 0
; FloatMode: 240
; IeeeMode: 1
; LDSByteSize: 31776 bytes/workgroup (compile time only)
; SGPRBlocks: 0
; VGPRBlocks: 28
; NumSGPRsForWavesPerEU: 29
; NumVGPRsForWavesPerEU: 229
; Occupancy: 6
; WaveLimiterHint : 1
; COMPUTE_PGM_RSRC2:SCRATCH_EN: 0
; COMPUTE_PGM_RSRC2:USER_SGPR: 2
; COMPUTE_PGM_RSRC2:TRAP_HANDLER: 0
; COMPUTE_PGM_RSRC2:TGID_X_EN: 1
; COMPUTE_PGM_RSRC2:TGID_Y_EN: 1
; COMPUTE_PGM_RSRC2:TGID_Z_EN: 0
; COMPUTE_PGM_RSRC2:TIDIG_COMP_CNT: 1
	.section	.text._ZL8moe_q4_KIN3c108BFloat16ELb0EEvPKvS3_PT_PKiS7_S7_iiiiiii,"axG",@progbits,_ZL8moe_q4_KIN3c108BFloat16ELb0EEvPKvS3_PT_PKiS7_S7_iiiiiii,comdat
	.globl	_ZL8moe_q4_KIN3c108BFloat16ELb0EEvPKvS3_PT_PKiS7_S7_iiiiiii ; -- Begin function _ZL8moe_q4_KIN3c108BFloat16ELb0EEvPKvS3_PT_PKiS7_S7_iiiiiii
	.p2align	8
	.type	_ZL8moe_q4_KIN3c108BFloat16ELb0EEvPKvS3_PT_PKiS7_S7_iiiiiii,@function
_ZL8moe_q4_KIN3c108BFloat16ELb0EEvPKvS3_PT_PKiS7_S7_iiiiiii: ; @_ZL8moe_q4_KIN3c108BFloat16ELb0EEvPKvS3_PT_PKiS7_S7_iiiiiii
; %bb.0:
	s_load_b128 s[4:7], s[0:1], 0x18
	s_mov_b32 s2, ttmp7
	s_mov_b32 s3, 0
	s_delay_alu instid0(SALU_CYCLE_1)
	s_lshl_b64 s[2:3], s[2:3], 2
	s_wait_kmcnt 0x0
	s_add_nc_u64 s[2:3], s[6:7], s[2:3]
	s_load_b32 s12, s[2:3], 0x0
	s_wait_kmcnt 0x0
	s_cmp_gt_u32 s12, 0xff
	s_cbranch_scc1 .LBB231_30
; %bb.1:
	s_load_b64 s[2:3], s[0:1], 0x28
	s_wait_kmcnt 0x0
	s_load_b32 s3, s[2:3], 0x0
	s_lshl_b32 s2, ttmp7, 3
	s_wait_kmcnt 0x0
	s_cmp_gt_u32 s2, s3
	s_cbranch_scc1 .LBB231_30
; %bb.2:
	v_bfe_u32 v1, v0, 10, 10
	v_mov_b32_e32 v4, 0
	s_lshl_b32 s18, ttmp9, 7
	s_delay_alu instid0(VALU_DEP_2) | instskip(NEXT) | instid1(VALU_DEP_2)
	v_add_nc_u32_e32 v3, s2, v1
	v_dual_mov_b32 v39, v4 :: v_dual_and_b32 v18, 0x3ff, v0
	v_dual_mov_b32 v50, v4 :: v_dual_mov_b32 v19, v4
	s_delay_alu instid0(VALU_DEP_3) | instskip(NEXT) | instid1(VALU_DEP_1)
	v_lshlrev_b64_e32 v[2:3], 2, v[3:4]
	v_add_co_u32 v2, vcc_lo, s4, v2
	s_delay_alu instid0(VALU_DEP_1)
	v_add_co_ci_u32_e64 v3, null, s5, v3, vcc_lo
	global_load_b32 v17, v[2:3], off
	s_clause 0x2
	s_load_b64 s[10:11], s[0:1], 0x30
	s_load_b64 s[8:9], s[0:1], 0x10
	s_load_b128 s[4:7], s[0:1], 0x3c
	s_wait_kmcnt 0x0
	s_cmp_lt_i32 s11, 0x100
	s_cbranch_scc1 .LBB231_21
; %bb.3:
	s_abs_i32 s17, s7
	v_lshlrev_b32_e32 v3, 3, v1
	v_bfe_u32 v4, v0, 2, 8
	s_wait_loadcnt 0x0
	v_sub_nc_u32_e32 v6, 0, v17
	s_cvt_f32_u32 s21, s17
	s_ashr_i32 s2, s11, 31
	v_dual_mov_b32 v19, 0 :: v_dual_lshlrev_b32 v2, 2, v18
	v_add_nc_u32_e32 v8, v4, v3
	v_add_nc_u16 v3, v4, v3
	v_max_i32_e32 v4, v17, v6
	v_rcp_iflag_f32_e32 v6, s21
	s_wait_alu 0xfffe
	s_lshr_b32 s2, s2, 24
	v_dual_mov_b32 v50, 0 :: v_dual_and_b32 v5, 3, v0
	s_wait_alu 0xfffe
	s_add_co_i32 s13, s11, s2
	s_load_b128 s[0:3], s[0:1], 0x0
	v_and_b32_e32 v10, 4, v2
	v_cmp_lt_u32_e32 vcc_lo, 1, v5
	v_lshlrev_b32_e32 v23, 5, v1
	s_ashr_i32 s19, s13, 8
	v_readfirstlane_b32 s23, v6
	s_ashr_i32 s13, s5, 31
	s_wait_alu 0xfffd
	v_cndmask_b32_e32 v34, 0, v10, vcc_lo
	v_add_nc_u32_e32 v7, v23, v18
	s_lshr_b32 s20, s13, 27
	s_mul_f32 s23, s23, 0x4f7ffffe
	s_mul_i32 s12, s12, s10
	s_wait_alu 0xfffe
	s_add_co_i32 s5, s5, s20
	s_mul_i32 s20, s19, s18
	v_and_b32_e32 v12, 0x7f, v7
	v_lshrrev_b32_e32 v7, 3, v7
	s_cvt_u32_f32 s23, s23
	s_lshl_b32 s16, s19, 3
	s_ashr_i32 s13, s12, 31
	s_sub_co_i32 s22, 0, s17
	s_wait_alu 0xfffe
	s_ashr_i32 s21, s20, 31
	v_mad_i32_i24 v20, s19, v1, s16
	s_wait_alu 0xfffe
	s_mul_u64 s[20:21], s[20:21], 0x90
	s_wait_kmcnt 0x0
	s_add_nc_u64 s[0:1], s[0:1], s[12:13]
	s_mul_i32 s22, s22, s23
	v_mul_i32_i24_e32 v37, s19, v12
	v_and_b32_e32 v7, 12, v7
	v_lshlrev_b32_e32 v12, 2, v12
	s_wait_alu 0xfffe
	s_add_nc_u64 s[12:13], s[0:1], s[20:21]
	s_mul_hi_u32 s0, s23, s22
	v_dual_mov_b32 v39, 0 :: v_dual_add_nc_u32 v22, s16, v20
	v_add_nc_u32_e32 v9, 0xfe, v5
	s_add_co_i32 s23, s23, s0
	v_add3_u32 v41, v12, v7, 0x4e40
	v_mul_hi_u32 v12, v4, s23
	v_add_nc_u32_e32 v24, s16, v22
	v_lshlrev_b32_e32 v11, 2, v5
	v_and_b32_e32 v9, 0xff, v9
	v_and_b32_e32 v8, 0x7f, v8
	v_cndmask_b32_e64 v10, 0, 1, vcc_lo
	v_cmp_gt_u32_e32 vcc_lo, 2, v5
	v_add_nc_u32_e32 v25, s16, v24
	v_bfe_u32 v21, v0, 5, 5
	v_xor_b32_e32 v13, 64, v8
	v_mul_i32_i24_e32 v45, s19, v8
	s_wait_alu 0xfffd
	v_cndmask_b32_e32 v6, v9, v5, vcc_lo
	v_lshl_or_b32 v9, v8, 4, v11
	v_mul_lo_u32 v8, v12, s17
	v_cmp_ne_u32_e32 vcc_lo, 0, v5
	v_lshl_add_u32 v47, v1, 7, 0x4a40
	v_lshlrev_b32_e32 v44, 1, v6
	v_lshrrev_b16 v3, 1, v3
	v_bfe_u32 v52, v0, 3, 7
	s_wait_alu 0xfffd
	v_add_co_ci_u32_e64 v7, null, 0, v6, vcc_lo
	v_and_b32_e32 v6, 31, v0
	v_sub_nc_u32_e32 v4, v4, v8
	v_add_nc_u32_e32 v8, 1, v12
	v_and_b32_e32 v3, 60, v3
	v_add_nc_u32_e32 v26, s16, v25
	v_lshl_add_u32 v51, v6, 2, v47
	v_lshlrev_b32_e32 v6, 2, v21
	v_subrev_nc_u32_e32 v0, s17, v4
	v_cmp_le_u32_e32 vcc_lo, s17, v4
	v_and_b32_e32 v27, 0x7c, v2
	v_add3_u32 v46, v9, v3, 0x4200
	v_add3_u32 v53, v6, v2, 0x4e40
	s_wait_alu 0xfffd
	v_dual_cndmask_b32 v6, v12, v8 :: v_dual_add_nc_u32 v9, 64, v18
	v_dual_cndmask_b32 v0, v4, v0 :: v_dual_add_nc_u32 v29, s16, v26
	v_lshl_or_b32 v3, v13, 4, v11
	v_xor_b32_e32 v11, s7, v17
	s_delay_alu instid0(VALU_DEP_4) | instskip(NEXT) | instid1(VALU_DEP_4)
	v_add_nc_u32_e32 v4, 1, v6
	v_cmp_le_u32_e32 vcc_lo, s17, v0
	v_add_nc_u32_e32 v8, 32, v18
	v_lshrrev_b32_e32 v5, 1, v13
	v_ashrrev_i32_e32 v11, 31, v11
	v_add_nc_u32_e32 v12, 0x60, v18
	s_wait_alu 0xfffd
	v_cndmask_b32_e32 v0, v6, v4, vcc_lo
	v_lshrrev_b32_e32 v4, 3, v9
	v_lshrrev_b32_e32 v54, 3, v8
	v_and_b32_e32 v5, 60, v5
	v_mul_i32_i24_e32 v48, s19, v13
	v_xor_b32_e32 v0, v0, v11
	v_and_b32_e32 v14, 60, v4
	v_lshlrev_b32_e32 v64, 2, v4
	v_mov_b32_e32 v4, 0
	v_add_nc_u32_e32 v30, s16, v29
	v_and_b32_e32 v6, 60, v54
	v_lshrrev_b32_e32 v13, 3, v12
	v_sub_nc_u32_e32 v0, v0, v11
	v_add3_u32 v49, v3, v5, 0x4200
	v_add_nc_u32_e32 v31, s16, v30
	v_and_b32_e32 v5, 28, v2
	v_mad_u32_u24 v28, 0x84, v1, v2
	s_ashr_i32 s5, s5, 5
	v_mul_i32_i24_e32 v32, s19, v1
	v_add_nc_u32_e32 v33, s16, v31
	v_add_nc_u32_e32 v3, 0x5050, v2
	v_lshlrev_b32_e32 v1, 4, v1
	v_lshlrev_b32_e32 v8, 2, v8
	v_add3_u32 v55, v2, v6, 0x4e40
	v_add_nc_u32_e32 v35, s16, v33
	v_and_b32_e32 v6, 60, v13
	v_lshlrev_b32_e32 v9, 2, v9
	v_lshlrev_b32_e32 v11, 2, v12
	s_movk_i32 s10, 0x1080
	v_add_nc_u32_e32 v36, s16, v35
	s_wait_alu 0xfffe
	v_mul_lo_u32 v59, v0, s5
	s_movk_i32 s14, 0x2100
	s_movk_i32 s15, 0x3180
	v_cmp_gt_u32_e64 s0, 4, v18
	v_add_nc_u32_e32 v38, s16, v36
	v_mad_u32_u24 v58, 0x84, v18, s10
	v_cmp_gt_i32_e64 s1, s4, v0
	v_add_co_u32 v5, s10, s2, v5
	s_delay_alu instid0(VALU_DEP_4)
	v_add_nc_u32_e32 v40, s16, v38
	v_add3_u32 v56, v2, v14, 0x4e40
	v_add3_u32 v57, v2, v6, 0x4e40
	v_mad_u32_u24 v60, 0x84, v18, s14
	v_mad_u32_u24 v61, 0x84, v18, s15
	v_add_nc_u32_e32 v42, s16, v40
	s_wait_alu 0xf1ff
	v_add_co_ci_u32_e64 v6, null, s3, 0, s10
	v_add_nc_u32_e32 v62, 0x5050, v1
	v_lshlrev_b32_e32 v63, 2, v13
	v_add_nc_u32_e32 v43, s16, v42
	v_lshlrev_b32_e32 v65, 2, v54
	v_lshlrev_b32_e32 v66, 2, v7
	;; [unrolled: 1-line block ×3, first 2 shown]
	v_add_nc_u32_e32 v68, v3, v1
	v_lshlrev_b32_e32 v69, 2, v2
	v_lshlrev_b32_e32 v70, 2, v8
	;; [unrolled: 1-line block ×4, first 2 shown]
	s_mov_b32 s15, 0
	s_and_b32 s10, s0, s1
	s_wait_alu 0xfffe
	s_mov_b32 s14, s15
	s_branch .LBB231_5
.LBB231_4:                              ;   in Loop: Header=BB231_5 Depth=1
	s_add_co_i32 s14, s14, 1
	s_wait_alu 0xfffe
	s_cmp_eq_u32 s14, s19
	s_cbranch_scc1 .LBB231_21
.LBB231_5:                              ; =>This Loop Header: Depth=1
                                        ;     Child Loop BB231_11 Depth 2
                                        ;     Child Loop BB231_19 Depth 2
	s_wait_alu 0xfffe
	s_mul_u64 s[16:17], s[14:15], 0x90
	v_add_nc_u32_e32 v93, 0x39c0, v28
	s_wait_alu 0xfffe
	s_add_nc_u64 s[16:17], s[12:13], s[16:17]
	v_add_nc_u32_e32 v94, 0x3de0, v28
	s_wait_alu 0xfffe
	v_mad_co_u64_u32 v[0:1], null, 0x90, v21, s[16:17]
	v_add_nc_u32_e32 v91, 0x3180, v28
	v_add_nc_u32_e32 v92, 0x35a0, v28
	s_delay_alu instid0(VALU_DEP_3) | instskip(SKIP_3) | instid1(VALU_DEP_4)
	v_mad_co_u64_u32 v[2:3], null, 0x90, v32, v[0:1]
	v_mad_co_u64_u32 v[7:8], null, 0x90, v20, v[0:1]
	;; [unrolled: 1-line block ×4, first 2 shown]
	v_add_co_u32 v2, vcc_lo, v2, v27
	v_mad_co_u64_u32 v[13:14], null, 0x90, v25, v[0:1]
	s_wait_alu 0xfffd
	v_add_co_ci_u32_e64 v3, null, 0, v3, vcc_lo
	v_add_co_u32 v7, vcc_lo, v7, v27
	v_mad_co_u64_u32 v[15:16], null, 0x90, v26, v[0:1]
	s_wait_alu 0xfffd
	v_add_co_ci_u32_e64 v8, null, 0, v8, vcc_lo
	;; [unrolled: 4-line block ×4, first 2 shown]
	v_add_co_u32 v13, vcc_lo, v13, v27
	s_wait_alu 0xfffd
	v_add_co_ci_u32_e64 v14, null, 0, v14, vcc_lo
	v_add_co_u32 v15, vcc_lo, v15, v27
	s_wait_alu 0xfffd
	v_add_co_ci_u32_e64 v16, null, 0, v16, vcc_lo
	;; [unrolled: 3-line block ×3, first 2 shown]
	v_add_co_u32 v75, vcc_lo, v75, v27
	v_mad_co_u64_u32 v[77:78], null, 0x90, v31, v[0:1]
	s_wait_alu 0xfffd
	v_add_co_ci_u32_e64 v76, null, 0, v76, vcc_lo
	s_clause 0x7
	global_load_b32 v83, v[2:3], off offset:16
	global_load_b32 v84, v[7:8], off offset:16
	;; [unrolled: 1-line block ×8, first 2 shown]
	v_mad_co_u64_u32 v[2:3], null, 0x90, v33, v[0:1]
	v_mad_co_u64_u32 v[9:10], null, 0x90, v35, v[0:1]
	;; [unrolled: 1-line block ×3, first 2 shown]
	v_add_co_u32 v7, vcc_lo, v77, v27
	v_mad_co_u64_u32 v[13:14], null, 0x90, v38, v[0:1]
	s_wait_alu 0xfffd
	v_add_co_ci_u32_e64 v8, null, 0, v78, vcc_lo
	v_add_co_u32 v2, vcc_lo, v2, v27
	v_mad_co_u64_u32 v[73:74], null, 0x90, v45, s[16:17]
	s_wait_alu 0xfffd
	v_add_co_ci_u32_e64 v3, null, 0, v3, vcc_lo
	v_add_co_u32 v9, vcc_lo, v9, v27
	s_wait_alu 0xfffd
	v_add_co_ci_u32_e64 v10, null, 0, v10, vcc_lo
	v_add_co_u32 v11, vcc_lo, v11, v27
	v_mad_co_u64_u32 v[77:78], null, 0x90, v48, s[16:17]
	s_wait_alu 0xfffd
	v_add_co_ci_u32_e64 v12, null, 0, v12, vcc_lo
	v_add_co_u32 v13, vcc_lo, v13, v27
	s_wait_alu 0xfffd
	v_add_co_ci_u32_e64 v14, null, 0, v14, vcc_lo
	v_add_co_u32 v79, vcc_lo, v73, v66
	s_wait_alu 0xfffd
	v_add_co_ci_u32_e64 v80, null, 0, v74, vcc_lo
	v_add_co_u32 v73, vcc_lo, v73, v67
	s_wait_alu 0xfffd
	v_add_co_ci_u32_e64 v74, null, 0, v74, vcc_lo
	v_add_co_u32 v81, vcc_lo, v77, v66
	v_mad_co_u64_u32 v[15:16], null, 0x90, v40, v[0:1]
	s_wait_alu 0xfffd
	v_add_co_ci_u32_e64 v82, null, 0, v78, vcc_lo
	v_add_co_u32 v77, vcc_lo, v77, v67
	v_mad_co_u64_u32 v[75:76], null, 0x90, v42, v[0:1]
	s_wait_alu 0xfffd
	v_add_co_ci_u32_e64 v78, null, 0, v78, vcc_lo
	v_mad_co_u64_u32 v[0:1], null, 0x90, v43, v[0:1]
	s_clause 0x3
	global_load_b32 v79, v[79:80], off offset:4
	global_load_b32 v80, v[81:82], off offset:4
	;; [unrolled: 1-line block ×4, first 2 shown]
	v_add_co_u32 v15, vcc_lo, v15, v27
	s_wait_alu 0xfffd
	v_add_co_ci_u32_e64 v16, null, 0, v16, vcc_lo
	v_add_co_u32 v73, vcc_lo, v75, v27
	s_wait_alu 0xfffd
	v_add_co_ci_u32_e64 v74, null, 0, v76, vcc_lo
	;; [unrolled: 3-line block ×3, first 2 shown]
	v_mad_co_u64_u32 v[75:76], null, 0x90, v37, s[16:17]
	s_clause 0x8
	global_load_b32 v7, v[7:8], off offset:16
	global_load_b32 v2, v[2:3], off offset:16
	global_load_b32 v3, v[9:10], off offset:16
	global_load_b32 v8, v[11:12], off offset:16
	global_load_b32 v9, v[13:14], off offset:16
	global_load_b32 v10, v[15:16], off offset:16
	global_load_b32 v11, v[73:74], off offset:16
	global_load_b32 v0, v[0:1], off offset:16
	global_load_b32 v1, v[75:76], off
	v_add_nc_u32_e32 v12, 0x420, v28
	v_add_nc_u32_e32 v13, 0x840, v28
	s_lshl_b32 s16, s14, 8
	v_add_nc_u32_e32 v14, 0xc60, v28
	v_add_nc_u32_e32 v15, 0x1080, v28
	;; [unrolled: 1-line block ×9, first 2 shown]
	s_wait_alu 0xfffe
	s_cmp_lt_i32 s16, s11
	s_wait_loadcnt 0x14
	ds_store_b32 v28, v83
	s_wait_loadcnt 0x13
	ds_store_b32 v12, v84
	;; [unrolled: 2-line block ×14, first 2 shown]
	v_ashrrev_i32_e32 v79, v34, v79
	v_ashrrev_i32_e32 v80, v34, v80
	;; [unrolled: 1-line block ×4, first 2 shown]
	s_delay_alu instid0(VALU_DEP_4) | instskip(NEXT) | instid1(VALU_DEP_4)
	v_and_b32_e32 v79, 0xf0f0f0f, v79
	v_and_b32_e32 v80, 0xf0f0f0f, v80
	s_delay_alu instid0(VALU_DEP_2) | instskip(NEXT) | instid1(VALU_DEP_2)
	v_and_or_b32 v2, 0x30303030, v78, v79
	v_and_or_b32 v3, 0x30303030, v77, v80
	s_wait_loadcnt 0x2
	ds_store_b32 v93, v11
	s_wait_loadcnt 0x1
	ds_store_b32 v94, v0
	;; [unrolled: 2-line block ×3, first 2 shown]
	ds_store_b32 v46, v2
	ds_store_b32 v49, v3
	s_cbranch_scc0 .LBB231_4
; %bb.6:                                ;   in Loop: Header=BB231_5 Depth=1
	s_lshl_b32 s17, s14, 3
	s_wait_alu 0xfffe
	v_add_nc_u32_e32 v0, s17, v52
	s_delay_alu instid0(VALU_DEP_1)
	v_cmp_gt_i32_e32 vcc_lo, s5, v0
	s_and_b32 s21, s1, vcc_lo
	s_wait_alu 0xfffe
	s_and_saveexec_b32 s20, s21
	s_cbranch_execz .LBB231_8
; %bb.7:                                ;   in Loop: Header=BB231_5 Depth=1
	v_add_nc_u32_e32 v0, v59, v0
	s_delay_alu instid0(VALU_DEP_1)
	v_mad_co_i64_i32 v[0:1], null, v0, 36, v[5:6]
	global_load_b32 v0, v[0:1], off offset:4
	s_wait_loadcnt 0x0
	ds_store_b32 v51, v0
.LBB231_8:                              ;   in Loop: Header=BB231_5 Depth=1
	s_wait_alu 0xfffe
	s_or_b32 exec_lo, exec_lo, s20
	v_add_nc_u32_e32 v73, s17, v18
	s_delay_alu instid0(VALU_DEP_1)
	v_cmp_gt_i32_e32 vcc_lo, s5, v73
	s_and_b32 s21, s10, vcc_lo
	s_wait_alu 0xfffe
	s_and_saveexec_b32 s20, s21
	s_cbranch_execz .LBB231_10
; %bb.9:                                ;   in Loop: Header=BB231_5 Depth=1
	v_add_nc_u32_e32 v0, v59, v73
	s_delay_alu instid0(VALU_DEP_1)
	v_mad_co_i64_i32 v[0:1], null, v0, 36, s[2:3]
	global_load_b32 v0, v[0:1], off
	s_wait_loadcnt 0x0
	ds_store_b32 v68, v0
.LBB231_10:                             ;   in Loop: Header=BB231_5 Depth=1
	s_wait_alu 0xfffe
	s_or_b32 exec_lo, exec_lo, s20
	s_wait_dscnt 0x0
	s_barrier_signal -1
	s_barrier_wait -1
	global_inv scope:SCOPE_SE
	ds_load_b32 v0, v53
	ds_load_b32 v1, v55 offset:128
	ds_load_b32 v2, v56 offset:256
	;; [unrolled: 1-line block ×3, first 2 shown]
	s_mov_b32 s21, 0
	s_mov_b32 s20, -1
	s_wait_dscnt 0x3
	v_cvt_f32_f16_e32 v74, v0
	v_lshrrev_b32_e32 v0, 16, v0
	s_wait_dscnt 0x2
	v_cvt_f32_f16_e32 v75, v1
	v_lshrrev_b32_e32 v1, 16, v1
	s_wait_dscnt 0x1
	v_lshrrev_b32_e32 v7, 16, v2
	s_wait_dscnt 0x0
	v_lshrrev_b32_e32 v8, 16, v3
	v_cvt_f32_f16_e32 v76, v2
	v_cvt_f32_f16_e32 v77, v0
	;; [unrolled: 1-line block ×6, first 2 shown]
.LBB231_11:                             ;   Parent Loop BB231_5 Depth=1
                                        ; =>  This Inner Loop Header: Depth=2
	s_wait_alu 0xfffe
	v_lshl_or_b32 v82, s21, 1, v23
	s_lshr_b32 s22, s21, 2
	s_lshl_b32 s23, s21, 2
	s_wait_alu 0xfffe
	s_add_co_i32 s21, s22, 0x4200
	v_add_nc_u32_e32 v104, s23, v58
	v_lshlrev_b32_e32 v0, 2, v82
	s_wait_alu 0xfffe
	v_add3_u32 v138, s21, v65, v70
	v_add_nc_u32_e32 v146, s23, v61
	v_add3_u32 v139, s21, v63, v72
	s_and_b32 vcc_lo, exec_lo, s20
	ds_load_b128 v[7:10], v0 offset:19008
	ds_load_b128 v[11:14], v0 offset:19024
	s_mov_b32 s20, 0
	s_wait_dscnt 0x1
	v_lshrrev_b16 v15, 8, v7
	v_lshrrev_b16 v149, 8, v8
	v_lshrrev_b16 v150, 8, v9
	v_lshrrev_b16 v140, 8, v10
	v_ashrrev_i32_e32 v155, 24, v7
	v_bfe_i32 v157, v7, 16, 8
	v_bfe_i32 v160, v7, 0, 8
	v_ashrrev_i32_e32 v134, 24, v8
	v_bfe_i32 v135, v8, 16, 8
	v_bfe_i32 v148, v8, 0, 8
	;; [unrolled: 3-line block ×4, first 2 shown]
	ds_load_b128 v[7:10], v0 offset:19040
	ds_load_b128 v[0:3], v0 offset:19056
	s_wait_dscnt 0x2
	v_lshrrev_b16 v142, 8, v11
	v_lshrrev_b16 v128, 8, v12
	v_ashrrev_i32_e32 v106, 24, v11
	v_bfe_i32 v107, v11, 16, 8
	v_bfe_i32 v110, v11, 0, 8
	v_ashrrev_i32_e32 v99, 24, v12
	v_bfe_i32 v100, v12, 16, 8
	v_bfe_i32 v103, v12, 0, 8
	;; [unrolled: 1-line block ×3, first 2 shown]
	v_lshrrev_b16 v129, 8, v13
	v_lshrrev_b16 v123, 8, v14
	v_ashrrev_i32_e32 v92, 24, v13
	v_bfe_i32 v93, v13, 16, 8
	v_bfe_i32 v97, v13, 0, 8
	v_ashrrev_i32_e32 v83, 24, v14
	v_bfe_i32 v84, v14, 16, 8
	v_bfe_i32 v89, v14, 0, 8
	;; [unrolled: 1-line block ×3, first 2 shown]
	s_wait_dscnt 0x1
	v_lshrrev_b16 v158, 8, v7
	s_wait_dscnt 0x0
	v_lshrrev_b16 v132, 8, v0
	v_ashrrev_i32_e32 v108, 24, v0
	v_bfe_i32 v109, v0, 16, 8
	v_bfe_i32 v111, v0, 0, 8
	v_lshlrev_b32_e32 v0, 2, v52
	v_lshrrev_b16 v125, 8, v1
	v_ashrrev_i32_e32 v101, 24, v1
	v_bfe_i32 v102, v1, 16, 8
	v_bfe_i32 v105, v1, 0, 8
	v_add3_u32 v85, s21, v0, v69
	v_mul_u32_u24_e32 v0, 0x84, v18
	v_lshrrev_b16 v126, 8, v2
	v_ashrrev_i32_e32 v95, 24, v2
	v_bfe_i32 v96, v2, 16, 8
	v_bfe_i32 v98, v2, 0, 8
	v_add_nc_u32_e32 v133, s23, v0
	ds_load_u16 v87, v85 offset:8
	ds_load_2addr_b32 v[11:12], v133 offset1:1
	v_lshrrev_b16 v122, 8, v3
	v_ashrrev_i32_e32 v86, 24, v3
	v_bfe_i32 v88, v3, 16, 8
	v_bfe_i32 v91, v3, 0, 8
	v_ashrrev_i32_e32 v151, 24, v7
	v_bfe_i32 v152, v7, 16, 8
	v_bfe_i32 v153, v7, 0, 8
	v_lshrrev_b16 v145, 8, v8
	v_ashrrev_i32_e32 v136, 24, v8
	v_bfe_i32 v137, v8, 16, 8
	v_bfe_i32 v144, v8, 0, 8
	v_lshrrev_b16 v143, 8, v9
	;; [unrolled: 4-line block ×3, first 2 shown]
	v_ashrrev_i32_e32 v114, 24, v10
	v_bfe_i32 v115, v10, 16, 8
	v_bfe_i32 v117, v10, 0, 8
	s_wait_dscnt 0x0
	v_and_b32_e32 v0, 15, v11
	v_bfe_u32 v1, v11, 8, 4
	v_bfe_u32 v2, v11, 24, 4
	v_bfe_i32 v158, v158, 0, 8
	v_bfe_i32 v150, v150, 0, 8
	v_mul_i32_i24_e32 v0, v160, v0
	v_bfe_i32 v145, v145, 0, 8
	v_mul_i32_i24_e32 v2, v155, v2
	v_bfe_i32 v143, v143, 0, 8
	v_bfe_i32 v140, v140, 0, 8
	v_mad_i32_i24 v0, v156, v1, v0
	v_bfe_u32 v1, v11, 16, 4
	v_bfe_i32 v142, v142, 0, 8
	v_bfe_i32 v130, v130, 0, 8
	v_bfe_i32 v125, v125, 0, 8
	v_bfe_i32 v126, v126, 0, 8
	v_mul_i32_i24_e32 v1, v157, v1
	v_bfe_i32 v123, v123, 0, 8
	s_delay_alu instid0(VALU_DEP_2)
	v_add3_u32 v154, v0, v1, v2
	ds_load_2addr_b32 v[2:3], v104 offset0:2 offset1:3
	ds_load_2addr_b32 v[0:1], v104 offset0:4 offset1:5
	ds_load_u16 v90, v138 offset:8
	ds_load_2addr_b32 v[13:14], v104 offset1:1
	s_wait_dscnt 0x0
	v_and_b32_e32 v7, 15, v13
	v_bfe_u32 v8, v13, 8, 4
	v_bfe_u32 v9, v13, 24, 4
	s_delay_alu instid0(VALU_DEP_3) | instskip(NEXT) | instid1(VALU_DEP_2)
	v_mul_i32_i24_e32 v7, v160, v7
	v_mul_i32_i24_e32 v9, v155, v9
	s_delay_alu instid0(VALU_DEP_2) | instskip(SKIP_1) | instid1(VALU_DEP_1)
	v_mad_i32_i24 v7, v156, v8, v7
	v_bfe_u32 v8, v13, 16, 4
	v_mul_i32_i24_e32 v8, v157, v8
	s_delay_alu instid0(VALU_DEP_1)
	v_add3_u32 v159, v7, v8, v9
	ds_load_2addr_b32 v[9:10], v146 offset0:2 offset1:3
	ds_load_2addr_b32 v[7:8], v146 offset0:4 offset1:5
	ds_load_u16 v94, v139 offset:8
	ds_load_2addr_b32 v[15:16], v146 offset1:1
	s_wait_dscnt 0x0
	v_and_b32_e32 v131, 15, v16
	v_and_b32_e32 v141, 15, v15
	v_bfe_u32 v165, v15, 16, 4
	v_bfe_u32 v166, v15, 24, 4
	v_lshrrev_b32_e32 v167, 28, v15
	v_mul_i32_i24_e32 v131, v131, v148
	s_delay_alu instid0(VALU_DEP_1)
	v_mad_i32_i24 v163, v141, v160, v131
	v_add3_u32 v131, s21, v64, v71
	v_add_nc_u32_e32 v141, s23, v60
	ds_load_u16 v147, v131 offset:8
	ds_load_2addr_b32 v[161:162], v141 offset1:1
	s_mov_b32 s21, 8
	s_wait_dscnt 0x0
	v_and_b32_e32 v164, 15, v161
	s_delay_alu instid0(VALU_DEP_1) | instskip(SKIP_1) | instid1(VALU_DEP_1)
	v_mul_i32_i24_e32 v160, v160, v164
	v_bfe_u32 v164, v16, 16, 4
	v_mul_i32_i24_e32 v164, v164, v135
	s_delay_alu instid0(VALU_DEP_1) | instskip(SKIP_1) | instid1(VALU_DEP_1)
	v_mad_i32_i24 v164, v165, v157, v164
	v_bfe_u32 v165, v161, 16, 4
	v_mul_i32_i24_e32 v157, v157, v165
	v_bfe_u32 v165, v16, 24, 4
	s_delay_alu instid0(VALU_DEP_1) | instskip(NEXT) | instid1(VALU_DEP_1)
	v_mul_i32_i24_e32 v165, v165, v134
	v_mad_i32_i24 v165, v166, v155, v165
	v_bfe_u32 v166, v161, 24, 4
	s_delay_alu instid0(VALU_DEP_1) | instskip(SKIP_1) | instid1(VALU_DEP_1)
	v_mul_i32_i24_e32 v155, v155, v166
	v_bfe_u32 v166, v161, 8, 4
	v_mad_i32_i24 v160, v156, v166, v160
	v_bfe_u32 v166, v15, 20, 4
	s_delay_alu instid0(VALU_DEP_2) | instskip(SKIP_2) | instid1(VALU_DEP_2)
	v_add3_u32 v155, v160, v157, v155
	v_bfe_u32 v157, v9, 16, 4
	v_bfe_u32 v160, v10, 16, 4
	v_mul_i32_i24_e32 v157, v157, v119
	s_delay_alu instid0(VALU_DEP_2) | instskip(NEXT) | instid1(VALU_DEP_1)
	v_mul_i32_i24_e32 v160, v160, v113
	v_add3_u32 v157, v164, v157, v160
	v_and_b32_e32 v160, 15, v9
	v_and_b32_e32 v164, 15, v10
	s_delay_alu instid0(VALU_DEP_2) | instskip(NEXT) | instid1(VALU_DEP_2)
	v_mul_i32_i24_e32 v160, v160, v124
	v_mul_i32_i24_e32 v164, v164, v116
	s_delay_alu instid0(VALU_DEP_1) | instskip(SKIP_2) | instid1(VALU_DEP_2)
	v_add3_u32 v160, v163, v160, v164
	v_bfe_u32 v163, v9, 24, 4
	v_bfe_u32 v164, v10, 24, 4
	v_mul_i32_i24_e32 v163, v163, v118
	s_delay_alu instid0(VALU_DEP_2) | instskip(NEXT) | instid1(VALU_DEP_1)
	v_mul_i32_i24_e32 v164, v164, v112
	v_add3_u32 v163, v165, v163, v164
	v_bfe_u32 v164, v11, 4, 4
	v_bfe_u32 v165, v11, 12, 4
	s_delay_alu instid0(VALU_DEP_2) | instskip(NEXT) | instid1(VALU_DEP_1)
	v_mul_i32_i24_e32 v164, v153, v164
	v_mad_i32_i24 v164, v158, v165, v164
	v_bfe_u32 v165, v11, 20, 4
	v_lshrrev_b32_e32 v11, 28, v11
	s_delay_alu instid0(VALU_DEP_2) | instskip(NEXT) | instid1(VALU_DEP_2)
	v_mul_i32_i24_e32 v165, v152, v165
	v_mul_i32_i24_e32 v11, v151, v11
	s_delay_alu instid0(VALU_DEP_1) | instskip(SKIP_2) | instid1(VALU_DEP_2)
	v_add3_u32 v11, v164, v165, v11
	v_bfe_u32 v164, v13, 4, 4
	v_bfe_u32 v165, v13, 12, 4
	v_mul_i32_i24_e32 v164, v153, v164
	s_delay_alu instid0(VALU_DEP_1) | instskip(SKIP_2) | instid1(VALU_DEP_2)
	v_mad_i32_i24 v164, v158, v165, v164
	v_bfe_u32 v165, v13, 20, 4
	v_lshrrev_b32_e32 v13, 28, v13
	v_mul_i32_i24_e32 v165, v152, v165
	s_delay_alu instid0(VALU_DEP_2) | instskip(NEXT) | instid1(VALU_DEP_1)
	v_mul_i32_i24_e32 v13, v151, v13
	v_add3_u32 v13, v164, v165, v13
	v_bfe_u32 v164, v16, 4, 4
	v_bfe_u32 v165, v15, 4, 4
	s_delay_alu instid0(VALU_DEP_2) | instskip(NEXT) | instid1(VALU_DEP_1)
	v_mul_i32_i24_e32 v164, v164, v144
	v_mad_i32_i24 v164, v165, v153, v164
	v_bfe_u32 v165, v161, 4, 4
	s_delay_alu instid0(VALU_DEP_1) | instskip(SKIP_1) | instid1(VALU_DEP_1)
	v_mul_i32_i24_e32 v153, v153, v165
	v_bfe_u32 v165, v16, 20, 4
	v_mul_i32_i24_e32 v165, v165, v137
	s_delay_alu instid0(VALU_DEP_1) | instskip(SKIP_1) | instid1(VALU_DEP_1)
	v_mad_i32_i24 v165, v166, v152, v165
	v_bfe_u32 v166, v161, 20, 4
	v_mul_i32_i24_e32 v152, v152, v166
	v_lshrrev_b32_e32 v166, 28, v16
	s_delay_alu instid0(VALU_DEP_1) | instskip(NEXT) | instid1(VALU_DEP_1)
	v_mul_i32_i24_e32 v166, v166, v136
	v_mad_i32_i24 v166, v167, v151, v166
	v_lshrrev_b32_e32 v167, 28, v161
	v_bfe_u32 v161, v161, 12, 4
	s_delay_alu instid0(VALU_DEP_2) | instskip(NEXT) | instid1(VALU_DEP_2)
	v_mul_i32_i24_e32 v151, v151, v167
	v_mad_i32_i24 v153, v158, v161, v153
	v_bfe_u32 v161, v10, 4, 4
	s_delay_alu instid0(VALU_DEP_2) | instskip(SKIP_2) | instid1(VALU_DEP_4)
	v_add3_u32 v151, v153, v152, v151
	v_bfe_u32 v152, v9, 20, 4
	v_bfe_u32 v153, v10, 20, 4
	v_mul_i32_i24_e32 v161, v161, v117
	s_delay_alu instid0(VALU_DEP_3) | instskip(NEXT) | instid1(VALU_DEP_3)
	v_mul_i32_i24_e32 v152, v152, v121
	v_mul_i32_i24_e32 v153, v153, v115
	s_delay_alu instid0(VALU_DEP_1) | instskip(SKIP_2) | instid1(VALU_DEP_2)
	v_add3_u32 v152, v165, v152, v153
	v_bfe_u32 v153, v9, 4, 4
	v_and_b32_e32 v165, 0xf0f0f0f, v9
	v_mul_i32_i24_e32 v153, v153, v127
	s_delay_alu instid0(VALU_DEP_2) | instskip(NEXT) | instid1(VALU_DEP_2)
	v_lshrrev_b16 v165, 8, v165
	v_add3_u32 v153, v164, v153, v161
	v_lshrrev_b32_e32 v161, 28, v9
	v_lshrrev_b32_e32 v164, 28, v10
	s_delay_alu instid0(VALU_DEP_4) | instskip(SKIP_1) | instid1(VALU_DEP_4)
	v_and_b32_e32 v165, 0xffff, v165
	v_lshrrev_b32_e32 v9, 4, v9
	v_mul_i32_i24_e32 v161, v161, v120
	s_delay_alu instid0(VALU_DEP_4) | instskip(NEXT) | instid1(VALU_DEP_4)
	v_mul_i32_i24_e32 v164, v164, v114
	v_mul_i32_i24_e32 v165, v165, v150
	s_delay_alu instid0(VALU_DEP_4) | instskip(NEXT) | instid1(VALU_DEP_3)
	v_lshrrev_b16 v9, 8, v9
	v_add3_u32 v161, v166, v161, v164
	v_and_b32_e32 v164, 0xf0f0f0f, v15
	v_lshrrev_b32_e32 v15, 4, v15
	s_delay_alu instid0(VALU_DEP_4) | instskip(NEXT) | instid1(VALU_DEP_3)
	v_and_b32_e32 v9, 15, v9
	v_lshrrev_b16 v164, 8, v164
	s_delay_alu instid0(VALU_DEP_3) | instskip(NEXT) | instid1(VALU_DEP_3)
	v_lshrrev_b16 v15, 8, v15
	v_and_b32_e32 v9, 0xffff, v9
	s_delay_alu instid0(VALU_DEP_3) | instskip(NEXT) | instid1(VALU_DEP_3)
	v_and_b32_e32 v164, 0xffff, v164
	v_and_b32_e32 v15, 15, v15
	s_delay_alu instid0(VALU_DEP_3) | instskip(NEXT) | instid1(VALU_DEP_3)
	v_mul_i32_i24_e32 v9, v9, v143
	v_mul_i32_i24_e32 v156, v164, v156
	v_and_b32_e32 v164, 0xf0f0f0f, v16
	v_lshrrev_b32_e32 v16, 4, v16
	v_and_b32_e32 v15, 0xffff, v15
	s_delay_alu instid0(VALU_DEP_3) | instskip(NEXT) | instid1(VALU_DEP_3)
	v_lshrrev_b16 v164, 8, v164
	v_lshrrev_b16 v16, 8, v16
	s_delay_alu instid0(VALU_DEP_3) | instskip(NEXT) | instid1(VALU_DEP_3)
	v_mul_i32_i24_e32 v15, v15, v158
	v_and_b32_e32 v164, 0xffff, v164
	s_delay_alu instid0(VALU_DEP_3) | instskip(NEXT) | instid1(VALU_DEP_2)
	v_and_b32_e32 v16, 15, v16
	v_mul_i32_i24_e32 v164, v164, v149
	s_delay_alu instid0(VALU_DEP_2) | instskip(NEXT) | instid1(VALU_DEP_2)
	v_and_b32_e32 v16, 0xffff, v16
	v_add3_u32 v156, v156, v164, v165
	v_and_b32_e32 v164, 15, v12
	v_bfe_u32 v165, v12, 8, 4
	s_delay_alu instid0(VALU_DEP_4) | instskip(NEXT) | instid1(VALU_DEP_3)
	v_mul_i32_i24_e32 v16, v16, v145
	v_mul_i32_i24_e32 v164, v148, v164
	s_delay_alu instid0(VALU_DEP_3) | instskip(NEXT) | instid1(VALU_DEP_3)
	v_mul_i32_i24_e32 v165, v149, v165
	v_add3_u32 v9, v15, v16, v9
	v_bfe_u32 v15, v12, 16, 4
	v_bfe_u32 v16, v12, 24, 4
	s_delay_alu instid0(VALU_DEP_4) | instskip(SKIP_4) | instid1(VALU_DEP_4)
	v_add3_u32 v154, v154, v165, v164
	v_and_b32_e32 v164, 15, v14
	v_bfe_u32 v165, v14, 8, 4
	v_mul_i32_i24_e32 v15, v135, v15
	v_mul_i32_i24_e32 v16, v134, v16
	;; [unrolled: 1-line block ×3, first 2 shown]
	s_delay_alu instid0(VALU_DEP_4) | instskip(NEXT) | instid1(VALU_DEP_1)
	v_mul_i32_i24_e32 v165, v149, v165
	v_add3_u32 v159, v159, v165, v164
	v_and_b32_e32 v164, 15, v162
	s_delay_alu instid0(VALU_DEP_1) | instskip(SKIP_1) | instid1(VALU_DEP_1)
	v_mul_i32_i24_e32 v148, v148, v164
	v_bfe_u32 v164, v162, 8, 4
	v_mul_i32_i24_e32 v149, v149, v164
	s_delay_alu instid0(VALU_DEP_1) | instskip(SKIP_2) | instid1(VALU_DEP_2)
	v_add3_u32 v148, v155, v149, v148
	v_bfe_u32 v149, v7, 24, 4
	v_bfe_u32 v155, v8, 24, 4
	v_mul_i32_i24_e32 v149, v149, v106
	s_delay_alu instid0(VALU_DEP_2) | instskip(NEXT) | instid1(VALU_DEP_1)
	v_mul_i32_i24_e32 v155, v155, v99
	v_add3_u32 v149, v163, v149, v155
	v_and_b32_e32 v155, 15, v7
	v_and_b32_e32 v163, 15, v8
	s_delay_alu instid0(VALU_DEP_2) | instskip(NEXT) | instid1(VALU_DEP_2)
	v_mul_i32_i24_e32 v155, v155, v110
	v_mul_i32_i24_e32 v163, v163, v103
	s_delay_alu instid0(VALU_DEP_1) | instskip(SKIP_2) | instid1(VALU_DEP_2)
	v_add3_u32 v155, v160, v155, v163
	v_bfe_u32 v160, v7, 16, 4
	v_bfe_u32 v163, v8, 16, 4
	v_mul_i32_i24_e32 v160, v160, v107
	s_delay_alu instid0(VALU_DEP_2) | instskip(NEXT) | instid1(VALU_DEP_1)
	v_mul_i32_i24_e32 v163, v163, v100
	v_add3_u32 v157, v157, v160, v163
	v_bfe_u32 v160, v12, 4, 4
	v_bfe_u32 v163, v12, 12, 4
	s_delay_alu instid0(VALU_DEP_2) | instskip(NEXT) | instid1(VALU_DEP_2)
	v_mul_i32_i24_e32 v160, v144, v160
	v_mul_i32_i24_e32 v163, v145, v163
	s_delay_alu instid0(VALU_DEP_1) | instskip(SKIP_2) | instid1(VALU_DEP_2)
	v_add3_u32 v11, v11, v160, v163
	v_bfe_u32 v160, v14, 4, 4
	v_bfe_u32 v163, v14, 12, 4
	v_mul_i32_i24_e32 v160, v144, v160
	s_delay_alu instid0(VALU_DEP_2) | instskip(NEXT) | instid1(VALU_DEP_1)
	v_mul_i32_i24_e32 v163, v145, v163
	v_add3_u32 v13, v13, v160, v163
	v_bfe_u32 v160, v162, 4, 4
	s_delay_alu instid0(VALU_DEP_1) | instskip(SKIP_1) | instid1(VALU_DEP_1)
	v_mul_i32_i24_e32 v144, v144, v160
	v_bfe_u32 v160, v162, 12, 4
	v_mul_i32_i24_e32 v160, v145, v160
	v_add3_u32 v145, v154, v15, v16
	v_bfe_u32 v15, v14, 16, 4
	v_bfe_u32 v16, v14, 24, 4
	s_delay_alu instid0(VALU_DEP_4) | instskip(SKIP_1) | instid1(VALU_DEP_4)
	v_add3_u32 v144, v151, v144, v160
	v_lshrrev_b32_e32 v151, 28, v7
	v_mul_i32_i24_e32 v15, v135, v15
	s_delay_alu instid0(VALU_DEP_4) | instskip(SKIP_1) | instid1(VALU_DEP_4)
	v_mul_i32_i24_e32 v16, v134, v16
	v_lshrrev_b32_e32 v160, 28, v8
	v_mul_i32_i24_e32 v151, v151, v108
	s_delay_alu instid0(VALU_DEP_3) | instskip(SKIP_4) | instid1(VALU_DEP_4)
	v_add3_u32 v154, v159, v15, v16
	v_bfe_u32 v15, v162, 16, 4
	v_bfe_u32 v16, v162, 24, 4
	v_mul_i32_i24_e32 v160, v160, v101
	v_bfe_i32 v159, v132, 0, 8
	v_mul_i32_i24_e32 v15, v135, v15
	s_delay_alu instid0(VALU_DEP_4) | instskip(NEXT) | instid1(VALU_DEP_4)
	v_mul_i32_i24_e32 v16, v134, v16
	v_add3_u32 v151, v161, v151, v160
	v_bfe_u32 v160, v7, 4, 4
	v_bfe_u32 v161, v8, 4, 4
	s_delay_alu instid0(VALU_DEP_4) | instskip(SKIP_3) | instid1(VALU_DEP_1)
	v_add3_u32 v148, v148, v15, v16
	ds_load_2addr_b32 v[15:16], v146 offset0:6 offset1:7
	v_mul_i32_i24_e32 v160, v160, v111
	v_mul_i32_i24_e32 v161, v161, v105
	v_add3_u32 v153, v153, v160, v161
	v_bfe_u32 v160, v7, 20, 4
	v_bfe_u32 v161, v8, 20, 4
	s_delay_alu instid0(VALU_DEP_2) | instskip(NEXT) | instid1(VALU_DEP_2)
	v_mul_i32_i24_e32 v160, v160, v109
	v_mul_i32_i24_e32 v161, v161, v102
	s_delay_alu instid0(VALU_DEP_1)
	v_add3_u32 v152, v152, v160, v161
	s_wait_dscnt 0x0
	v_bfe_u32 v134, v15, 16, 4
	v_bfe_u32 v135, v16, 16, 4
	v_and_b32_e32 v160, 0xf0f0f0f, v10
	v_and_b32_e32 v161, 0xf0f0f0f, v7
	v_lshrrev_b32_e32 v10, 4, v10
	v_mul_i32_i24_e32 v134, v134, v93
	v_mul_i32_i24_e32 v135, v135, v84
	v_lshrrev_b32_e32 v7, 4, v7
	v_lshrrev_b16 v160, 8, v160
	v_lshrrev_b16 v161, 8, v161
	;; [unrolled: 1-line block ×3, first 2 shown]
	v_add3_u32 v146, v157, v134, v135
	v_and_b32_e32 v134, 15, v15
	v_and_b32_e32 v135, 15, v16
	v_lshrrev_b16 v7, 8, v7
	v_and_b32_e32 v160, 0xffff, v160
	v_and_b32_e32 v161, 0xffff, v161
	v_mul_i32_i24_e32 v134, v134, v97
	v_mul_i32_i24_e32 v135, v135, v89
	v_and_b32_e32 v10, 15, v10
	v_and_b32_e32 v7, 15, v7
	v_mul_i32_i24_e32 v160, v160, v140
	v_mul_i32_i24_e32 v161, v161, v142
	v_add3_u32 v155, v155, v134, v135
	v_bfe_u32 v134, v15, 24, 4
	v_bfe_u32 v135, v16, 24, 4
	v_and_b32_e32 v10, 0xffff, v10
	v_and_b32_e32 v7, 0xffff, v7
	v_add3_u32 v156, v156, v160, v161
	v_mul_i32_i24_e32 v134, v134, v92
	v_mul_i32_i24_e32 v135, v135, v83
	;; [unrolled: 1-line block ×4, first 2 shown]
	s_delay_alu instid0(VALU_DEP_3) | instskip(SKIP_2) | instid1(VALU_DEP_4)
	v_add3_u32 v149, v149, v134, v135
	v_bfe_u32 v134, v12, 20, 4
	v_lshrrev_b32_e32 v12, 28, v12
	v_add3_u32 v7, v9, v10, v7
	s_delay_alu instid0(VALU_DEP_3) | instskip(NEXT) | instid1(VALU_DEP_3)
	v_mul_i32_i24_e32 v134, v137, v134
	v_mul_i32_i24_e32 v12, v136, v12
	s_delay_alu instid0(VALU_DEP_1) | instskip(SKIP_2) | instid1(VALU_DEP_2)
	v_add3_u32 v157, v11, v134, v12
	v_bfe_u32 v11, v14, 20, 4
	v_lshrrev_b32_e32 v12, 28, v14
	v_mul_i32_i24_e32 v11, v137, v11
	s_delay_alu instid0(VALU_DEP_2) | instskip(NEXT) | instid1(VALU_DEP_1)
	v_mul_i32_i24_e32 v12, v136, v12
	v_add3_u32 v158, v13, v11, v12
	v_bfe_u32 v11, v162, 20, 4
	v_lshrrev_b32_e32 v12, 28, v162
	s_delay_alu instid0(VALU_DEP_2) | instskip(NEXT) | instid1(VALU_DEP_2)
	v_mul_i32_i24_e32 v11, v137, v11
	v_mul_i32_i24_e32 v12, v136, v12
	s_delay_alu instid0(VALU_DEP_1) | instskip(SKIP_2) | instid1(VALU_DEP_2)
	v_add3_u32 v136, v144, v11, v12
	v_bfe_u32 v11, v15, 20, 4
	v_bfe_u32 v12, v16, 20, 4
	v_mul_i32_i24_e32 v11, v11, v96
	s_delay_alu instid0(VALU_DEP_2) | instskip(NEXT) | instid1(VALU_DEP_1)
	v_mul_i32_i24_e32 v12, v12, v88
	v_add3_u32 v137, v152, v11, v12
	v_bfe_u32 v11, v15, 4, 4
	v_bfe_u32 v12, v16, 4, 4
	v_bfe_i32 v152, v128, 0, 8
	s_delay_alu instid0(VALU_DEP_3) | instskip(NEXT) | instid1(VALU_DEP_3)
	v_mul_i32_i24_e32 v11, v11, v98
	v_mul_i32_i24_e32 v12, v12, v91
	s_delay_alu instid0(VALU_DEP_1) | instskip(SKIP_3) | instid1(VALU_DEP_3)
	v_add3_u32 v144, v153, v11, v12
	v_lshrrev_b32_e32 v11, 28, v15
	v_lshrrev_b32_e32 v12, 28, v16
	v_bfe_i32 v153, v129, 0, 8
	v_mul_i32_i24_e32 v11, v11, v95
	s_delay_alu instid0(VALU_DEP_3) | instskip(NEXT) | instid1(VALU_DEP_1)
	v_mul_i32_i24_e32 v12, v12, v86
	v_add3_u32 v151, v151, v11, v12
	v_and_b32_e32 v11, 0xf0f0f0f, v8
	v_and_b32_e32 v12, 0xf0f0f0f, v15
	v_lshrrev_b32_e32 v8, 4, v8
	v_lshrrev_b32_e32 v15, 4, v15
	s_delay_alu instid0(VALU_DEP_4) | instskip(NEXT) | instid1(VALU_DEP_4)
	v_lshrrev_b16 v11, 8, v11
	v_lshrrev_b16 v12, 8, v12
	s_delay_alu instid0(VALU_DEP_4) | instskip(NEXT) | instid1(VALU_DEP_4)
	v_lshrrev_b16 v8, 8, v8
	v_lshrrev_b16 v15, 8, v15
	s_delay_alu instid0(VALU_DEP_4) | instskip(NEXT) | instid1(VALU_DEP_4)
	v_and_b32_e32 v11, 0xffff, v11
	v_and_b32_e32 v12, 0xffff, v12
	s_delay_alu instid0(VALU_DEP_4) | instskip(NEXT) | instid1(VALU_DEP_4)
	v_and_b32_e32 v8, 15, v8
	v_and_b32_e32 v15, 15, v15
	s_delay_alu instid0(VALU_DEP_4) | instskip(NEXT) | instid1(VALU_DEP_4)
	v_mul_i32_i24_e32 v11, v11, v152
	v_mul_i32_i24_e32 v12, v12, v153
	s_delay_alu instid0(VALU_DEP_4) | instskip(NEXT) | instid1(VALU_DEP_4)
	v_and_b32_e32 v8, 0xffff, v8
	v_and_b32_e32 v15, 0xffff, v15
	s_delay_alu instid0(VALU_DEP_3)
	v_add3_u32 v156, v156, v11, v12
	ds_load_u16 v138, v138
	ds_load_2addr_b32 v[9:10], v133 offset0:2 offset1:3
	ds_load_2addr_b32 v[11:12], v133 offset0:4 offset1:5
	;; [unrolled: 1-line block ×3, first 2 shown]
	v_mul_i32_i24_e32 v8, v8, v125
	v_mul_i32_i24_e32 v15, v15, v126
	s_delay_alu instid0(VALU_DEP_1)
	v_add3_u32 v7, v7, v8, v15
	s_wait_dscnt 0x2
	v_and_b32_e32 v128, 15, v9
	v_bfe_u32 v129, v9, 8, 4
	v_bfe_u32 v8, v9, 16, 4
	;; [unrolled: 1-line block ×3, first 2 shown]
	s_delay_alu instid0(VALU_DEP_4) | instskip(NEXT) | instid1(VALU_DEP_4)
	v_mul_i32_i24_e32 v128, v124, v128
	v_mul_i32_i24_e32 v129, v150, v129
	s_delay_alu instid0(VALU_DEP_4) | instskip(NEXT) | instid1(VALU_DEP_4)
	v_mul_i32_i24_e32 v8, v119, v8
	v_mul_i32_i24_e32 v15, v118, v15
	s_delay_alu instid0(VALU_DEP_3) | instskip(SKIP_2) | instid1(VALU_DEP_3)
	v_add3_u32 v145, v145, v129, v128
	v_and_b32_e32 v128, 15, v2
	v_bfe_u32 v129, v2, 8, 4
	v_add3_u32 v8, v145, v8, v15
	s_delay_alu instid0(VALU_DEP_3) | instskip(NEXT) | instid1(VALU_DEP_3)
	v_mul_i32_i24_e32 v128, v124, v128
	v_mul_i32_i24_e32 v129, v150, v129
	v_bfe_u32 v15, v2, 16, 4
	s_delay_alu instid0(VALU_DEP_2)
	v_add3_u32 v154, v154, v129, v128
	ds_load_u16 v139, v139
	ds_load_2addr_b32 v[128:129], v141 offset0:2 offset1:3
	ds_load_2addr_b32 v[132:133], v141 offset0:4 offset1:5
	;; [unrolled: 1-line block ×3, first 2 shown]
	v_mul_i32_i24_e32 v15, v119, v15
	s_wait_dscnt 0x2
	v_and_b32_e32 v141, 15, v128
	s_delay_alu instid0(VALU_DEP_1) | instskip(SKIP_1) | instid1(VALU_DEP_1)
	v_mul_i32_i24_e32 v124, v124, v141
	v_bfe_u32 v141, v128, 8, 4
	v_mul_i32_i24_e32 v141, v150, v141
	v_bfe_u32 v150, v2, 12, 4
	s_delay_alu instid0(VALU_DEP_2) | instskip(SKIP_2) | instid1(VALU_DEP_4)
	v_add3_u32 v124, v148, v141, v124
	v_bfe_u32 v141, v9, 4, 4
	v_bfe_u32 v148, v9, 12, 4
	v_mul_i32_i24_e32 v150, v143, v150
	s_delay_alu instid0(VALU_DEP_3) | instskip(NEXT) | instid1(VALU_DEP_3)
	v_mul_i32_i24_e32 v141, v127, v141
	v_mul_i32_i24_e32 v148, v143, v148
	s_delay_alu instid0(VALU_DEP_1) | instskip(SKIP_1) | instid1(VALU_DEP_1)
	v_add3_u32 v141, v157, v141, v148
	v_bfe_u32 v148, v2, 4, 4
	v_mul_i32_i24_e32 v148, v127, v148
	s_delay_alu instid0(VALU_DEP_1) | instskip(SKIP_1) | instid1(VALU_DEP_1)
	v_add3_u32 v148, v158, v148, v150
	v_bfe_u32 v150, v128, 4, 4
	v_mul_i32_i24_e32 v127, v127, v150
	v_bfe_u32 v150, v128, 12, 4
	s_delay_alu instid0(VALU_DEP_1) | instskip(NEXT) | instid1(VALU_DEP_1)
	v_mul_i32_i24_e32 v143, v143, v150
	v_add3_u32 v127, v136, v127, v143
	v_bfe_u32 v143, v2, 24, 4
	v_and_b32_e32 v136, 0xf0f0f0f, v16
	v_lshrrev_b32_e32 v16, 4, v16
	s_delay_alu instid0(VALU_DEP_3) | instskip(NEXT) | instid1(VALU_DEP_3)
	v_mul_i32_i24_e32 v143, v118, v143
	v_lshrrev_b16 v136, 8, v136
	s_delay_alu instid0(VALU_DEP_3) | instskip(NEXT) | instid1(VALU_DEP_3)
	v_lshrrev_b16 v16, 8, v16
	v_add3_u32 v15, v154, v15, v143
	v_bfe_u32 v143, v128, 16, 4
	s_delay_alu instid0(VALU_DEP_3) | instskip(SKIP_1) | instid1(VALU_DEP_3)
	v_and_b32_e32 v16, 15, v16
	v_and_b32_e32 v136, 0xffff, v136
	v_mul_i32_i24_e32 v119, v119, v143
	v_bfe_u32 v143, v128, 24, 4
	s_delay_alu instid0(VALU_DEP_4) | instskip(NEXT) | instid1(VALU_DEP_4)
	v_and_b32_e32 v16, 0xffff, v16
	v_mul_i32_i24_e32 v136, v136, v123
	s_delay_alu instid0(VALU_DEP_3) | instskip(NEXT) | instid1(VALU_DEP_2)
	v_mul_i32_i24_e32 v118, v118, v143
	v_add3_u32 v136, v156, v136, v149
	s_delay_alu instid0(VALU_DEP_2) | instskip(SKIP_2) | instid1(VALU_DEP_2)
	v_add3_u32 v118, v124, v119, v118
	v_bfe_u32 v119, v9, 20, 4
	v_lshrrev_b32_e32 v9, 28, v9
	v_mul_i32_i24_e32 v119, v121, v119
	s_delay_alu instid0(VALU_DEP_2) | instskip(NEXT) | instid1(VALU_DEP_1)
	v_mul_i32_i24_e32 v9, v120, v9
	v_add3_u32 v9, v141, v119, v9
	v_bfe_u32 v119, v2, 20, 4
	v_lshrrev_b32_e32 v2, 28, v2
	s_delay_alu instid0(VALU_DEP_2) | instskip(NEXT) | instid1(VALU_DEP_2)
	v_mul_i32_i24_e32 v119, v121, v119
	v_mul_i32_i24_e32 v2, v120, v2
	s_delay_alu instid0(VALU_DEP_1) | instskip(SKIP_1) | instid1(VALU_DEP_1)
	v_add3_u32 v2, v148, v119, v2
	v_bfe_u32 v119, v128, 20, 4
	v_mul_i32_i24_e32 v119, v121, v119
	v_lshrrev_b32_e32 v121, 28, v128
	s_delay_alu instid0(VALU_DEP_1) | instskip(SKIP_2) | instid1(VALU_DEP_3)
	v_mul_i32_i24_e32 v120, v120, v121
	v_bfe_i32 v121, v122, 0, 8
	v_bfe_u32 v122, v10, 8, 4
	v_add3_u32 v119, v127, v119, v120
	s_delay_alu instid0(VALU_DEP_3) | instskip(NEXT) | instid1(VALU_DEP_3)
	v_mul_i32_i24_e32 v16, v16, v121
	v_mul_i32_i24_e32 v122, v140, v122
	v_add3_u32 v120, v155, v146, v136
	s_delay_alu instid0(VALU_DEP_3) | instskip(SKIP_1) | instid1(VALU_DEP_2)
	v_add3_u32 v7, v7, v16, v151
	v_and_b32_e32 v16, 15, v10
	v_add3_u32 v7, v144, v137, v7
	s_delay_alu instid0(VALU_DEP_2) | instskip(NEXT) | instid1(VALU_DEP_1)
	v_mul_i32_i24_e32 v16, v116, v16
	v_add3_u32 v8, v8, v122, v16
	v_and_b32_e32 v16, 15, v3
	v_bfe_u32 v122, v3, 8, 4
	s_delay_alu instid0(VALU_DEP_2) | instskip(NEXT) | instid1(VALU_DEP_2)
	v_mul_i32_i24_e32 v16, v116, v16
	v_mul_i32_i24_e32 v122, v140, v122
	s_delay_alu instid0(VALU_DEP_1) | instskip(SKIP_1) | instid1(VALU_DEP_1)
	v_add3_u32 v15, v15, v122, v16
	v_and_b32_e32 v16, 15, v129
	v_mul_i32_i24_e32 v16, v116, v16
	v_bfe_u32 v116, v129, 8, 4
	s_delay_alu instid0(VALU_DEP_1) | instskip(NEXT) | instid1(VALU_DEP_1)
	v_mul_i32_i24_e32 v116, v140, v116
	v_add3_u32 v16, v118, v116, v16
	v_bfe_u32 v116, v10, 4, 4
	v_bfe_u32 v118, v10, 12, 4
	s_delay_alu instid0(VALU_DEP_2) | instskip(NEXT) | instid1(VALU_DEP_2)
	v_mul_i32_i24_e32 v116, v117, v116
	v_mul_i32_i24_e32 v118, v130, v118
	s_delay_alu instid0(VALU_DEP_1) | instskip(SKIP_2) | instid1(VALU_DEP_2)
	v_add3_u32 v9, v9, v116, v118
	v_bfe_u32 v116, v3, 4, 4
	v_bfe_u32 v118, v3, 12, 4
	v_mul_i32_i24_e32 v116, v117, v116
	s_delay_alu instid0(VALU_DEP_2) | instskip(NEXT) | instid1(VALU_DEP_1)
	v_mul_i32_i24_e32 v118, v130, v118
	v_add3_u32 v2, v2, v116, v118
	v_bfe_u32 v116, v129, 4, 4
	v_bfe_u32 v118, v10, 24, 4
	s_delay_alu instid0(VALU_DEP_2) | instskip(SKIP_1) | instid1(VALU_DEP_3)
	v_mul_i32_i24_e32 v116, v117, v116
	v_bfe_u32 v117, v129, 12, 4
	v_mul_i32_i24_e32 v118, v112, v118
	s_delay_alu instid0(VALU_DEP_2) | instskip(NEXT) | instid1(VALU_DEP_1)
	v_mul_i32_i24_e32 v117, v130, v117
	v_add3_u32 v116, v119, v116, v117
	v_bfe_u32 v117, v10, 16, 4
	s_delay_alu instid0(VALU_DEP_1) | instskip(NEXT) | instid1(VALU_DEP_1)
	v_mul_i32_i24_e32 v117, v113, v117
	v_add3_u32 v8, v8, v117, v118
	v_bfe_u32 v117, v3, 16, 4
	v_bfe_u32 v118, v3, 24, 4
	s_delay_alu instid0(VALU_DEP_2) | instskip(NEXT) | instid1(VALU_DEP_2)
	v_mul_i32_i24_e32 v117, v113, v117
	v_mul_i32_i24_e32 v118, v112, v118
	s_delay_alu instid0(VALU_DEP_1) | instskip(SKIP_1) | instid1(VALU_DEP_1)
	v_add3_u32 v15, v15, v117, v118
	v_bfe_u32 v117, v129, 16, 4
	v_mul_i32_i24_e32 v113, v113, v117
	v_bfe_u32 v117, v129, 24, 4
	s_delay_alu instid0(VALU_DEP_1) | instskip(NEXT) | instid1(VALU_DEP_1)
	v_mul_i32_i24_e32 v112, v112, v117
	v_add3_u32 v16, v16, v113, v112
	v_bfe_u32 v112, v10, 20, 4
	v_lshrrev_b32_e32 v10, 28, v10
	s_delay_alu instid0(VALU_DEP_2) | instskip(NEXT) | instid1(VALU_DEP_2)
	v_mul_i32_i24_e32 v112, v115, v112
	v_mul_i32_i24_e32 v10, v114, v10
	s_delay_alu instid0(VALU_DEP_1) | instskip(SKIP_3) | instid1(VALU_DEP_3)
	v_add3_u32 v9, v9, v112, v10
	v_bfe_u32 v10, v3, 20, 4
	v_lshrrev_b32_e32 v3, 28, v3
	v_bfe_u32 v112, v11, 8, 4
	v_mul_i32_i24_e32 v10, v115, v10
	s_delay_alu instid0(VALU_DEP_3) | instskip(NEXT) | instid1(VALU_DEP_3)
	v_mul_i32_i24_e32 v3, v114, v3
	v_mul_i32_i24_e32 v112, v142, v112
	s_delay_alu instid0(VALU_DEP_2) | instskip(SKIP_2) | instid1(VALU_DEP_2)
	v_add3_u32 v2, v2, v10, v3
	v_bfe_u32 v3, v129, 20, 4
	v_lshrrev_b32_e32 v10, 28, v129
	v_mul_i32_i24_e32 v3, v115, v3
	s_delay_alu instid0(VALU_DEP_2) | instskip(NEXT) | instid1(VALU_DEP_1)
	v_mul_i32_i24_e32 v10, v114, v10
	v_add3_u32 v3, v116, v3, v10
	v_and_b32_e32 v10, 15, v11
	s_delay_alu instid0(VALU_DEP_1) | instskip(NEXT) | instid1(VALU_DEP_1)
	v_mul_i32_i24_e32 v10, v110, v10
	v_add3_u32 v8, v8, v112, v10
	v_and_b32_e32 v10, 15, v0
	v_bfe_u32 v112, v0, 8, 4
	s_delay_alu instid0(VALU_DEP_2) | instskip(NEXT) | instid1(VALU_DEP_2)
	v_mul_i32_i24_e32 v10, v110, v10
	v_mul_i32_i24_e32 v112, v142, v112
	s_delay_alu instid0(VALU_DEP_1) | instskip(SKIP_2) | instid1(VALU_DEP_1)
	v_add3_u32 v10, v15, v112, v10
	s_wait_dscnt 0x1
	v_and_b32_e32 v15, 15, v132
	v_mul_i32_i24_e32 v15, v110, v15
	v_bfe_u32 v110, v132, 8, 4
	s_delay_alu instid0(VALU_DEP_1) | instskip(NEXT) | instid1(VALU_DEP_1)
	v_mul_i32_i24_e32 v110, v142, v110
	v_add3_u32 v15, v16, v110, v15
	v_bfe_u32 v16, v11, 4, 4
	v_bfe_u32 v110, v11, 12, 4
	s_delay_alu instid0(VALU_DEP_2) | instskip(NEXT) | instid1(VALU_DEP_2)
	v_mul_i32_i24_e32 v16, v111, v16
	v_mul_i32_i24_e32 v110, v159, v110
	s_delay_alu instid0(VALU_DEP_1) | instskip(SKIP_2) | instid1(VALU_DEP_2)
	v_add3_u32 v9, v9, v16, v110
	v_bfe_u32 v16, v0, 4, 4
	v_bfe_u32 v110, v0, 12, 4
	v_mul_i32_i24_e32 v16, v111, v16
	s_delay_alu instid0(VALU_DEP_2) | instskip(NEXT) | instid1(VALU_DEP_1)
	v_mul_i32_i24_e32 v110, v159, v110
	v_add3_u32 v2, v2, v16, v110
	v_bfe_u32 v16, v132, 4, 4
	v_bfe_u32 v110, v132, 12, 4
	s_delay_alu instid0(VALU_DEP_2) | instskip(NEXT) | instid1(VALU_DEP_2)
	v_mul_i32_i24_e32 v16, v111, v16
	v_mul_i32_i24_e32 v110, v159, v110
	s_delay_alu instid0(VALU_DEP_1) | instskip(SKIP_2) | instid1(VALU_DEP_2)
	v_add3_u32 v3, v3, v16, v110
	v_bfe_u32 v16, v11, 16, 4
	v_bfe_u32 v110, v11, 24, 4
	v_mul_i32_i24_e32 v16, v107, v16
	s_delay_alu instid0(VALU_DEP_2) | instskip(NEXT) | instid1(VALU_DEP_1)
	v_mul_i32_i24_e32 v110, v106, v110
	v_add3_u32 v8, v8, v16, v110
	v_bfe_u32 v16, v0, 16, 4
	v_bfe_u32 v110, v0, 24, 4
	s_delay_alu instid0(VALU_DEP_2) | instskip(NEXT) | instid1(VALU_DEP_2)
	v_mul_i32_i24_e32 v16, v107, v16
	v_mul_i32_i24_e32 v110, v106, v110
	s_delay_alu instid0(VALU_DEP_1) | instskip(SKIP_1) | instid1(VALU_DEP_1)
	v_add3_u32 v10, v10, v16, v110
	v_bfe_u32 v16, v132, 16, 4
	v_mul_i32_i24_e32 v16, v107, v16
	v_bfe_u32 v107, v132, 24, 4
	s_delay_alu instid0(VALU_DEP_1) | instskip(NEXT) | instid1(VALU_DEP_1)
	v_mul_i32_i24_e32 v106, v106, v107
	v_add3_u32 v15, v15, v16, v106
	v_bfe_u32 v16, v11, 20, 4
	v_lshrrev_b32_e32 v11, 28, v11
	s_delay_alu instid0(VALU_DEP_2) | instskip(NEXT) | instid1(VALU_DEP_2)
	v_mul_i32_i24_e32 v16, v109, v16
	v_mul_i32_i24_e32 v11, v108, v11
	s_delay_alu instid0(VALU_DEP_1) | instskip(SKIP_2) | instid1(VALU_DEP_2)
	v_add3_u32 v9, v9, v16, v11
	v_bfe_u32 v11, v0, 20, 4
	v_lshrrev_b32_e32 v0, 28, v0
	v_mul_i32_i24_e32 v11, v109, v11
	s_delay_alu instid0(VALU_DEP_2) | instskip(NEXT) | instid1(VALU_DEP_1)
	v_mul_i32_i24_e32 v0, v108, v0
	v_add3_u32 v0, v2, v11, v0
	v_bfe_u32 v2, v132, 20, 4
	v_lshrrev_b32_e32 v11, 28, v132
	s_delay_alu instid0(VALU_DEP_2) | instskip(NEXT) | instid1(VALU_DEP_2)
	v_mul_i32_i24_e32 v2, v109, v2
	v_mul_i32_i24_e32 v11, v108, v11
	s_delay_alu instid0(VALU_DEP_1) | instskip(SKIP_2) | instid1(VALU_DEP_2)
	v_add3_u32 v2, v3, v2, v11
	v_and_b32_e32 v3, 15, v12
	v_bfe_u32 v11, v12, 8, 4
	v_mul_i32_i24_e32 v3, v103, v3
	s_delay_alu instid0(VALU_DEP_2) | instskip(NEXT) | instid1(VALU_DEP_1)
	v_mul_i32_i24_e32 v11, v152, v11
	v_add3_u32 v3, v8, v11, v3
	v_and_b32_e32 v8, 15, v1
	v_bfe_u32 v11, v1, 8, 4
	s_delay_alu instid0(VALU_DEP_2) | instskip(NEXT) | instid1(VALU_DEP_2)
	v_mul_i32_i24_e32 v8, v103, v8
	v_mul_i32_i24_e32 v11, v152, v11
	s_delay_alu instid0(VALU_DEP_1) | instskip(SKIP_2) | instid1(VALU_DEP_2)
	v_add3_u32 v8, v10, v11, v8
	v_and_b32_e32 v10, 15, v133
	v_bfe_u32 v11, v133, 8, 4
	v_mul_i32_i24_e32 v10, v103, v10
	s_delay_alu instid0(VALU_DEP_2) | instskip(NEXT) | instid1(VALU_DEP_1)
	v_mul_i32_i24_e32 v11, v152, v11
	v_add3_u32 v10, v15, v11, v10
	v_bfe_u32 v11, v12, 4, 4
	v_bfe_u32 v15, v12, 12, 4
	s_delay_alu instid0(VALU_DEP_2) | instskip(NEXT) | instid1(VALU_DEP_2)
	v_mul_i32_i24_e32 v11, v105, v11
	v_mul_i32_i24_e32 v15, v125, v15
	s_delay_alu instid0(VALU_DEP_1) | instskip(SKIP_2) | instid1(VALU_DEP_2)
	v_add3_u32 v9, v9, v11, v15
	v_bfe_u32 v11, v1, 4, 4
	v_bfe_u32 v15, v1, 12, 4
	v_mul_i32_i24_e32 v11, v105, v11
	s_delay_alu instid0(VALU_DEP_2) | instskip(NEXT) | instid1(VALU_DEP_1)
	v_mul_i32_i24_e32 v15, v125, v15
	v_add3_u32 v0, v0, v11, v15
	v_bfe_u32 v11, v133, 4, 4
	v_bfe_u32 v15, v133, 12, 4
	s_delay_alu instid0(VALU_DEP_2) | instskip(NEXT) | instid1(VALU_DEP_2)
	v_mul_i32_i24_e32 v11, v105, v11
	v_mul_i32_i24_e32 v15, v125, v15
	s_delay_alu instid0(VALU_DEP_1) | instskip(SKIP_2) | instid1(VALU_DEP_2)
	v_add3_u32 v2, v2, v11, v15
	v_bfe_u32 v11, v12, 16, 4
	v_bfe_u32 v15, v12, 24, 4
	v_mul_i32_i24_e32 v11, v100, v11
	s_delay_alu instid0(VALU_DEP_2) | instskip(NEXT) | instid1(VALU_DEP_1)
	v_mul_i32_i24_e32 v15, v99, v15
	v_add3_u32 v3, v3, v11, v15
	v_bfe_u32 v11, v1, 16, 4
	v_bfe_u32 v15, v1, 24, 4
	s_delay_alu instid0(VALU_DEP_2) | instskip(NEXT) | instid1(VALU_DEP_2)
	v_mul_i32_i24_e32 v11, v100, v11
	v_mul_i32_i24_e32 v15, v99, v15
	s_delay_alu instid0(VALU_DEP_1) | instskip(SKIP_2) | instid1(VALU_DEP_2)
	v_add3_u32 v8, v8, v11, v15
	v_bfe_u32 v11, v133, 16, 4
	v_bfe_u32 v15, v133, 24, 4
	v_mul_i32_i24_e32 v11, v100, v11
	s_delay_alu instid0(VALU_DEP_2) | instskip(NEXT) | instid1(VALU_DEP_1)
	v_mul_i32_i24_e32 v15, v99, v15
	v_add3_u32 v10, v10, v11, v15
	v_bfe_u32 v11, v12, 20, 4
	v_lshrrev_b32_e32 v12, 28, v12
	s_delay_alu instid0(VALU_DEP_2) | instskip(NEXT) | instid1(VALU_DEP_2)
	v_mul_i32_i24_e32 v11, v102, v11
	v_mul_i32_i24_e32 v12, v101, v12
	s_delay_alu instid0(VALU_DEP_1) | instskip(SKIP_2) | instid1(VALU_DEP_2)
	v_add3_u32 v9, v9, v11, v12
	v_bfe_u32 v11, v1, 20, 4
	v_lshrrev_b32_e32 v1, 28, v1
	v_mul_i32_i24_e32 v11, v102, v11
	s_delay_alu instid0(VALU_DEP_2) | instskip(NEXT) | instid1(VALU_DEP_1)
	v_mul_i32_i24_e32 v1, v101, v1
	v_add3_u32 v11, v0, v11, v1
	v_bfe_u32 v0, v133, 20, 4
	v_lshrrev_b32_e32 v1, 28, v133
	s_delay_alu instid0(VALU_DEP_2) | instskip(NEXT) | instid1(VALU_DEP_2)
	v_mul_i32_i24_e32 v0, v102, v0
	v_mul_i32_i24_e32 v1, v101, v1
	s_delay_alu instid0(VALU_DEP_1) | instskip(SKIP_2) | instid1(VALU_DEP_2)
	v_add3_u32 v2, v2, v0, v1
	v_and_b32_e32 v0, 15, v13
	v_bfe_u32 v1, v13, 8, 4
	v_mul_i32_i24_e32 v0, v97, v0
	s_delay_alu instid0(VALU_DEP_2) | instskip(NEXT) | instid1(VALU_DEP_1)
	v_mul_i32_i24_e32 v1, v153, v1
	v_add3_u32 v3, v3, v1, v0
	ds_load_u16 v12, v131
	ds_load_2addr_b32 v[0:1], v104 offset0:6 offset1:7
	s_wait_dscnt 0x0
	v_and_b32_e32 v15, 15, v0
	v_bfe_u32 v16, v0, 8, 4
	s_delay_alu instid0(VALU_DEP_2) | instskip(NEXT) | instid1(VALU_DEP_2)
	v_mul_i32_i24_e32 v15, v97, v15
	v_mul_i32_i24_e32 v16, v153, v16
	s_delay_alu instid0(VALU_DEP_1) | instskip(SKIP_2) | instid1(VALU_DEP_2)
	v_add3_u32 v8, v8, v16, v15
	v_and_b32_e32 v15, 15, v134
	v_bfe_u32 v16, v134, 8, 4
	v_mul_i32_i24_e32 v15, v97, v15
	s_delay_alu instid0(VALU_DEP_2) | instskip(NEXT) | instid1(VALU_DEP_1)
	v_mul_i32_i24_e32 v16, v153, v16
	v_add3_u32 v10, v10, v16, v15
	v_bfe_u32 v15, v13, 4, 4
	v_bfe_u32 v16, v13, 12, 4
	s_delay_alu instid0(VALU_DEP_2) | instskip(NEXT) | instid1(VALU_DEP_2)
	v_mul_i32_i24_e32 v15, v98, v15
	v_mul_i32_i24_e32 v16, v126, v16
	s_delay_alu instid0(VALU_DEP_1) | instskip(SKIP_2) | instid1(VALU_DEP_2)
	v_add3_u32 v9, v9, v15, v16
	v_bfe_u32 v15, v0, 4, 4
	v_bfe_u32 v16, v0, 12, 4
	v_mul_i32_i24_e32 v15, v98, v15
	s_delay_alu instid0(VALU_DEP_2) | instskip(NEXT) | instid1(VALU_DEP_1)
	v_mul_i32_i24_e32 v16, v126, v16
	v_add3_u32 v11, v11, v15, v16
	v_bfe_u32 v15, v134, 4, 4
	v_bfe_u32 v16, v134, 12, 4
	s_delay_alu instid0(VALU_DEP_2) | instskip(NEXT) | instid1(VALU_DEP_2)
	v_mul_i32_i24_e32 v15, v98, v15
	v_mul_i32_i24_e32 v16, v126, v16
	s_delay_alu instid0(VALU_DEP_1) | instskip(SKIP_2) | instid1(VALU_DEP_2)
	v_add3_u32 v2, v2, v15, v16
	v_bfe_u32 v15, v13, 16, 4
	;; [unrolled: 13-line block ×3, first 2 shown]
	v_bfe_u32 v16, v134, 24, 4
	v_mul_i32_i24_e32 v15, v93, v15
	s_delay_alu instid0(VALU_DEP_2) | instskip(NEXT) | instid1(VALU_DEP_1)
	v_mul_i32_i24_e32 v16, v92, v16
	v_add3_u32 v10, v10, v15, v16
	v_bfe_u32 v15, v13, 20, 4
	v_lshrrev_b32_e32 v13, 28, v13
	v_cvt_f32_ubyte1_e32 v16, v94
	s_delay_alu instid0(VALU_DEP_3) | instskip(NEXT) | instid1(VALU_DEP_3)
	v_mul_i32_i24_e32 v15, v96, v15
	v_mul_i32_i24_e32 v13, v95, v13
	s_delay_alu instid0(VALU_DEP_1) | instskip(SKIP_3) | instid1(VALU_DEP_3)
	v_add3_u32 v9, v9, v15, v13
	v_bfe_u32 v13, v0, 20, 4
	v_lshrrev_b32_e32 v0, 28, v0
	v_cvt_f32_ubyte1_e32 v15, v147
	v_mul_i32_i24_e32 v13, v96, v13
	s_delay_alu instid0(VALU_DEP_3) | instskip(NEXT) | instid1(VALU_DEP_1)
	v_mul_i32_i24_e32 v0, v95, v0
	v_add3_u32 v0, v11, v13, v0
	v_bfe_u32 v11, v134, 20, 4
	v_lshrrev_b32_e32 v13, 28, v134
	s_delay_alu instid0(VALU_DEP_2) | instskip(NEXT) | instid1(VALU_DEP_2)
	v_mul_i32_i24_e32 v11, v96, v11
	v_mul_i32_i24_e32 v13, v95, v13
	s_delay_alu instid0(VALU_DEP_1) | instskip(SKIP_2) | instid1(VALU_DEP_2)
	v_add3_u32 v2, v2, v11, v13
	v_and_b32_e32 v11, 15, v14
	v_bfe_u32 v13, v14, 8, 4
	v_mul_i32_i24_e32 v11, v89, v11
	s_delay_alu instid0(VALU_DEP_2) | instskip(NEXT) | instid1(VALU_DEP_1)
	v_mul_i32_i24_e32 v13, v123, v13
	v_add3_u32 v3, v3, v13, v11
	v_and_b32_e32 v11, 15, v1
	v_bfe_u32 v13, v1, 8, 4
	s_delay_alu instid0(VALU_DEP_2) | instskip(NEXT) | instid1(VALU_DEP_2)
	v_mul_i32_i24_e32 v11, v89, v11
	v_mul_i32_i24_e32 v13, v123, v13
	s_delay_alu instid0(VALU_DEP_1) | instskip(SKIP_2) | instid1(VALU_DEP_2)
	v_add3_u32 v8, v8, v13, v11
	v_and_b32_e32 v11, 15, v135
	v_bfe_u32 v13, v135, 8, 4
	v_mul_i32_i24_e32 v11, v89, v11
	s_delay_alu instid0(VALU_DEP_2) | instskip(NEXT) | instid1(VALU_DEP_1)
	v_mul_i32_i24_e32 v13, v123, v13
	v_add3_u32 v10, v10, v13, v11
	v_bfe_u32 v11, v14, 4, 4
	v_bfe_u32 v13, v14, 12, 4
	s_delay_alu instid0(VALU_DEP_2) | instskip(NEXT) | instid1(VALU_DEP_2)
	v_mul_i32_i24_e32 v11, v91, v11
	v_mul_i32_i24_e32 v13, v121, v13
	s_delay_alu instid0(VALU_DEP_1) | instskip(SKIP_2) | instid1(VALU_DEP_2)
	v_add3_u32 v9, v9, v11, v13
	v_bfe_u32 v11, v1, 4, 4
	v_bfe_u32 v13, v1, 12, 4
	v_mul_i32_i24_e32 v11, v91, v11
	s_delay_alu instid0(VALU_DEP_2) | instskip(NEXT) | instid1(VALU_DEP_1)
	v_mul_i32_i24_e32 v13, v121, v13
	v_add3_u32 v0, v0, v11, v13
	v_bfe_u32 v11, v135, 4, 4
	v_bfe_u32 v13, v135, 12, 4
	s_delay_alu instid0(VALU_DEP_2) | instskip(NEXT) | instid1(VALU_DEP_2)
	v_mul_i32_i24_e32 v11, v91, v11
	v_mul_i32_i24_e32 v13, v121, v13
	s_delay_alu instid0(VALU_DEP_1) | instskip(SKIP_2) | instid1(VALU_DEP_2)
	v_add3_u32 v2, v2, v11, v13
	v_bfe_u32 v11, v14, 16, 4
	;; [unrolled: 13-line block ×3, first 2 shown]
	v_bfe_u32 v13, v135, 24, 4
	v_mul_i32_i24_e32 v11, v84, v11
	s_delay_alu instid0(VALU_DEP_2) | instskip(SKIP_2) | instid1(VALU_DEP_3)
	v_mul_i32_i24_e32 v13, v83, v13
	v_lshrrev_b16 v84, 8, v139
	v_cvt_f32_ubyte1_e32 v83, v87
	v_add3_u32 v10, v10, v11, v13
	v_bfe_u32 v11, v14, 20, 4
	v_lshrrev_b32_e32 v13, 28, v14
	v_cvt_f32_ubyte1_e32 v14, v90
	v_and_b32_e32 v84, 0xffff, v84
	s_delay_alu instid0(VALU_DEP_4) | instskip(NEXT) | instid1(VALU_DEP_4)
	v_mul_i32_i24_e32 v11, v88, v11
	v_mul_i32_i24_e32 v13, v86, v13
	s_delay_alu instid0(VALU_DEP_3) | instskip(NEXT) | instid1(VALU_DEP_2)
	v_mul_lo_u32 v7, v7, v84
	v_add3_u32 v9, v9, v11, v13
	v_bfe_u32 v11, v1, 20, 4
	v_lshrrev_b32_e32 v1, 28, v1
	v_cvt_f32_ubyte0_e32 v13, v90
	v_cvt_f32_i32_e32 v7, v7
	s_delay_alu instid0(VALU_DEP_4) | instskip(NEXT) | instid1(VALU_DEP_4)
	v_mul_i32_i24_e32 v11, v88, v11
	v_mul_i32_i24_e32 v1, v86, v1
	s_delay_alu instid0(VALU_DEP_1) | instskip(SKIP_2) | instid1(VALU_DEP_2)
	v_add3_u32 v11, v0, v11, v1
	v_bfe_u32 v0, v135, 20, 4
	v_lshrrev_b32_e32 v1, 28, v135
	v_mul_i32_i24_e32 v0, v88, v0
	s_delay_alu instid0(VALU_DEP_2) | instskip(NEXT) | instid1(VALU_DEP_1)
	v_mul_i32_i24_e32 v1, v86, v1
	v_add3_u32 v2, v2, v0, v1
	v_lshrrev_b32_e32 v0, 1, v82
	v_cvt_f32_ubyte0_e32 v82, v87
	ds_load_b64 v[0:1], v0 offset:20560
	s_wait_dscnt 0x0
	v_fma_mix_f32 v13, v0, v13, 0 op_sel:[1,0,0] op_sel_hi:[1,0,0]
	v_fma_mix_f32 v82, v0, v82, 0 op_sel:[1,0,0] op_sel_hi:[1,0,0]
	s_delay_alu instid0(VALU_DEP_2) | instskip(SKIP_1) | instid1(VALU_DEP_3)
	v_fma_mix_f32 v13, v1, v14, v13 op_sel:[1,0,0] op_sel_hi:[1,0,0]
	v_cvt_f32_ubyte0_e32 v14, v147
	v_fma_mix_f32 v82, v1, v83, v82 op_sel:[1,0,0] op_sel_hi:[1,0,0]
	v_and_b32_e32 v83, 0xff, v139
	s_delay_alu instid0(VALU_DEP_4) | instskip(NEXT) | instid1(VALU_DEP_4)
	v_mul_f32_e32 v13, v13, v78
	v_fma_mix_f32 v14, v0, v14, 0 op_sel:[1,0,0] op_sel_hi:[1,0,0]
	s_delay_alu instid0(VALU_DEP_3) | instskip(NEXT) | instid1(VALU_DEP_2)
	v_mul_lo_u32 v83, v120, v83
	v_fma_mix_f32 v14, v1, v15, v14 op_sel:[1,0,0] op_sel_hi:[1,0,0]
	v_cvt_f32_ubyte0_e32 v15, v94
	s_delay_alu instid0(VALU_DEP_3) | instskip(NEXT) | instid1(VALU_DEP_2)
	v_cvt_f32_i32_e32 v83, v83
	v_fma_mix_f32 v15, v15, v0, 0 op_sel:[0,1,0] op_sel_hi:[0,1,0]
	s_delay_alu instid0(VALU_DEP_4) | instskip(NEXT) | instid1(VALU_DEP_3)
	v_mul_f32_e32 v14, v14, v79
	v_fma_mix_f32 v83, v83, v0, 0 op_sel_hi:[0,1,0]
	s_delay_alu instid0(VALU_DEP_3) | instskip(SKIP_4) | instid1(VALU_DEP_3)
	v_fma_mix_f32 v15, v16, v1, v15 op_sel:[0,1,0] op_sel_hi:[0,1,0]
	ds_load_u16 v16, v85
	v_lshrrev_b16 v85, 8, v138
	v_fma_mix_f32 v7, v7, v1, v83 op_sel_hi:[0,1,0]
	v_mul_f32_e32 v15, v15, v80
	v_and_b32_e32 v85, 0xffff, v85
	s_delay_alu instid0(VALU_DEP_1) | instskip(NEXT) | instid1(VALU_DEP_1)
	v_mul_lo_u32 v11, v11, v85
	v_cvt_f32_i32_e32 v11, v11
	s_wait_dscnt 0x0
	v_and_b32_e32 v84, 0xff, v16
	v_lshrrev_b16 v16, 8, v16
	s_delay_alu instid0(VALU_DEP_2) | instskip(SKIP_1) | instid1(VALU_DEP_3)
	v_mul_lo_u32 v3, v3, v84
	v_and_b32_e32 v84, 0xff, v138
	v_and_b32_e32 v16, 0xffff, v16
	s_delay_alu instid0(VALU_DEP_2) | instskip(SKIP_2) | instid1(VALU_DEP_4)
	v_mul_lo_u32 v8, v8, v84
	v_lshrrev_b16 v84, 8, v12
	v_and_b32_e32 v12, 0xff, v12
	v_mul_lo_u32 v9, v9, v16
	v_cvt_f32_i32_e32 v3, v3
	s_delay_alu instid0(VALU_DEP_4) | instskip(NEXT) | instid1(VALU_DEP_4)
	v_and_b32_e32 v84, 0xffff, v84
	v_mul_lo_u32 v10, v10, v12
	v_cvt_f32_i32_e32 v8, v8
	s_delay_alu instid0(VALU_DEP_4) | instskip(NEXT) | instid1(VALU_DEP_4)
	v_fma_mix_f32 v3, v0, v3, 0 op_sel_hi:[1,0,0]
	v_mul_lo_u32 v2, v2, v84
	v_cvt_f32_i32_e32 v9, v9
	s_delay_alu instid0(VALU_DEP_4) | instskip(SKIP_1) | instid1(VALU_DEP_3)
	v_fma_mix_f32 v8, v0, v8, 0 op_sel_hi:[1,0,0]
	v_cvt_f32_i32_e32 v10, v10
	v_fma_mix_f32 v3, v1, v9, v3 op_sel_hi:[1,0,0]
	s_delay_alu instid0(VALU_DEP_3) | instskip(SKIP_1) | instid1(VALU_DEP_4)
	v_fma_mix_f32 v8, v1, v11, v8 op_sel_hi:[1,0,0]
	v_cvt_f32_i32_e32 v2, v2
	v_fma_mix_f32 v0, v0, v10, 0 op_sel_hi:[1,0,0]
	v_mul_f32_e32 v10, v82, v77
	s_delay_alu instid0(VALU_DEP_2) | instskip(SKIP_1) | instid1(VALU_DEP_3)
	v_fma_mix_f32 v0, v1, v2, v0 op_sel_hi:[1,0,0]
	v_fma_f32 v1, v7, v81, -v15
	v_fma_f32 v2, v3, v74, -v10
	;; [unrolled: 1-line block ×3, first 2 shown]
	s_delay_alu instid0(VALU_DEP_4) | instskip(NEXT) | instid1(VALU_DEP_3)
	v_fma_f32 v0, v0, v76, -v14
	v_dual_add_f32 v4, v4, v1 :: v_dual_add_f32 v19, v19, v2
	s_delay_alu instid0(VALU_DEP_2)
	v_dual_add_f32 v50, v50, v3 :: v_dual_add_f32 v39, v39, v0
	s_wait_alu 0xfffe
	s_cbranch_vccnz .LBB231_11
; %bb.12:                               ;   in Loop: Header=BB231_5 Depth=1
	s_bitset1_b32 s16, 7
	s_wait_loadcnt 0x0
	s_wait_alu 0xfffe
	s_cmp_ge_i32 s16, s11
	s_barrier_signal -1
	s_barrier_wait -1
	global_inv scope:SCOPE_SE
	s_cbranch_scc1 .LBB231_4
; %bb.13:                               ;   in Loop: Header=BB231_5 Depth=1
	v_add_nc_u32_e32 v0, s17, v54
	s_delay_alu instid0(VALU_DEP_1)
	v_cmp_gt_i32_e32 vcc_lo, s5, v0
	s_and_b32 s17, s1, vcc_lo
	s_wait_alu 0xfffe
	s_and_saveexec_b32 s16, s17
	s_cbranch_execz .LBB231_15
; %bb.14:                               ;   in Loop: Header=BB231_5 Depth=1
	v_add_nc_u32_e32 v0, v59, v0
	s_delay_alu instid0(VALU_DEP_1)
	v_mad_co_i64_i32 v[0:1], null, v0, 36, v[5:6]
	global_load_b32 v0, v[0:1], off offset:4
	s_wait_loadcnt 0x0
	ds_store_b32 v51, v0
.LBB231_15:                             ;   in Loop: Header=BB231_5 Depth=1
	s_wait_alu 0xfffe
	s_or_b32 exec_lo, exec_lo, s16
	s_and_saveexec_b32 s16, s0
	s_cbranch_execz .LBB231_18
; %bb.16:                               ;   in Loop: Header=BB231_5 Depth=1
	v_or_b32_e32 v0, 4, v73
	s_delay_alu instid0(VALU_DEP_1)
	v_cmp_gt_i32_e32 vcc_lo, s5, v0
	s_and_b32 s17, s1, vcc_lo
	s_wait_alu 0xfffe
	s_and_b32 exec_lo, exec_lo, s17
	s_cbranch_execz .LBB231_18
; %bb.17:                               ;   in Loop: Header=BB231_5 Depth=1
	v_ashrrev_i32_e32 v0, 31, v73
	v_ashrrev_i32_e32 v1, 31, v59
	v_add_co_u32 v2, vcc_lo, v59, v73
	s_wait_alu 0xfffd
	s_delay_alu instid0(VALU_DEP_2) | instskip(NEXT) | instid1(VALU_DEP_2)
	v_add_co_ci_u32_e64 v3, null, v1, v0, vcc_lo
	v_mad_co_u64_u32 v[0:1], null, v2, 36, s[2:3]
	s_delay_alu instid0(VALU_DEP_1)
	v_mad_i32_i24 v1, v3, 36, v1
	global_load_b32 v0, v[0:1], off offset:144
	s_wait_loadcnt 0x0
	ds_store_b32 v68, v0
.LBB231_18:                             ;   in Loop: Header=BB231_5 Depth=1
	s_wait_alu 0xfffe
	s_or_b32 exec_lo, exec_lo, s16
	s_wait_loadcnt_dscnt 0x0
	s_barrier_signal -1
	s_barrier_wait -1
	global_inv scope:SCOPE_SE
	ds_load_b32 v0, v53
	ds_load_b32 v1, v55 offset:128
	ds_load_b32 v2, v56 offset:256
	;; [unrolled: 1-line block ×3, first 2 shown]
	v_dual_mov_b32 v13, v47 :: v_dual_mov_b32 v14, v62
	v_mad_u32_u24 v79, 0x84, v18, 64
	s_mov_b32 s16, 16
	s_mov_b32 s17, 0
	s_wait_dscnt 0x3
	v_cvt_f32_f16_e32 v15, v0
	v_lshrrev_b32_e32 v0, 16, v0
	s_wait_dscnt 0x2
	v_cvt_f32_f16_e32 v16, v1
	v_lshrrev_b32_e32 v1, 16, v1
	;; [unrolled: 3-line block ×3, first 2 shown]
	s_wait_dscnt 0x0
	v_lshrrev_b32_e32 v7, 16, v3
	v_cvt_f32_f16_e32 v74, v3
	v_cvt_f32_f16_e32 v75, v0
	;; [unrolled: 1-line block ×5, first 2 shown]
.LBB231_19:                             ;   Parent Loop BB231_5 Depth=1
                                        ; =>  This Inner Loop Header: Depth=2
	ds_load_b128 v[0:3], v13
	ds_load_b128 v[7:10], v13 offset:16
	s_wait_alu 0xfffe
	s_lshr_b32 s21, s16, 2
	v_add_nc_u32_e32 v147, 0x2110, v79
	s_wait_alu 0xfffe
	s_and_b32 s21, s21, 0x3ffffffc
	v_add_nc_u32_e32 v161, 0x3198, v79
	s_add_co_i32 s16, s16, 8
	s_wait_dscnt 0x1
	v_lshrrev_b16 v12, 8, v0
	v_lshrrev_b16 v135, 8, v1
	;; [unrolled: 1-line block ×4, first 2 shown]
	v_ashrrev_i32_e32 v137, 24, v0
	v_bfe_i32 v139, v0, 16, 8
	v_bfe_i32 v142, v0, 0, 8
	v_ashrrev_i32_e32 v125, 24, v1
	v_bfe_i32 v128, v1, 16, 8
	v_bfe_i32 v132, v1, 0, 8
	;; [unrolled: 3-line block ×4, first 2 shown]
	s_wait_dscnt 0x0
	v_lshrrev_b16 v127, 8, v7
	v_lshrrev_b16 v119, 8, v8
	v_lshrrev_b16 v120, 8, v9
	v_lshrrev_b16 v112, 8, v10
	v_ashrrev_i32_e32 v97, 24, v7
	v_bfe_i32 v98, v7, 16, 8
	v_bfe_i32 v100, v7, 0, 8
	v_ashrrev_i32_e32 v91, 24, v8
	v_bfe_i32 v92, v8, 16, 8
	v_bfe_i32 v94, v8, 0, 8
	v_ashrrev_i32_e32 v85, 24, v9
	v_bfe_i32 v86, v9, 16, 8
	v_bfe_i32 v88, v9, 0, 8
	v_ashrrev_i32_e32 v80, 24, v10
	v_bfe_i32 v81, v10, 16, 8
	v_bfe_i32 v84, v10, 0, 8
	ds_load_b128 v[0:3], v13 offset:32
	ds_load_b128 v[7:10], v13 offset:48
	v_bfe_i32 v141, v12, 0, 8
	v_bfe_i32 v135, v135, 0, 8
	v_bfe_i32 v131, v131, 0, 8
	v_bfe_i32 v119, v119, 0, 8
	v_bfe_i32 v120, v120, 0, 8
	v_bfe_i32 v112, v112, 0, 8
	v_add_nc_u32_e32 v13, 64, v13
	s_wait_dscnt 0x1
	v_lshrrev_b16 v11, 8, v0
	v_lshrrev_b16 v134, 8, v1
	;; [unrolled: 1-line block ×4, first 2 shown]
	v_ashrrev_i32_e32 v136, 24, v0
	v_bfe_i32 v138, v0, 16, 8
	v_bfe_i32 v140, v0, 0, 8
	v_ashrrev_i32_e32 v129, 24, v1
	v_bfe_i32 v130, v1, 16, 8
	v_bfe_i32 v133, v1, 0, 8
	;; [unrolled: 3-line block ×4, first 2 shown]
	s_wait_dscnt 0x0
	v_lshrrev_b16 v122, 8, v7
	v_lshrrev_b16 v114, 8, v8
	;; [unrolled: 1-line block ×4, first 2 shown]
	v_ashrrev_i32_e32 v101, 24, v7
	v_bfe_i32 v102, v7, 16, 8
	v_bfe_i32 v105, v7, 0, 8
	v_ashrrev_i32_e32 v95, 24, v8
	v_bfe_i32 v96, v8, 16, 8
	v_bfe_i32 v99, v8, 0, 8
	;; [unrolled: 3-line block ×4, first 2 shown]
	ds_load_2addr_b32 v[0:1], v79 offset1:1
	ds_load_2addr_b32 v[2:3], v79 offset0:2 offset1:3
	ds_load_2addr_b32 v[7:8], v79 offset0:4 offset1:5
	ds_load_b64 v[9:10], v14
	v_bfe_i32 v163, v11, 0, 8
	v_bfe_i32 v134, v134, 0, 8
	;; [unrolled: 1-line block ×7, first 2 shown]
	v_add_nc_u32_e32 v14, 8, v14
	s_wait_dscnt 0x3
	v_and_b32_e32 v12, 15, v0
	v_bfe_u32 v143, v0, 8, 4
	v_bfe_u32 v144, v0, 24, 4
	;; [unrolled: 1-line block ×3, first 2 shown]
	s_delay_alu instid0(VALU_DEP_4) | instskip(NEXT) | instid1(VALU_DEP_3)
	v_mul_i32_i24_e32 v12, v142, v12
	v_mul_i32_i24_e32 v144, v137, v144
	s_delay_alu instid0(VALU_DEP_3) | instskip(NEXT) | instid1(VALU_DEP_3)
	v_mul_i32_i24_e32 v11, v140, v11
	v_mad_i32_i24 v12, v141, v143, v12
	v_bfe_u32 v143, v0, 16, 4
	s_delay_alu instid0(VALU_DEP_1) | instskip(NEXT) | instid1(VALU_DEP_1)
	v_mul_i32_i24_e32 v143, v139, v143
	v_add3_u32 v157, v12, v143, v144
	v_bfe_u32 v12, v0, 12, 4
	s_delay_alu instid0(VALU_DEP_1) | instskip(SKIP_2) | instid1(VALU_DEP_2)
	v_mad_i32_i24 v11, v163, v12, v11
	v_bfe_u32 v12, v0, 20, 4
	v_lshrrev_b32_e32 v0, 28, v0
	v_mul_i32_i24_e32 v12, v138, v12
	s_delay_alu instid0(VALU_DEP_2) | instskip(NEXT) | instid1(VALU_DEP_1)
	v_mul_i32_i24_e32 v0, v136, v0
	v_add3_u32 v164, v11, v12, v0
	v_lshlrev_b32_e32 v0, 4, v18
	s_delay_alu instid0(VALU_DEP_1) | instskip(SKIP_3) | instid1(VALU_DEP_2)
	v_add_nc_u32_e32 v144, s17, v0
	v_add_nc_u32_e32 v0, 0x1080, v79
	s_add_co_i32 s17, s17, 2
	s_wait_alu 0xfffe
	v_add3_u32 v143, v65, s21, v144
	ds_load_2addr_b32 v[149:150], v0 offset1:1
	v_add3_u32 v146, v63, s21, v144
	v_add3_u32 v148, v64, s21, v144
	ds_load_u16 v0, v143 offset:17416
	s_wait_dscnt 0x1
	v_and_b32_e32 v11, 15, v149
	v_bfe_u32 v12, v149, 8, 4
	v_bfe_u32 v145, v149, 24, 4
	s_delay_alu instid0(VALU_DEP_3) | instskip(NEXT) | instid1(VALU_DEP_2)
	v_mul_i32_i24_e32 v11, v142, v11
	v_mul_i32_i24_e32 v145, v137, v145
	s_delay_alu instid0(VALU_DEP_2) | instskip(SKIP_1) | instid1(VALU_DEP_1)
	v_mad_i32_i24 v11, v141, v12, v11
	v_bfe_u32 v12, v149, 16, 4
	v_mul_i32_i24_e32 v12, v139, v12
	s_delay_alu instid0(VALU_DEP_1)
	v_add3_u32 v165, v11, v12, v145
	v_add_nc_u32_e32 v11, 0x3180, v79
	ds_load_u16 v145, v146 offset:18440
	ds_load_2addr_b32 v[151:152], v11 offset1:1
	s_wait_dscnt 0x0
	v_and_b32_e32 v11, 15, v152
	v_and_b32_e32 v12, 15, v151
	v_bfe_u32 v159, v151, 16, 4
	v_bfe_u32 v170, v151, 20, 4
	v_lshrrev_b32_e32 v171, 28, v151
	v_mul_i32_i24_e32 v11, v11, v132
	s_delay_alu instid0(VALU_DEP_1)
	v_mad_i32_i24 v166, v12, v142, v11
	v_add_nc_u32_e32 v11, 0x2100, v79
	v_add_nc_u32_e32 v12, 0x2108, v79
	ds_load_2addr_b32 v[153:154], v11 offset1:1
	ds_load_2addr_b32 v[155:156], v12 offset1:1
	;; [unrolled: 1-line block ×3, first 2 shown]
	ds_load_u16 v147, v148 offset:17928
	s_wait_dscnt 0x3
	v_and_b32_e32 v158, 15, v153
	s_delay_alu instid0(VALU_DEP_1) | instskip(SKIP_1) | instid1(VALU_DEP_1)
	v_mul_i32_i24_e32 v142, v142, v158
	v_bfe_u32 v158, v152, 16, 4
	v_mul_i32_i24_e32 v158, v158, v128
	s_delay_alu instid0(VALU_DEP_1) | instskip(SKIP_2) | instid1(VALU_DEP_2)
	v_mad_i32_i24 v167, v159, v139, v158
	v_bfe_u32 v158, v153, 16, 4
	v_bfe_u32 v159, v151, 24, 4
	v_mul_i32_i24_e32 v139, v139, v158
	v_bfe_u32 v158, v152, 24, 4
	s_delay_alu instid0(VALU_DEP_1) | instskip(NEXT) | instid1(VALU_DEP_1)
	v_mul_i32_i24_e32 v158, v158, v125
	v_mad_i32_i24 v168, v159, v137, v158
	v_bfe_u32 v158, v153, 24, 4
	v_add_nc_u32_e32 v159, 0x3190, v79
	s_delay_alu instid0(VALU_DEP_2) | instskip(SKIP_1) | instid1(VALU_DEP_1)
	v_mul_i32_i24_e32 v137, v137, v158
	v_bfe_u32 v158, v153, 8, 4
	v_mad_i32_i24 v142, v141, v158, v142
	s_delay_alu instid0(VALU_DEP_1) | instskip(SKIP_2) | instid1(VALU_DEP_2)
	v_add3_u32 v137, v142, v139, v137
	v_and_b32_e32 v139, 15, v1
	v_bfe_u32 v142, v1, 8, 4
	v_mul_i32_i24_e32 v139, v132, v139
	s_delay_alu instid0(VALU_DEP_2) | instskip(NEXT) | instid1(VALU_DEP_1)
	v_mul_i32_i24_e32 v142, v135, v142
	v_add3_u32 v139, v157, v142, v139
	v_add_nc_u32_e32 v142, 0x3188, v79
	ds_load_2addr_b32 v[157:158], v142 offset1:1
	ds_load_2addr_b32 v[159:160], v159 offset1:1
	;; [unrolled: 1-line block ×3, first 2 shown]
	s_wait_dscnt 0x2
	v_bfe_u32 v142, v157, 24, 4
	v_bfe_u32 v169, v158, 24, 4
	s_delay_alu instid0(VALU_DEP_2) | instskip(NEXT) | instid1(VALU_DEP_2)
	v_mul_i32_i24_e32 v142, v142, v111
	v_mul_i32_i24_e32 v169, v169, v103
	s_delay_alu instid0(VALU_DEP_1) | instskip(SKIP_2) | instid1(VALU_DEP_2)
	v_add3_u32 v142, v168, v142, v169
	v_bfe_u32 v168, v157, 16, 4
	v_bfe_u32 v169, v158, 16, 4
	v_mul_i32_i24_e32 v168, v168, v113
	s_delay_alu instid0(VALU_DEP_2) | instskip(NEXT) | instid1(VALU_DEP_1)
	v_mul_i32_i24_e32 v169, v169, v104
	v_add3_u32 v167, v167, v168, v169
	v_and_b32_e32 v168, 15, v157
	v_and_b32_e32 v169, 15, v158
	s_delay_alu instid0(VALU_DEP_2) | instskip(NEXT) | instid1(VALU_DEP_2)
	v_mul_i32_i24_e32 v168, v168, v118
	v_mul_i32_i24_e32 v169, v169, v107
	s_delay_alu instid0(VALU_DEP_1) | instskip(SKIP_2) | instid1(VALU_DEP_2)
	v_add3_u32 v166, v166, v168, v169
	v_bfe_u32 v168, v149, 4, 4
	v_bfe_u32 v169, v149, 12, 4
	v_mul_i32_i24_e32 v168, v140, v168
	s_delay_alu instid0(VALU_DEP_1) | instskip(SKIP_2) | instid1(VALU_DEP_2)
	v_mad_i32_i24 v168, v163, v169, v168
	v_bfe_u32 v169, v149, 20, 4
	v_lshrrev_b32_e32 v149, 28, v149
	v_mul_i32_i24_e32 v169, v138, v169
	s_delay_alu instid0(VALU_DEP_2) | instskip(NEXT) | instid1(VALU_DEP_1)
	v_mul_i32_i24_e32 v149, v136, v149
	v_add3_u32 v149, v168, v169, v149
	v_bfe_u32 v168, v152, 4, 4
	v_bfe_u32 v169, v151, 4, 4
	s_delay_alu instid0(VALU_DEP_2) | instskip(NEXT) | instid1(VALU_DEP_1)
	v_mul_i32_i24_e32 v168, v168, v133
	v_mad_i32_i24 v168, v169, v140, v168
	v_bfe_u32 v169, v153, 4, 4
	s_delay_alu instid0(VALU_DEP_1) | instskip(SKIP_1) | instid1(VALU_DEP_1)
	v_mul_i32_i24_e32 v140, v140, v169
	v_bfe_u32 v169, v152, 20, 4
	v_mul_i32_i24_e32 v169, v169, v130
	s_delay_alu instid0(VALU_DEP_1) | instskip(SKIP_1) | instid1(VALU_DEP_1)
	v_mad_i32_i24 v169, v170, v138, v169
	v_bfe_u32 v170, v153, 20, 4
	v_mul_i32_i24_e32 v138, v138, v170
	v_lshrrev_b32_e32 v170, 28, v152
	s_delay_alu instid0(VALU_DEP_1) | instskip(NEXT) | instid1(VALU_DEP_1)
	v_mul_i32_i24_e32 v170, v170, v129
	v_mad_i32_i24 v170, v171, v136, v170
	v_lshrrev_b32_e32 v171, 28, v153
	v_bfe_u32 v153, v153, 12, 4
	s_delay_alu instid0(VALU_DEP_2) | instskip(NEXT) | instid1(VALU_DEP_2)
	v_mul_i32_i24_e32 v136, v136, v171
	v_mad_i32_i24 v140, v163, v153, v140
	v_lshrrev_b32_e32 v153, 28, v158
	s_delay_alu instid0(VALU_DEP_2) | instskip(SKIP_2) | instid1(VALU_DEP_4)
	v_add3_u32 v136, v140, v138, v136
	v_bfe_u32 v138, v1, 4, 4
	v_bfe_u32 v140, v1, 12, 4
	v_mul_i32_i24_e32 v153, v153, v106
	s_delay_alu instid0(VALU_DEP_3) | instskip(NEXT) | instid1(VALU_DEP_3)
	v_mul_i32_i24_e32 v138, v133, v138
	v_mul_i32_i24_e32 v140, v134, v140
	s_delay_alu instid0(VALU_DEP_1) | instskip(SKIP_2) | instid1(VALU_DEP_2)
	v_add3_u32 v138, v164, v138, v140
	v_lshrrev_b32_e32 v140, 28, v157
	v_bfe_u32 v164, v158, 20, 4
	v_mul_i32_i24_e32 v140, v140, v116
	s_delay_alu instid0(VALU_DEP_2) | instskip(NEXT) | instid1(VALU_DEP_2)
	v_mul_i32_i24_e32 v164, v164, v108
	v_add3_u32 v140, v170, v140, v153
	v_bfe_u32 v153, v157, 20, 4
	s_delay_alu instid0(VALU_DEP_1) | instskip(NEXT) | instid1(VALU_DEP_1)
	v_mul_i32_i24_e32 v153, v153, v117
	v_add3_u32 v153, v169, v153, v164
	v_bfe_u32 v164, v157, 4, 4
	v_bfe_u32 v169, v158, 4, 4
	s_delay_alu instid0(VALU_DEP_2) | instskip(NEXT) | instid1(VALU_DEP_2)
	v_mul_i32_i24_e32 v164, v164, v123
	v_mul_i32_i24_e32 v169, v169, v110
	s_delay_alu instid0(VALU_DEP_1) | instskip(SKIP_2) | instid1(VALU_DEP_2)
	v_add3_u32 v164, v168, v164, v169
	v_bfe_u32 v168, v1, 16, 4
	v_bfe_u32 v169, v1, 24, 4
	v_mul_i32_i24_e32 v168, v128, v168
	s_delay_alu instid0(VALU_DEP_2) | instskip(NEXT) | instid1(VALU_DEP_1)
	v_mul_i32_i24_e32 v169, v125, v169
	v_add3_u32 v139, v139, v168, v169
	v_and_b32_e32 v168, 15, v150
	v_bfe_u32 v169, v150, 8, 4
	s_delay_alu instid0(VALU_DEP_2) | instskip(NEXT) | instid1(VALU_DEP_2)
	v_mul_i32_i24_e32 v168, v132, v168
	v_mul_i32_i24_e32 v169, v135, v169
	s_delay_alu instid0(VALU_DEP_1) | instskip(SKIP_1) | instid1(VALU_DEP_1)
	v_add3_u32 v165, v165, v169, v168
	v_and_b32_e32 v168, 15, v154
	v_mul_i32_i24_e32 v132, v132, v168
	v_bfe_u32 v168, v154, 8, 4
	s_delay_alu instid0(VALU_DEP_1) | instskip(NEXT) | instid1(VALU_DEP_1)
	v_mul_i32_i24_e32 v168, v135, v168
	v_add3_u32 v132, v137, v168, v132
	v_and_b32_e32 v137, 0xf0f0f0f, v151
	s_delay_alu instid0(VALU_DEP_1) | instskip(NEXT) | instid1(VALU_DEP_1)
	v_lshrrev_b16 v137, 8, v137
	v_and_b32_e32 v137, 0xffff, v137
	s_delay_alu instid0(VALU_DEP_1) | instskip(SKIP_1) | instid1(VALU_DEP_1)
	v_mul_i32_i24_e32 v137, v137, v141
	v_and_b32_e32 v141, 0xf0f0f0f, v152
	v_lshrrev_b16 v141, 8, v141
	s_delay_alu instid0(VALU_DEP_1) | instskip(NEXT) | instid1(VALU_DEP_1)
	v_and_b32_e32 v141, 0xffff, v141
	v_mul_i32_i24_e32 v135, v141, v135
	v_and_b32_e32 v141, 0xf0f0f0f, v157
	s_delay_alu instid0(VALU_DEP_1) | instskip(NEXT) | instid1(VALU_DEP_1)
	v_lshrrev_b16 v141, 8, v141
	v_and_b32_e32 v141, 0xffff, v141
	s_delay_alu instid0(VALU_DEP_1) | instskip(NEXT) | instid1(VALU_DEP_1)
	v_mul_i32_i24_e32 v141, v141, v131
	v_add3_u32 v135, v137, v135, v141
	s_wait_dscnt 0x1
	v_bfe_u32 v137, v159, 24, 4
	v_bfe_u32 v141, v160, 24, 4
	s_delay_alu instid0(VALU_DEP_2) | instskip(NEXT) | instid1(VALU_DEP_2)
	v_mul_i32_i24_e32 v137, v137, v97
	v_mul_i32_i24_e32 v141, v141, v91
	s_delay_alu instid0(VALU_DEP_1) | instskip(SKIP_2) | instid1(VALU_DEP_2)
	v_add3_u32 v137, v142, v137, v141
	v_and_b32_e32 v141, 15, v159
	v_and_b32_e32 v142, 15, v160
	v_mul_i32_i24_e32 v141, v141, v100
	s_delay_alu instid0(VALU_DEP_2) | instskip(NEXT) | instid1(VALU_DEP_1)
	v_mul_i32_i24_e32 v142, v142, v94
	v_add3_u32 v141, v166, v141, v142
	v_bfe_u32 v142, v159, 16, 4
	v_bfe_u32 v166, v160, 16, 4
	s_delay_alu instid0(VALU_DEP_2) | instskip(NEXT) | instid1(VALU_DEP_2)
	v_mul_i32_i24_e32 v142, v142, v98
	v_mul_i32_i24_e32 v166, v166, v92
	s_delay_alu instid0(VALU_DEP_1) | instskip(SKIP_2) | instid1(VALU_DEP_2)
	v_add3_u32 v142, v167, v142, v166
	v_bfe_u32 v166, v1, 20, 4
	v_lshrrev_b32_e32 v1, 28, v1
	v_mul_i32_i24_e32 v166, v130, v166
	s_delay_alu instid0(VALU_DEP_2) | instskip(NEXT) | instid1(VALU_DEP_1)
	v_mul_i32_i24_e32 v1, v129, v1
	v_add3_u32 v1, v138, v166, v1
	v_bfe_u32 v138, v150, 4, 4
	v_bfe_u32 v166, v150, 12, 4
	s_delay_alu instid0(VALU_DEP_2) | instskip(NEXT) | instid1(VALU_DEP_2)
	v_mul_i32_i24_e32 v138, v133, v138
	v_mul_i32_i24_e32 v166, v134, v166
	s_delay_alu instid0(VALU_DEP_1) | instskip(SKIP_1) | instid1(VALU_DEP_1)
	v_add3_u32 v138, v149, v138, v166
	v_bfe_u32 v149, v154, 4, 4
	v_mul_i32_i24_e32 v133, v133, v149
	v_bfe_u32 v149, v154, 12, 4
	s_delay_alu instid0(VALU_DEP_1) | instskip(NEXT) | instid1(VALU_DEP_1)
	v_mul_i32_i24_e32 v149, v134, v149
	v_add3_u32 v133, v136, v133, v149
	v_lshrrev_b32_e32 v136, 28, v159
	v_lshrrev_b32_e32 v149, 28, v160
	s_delay_alu instid0(VALU_DEP_2) | instskip(NEXT) | instid1(VALU_DEP_2)
	v_mul_i32_i24_e32 v136, v136, v101
	v_mul_i32_i24_e32 v149, v149, v95
	s_delay_alu instid0(VALU_DEP_1) | instskip(SKIP_2) | instid1(VALU_DEP_2)
	v_add3_u32 v136, v140, v136, v149
	v_bfe_u32 v140, v159, 4, 4
	v_bfe_u32 v149, v160, 4, 4
	v_mul_i32_i24_e32 v140, v140, v105
	s_delay_alu instid0(VALU_DEP_2) | instskip(NEXT) | instid1(VALU_DEP_1)
	v_mul_i32_i24_e32 v149, v149, v99
	v_add3_u32 v140, v164, v140, v149
	v_bfe_u32 v149, v159, 20, 4
	v_bfe_u32 v164, v160, 20, 4
	s_delay_alu instid0(VALU_DEP_2) | instskip(NEXT) | instid1(VALU_DEP_2)
	v_mul_i32_i24_e32 v149, v149, v102
	v_mul_i32_i24_e32 v164, v164, v96
	s_delay_alu instid0(VALU_DEP_1) | instskip(SKIP_2) | instid1(VALU_DEP_2)
	v_add3_u32 v149, v153, v149, v164
	v_bfe_u32 v153, v150, 16, 4
	v_bfe_u32 v164, v150, 24, 4
	v_mul_i32_i24_e32 v153, v128, v153
	s_delay_alu instid0(VALU_DEP_2) | instskip(NEXT) | instid1(VALU_DEP_1)
	v_mul_i32_i24_e32 v164, v125, v164
	v_add3_u32 v153, v165, v153, v164
	v_bfe_u32 v164, v154, 16, 4
	s_delay_alu instid0(VALU_DEP_1) | instskip(SKIP_1) | instid1(VALU_DEP_1)
	v_mul_i32_i24_e32 v128, v128, v164
	v_bfe_u32 v164, v154, 24, 4
	v_mul_i32_i24_e32 v125, v125, v164
	v_bfe_i32 v164, v127, 0, 8
	v_and_b32_e32 v127, 0xf0f0f0f, v159
	s_delay_alu instid0(VALU_DEP_3) | instskip(SKIP_2) | instid1(VALU_DEP_4)
	v_add3_u32 v132, v132, v128, v125
	v_and_b32_e32 v125, 15, v2
	v_bfe_u32 v128, v2, 8, 4
	v_lshrrev_b16 v127, 8, v127
	s_delay_alu instid0(VALU_DEP_3) | instskip(NEXT) | instid1(VALU_DEP_3)
	v_mul_i32_i24_e32 v125, v118, v125
	v_mul_i32_i24_e32 v128, v131, v128
	s_delay_alu instid0(VALU_DEP_3) | instskip(NEXT) | instid1(VALU_DEP_2)
	v_and_b32_e32 v127, 0xffff, v127
	v_add3_u32 v125, v139, v128, v125
	v_bfe_i32 v139, v124, 0, 8
	v_and_b32_e32 v124, 0xf0f0f0f, v158
	s_delay_alu instid0(VALU_DEP_4) | instskip(SKIP_1) | instid1(VALU_DEP_3)
	v_mul_i32_i24_e32 v127, v127, v164
	v_add_nc_u32_e32 v128, 0x1098, v79
	v_lshrrev_b16 v124, 8, v124
	s_delay_alu instid0(VALU_DEP_1) | instskip(NEXT) | instid1(VALU_DEP_1)
	v_and_b32_e32 v124, 0xffff, v124
	v_mul_i32_i24_e32 v124, v124, v139
	s_delay_alu instid0(VALU_DEP_1) | instskip(SKIP_3) | instid1(VALU_DEP_2)
	v_add3_u32 v135, v135, v124, v127
	s_wait_dscnt 0x0
	v_bfe_u32 v124, v161, 24, 4
	v_bfe_u32 v127, v162, 24, 4
	v_mul_i32_i24_e32 v124, v124, v85
	s_delay_alu instid0(VALU_DEP_2) | instskip(NEXT) | instid1(VALU_DEP_1)
	v_mul_i32_i24_e32 v127, v127, v80
	v_add3_u32 v137, v137, v124, v127
	v_bfe_u32 v124, v161, 16, 4
	v_bfe_u32 v127, v162, 16, 4
	s_delay_alu instid0(VALU_DEP_2) | instskip(NEXT) | instid1(VALU_DEP_2)
	v_mul_i32_i24_e32 v124, v124, v86
	v_mul_i32_i24_e32 v127, v127, v81
	s_delay_alu instid0(VALU_DEP_1) | instskip(SKIP_2) | instid1(VALU_DEP_2)
	v_add3_u32 v142, v142, v124, v127
	v_and_b32_e32 v124, 15, v161
	v_and_b32_e32 v127, 15, v162
	v_mul_i32_i24_e32 v124, v124, v88
	s_delay_alu instid0(VALU_DEP_2) | instskip(NEXT) | instid1(VALU_DEP_1)
	v_mul_i32_i24_e32 v127, v127, v84
	v_add3_u32 v141, v141, v124, v127
	v_bfe_u32 v124, v150, 20, 4
	v_lshrrev_b32_e32 v127, 28, v150
	s_delay_alu instid0(VALU_DEP_2) | instskip(NEXT) | instid1(VALU_DEP_2)
	v_mul_i32_i24_e32 v124, v130, v124
	v_mul_i32_i24_e32 v127, v129, v127
	s_delay_alu instid0(VALU_DEP_1) | instskip(SKIP_2) | instid1(VALU_DEP_2)
	v_add3_u32 v138, v138, v124, v127
	v_bfe_u32 v124, v154, 20, 4
	v_lshrrev_b32_e32 v127, 28, v154
	v_mul_i32_i24_e32 v124, v130, v124
	s_delay_alu instid0(VALU_DEP_2) | instskip(NEXT) | instid1(VALU_DEP_1)
	v_mul_i32_i24_e32 v127, v129, v127
	v_add3_u32 v130, v133, v124, v127
	v_bfe_u32 v124, v2, 4, 4
	v_bfe_i32 v133, v126, 0, 8
	v_bfe_u32 v126, v2, 12, 4
	v_lshrrev_b32_e32 v127, 4, v157
	s_delay_alu instid0(VALU_DEP_4) | instskip(NEXT) | instid1(VALU_DEP_3)
	v_mul_i32_i24_e32 v124, v123, v124
	v_mul_i32_i24_e32 v126, v133, v126
	s_delay_alu instid0(VALU_DEP_3) | instskip(NEXT) | instid1(VALU_DEP_2)
	v_lshrrev_b16 v127, 8, v127
	v_add3_u32 v1, v1, v124, v126
	v_lshrrev_b32_e32 v124, 4, v151
	v_lshrrev_b32_e32 v126, 4, v152
	s_delay_alu instid0(VALU_DEP_4) | instskip(NEXT) | instid1(VALU_DEP_3)
	v_and_b32_e32 v127, 15, v127
	v_lshrrev_b16 v124, 8, v124
	s_delay_alu instid0(VALU_DEP_3) | instskip(NEXT) | instid1(VALU_DEP_3)
	v_lshrrev_b16 v126, 8, v126
	v_and_b32_e32 v127, 0xffff, v127
	s_delay_alu instid0(VALU_DEP_3) | instskip(NEXT) | instid1(VALU_DEP_3)
	v_and_b32_e32 v124, 15, v124
	v_and_b32_e32 v126, 15, v126
	s_delay_alu instid0(VALU_DEP_3) | instskip(NEXT) | instid1(VALU_DEP_3)
	v_mul_i32_i24_e32 v127, v127, v133
	v_and_b32_e32 v124, 0xffff, v124
	s_delay_alu instid0(VALU_DEP_3) | instskip(NEXT) | instid1(VALU_DEP_2)
	v_and_b32_e32 v126, 0xffff, v126
	v_mul_i32_i24_e32 v124, v124, v163
	s_delay_alu instid0(VALU_DEP_2) | instskip(NEXT) | instid1(VALU_DEP_1)
	v_mul_i32_i24_e32 v126, v126, v134
	v_add3_u32 v134, v124, v126, v127
	v_lshrrev_b32_e32 v124, 28, v161
	v_lshrrev_b32_e32 v126, 28, v162
	s_delay_alu instid0(VALU_DEP_2) | instskip(NEXT) | instid1(VALU_DEP_2)
	v_mul_i32_i24_e32 v124, v124, v89
	v_mul_i32_i24_e32 v126, v126, v82
	s_delay_alu instid0(VALU_DEP_1) | instskip(SKIP_2) | instid1(VALU_DEP_2)
	v_add3_u32 v136, v136, v124, v126
	v_bfe_u32 v124, v161, 20, 4
	v_bfe_u32 v126, v162, 20, 4
	v_mul_i32_i24_e32 v124, v124, v90
	s_delay_alu instid0(VALU_DEP_2) | instskip(NEXT) | instid1(VALU_DEP_1)
	v_mul_i32_i24_e32 v126, v126, v83
	v_add3_u32 v149, v149, v124, v126
	v_bfe_u32 v124, v161, 4, 4
	v_bfe_u32 v126, v162, 4, 4
	s_delay_alu instid0(VALU_DEP_2) | instskip(NEXT) | instid1(VALU_DEP_2)
	v_mul_i32_i24_e32 v124, v124, v93
	v_mul_i32_i24_e32 v126, v126, v87
	s_delay_alu instid0(VALU_DEP_1) | instskip(SKIP_2) | instid1(VALU_DEP_2)
	v_add3_u32 v140, v140, v124, v126
	v_bfe_u32 v124, v2, 16, 4
	v_bfe_u32 v126, v2, 24, 4
	v_mul_i32_i24_e32 v124, v113, v124
	s_delay_alu instid0(VALU_DEP_2) | instskip(NEXT) | instid1(VALU_DEP_1)
	v_mul_i32_i24_e32 v126, v111, v126
	v_add3_u32 v150, v125, v124, v126
	v_add_nc_u32_e32 v124, 0x1088, v79
	v_add_nc_u32_e32 v126, 0x1090, v79
	ds_load_2addr_b32 v[124:125], v124 offset1:1
	ds_load_2addr_b32 v[126:127], v126 offset1:1
	;; [unrolled: 1-line block ×3, first 2 shown]
	s_wait_dscnt 0x2
	v_and_b32_e32 v151, 15, v124
	v_bfe_u32 v152, v124, 8, 4
	s_delay_alu instid0(VALU_DEP_2) | instskip(NEXT) | instid1(VALU_DEP_2)
	v_mul_i32_i24_e32 v151, v118, v151
	v_mul_i32_i24_e32 v152, v131, v152
	s_delay_alu instid0(VALU_DEP_1) | instskip(SKIP_1) | instid1(VALU_DEP_1)
	v_add3_u32 v151, v153, v152, v151
	v_and_b32_e32 v152, 15, v155
	v_mul_i32_i24_e32 v118, v118, v152
	v_bfe_u32 v152, v155, 8, 4
	s_delay_alu instid0(VALU_DEP_1) | instskip(NEXT) | instid1(VALU_DEP_1)
	v_mul_i32_i24_e32 v131, v131, v152
	v_add3_u32 v118, v132, v131, v118
	v_and_b32_e32 v131, 0xf0f0f0f, v160
	v_and_b32_e32 v132, 0xf0f0f0f, v161
	s_delay_alu instid0(VALU_DEP_2) | instskip(NEXT) | instid1(VALU_DEP_2)
	v_lshrrev_b16 v131, 8, v131
	v_lshrrev_b16 v132, 8, v132
	s_delay_alu instid0(VALU_DEP_2) | instskip(NEXT) | instid1(VALU_DEP_2)
	v_and_b32_e32 v131, 0xffff, v131
	v_and_b32_e32 v132, 0xffff, v132
	s_delay_alu instid0(VALU_DEP_2) | instskip(NEXT) | instid1(VALU_DEP_2)
	v_mul_i32_i24_e32 v131, v131, v119
	v_mul_i32_i24_e32 v132, v132, v120
	s_delay_alu instid0(VALU_DEP_1) | instskip(SKIP_2) | instid1(VALU_DEP_2)
	v_add3_u32 v131, v135, v131, v132
	v_bfe_u32 v132, v2, 20, 4
	v_lshrrev_b32_e32 v2, 28, v2
	v_mul_i32_i24_e32 v132, v117, v132
	s_delay_alu instid0(VALU_DEP_2) | instskip(NEXT) | instid1(VALU_DEP_1)
	v_mul_i32_i24_e32 v2, v116, v2
	v_add3_u32 v1, v1, v132, v2
	v_bfe_u32 v2, v124, 4, 4
	v_bfe_u32 v132, v124, 12, 4
	s_delay_alu instid0(VALU_DEP_2) | instskip(NEXT) | instid1(VALU_DEP_2)
	v_mul_i32_i24_e32 v2, v123, v2
	v_mul_i32_i24_e32 v132, v133, v132
	s_delay_alu instid0(VALU_DEP_1) | instskip(SKIP_1) | instid1(VALU_DEP_1)
	v_add3_u32 v2, v138, v2, v132
	v_bfe_u32 v132, v155, 4, 4
	v_mul_i32_i24_e32 v123, v123, v132
	v_bfe_u32 v132, v155, 12, 4
	s_delay_alu instid0(VALU_DEP_1) | instskip(SKIP_1) | instid1(VALU_DEP_2)
	v_mul_i32_i24_e32 v132, v133, v132
	v_bfe_u32 v133, v124, 24, 4
	v_add3_u32 v123, v130, v123, v132
	v_lshrrev_b32_e32 v130, 4, v158
	v_lshrrev_b32_e32 v132, 4, v159
	s_delay_alu instid0(VALU_DEP_4) | instskip(NEXT) | instid1(VALU_DEP_3)
	v_mul_i32_i24_e32 v133, v111, v133
	v_lshrrev_b16 v130, 8, v130
	s_delay_alu instid0(VALU_DEP_3) | instskip(NEXT) | instid1(VALU_DEP_2)
	v_lshrrev_b16 v132, 8, v132
	v_and_b32_e32 v130, 15, v130
	s_delay_alu instid0(VALU_DEP_2) | instskip(NEXT) | instid1(VALU_DEP_2)
	v_and_b32_e32 v132, 15, v132
	v_and_b32_e32 v130, 0xffff, v130
	s_delay_alu instid0(VALU_DEP_2) | instskip(NEXT) | instid1(VALU_DEP_2)
	v_and_b32_e32 v132, 0xffff, v132
	v_mul_i32_i24_e32 v130, v130, v121
	s_delay_alu instid0(VALU_DEP_2) | instskip(NEXT) | instid1(VALU_DEP_1)
	v_mul_i32_i24_e32 v132, v132, v122
	v_add3_u32 v130, v134, v130, v132
	v_bfe_u32 v132, v124, 16, 4
	s_delay_alu instid0(VALU_DEP_1) | instskip(NEXT) | instid1(VALU_DEP_1)
	v_mul_i32_i24_e32 v132, v113, v132
	v_add3_u32 v132, v151, v132, v133
	v_bfe_u32 v133, v155, 16, 4
	s_delay_alu instid0(VALU_DEP_1) | instskip(SKIP_1) | instid1(VALU_DEP_1)
	v_mul_i32_i24_e32 v113, v113, v133
	v_bfe_u32 v133, v155, 24, 4
	v_mul_i32_i24_e32 v111, v111, v133
	s_delay_alu instid0(VALU_DEP_1) | instskip(SKIP_2) | instid1(VALU_DEP_2)
	v_add3_u32 v111, v118, v113, v111
	v_and_b32_e32 v113, 15, v3
	v_bfe_u32 v118, v3, 8, 4
	v_mul_i32_i24_e32 v113, v107, v113
	s_delay_alu instid0(VALU_DEP_2) | instskip(NEXT) | instid1(VALU_DEP_1)
	v_mul_i32_i24_e32 v118, v139, v118
	v_add3_u32 v113, v150, v118, v113
	v_and_b32_e32 v118, 0xf0f0f0f, v162
	s_delay_alu instid0(VALU_DEP_1) | instskip(NEXT) | instid1(VALU_DEP_1)
	v_lshrrev_b16 v118, 8, v118
	v_and_b32_e32 v118, 0xffff, v118
	s_delay_alu instid0(VALU_DEP_1) | instskip(NEXT) | instid1(VALU_DEP_1)
	v_mul_i32_i24_e32 v118, v118, v112
	v_add3_u32 v118, v131, v118, v137
	v_bfe_u32 v131, v124, 20, 4
	v_lshrrev_b32_e32 v124, 28, v124
	s_delay_alu instid0(VALU_DEP_2) | instskip(NEXT) | instid1(VALU_DEP_2)
	v_mul_i32_i24_e32 v131, v117, v131
	v_mul_i32_i24_e32 v124, v116, v124
	s_delay_alu instid0(VALU_DEP_1) | instskip(SKIP_1) | instid1(VALU_DEP_1)
	v_add3_u32 v2, v2, v131, v124
	v_bfe_u32 v124, v155, 20, 4
	v_mul_i32_i24_e32 v117, v117, v124
	v_lshrrev_b32_e32 v124, 28, v155
	s_delay_alu instid0(VALU_DEP_1) | instskip(SKIP_1) | instid1(VALU_DEP_2)
	v_mul_i32_i24_e32 v116, v116, v124
	v_bfe_u32 v124, v3, 24, 4
	v_add3_u32 v116, v123, v117, v116
	v_bfe_u32 v117, v3, 4, 4
	v_bfe_u32 v123, v3, 12, 4
	s_delay_alu instid0(VALU_DEP_4) | instskip(NEXT) | instid1(VALU_DEP_3)
	v_mul_i32_i24_e32 v124, v103, v124
	v_mul_i32_i24_e32 v117, v110, v117
	s_delay_alu instid0(VALU_DEP_3) | instskip(NEXT) | instid1(VALU_DEP_1)
	v_mul_i32_i24_e32 v123, v121, v123
	v_add3_u32 v1, v1, v117, v123
	v_lshrrev_b32_e32 v117, 4, v160
	v_lshrrev_b32_e32 v123, 4, v161
	s_delay_alu instid0(VALU_DEP_2) | instskip(NEXT) | instid1(VALU_DEP_2)
	v_lshrrev_b16 v117, 8, v117
	v_lshrrev_b16 v123, 8, v123
	s_delay_alu instid0(VALU_DEP_2) | instskip(NEXT) | instid1(VALU_DEP_2)
	v_and_b32_e32 v117, 15, v117
	v_and_b32_e32 v123, 15, v123
	s_delay_alu instid0(VALU_DEP_2) | instskip(NEXT) | instid1(VALU_DEP_2)
	v_and_b32_e32 v117, 0xffff, v117
	v_and_b32_e32 v123, 0xffff, v123
	s_delay_alu instid0(VALU_DEP_2) | instskip(NEXT) | instid1(VALU_DEP_2)
	v_mul_i32_i24_e32 v117, v117, v114
	v_mul_i32_i24_e32 v123, v123, v115
	s_delay_alu instid0(VALU_DEP_1) | instskip(SKIP_1) | instid1(VALU_DEP_1)
	v_add3_u32 v117, v130, v117, v123
	v_bfe_u32 v123, v3, 16, 4
	v_mul_i32_i24_e32 v123, v104, v123
	s_delay_alu instid0(VALU_DEP_1) | instskip(SKIP_2) | instid1(VALU_DEP_2)
	v_add3_u32 v113, v113, v123, v124
	v_and_b32_e32 v123, 15, v125
	v_bfe_u32 v124, v125, 8, 4
	v_mul_i32_i24_e32 v123, v107, v123
	s_delay_alu instid0(VALU_DEP_2) | instskip(NEXT) | instid1(VALU_DEP_1)
	v_mul_i32_i24_e32 v124, v139, v124
	v_add3_u32 v123, v132, v124, v123
	v_and_b32_e32 v124, 15, v156
	s_delay_alu instid0(VALU_DEP_1) | instskip(SKIP_1) | instid1(VALU_DEP_1)
	v_mul_i32_i24_e32 v107, v107, v124
	v_bfe_u32 v124, v156, 8, 4
	v_mul_i32_i24_e32 v124, v139, v124
	s_delay_alu instid0(VALU_DEP_1) | instskip(SKIP_3) | instid1(VALU_DEP_2)
	v_add3_u32 v107, v111, v124, v107
	v_add3_u32 v111, v141, v142, v118
	v_bfe_u32 v118, v3, 20, 4
	v_lshrrev_b32_e32 v3, 28, v3
	v_mul_i32_i24_e32 v118, v108, v118
	s_delay_alu instid0(VALU_DEP_2) | instskip(NEXT) | instid1(VALU_DEP_1)
	v_mul_i32_i24_e32 v3, v106, v3
	v_add3_u32 v1, v1, v118, v3
	v_bfe_u32 v3, v125, 4, 4
	v_bfe_u32 v118, v125, 12, 4
	s_delay_alu instid0(VALU_DEP_2) | instskip(NEXT) | instid1(VALU_DEP_2)
	v_mul_i32_i24_e32 v3, v110, v3
	v_mul_i32_i24_e32 v118, v121, v118
	s_delay_alu instid0(VALU_DEP_1) | instskip(SKIP_1) | instid1(VALU_DEP_1)
	v_add3_u32 v2, v2, v3, v118
	v_bfe_u32 v3, v156, 4, 4
	v_mul_i32_i24_e32 v3, v110, v3
	v_bfe_u32 v110, v156, 12, 4
	s_delay_alu instid0(VALU_DEP_1) | instskip(NEXT) | instid1(VALU_DEP_1)
	v_mul_i32_i24_e32 v110, v121, v110
	v_add3_u32 v3, v116, v3, v110
	v_lshrrev_b32_e32 v110, 4, v162
	v_bfe_u32 v116, v125, 16, 4
	s_delay_alu instid0(VALU_DEP_2) | instskip(NEXT) | instid1(VALU_DEP_2)
	v_lshrrev_b16 v110, 8, v110
	v_mul_i32_i24_e32 v116, v104, v116
	s_delay_alu instid0(VALU_DEP_2) | instskip(NEXT) | instid1(VALU_DEP_1)
	v_and_b32_e32 v110, 15, v110
	v_and_b32_e32 v110, 0xffff, v110
	s_delay_alu instid0(VALU_DEP_1) | instskip(NEXT) | instid1(VALU_DEP_1)
	v_mul_i32_i24_e32 v110, v110, v109
	v_add3_u32 v110, v117, v110, v136
	v_bfe_u32 v117, v125, 24, 4
	s_delay_alu instid0(VALU_DEP_1) | instskip(NEXT) | instid1(VALU_DEP_1)
	v_mul_i32_i24_e32 v117, v103, v117
	v_add3_u32 v116, v123, v116, v117
	v_bfe_u32 v117, v156, 16, 4
	s_delay_alu instid0(VALU_DEP_1) | instskip(SKIP_1) | instid1(VALU_DEP_1)
	v_mul_i32_i24_e32 v104, v104, v117
	v_bfe_u32 v117, v156, 24, 4
	v_mul_i32_i24_e32 v103, v103, v117
	s_delay_alu instid0(VALU_DEP_1) | instskip(SKIP_2) | instid1(VALU_DEP_2)
	v_add3_u32 v103, v107, v104, v103
	v_and_b32_e32 v104, 15, v7
	v_bfe_u32 v107, v7, 8, 4
	v_mul_i32_i24_e32 v104, v100, v104
	s_delay_alu instid0(VALU_DEP_2) | instskip(NEXT) | instid1(VALU_DEP_1)
	v_mul_i32_i24_e32 v107, v164, v107
	v_add3_u32 v104, v113, v107, v104
	v_bfe_u32 v107, v125, 20, 4
	v_lshrrev_b32_e32 v113, 28, v125
	s_delay_alu instid0(VALU_DEP_2) | instskip(NEXT) | instid1(VALU_DEP_2)
	v_mul_i32_i24_e32 v107, v108, v107
	v_mul_i32_i24_e32 v113, v106, v113
	s_delay_alu instid0(VALU_DEP_1) | instskip(SKIP_2) | instid1(VALU_DEP_2)
	v_add3_u32 v2, v2, v107, v113
	v_bfe_u32 v107, v156, 20, 4
	v_lshrrev_b32_e32 v113, 28, v156
	v_mul_i32_i24_e32 v107, v108, v107
	s_delay_alu instid0(VALU_DEP_2) | instskip(SKIP_1) | instid1(VALU_DEP_2)
	v_mul_i32_i24_e32 v106, v106, v113
	v_bfe_u32 v108, v7, 24, 4
	v_add3_u32 v3, v3, v107, v106
	v_bfe_u32 v106, v7, 4, 4
	v_bfe_u32 v107, v7, 12, 4
	s_delay_alu instid0(VALU_DEP_4) | instskip(NEXT) | instid1(VALU_DEP_3)
	v_mul_i32_i24_e32 v108, v97, v108
	v_mul_i32_i24_e32 v106, v105, v106
	s_delay_alu instid0(VALU_DEP_3) | instskip(NEXT) | instid1(VALU_DEP_1)
	v_mul_i32_i24_e32 v107, v122, v107
	v_add3_u32 v1, v1, v106, v107
	v_bfe_u32 v107, v7, 16, 4
	v_add3_u32 v106, v140, v149, v110
	s_delay_alu instid0(VALU_DEP_2) | instskip(NEXT) | instid1(VALU_DEP_1)
	v_mul_i32_i24_e32 v107, v98, v107
	v_add3_u32 v104, v104, v107, v108
	s_wait_dscnt 0x1
	v_and_b32_e32 v107, 15, v126
	v_bfe_u32 v108, v126, 8, 4
	s_delay_alu instid0(VALU_DEP_2) | instskip(NEXT) | instid1(VALU_DEP_2)
	v_mul_i32_i24_e32 v107, v100, v107
	v_mul_i32_i24_e32 v108, v164, v108
	s_delay_alu instid0(VALU_DEP_1) | instskip(SKIP_1) | instid1(VALU_DEP_1)
	v_add3_u32 v107, v116, v108, v107
	v_and_b32_e32 v108, 15, v11
	v_mul_i32_i24_e32 v100, v100, v108
	v_bfe_u32 v108, v11, 8, 4
	s_delay_alu instid0(VALU_DEP_1) | instskip(NEXT) | instid1(VALU_DEP_1)
	v_mul_i32_i24_e32 v108, v164, v108
	v_add3_u32 v100, v103, v108, v100
	v_bfe_u32 v103, v7, 20, 4
	v_lshrrev_b32_e32 v7, 28, v7
	s_delay_alu instid0(VALU_DEP_2) | instskip(NEXT) | instid1(VALU_DEP_2)
	v_mul_i32_i24_e32 v103, v102, v103
	v_mul_i32_i24_e32 v7, v101, v7
	s_delay_alu instid0(VALU_DEP_1) | instskip(SKIP_2) | instid1(VALU_DEP_2)
	v_add3_u32 v1, v1, v103, v7
	v_bfe_u32 v7, v126, 4, 4
	v_bfe_u32 v103, v126, 12, 4
	v_mul_i32_i24_e32 v7, v105, v7
	s_delay_alu instid0(VALU_DEP_2) | instskip(NEXT) | instid1(VALU_DEP_1)
	v_mul_i32_i24_e32 v103, v122, v103
	v_add3_u32 v2, v2, v7, v103
	v_bfe_u32 v7, v11, 4, 4
	v_bfe_u32 v103, v11, 12, 4
	s_delay_alu instid0(VALU_DEP_2) | instskip(NEXT) | instid1(VALU_DEP_2)
	v_mul_i32_i24_e32 v7, v105, v7
	v_mul_i32_i24_e32 v103, v122, v103
	s_delay_alu instid0(VALU_DEP_1) | instskip(SKIP_2) | instid1(VALU_DEP_2)
	v_add3_u32 v3, v3, v7, v103
	v_bfe_u32 v7, v126, 16, 4
	v_bfe_u32 v103, v126, 24, 4
	v_mul_i32_i24_e32 v7, v98, v7
	s_delay_alu instid0(VALU_DEP_2) | instskip(NEXT) | instid1(VALU_DEP_1)
	v_mul_i32_i24_e32 v103, v97, v103
	v_add3_u32 v7, v107, v7, v103
	v_bfe_u32 v103, v11, 16, 4
	s_delay_alu instid0(VALU_DEP_1) | instskip(SKIP_1) | instid1(VALU_DEP_1)
	v_mul_i32_i24_e32 v98, v98, v103
	v_bfe_u32 v103, v11, 24, 4
	v_mul_i32_i24_e32 v97, v97, v103
	v_lshrrev_b32_e32 v103, 28, v126
	s_delay_alu instid0(VALU_DEP_2) | instskip(SKIP_2) | instid1(VALU_DEP_4)
	v_add3_u32 v97, v100, v98, v97
	v_and_b32_e32 v98, 15, v8
	v_bfe_u32 v100, v8, 8, 4
	v_mul_i32_i24_e32 v103, v101, v103
	s_delay_alu instid0(VALU_DEP_3) | instskip(NEXT) | instid1(VALU_DEP_3)
	v_mul_i32_i24_e32 v98, v94, v98
	v_mul_i32_i24_e32 v100, v119, v100
	s_delay_alu instid0(VALU_DEP_1) | instskip(SKIP_1) | instid1(VALU_DEP_1)
	v_add3_u32 v98, v104, v100, v98
	v_bfe_u32 v100, v126, 20, 4
	v_mul_i32_i24_e32 v100, v102, v100
	s_delay_alu instid0(VALU_DEP_1) | instskip(SKIP_2) | instid1(VALU_DEP_2)
	v_add3_u32 v2, v2, v100, v103
	v_bfe_u32 v100, v11, 20, 4
	v_lshrrev_b32_e32 v11, 28, v11
	v_mul_i32_i24_e32 v100, v102, v100
	s_delay_alu instid0(VALU_DEP_2) | instskip(NEXT) | instid1(VALU_DEP_1)
	v_mul_i32_i24_e32 v11, v101, v11
	v_add3_u32 v3, v3, v100, v11
	v_bfe_u32 v11, v8, 4, 4
	v_bfe_u32 v100, v8, 12, 4
	s_delay_alu instid0(VALU_DEP_2) | instskip(NEXT) | instid1(VALU_DEP_2)
	v_mul_i32_i24_e32 v11, v99, v11
	v_mul_i32_i24_e32 v100, v114, v100
	s_delay_alu instid0(VALU_DEP_1) | instskip(SKIP_2) | instid1(VALU_DEP_2)
	v_add3_u32 v1, v1, v11, v100
	v_bfe_u32 v11, v8, 16, 4
	v_bfe_u32 v100, v8, 24, 4
	v_mul_i32_i24_e32 v11, v92, v11
	s_delay_alu instid0(VALU_DEP_2) | instskip(NEXT) | instid1(VALU_DEP_1)
	v_mul_i32_i24_e32 v100, v91, v100
	v_add3_u32 v11, v98, v11, v100
	v_and_b32_e32 v98, 15, v127
	v_bfe_u32 v100, v127, 8, 4
	s_delay_alu instid0(VALU_DEP_2) | instskip(NEXT) | instid1(VALU_DEP_2)
	v_mul_i32_i24_e32 v98, v94, v98
	v_mul_i32_i24_e32 v100, v119, v100
	s_delay_alu instid0(VALU_DEP_1) | instskip(SKIP_1) | instid1(VALU_DEP_1)
	v_add3_u32 v7, v7, v100, v98
	v_and_b32_e32 v98, 15, v12
	v_mul_i32_i24_e32 v94, v94, v98
	v_bfe_u32 v98, v12, 8, 4
	s_delay_alu instid0(VALU_DEP_1) | instskip(NEXT) | instid1(VALU_DEP_1)
	v_mul_i32_i24_e32 v98, v119, v98
	v_add3_u32 v94, v97, v98, v94
	v_bfe_u32 v97, v8, 20, 4
	v_lshrrev_b32_e32 v8, 28, v8
	s_delay_alu instid0(VALU_DEP_2) | instskip(NEXT) | instid1(VALU_DEP_2)
	v_mul_i32_i24_e32 v97, v96, v97
	v_mul_i32_i24_e32 v8, v95, v8
	s_delay_alu instid0(VALU_DEP_1) | instskip(SKIP_2) | instid1(VALU_DEP_2)
	v_add3_u32 v8, v1, v97, v8
	v_bfe_u32 v1, v127, 4, 4
	v_bfe_u32 v97, v127, 12, 4
	v_mul_i32_i24_e32 v1, v99, v1
	s_delay_alu instid0(VALU_DEP_2) | instskip(NEXT) | instid1(VALU_DEP_1)
	v_mul_i32_i24_e32 v97, v114, v97
	v_add3_u32 v97, v2, v1, v97
	v_bfe_u32 v1, v12, 4, 4
	v_bfe_u32 v2, v12, 12, 4
	s_delay_alu instid0(VALU_DEP_2) | instskip(NEXT) | instid1(VALU_DEP_2)
	v_mul_i32_i24_e32 v1, v99, v1
	v_mul_i32_i24_e32 v2, v114, v2
	s_delay_alu instid0(VALU_DEP_1) | instskip(SKIP_2) | instid1(VALU_DEP_2)
	v_add3_u32 v3, v3, v1, v2
	v_bfe_u32 v1, v127, 16, 4
	v_bfe_u32 v2, v127, 24, 4
	v_mul_i32_i24_e32 v1, v92, v1
	s_delay_alu instid0(VALU_DEP_2) | instskip(NEXT) | instid1(VALU_DEP_1)
	v_mul_i32_i24_e32 v2, v91, v2
	v_add3_u32 v7, v7, v1, v2
	ds_load_2addr_b32 v[1:2], v79 offset0:6 offset1:7
	s_wait_dscnt 0x0
	v_and_b32_e32 v98, 15, v1
	v_bfe_u32 v99, v1, 8, 4
	s_delay_alu instid0(VALU_DEP_2) | instskip(NEXT) | instid1(VALU_DEP_2)
	v_mul_i32_i24_e32 v98, v88, v98
	v_mul_i32_i24_e32 v99, v120, v99
	s_delay_alu instid0(VALU_DEP_1) | instskip(SKIP_1) | instid1(VALU_DEP_1)
	v_add3_u32 v11, v11, v99, v98
	v_bfe_u32 v98, v12, 16, 4
	v_mul_i32_i24_e32 v92, v92, v98
	v_bfe_u32 v98, v12, 24, 4
	s_delay_alu instid0(VALU_DEP_1) | instskip(NEXT) | instid1(VALU_DEP_1)
	v_mul_i32_i24_e32 v91, v91, v98
	v_add3_u32 v91, v94, v92, v91
	v_bfe_u32 v92, v127, 20, 4
	v_lshrrev_b32_e32 v94, 28, v127
	s_delay_alu instid0(VALU_DEP_2) | instskip(NEXT) | instid1(VALU_DEP_2)
	v_mul_i32_i24_e32 v92, v96, v92
	v_mul_i32_i24_e32 v94, v95, v94
	s_delay_alu instid0(VALU_DEP_1) | instskip(SKIP_2) | instid1(VALU_DEP_2)
	v_add3_u32 v92, v97, v92, v94
	v_bfe_u32 v94, v1, 4, 4
	v_bfe_u32 v97, v1, 12, 4
	v_mul_i32_i24_e32 v94, v93, v94
	s_delay_alu instid0(VALU_DEP_2) | instskip(NEXT) | instid1(VALU_DEP_1)
	v_mul_i32_i24_e32 v97, v115, v97
	v_add3_u32 v94, v8, v94, v97
	v_bfe_u32 v8, v12, 20, 4
	v_lshrrev_b32_e32 v12, 28, v12
	s_delay_alu instid0(VALU_DEP_2) | instskip(NEXT) | instid1(VALU_DEP_2)
	v_mul_i32_i24_e32 v8, v96, v8
	v_mul_i32_i24_e32 v12, v95, v12
	s_delay_alu instid0(VALU_DEP_1) | instskip(SKIP_2) | instid1(VALU_DEP_2)
	v_add3_u32 v3, v3, v8, v12
	v_bfe_u32 v8, v1, 16, 4
	v_bfe_u32 v12, v1, 24, 4
	v_mul_i32_i24_e32 v8, v86, v8
	s_delay_alu instid0(VALU_DEP_2) | instskip(NEXT) | instid1(VALU_DEP_1)
	v_mul_i32_i24_e32 v12, v85, v12
	v_add3_u32 v11, v11, v8, v12
	v_and_b32_e32 v8, 15, v128
	v_bfe_u32 v12, v128, 8, 4
	s_delay_alu instid0(VALU_DEP_2) | instskip(NEXT) | instid1(VALU_DEP_2)
	v_mul_i32_i24_e32 v8, v88, v8
	v_mul_i32_i24_e32 v12, v120, v12
	s_delay_alu instid0(VALU_DEP_1)
	v_add3_u32 v12, v7, v12, v8
	v_add_nc_u32_e32 v7, 0x2118, v79
	v_add_nc_u32_e32 v79, 32, v79
	ds_load_2addr_b32 v[7:8], v7 offset1:1
	s_wait_dscnt 0x0
	v_and_b32_e32 v95, 15, v7
	s_delay_alu instid0(VALU_DEP_1) | instskip(SKIP_1) | instid1(VALU_DEP_1)
	v_mul_i32_i24_e32 v88, v88, v95
	v_bfe_u32 v95, v7, 8, 4
	v_mul_i32_i24_e32 v95, v120, v95
	s_delay_alu instid0(VALU_DEP_1) | instskip(SKIP_2) | instid1(VALU_DEP_2)
	v_add3_u32 v88, v91, v95, v88
	v_bfe_u32 v91, v1, 20, 4
	v_lshrrev_b32_e32 v1, 28, v1
	v_mul_i32_i24_e32 v91, v90, v91
	s_delay_alu instid0(VALU_DEP_2) | instskip(NEXT) | instid1(VALU_DEP_1)
	v_mul_i32_i24_e32 v1, v89, v1
	v_add3_u32 v1, v94, v91, v1
	v_bfe_u32 v91, v128, 4, 4
	v_bfe_u32 v94, v128, 12, 4
	s_delay_alu instid0(VALU_DEP_2) | instskip(NEXT) | instid1(VALU_DEP_2)
	v_mul_i32_i24_e32 v91, v93, v91
	v_mul_i32_i24_e32 v94, v115, v94
	s_delay_alu instid0(VALU_DEP_1) | instskip(SKIP_1) | instid1(VALU_DEP_1)
	v_add3_u32 v91, v92, v91, v94
	v_bfe_u32 v92, v7, 4, 4
	v_mul_i32_i24_e32 v92, v93, v92
	v_bfe_u32 v93, v7, 12, 4
	s_delay_alu instid0(VALU_DEP_1) | instskip(NEXT) | instid1(VALU_DEP_1)
	v_mul_i32_i24_e32 v93, v115, v93
	v_add3_u32 v3, v3, v92, v93
	v_bfe_u32 v92, v128, 16, 4
	v_bfe_u32 v93, v128, 24, 4
	s_delay_alu instid0(VALU_DEP_2) | instskip(NEXT) | instid1(VALU_DEP_2)
	v_mul_i32_i24_e32 v92, v86, v92
	v_mul_i32_i24_e32 v93, v85, v93
	s_delay_alu instid0(VALU_DEP_1) | instskip(SKIP_2) | instid1(VALU_DEP_2)
	v_add3_u32 v12, v12, v92, v93
	v_and_b32_e32 v92, 15, v2
	v_bfe_u32 v93, v2, 8, 4
	v_mul_i32_i24_e32 v92, v84, v92
	s_delay_alu instid0(VALU_DEP_2) | instskip(NEXT) | instid1(VALU_DEP_1)
	v_mul_i32_i24_e32 v93, v112, v93
	v_add3_u32 v11, v11, v93, v92
	v_bfe_u32 v92, v7, 16, 4
	s_delay_alu instid0(VALU_DEP_1) | instskip(SKIP_1) | instid1(VALU_DEP_1)
	v_mul_i32_i24_e32 v86, v86, v92
	v_bfe_u32 v92, v7, 24, 4
	v_mul_i32_i24_e32 v85, v85, v92
	s_delay_alu instid0(VALU_DEP_1) | instskip(SKIP_2) | instid1(VALU_DEP_2)
	v_add3_u32 v85, v88, v86, v85
	v_bfe_u32 v86, v128, 20, 4
	v_lshrrev_b32_e32 v88, 28, v128
	v_mul_i32_i24_e32 v86, v90, v86
	s_delay_alu instid0(VALU_DEP_2) | instskip(NEXT) | instid1(VALU_DEP_1)
	v_mul_i32_i24_e32 v88, v89, v88
	v_add3_u32 v86, v91, v86, v88
	v_bfe_u32 v88, v2, 4, 4
	v_bfe_u32 v91, v2, 12, 4
	s_delay_alu instid0(VALU_DEP_2) | instskip(NEXT) | instid1(VALU_DEP_2)
	v_mul_i32_i24_e32 v88, v87, v88
	v_mul_i32_i24_e32 v91, v109, v91
	s_delay_alu instid0(VALU_DEP_1) | instskip(SKIP_2) | instid1(VALU_DEP_2)
	v_add3_u32 v1, v1, v88, v91
	v_bfe_u32 v88, v7, 20, 4
	v_lshrrev_b32_e32 v7, 28, v7
	v_mul_i32_i24_e32 v88, v90, v88
	s_delay_alu instid0(VALU_DEP_2) | instskip(SKIP_2) | instid1(VALU_DEP_3)
	v_mul_i32_i24_e32 v7, v89, v7
	v_cvt_f32_ubyte1_e32 v89, v147
	v_cvt_f32_ubyte1_e32 v90, v145
	v_add3_u32 v3, v3, v88, v7
	v_bfe_u32 v7, v2, 16, 4
	v_bfe_u32 v88, v2, 24, 4
	s_delay_alu instid0(VALU_DEP_2) | instskip(NEXT) | instid1(VALU_DEP_2)
	v_mul_i32_i24_e32 v7, v81, v7
	v_mul_i32_i24_e32 v88, v80, v88
	s_delay_alu instid0(VALU_DEP_1) | instskip(SKIP_2) | instid1(VALU_DEP_2)
	v_add3_u32 v7, v11, v7, v88
	v_and_b32_e32 v11, 15, v129
	v_bfe_u32 v88, v129, 8, 4
	v_mul_i32_i24_e32 v11, v84, v11
	s_delay_alu instid0(VALU_DEP_2) | instskip(NEXT) | instid1(VALU_DEP_1)
	v_mul_i32_i24_e32 v88, v112, v88
	v_add3_u32 v11, v12, v88, v11
	v_and_b32_e32 v12, 15, v8
	s_delay_alu instid0(VALU_DEP_1) | instskip(SKIP_1) | instid1(VALU_DEP_1)
	v_mul_i32_i24_e32 v12, v84, v12
	v_bfe_u32 v84, v8, 8, 4
	v_mul_i32_i24_e32 v84, v112, v84
	s_delay_alu instid0(VALU_DEP_1) | instskip(SKIP_3) | instid1(VALU_DEP_3)
	v_add3_u32 v12, v85, v84, v12
	v_bfe_u32 v84, v2, 20, 4
	v_lshrrev_b32_e32 v2, 28, v2
	v_bfe_u32 v85, v8, 12, 4
	v_mul_i32_i24_e32 v84, v83, v84
	s_delay_alu instid0(VALU_DEP_3) | instskip(NEXT) | instid1(VALU_DEP_3)
	v_mul_i32_i24_e32 v2, v82, v2
	v_mul_i32_i24_e32 v85, v109, v85
	s_delay_alu instid0(VALU_DEP_2) | instskip(SKIP_2) | instid1(VALU_DEP_2)
	v_add3_u32 v1, v1, v84, v2
	v_bfe_u32 v2, v129, 4, 4
	v_bfe_u32 v84, v129, 12, 4
	v_mul_i32_i24_e32 v2, v87, v2
	s_delay_alu instid0(VALU_DEP_2) | instskip(NEXT) | instid1(VALU_DEP_1)
	v_mul_i32_i24_e32 v84, v109, v84
	v_add3_u32 v2, v86, v2, v84
	v_bfe_u32 v84, v8, 4, 4
	s_delay_alu instid0(VALU_DEP_1) | instskip(SKIP_1) | instid1(VALU_DEP_2)
	v_mul_i32_i24_e32 v84, v87, v84
	v_bfe_u32 v87, v8, 20, 4
	v_add3_u32 v3, v3, v84, v85
	v_bfe_u32 v84, v129, 16, 4
	v_bfe_u32 v85, v129, 24, 4
	s_delay_alu instid0(VALU_DEP_2) | instskip(NEXT) | instid1(VALU_DEP_2)
	v_mul_i32_i24_e32 v84, v81, v84
	v_mul_i32_i24_e32 v85, v80, v85
	s_delay_alu instid0(VALU_DEP_1) | instskip(SKIP_1) | instid1(VALU_DEP_1)
	v_add3_u32 v11, v11, v84, v85
	v_bfe_u32 v84, v8, 16, 4
	v_mul_i32_i24_e32 v81, v81, v84
	v_bfe_u32 v84, v8, 24, 4
	v_lshrrev_b32_e32 v8, 28, v8
	s_delay_alu instid0(VALU_DEP_2) | instskip(SKIP_1) | instid1(VALU_DEP_3)
	v_mul_i32_i24_e32 v80, v80, v84
	v_lshrrev_b32_e32 v84, 28, v129
	v_mul_i32_i24_e32 v8, v82, v8
	s_delay_alu instid0(VALU_DEP_3) | instskip(SKIP_4) | instid1(VALU_DEP_4)
	v_add3_u32 v12, v12, v81, v80
	v_lshl_or_b32 v80, v52, 2, 0x4200
	v_bfe_u32 v81, v129, 20, 4
	v_mul_i32_i24_e32 v84, v82, v84
	v_cvt_f32_ubyte0_e32 v82, v147
	v_add3_u32 v80, v80, s21, v144
	s_delay_alu instid0(VALU_DEP_4)
	v_mul_i32_i24_e32 v81, v83, v81
	v_mul_i32_i24_e32 v83, v83, v87
	v_cvt_f32_ubyte0_e32 v87, v0
	v_cvt_f32_ubyte1_e32 v0, v0
	v_fma_mix_f32 v82, v9, v82, 0 op_sel:[1,0,0] op_sel_hi:[1,0,0]
	v_add3_u32 v2, v2, v81, v84
	ds_load_u16 v81, v80 offset:8
	ds_load_u16 v84, v148 offset:17920
	;; [unrolled: 1-line block ×4, first 2 shown]
	ds_load_u16 v80, v80
	v_fma_mix_f32 v87, v9, v87, 0 op_sel:[1,0,0] op_sel_hi:[1,0,0]
	v_add3_u32 v3, v3, v83, v8
	v_fma_mix_f32 v82, v10, v89, v82 op_sel:[1,0,0] op_sel_hi:[1,0,0]
	s_add_co_i32 s21, s20, 8
	s_add_co_i32 s20, s20, 16
	v_fma_mix_f32 v0, v10, v0, v87 op_sel:[1,0,0] op_sel_hi:[1,0,0]
	s_wait_alu 0xfffe
	s_cmp_lt_u32 s20, 24
	v_mul_f32_e32 v82, v82, v77
	s_mov_b32 s20, s21
	v_mul_f32_e32 v0, v0, v76
	s_wait_dscnt 0x4
	v_cvt_f32_ubyte0_e32 v88, v81
	v_cvt_f32_ubyte1_e32 v81, v81
	s_wait_dscnt 0x2
	v_and_b32_e32 v87, 0xff, v85
	v_lshrrev_b16 v85, 8, v85
	s_wait_dscnt 0x0
	v_and_b32_e32 v89, 0xff, v80
	v_fma_mix_f32 v88, v9, v88, 0 op_sel:[1,0,0] op_sel_hi:[1,0,0]
	v_lshrrev_b16 v80, 8, v80
	v_lshrrev_b16 v91, 8, v84
	v_and_b32_e32 v84, 0xff, v84
	v_mul_lo_u32 v87, v111, v87
	v_fma_mix_f32 v81, v10, v81, v88 op_sel:[1,0,0] op_sel_hi:[1,0,0]
	v_cvt_f32_ubyte0_e32 v88, v145
	v_and_b32_e32 v85, 0xffff, v85
	v_and_b32_e32 v80, 0xffff, v80
	;; [unrolled: 1-line block ×3, first 2 shown]
	v_mul_lo_u32 v7, v7, v89
	v_fma_mix_f32 v88, v88, v9, 0 op_sel:[0,1,0] op_sel_hi:[0,1,0]
	v_mul_lo_u32 v85, v106, v85
	v_mul_lo_u32 v1, v1, v80
	;; [unrolled: 1-line block ×3, first 2 shown]
	v_cvt_f32_i32_e32 v87, v87
	v_fma_mix_f32 v88, v90, v10, v88 op_sel:[0,1,0] op_sel_hi:[0,1,0]
	v_and_b32_e32 v90, 0xff, v86
	v_lshrrev_b16 v86, 8, v86
	v_cvt_f32_i32_e32 v7, v7
	v_cvt_f32_i32_e32 v85, v85
	v_fma_mix_f32 v87, v87, v9, 0 op_sel_hi:[0,1,0]
	v_mul_lo_u32 v8, v11, v90
	v_and_b32_e32 v86, 0xffff, v86
	v_mul_lo_u32 v11, v12, v84
	v_cvt_f32_i32_e32 v1, v1
	v_cvt_f32_i32_e32 v3, v3
	v_fma_mix_f32 v7, v9, v7, 0 op_sel_hi:[1,0,0]
	v_mul_lo_u32 v2, v2, v86
	v_mul_f32_e32 v81, v81, v75
	v_cvt_f32_i32_e32 v8, v8
	v_fma_mix_f32 v12, v85, v10, v87 op_sel_hi:[0,1,0]
	v_cvt_f32_i32_e32 v11, v11
	v_fma_mix_f32 v1, v10, v1, v7 op_sel_hi:[1,0,0]
	s_delay_alu instid0(VALU_DEP_4) | instskip(SKIP_1) | instid1(VALU_DEP_4)
	v_fma_mix_f32 v8, v9, v8, 0 op_sel_hi:[1,0,0]
	v_cvt_f32_i32_e32 v2, v2
	v_fma_mix_f32 v9, v9, v11, 0 op_sel_hi:[1,0,0]
	v_mul_f32_e32 v11, v88, v78
	v_fma_f32 v1, v1, v15, -v81
	s_delay_alu instid0(VALU_DEP_4) | instskip(NEXT) | instid1(VALU_DEP_4)
	v_fma_mix_f32 v2, v10, v2, v8 op_sel_hi:[1,0,0]
	v_fma_mix_f32 v3, v10, v3, v9 op_sel_hi:[1,0,0]
	s_delay_alu instid0(VALU_DEP_4) | instskip(NEXT) | instid1(VALU_DEP_4)
	v_fma_f32 v7, v12, v74, -v11
	v_add_f32_e32 v19, v19, v1
	s_delay_alu instid0(VALU_DEP_4) | instskip(NEXT) | instid1(VALU_DEP_4)
	v_fma_f32 v0, v2, v16, -v0
	v_fma_f32 v2, v3, v73, -v82
	s_delay_alu instid0(VALU_DEP_4) | instskip(NEXT) | instid1(VALU_DEP_2)
	v_add_f32_e32 v4, v4, v7
	v_dual_add_f32 v50, v50, v0 :: v_dual_add_f32 v39, v39, v2
	s_cbranch_scc1 .LBB231_19
; %bb.20:                               ;   in Loop: Header=BB231_5 Depth=1
	s_wait_loadcnt 0x0
	s_barrier_signal -1
	s_barrier_wait -1
	global_inv scope:SCOPE_SE
	s_branch .LBB231_4
.LBB231_21:
	s_mul_i32 s0, s7, s4
	s_wait_loadcnt 0x0
	v_cmp_gt_i32_e32 vcc_lo, s0, v17
	s_and_saveexec_b32 s0, vcc_lo
	s_cbranch_execz .LBB231_30
; %bb.22:
	v_mul_lo_u32 v0, v17, s6
	v_add_nc_u32_e32 v1, s18, v18
	s_mov_b32 s0, exec_lo
	s_delay_alu instid0(VALU_DEP_1)
	v_cmpx_gt_u32_e64 s6, v1
	s_cbranch_execz .LBB231_24
; %bb.23:
	v_bfe_u32 v3, v19, 16, 1
	s_delay_alu instid0(VALU_DEP_4) | instskip(SKIP_1) | instid1(VALU_DEP_3)
	v_add_nc_u32_e32 v2, v0, v1
	v_cmp_o_f32_e32 vcc_lo, v19, v19
	v_add3_u32 v5, v19, v3, 0x7fff
	v_mov_b32_e32 v3, 0
	s_delay_alu instid0(VALU_DEP_2) | instskip(NEXT) | instid1(VALU_DEP_2)
	v_lshrrev_b32_e32 v5, 16, v5
	v_lshlrev_b64_e32 v[2:3], 1, v[2:3]
	s_wait_alu 0xfffd
	s_delay_alu instid0(VALU_DEP_2) | instskip(NEXT) | instid1(VALU_DEP_2)
	v_cndmask_b32_e32 v5, 0x7fc0, v5, vcc_lo
	v_add_co_u32 v2, vcc_lo, s8, v2
	s_wait_alu 0xfffd
	s_delay_alu instid0(VALU_DEP_3)
	v_add_co_ci_u32_e64 v3, null, s9, v3, vcc_lo
	global_store_b16 v[2:3], v5, off
.LBB231_24:
	s_wait_alu 0xfffe
	s_or_b32 exec_lo, exec_lo, s0
	v_add_nc_u32_e32 v2, 32, v1
	s_mov_b32 s0, exec_lo
	s_delay_alu instid0(VALU_DEP_1)
	v_cmpx_gt_u32_e64 s6, v2
	s_cbranch_execz .LBB231_26
; %bb.25:
	v_bfe_u32 v3, v50, 16, 1
	v_add_nc_u32_e32 v2, v0, v2
	v_cmp_o_f32_e32 vcc_lo, v50, v50
	s_delay_alu instid0(VALU_DEP_3) | instskip(SKIP_1) | instid1(VALU_DEP_2)
	v_add3_u32 v5, v50, v3, 0x7fff
	v_mov_b32_e32 v3, 0
	v_lshrrev_b32_e32 v5, 16, v5
	s_delay_alu instid0(VALU_DEP_2) | instskip(SKIP_1) | instid1(VALU_DEP_2)
	v_lshlrev_b64_e32 v[2:3], 1, v[2:3]
	s_wait_alu 0xfffd
	v_cndmask_b32_e32 v5, 0x7fc0, v5, vcc_lo
	s_delay_alu instid0(VALU_DEP_2) | instskip(SKIP_1) | instid1(VALU_DEP_3)
	v_add_co_u32 v2, vcc_lo, s8, v2
	s_wait_alu 0xfffd
	v_add_co_ci_u32_e64 v3, null, s9, v3, vcc_lo
	global_store_b16 v[2:3], v5, off
.LBB231_26:
	s_wait_alu 0xfffe
	s_or_b32 exec_lo, exec_lo, s0
	v_add_nc_u32_e32 v2, 64, v1
	s_mov_b32 s0, exec_lo
	s_delay_alu instid0(VALU_DEP_1)
	v_cmpx_gt_u32_e64 s6, v2
	s_cbranch_execz .LBB231_28
; %bb.27:
	v_bfe_u32 v3, v39, 16, 1
	v_add_nc_u32_e32 v2, v0, v2
	v_cmp_o_f32_e32 vcc_lo, v39, v39
	s_delay_alu instid0(VALU_DEP_3) | instskip(SKIP_1) | instid1(VALU_DEP_2)
	v_add3_u32 v5, v39, v3, 0x7fff
	v_mov_b32_e32 v3, 0
	v_lshrrev_b32_e32 v5, 16, v5
	s_delay_alu instid0(VALU_DEP_2) | instskip(SKIP_1) | instid1(VALU_DEP_2)
	v_lshlrev_b64_e32 v[2:3], 1, v[2:3]
	s_wait_alu 0xfffd
	v_cndmask_b32_e32 v5, 0x7fc0, v5, vcc_lo
	s_delay_alu instid0(VALU_DEP_2) | instskip(SKIP_1) | instid1(VALU_DEP_3)
	v_add_co_u32 v2, vcc_lo, s8, v2
	s_wait_alu 0xfffd
	v_add_co_ci_u32_e64 v3, null, s9, v3, vcc_lo
	global_store_b16 v[2:3], v5, off
.LBB231_28:
	s_wait_alu 0xfffe
	s_or_b32 exec_lo, exec_lo, s0
	v_add_nc_u32_e32 v1, 0x60, v1
	s_delay_alu instid0(VALU_DEP_1)
	v_cmp_gt_u32_e32 vcc_lo, s6, v1
	s_and_b32 exec_lo, exec_lo, vcc_lo
	s_cbranch_execz .LBB231_30
; %bb.29:
	v_bfe_u32 v2, v4, 16, 1
	v_dual_mov_b32 v1, 0 :: v_dual_add_nc_u32 v0, v0, v1
	v_cmp_o_f32_e32 vcc_lo, v4, v4
	s_delay_alu instid0(VALU_DEP_3) | instskip(NEXT) | instid1(VALU_DEP_3)
	v_add3_u32 v2, v4, v2, 0x7fff
	v_lshlrev_b64_e32 v[0:1], 1, v[0:1]
	s_delay_alu instid0(VALU_DEP_2) | instskip(SKIP_1) | instid1(VALU_DEP_1)
	v_lshrrev_b32_e32 v2, 16, v2
	s_wait_alu 0xfffd
	v_cndmask_b32_e32 v2, 0x7fc0, v2, vcc_lo
	s_delay_alu instid0(VALU_DEP_3)
	v_add_co_u32 v0, vcc_lo, s8, v0
	s_wait_alu 0xfffd
	v_add_co_ci_u32_e64 v1, null, s9, v1, vcc_lo
	global_store_b16 v[0:1], v2, off
.LBB231_30:
	s_nop 0
	s_sendmsg sendmsg(MSG_DEALLOC_VGPRS)
	s_endpgm
	.section	.rodata,"a",@progbits
	.p2align	6, 0x0
	.amdhsa_kernel _ZL8moe_q4_KIN3c108BFloat16ELb0EEvPKvS3_PT_PKiS7_S7_iiiiiii
		.amdhsa_group_segment_fixed_size 20688
		.amdhsa_private_segment_fixed_size 0
		.amdhsa_kernarg_size 76
		.amdhsa_user_sgpr_count 2
		.amdhsa_user_sgpr_dispatch_ptr 0
		.amdhsa_user_sgpr_queue_ptr 0
		.amdhsa_user_sgpr_kernarg_segment_ptr 1
		.amdhsa_user_sgpr_dispatch_id 0
		.amdhsa_user_sgpr_private_segment_size 0
		.amdhsa_wavefront_size32 1
		.amdhsa_uses_dynamic_stack 0
		.amdhsa_enable_private_segment 0
		.amdhsa_system_sgpr_workgroup_id_x 1
		.amdhsa_system_sgpr_workgroup_id_y 1
		.amdhsa_system_sgpr_workgroup_id_z 0
		.amdhsa_system_sgpr_workgroup_info 0
		.amdhsa_system_vgpr_workitem_id 1
		.amdhsa_next_free_vgpr 172
		.amdhsa_next_free_sgpr 24
		.amdhsa_reserve_vcc 1
		.amdhsa_float_round_mode_32 0
		.amdhsa_float_round_mode_16_64 0
		.amdhsa_float_denorm_mode_32 3
		.amdhsa_float_denorm_mode_16_64 3
		.amdhsa_fp16_overflow 0
		.amdhsa_workgroup_processor_mode 1
		.amdhsa_memory_ordered 1
		.amdhsa_forward_progress 1
		.amdhsa_inst_pref_size 129
		.amdhsa_round_robin_scheduling 0
		.amdhsa_exception_fp_ieee_invalid_op 0
		.amdhsa_exception_fp_denorm_src 0
		.amdhsa_exception_fp_ieee_div_zero 0
		.amdhsa_exception_fp_ieee_overflow 0
		.amdhsa_exception_fp_ieee_underflow 0
		.amdhsa_exception_fp_ieee_inexact 0
		.amdhsa_exception_int_div_zero 0
	.end_amdhsa_kernel
	.section	.text._ZL8moe_q4_KIN3c108BFloat16ELb0EEvPKvS3_PT_PKiS7_S7_iiiiiii,"axG",@progbits,_ZL8moe_q4_KIN3c108BFloat16ELb0EEvPKvS3_PT_PKiS7_S7_iiiiiii,comdat
.Lfunc_end231:
	.size	_ZL8moe_q4_KIN3c108BFloat16ELb0EEvPKvS3_PT_PKiS7_S7_iiiiiii, .Lfunc_end231-_ZL8moe_q4_KIN3c108BFloat16ELb0EEvPKvS3_PT_PKiS7_S7_iiiiiii
                                        ; -- End function
	.set _ZL8moe_q4_KIN3c108BFloat16ELb0EEvPKvS3_PT_PKiS7_S7_iiiiiii.num_vgpr, 172
	.set _ZL8moe_q4_KIN3c108BFloat16ELb0EEvPKvS3_PT_PKiS7_S7_iiiiiii.num_agpr, 0
	.set _ZL8moe_q4_KIN3c108BFloat16ELb0EEvPKvS3_PT_PKiS7_S7_iiiiiii.numbered_sgpr, 24
	.set _ZL8moe_q4_KIN3c108BFloat16ELb0EEvPKvS3_PT_PKiS7_S7_iiiiiii.num_named_barrier, 0
	.set _ZL8moe_q4_KIN3c108BFloat16ELb0EEvPKvS3_PT_PKiS7_S7_iiiiiii.private_seg_size, 0
	.set _ZL8moe_q4_KIN3c108BFloat16ELb0EEvPKvS3_PT_PKiS7_S7_iiiiiii.uses_vcc, 1
	.set _ZL8moe_q4_KIN3c108BFloat16ELb0EEvPKvS3_PT_PKiS7_S7_iiiiiii.uses_flat_scratch, 0
	.set _ZL8moe_q4_KIN3c108BFloat16ELb0EEvPKvS3_PT_PKiS7_S7_iiiiiii.has_dyn_sized_stack, 0
	.set _ZL8moe_q4_KIN3c108BFloat16ELb0EEvPKvS3_PT_PKiS7_S7_iiiiiii.has_recursion, 0
	.set _ZL8moe_q4_KIN3c108BFloat16ELb0EEvPKvS3_PT_PKiS7_S7_iiiiiii.has_indirect_call, 0
	.section	.AMDGPU.csdata,"",@progbits
; Kernel info:
; codeLenInByte = 16464
; TotalNumSgprs: 26
; NumVgprs: 172
; ScratchSize: 0
; MemoryBound: 0
; FloatMode: 240
; IeeeMode: 1
; LDSByteSize: 20688 bytes/workgroup (compile time only)
; SGPRBlocks: 0
; VGPRBlocks: 21
; NumSGPRsForWavesPerEU: 26
; NumVGPRsForWavesPerEU: 172
; Occupancy: 8
; WaveLimiterHint : 1
; COMPUTE_PGM_RSRC2:SCRATCH_EN: 0
; COMPUTE_PGM_RSRC2:USER_SGPR: 2
; COMPUTE_PGM_RSRC2:TRAP_HANDLER: 0
; COMPUTE_PGM_RSRC2:TGID_X_EN: 1
; COMPUTE_PGM_RSRC2:TGID_Y_EN: 1
; COMPUTE_PGM_RSRC2:TGID_Z_EN: 0
; COMPUTE_PGM_RSRC2:TIDIG_COMP_CNT: 1
	.section	.text._ZL8moe_q4_KIN3c108BFloat16ELb1EEvPKvS3_PT_PKiS7_S7_iiiiiii,"axG",@progbits,_ZL8moe_q4_KIN3c108BFloat16ELb1EEvPKvS3_PT_PKiS7_S7_iiiiiii,comdat
	.globl	_ZL8moe_q4_KIN3c108BFloat16ELb1EEvPKvS3_PT_PKiS7_S7_iiiiiii ; -- Begin function _ZL8moe_q4_KIN3c108BFloat16ELb1EEvPKvS3_PT_PKiS7_S7_iiiiiii
	.p2align	8
	.type	_ZL8moe_q4_KIN3c108BFloat16ELb1EEvPKvS3_PT_PKiS7_S7_iiiiiii,@function
_ZL8moe_q4_KIN3c108BFloat16ELb1EEvPKvS3_PT_PKiS7_S7_iiiiiii: ; @_ZL8moe_q4_KIN3c108BFloat16ELb1EEvPKvS3_PT_PKiS7_S7_iiiiiii
; %bb.0:
	s_load_b128 s[4:7], s[0:1], 0x18
	s_mov_b32 s2, ttmp7
	s_mov_b32 s3, 0
	s_delay_alu instid0(SALU_CYCLE_1)
	s_lshl_b64 s[2:3], s[2:3], 2
	s_wait_kmcnt 0x0
	s_add_nc_u64 s[2:3], s[6:7], s[2:3]
	s_load_b32 s14, s[2:3], 0x0
	s_wait_kmcnt 0x0
	s_cmp_gt_u32 s14, 0xff
	s_cbranch_scc1 .LBB232_30
; %bb.1:
	s_load_b64 s[2:3], s[0:1], 0x28
	s_wait_kmcnt 0x0
	s_load_b32 s3, s[2:3], 0x0
	s_lshl_b32 s2, ttmp7, 3
	s_wait_kmcnt 0x0
	s_cmp_gt_u32 s2, s3
	s_cbranch_scc1 .LBB232_30
; %bb.2:
	v_bfe_u32 v1, v0, 10, 10
	v_mov_b32_e32 v20, 0
	s_lshl_b32 s11, ttmp9, 7
	s_delay_alu instid0(VALU_DEP_2) | instskip(NEXT) | instid1(VALU_DEP_2)
	v_add_nc_u32_e32 v19, s2, v1
	v_dual_mov_b32 v59, v20 :: v_dual_and_b32 v34, 0x3ff, v0
	v_dual_mov_b32 v64, v20 :: v_dual_mov_b32 v35, v20
	s_delay_alu instid0(VALU_DEP_3) | instskip(NEXT) | instid1(VALU_DEP_1)
	v_lshlrev_b64_e32 v[2:3], 2, v[19:20]
	v_add_co_u32 v2, vcc_lo, s4, v2
	s_delay_alu instid0(VALU_DEP_1)
	v_add_co_ci_u32_e64 v3, null, s5, v3, vcc_lo
	global_load_b32 v33, v[2:3], off
	s_clause 0x2
	s_load_b128 s[4:7], s[0:1], 0x30
	s_load_b64 s[12:13], s[0:1], 0x10
	s_load_b96 s[8:10], s[0:1], 0x40
	s_wait_kmcnt 0x0
	s_cmp_lt_i32 s5, 0x100
	s_cbranch_scc1 .LBB232_21
; %bb.3:
	v_add_nc_u32_e32 v3, 8, v1
	s_ashr_i32 s16, s8, 31
	s_not_b32 s17, s11
	v_and_b32_e32 v24, 3, v0
	s_ashr_i32 s15, s5, 31
	s_lshr_b32 s20, s16, 27
	s_add_co_i32 s16, s6, s17
	s_mul_i32 s14, s14, s4
	s_lshr_b32 s4, s15, 24
	v_dual_mov_b32 v35, 0 :: v_dual_lshlrev_b32 v2, 2, v34
	v_min_i32_e32 v4, s16, v1
	v_min_i32_e32 v3, s16, v3
	s_wait_alu 0xfffe
	s_add_co_i32 s4, s5, s4
	v_cmp_gt_u32_e32 vcc_lo, 2, v24
	v_add_nc_u32_e32 v6, 16, v1
	s_wait_alu 0xfffe
	s_ashr_i32 s4, s4, 8
	v_add_nc_u32_e32 v8, 24, v1
	s_wait_alu 0xfffe
	v_mul_lo_u32 v38, v4, s4
	v_mad_co_u64_u32 v[4:5], null, 0x84, v4, v[2:3]
	v_mul_lo_u32 v39, v3, s4
	v_min_i32_e32 v7, s16, v6
	v_mad_co_u64_u32 v[5:6], null, 0x84, v3, v[2:3]
	v_add_nc_u32_e32 v3, 32, v1
	v_min_i32_e32 v8, s16, v8
	s_delay_alu instid0(VALU_DEP_4)
	v_mul_lo_u32 v40, v7, s4
	v_add_nc_u32_e32 v9, 40, v1
	v_lshlrev_b32_e32 v46, 5, v1
	v_mad_co_u64_u32 v[6:7], null, 0x84, v7, v[2:3]
	v_min_i32_e32 v3, s16, v3
	v_mul_lo_u32 v41, v8, s4
	v_min_i32_e32 v10, s16, v9
	v_add_nc_u32_e32 v11, 48, v1
	v_add_nc_u32_e32 v15, v46, v34
	v_mad_co_u64_u32 v[7:8], null, 0x84, v8, v[2:3]
	v_mul_lo_u32 v42, v3, s4
	v_mad_co_u64_u32 v[8:9], null, 0x84, v3, v[2:3]
	v_add_nc_u32_e32 v3, 56, v1
	v_mul_lo_u32 v43, v10, s4
	v_min_i32_e32 v11, s16, v11
	v_add_nc_u32_e32 v12, 64, v1
	v_add_nc_u32_e32 v14, 0x48, v1
	v_mad_co_u64_u32 v[9:10], null, 0x84, v10, v[2:3]
	v_min_i32_e32 v3, s16, v3
	v_and_b32_e32 v15, 0x7f, v15
	v_mul_lo_u32 v44, v11, s4
	v_min_i32_e32 v13, s16, v12
	v_add_nc_u32_e32 v17, 0x58, v1
	v_mad_co_u64_u32 v[10:11], null, 0x84, v11, v[2:3]
	v_mul_lo_u32 v45, v3, s4
	v_mad_co_u64_u32 v[11:12], null, 0x84, v3, v[2:3]
	v_min_i32_e32 v3, s16, v14
	v_add_nc_u32_e32 v14, 0x50, v1
	v_min_i32_e32 v21, s16, v15
	v_mul_lo_u32 v47, v13, s4
	s_load_b128 s[0:3], s[0:1], 0x0
	v_mad_co_u64_u32 v[12:13], null, 0x84, v13, v[2:3]
	v_mul_lo_u32 v48, v3, s4
	v_min_i32_e32 v16, s16, v14
	v_mad_co_u64_u32 v[13:14], null, 0x84, v3, v[2:3]
	v_min_i32_e32 v3, s16, v17
	v_add_nc_u32_e32 v17, 0x60, v1
	v_add_nc_u32_e32 v18, 0x68, v1
	v_ashrrev_i32_e32 v19, 31, v21
	v_mul_lo_u32 v49, v16, s4
	v_mad_co_u64_u32 v[14:15], null, 0x84, v16, v[2:3]
	v_mul_lo_u32 v50, v3, s4
	v_min_i32_e32 v17, s16, v17
	v_mad_co_u64_u32 v[15:16], null, 0x84, v3, v[2:3]
	v_min_i32_e32 v3, s16, v18
	v_add_nc_u32_e32 v18, 0x70, v1
	v_lshrrev_b32_e32 v19, 27, v19
	v_add_nc_u32_e32 v22, 0x78, v1
	v_mul_lo_u32 v51, v17, s4
	v_mad_co_u64_u32 v[16:17], null, 0x84, v17, v[2:3]
	v_mul_lo_u32 v52, v3, s4
	v_min_i32_e32 v20, s16, v18
	v_add_nc_u32_e32 v19, v21, v19
	v_mad_co_u64_u32 v[17:18], null, 0x84, v3, v[2:3]
	v_min_i32_e32 v3, s16, v22
	v_bfe_u32 v22, v0, 2, 8
	s_mul_i32 s18, s4, s11
	v_ashrrev_i32_e32 v23, 5, v19
	s_ashr_i32 s15, s14, 31
	v_mad_co_u64_u32 v[18:19], null, 0x84, v20, v[2:3]
	v_lshl_add_u32 v19, v1, 3, v22
	s_ashr_i32 s19, s18, 31
	s_wait_kmcnt 0x0
	s_add_nc_u64 s[0:1], s[0:1], s[14:15]
	s_mul_u64 s[18:19], s[18:19], 0x90
	v_add_nc_u32_e32 v25, 0xfe, v24
	s_add_nc_u64 s[14:15], s[0:1], s[18:19]
	v_and_b32_e32 v26, 0x7f, v19
	s_abs_i32 s1, s10
	v_mul_lo_u32 v53, v20, s4
	s_cvt_f32_u32 s0, s1
	v_mad_co_u64_u32 v[19:20], null, 0x84, v3, v[2:3]
	v_lshlrev_b32_e32 v22, 2, v23
	v_lshlrev_b32_e32 v23, 2, v21
	v_mul_lo_u32 v55, v21, s4
	v_min_i32_e32 v20, s16, v26
	v_xor_b32_e32 v21, 64, v26
	v_mul_lo_u32 v54, v3, s4
	v_and_b32_e32 v3, 0xff, v25
	v_rcp_iflag_f32_e32 v25, s0
	v_add3_u32 v56, v22, v23, 0x4e40
	v_ashrrev_i32_e32 v22, 31, v20
	v_min_i32_e32 v21, s16, v21
	v_cndmask_b32_e32 v3, v3, v24, vcc_lo
	v_cmp_ne_u32_e64 s0, 0, v24
	v_and_b32_e32 v23, 4, v2
	v_cmp_lt_u32_e32 vcc_lo, 1, v24
	v_lshrrev_b32_e32 v22, 29, v22
	v_ashrrev_i32_e32 v26, 31, v21
	s_wait_alu 0xf1ff
	v_add_co_ci_u32_e64 v27, null, 0, v3, s0
	v_readfirstlane_b32 s0, v25
	s_wait_alu 0xfffd
	v_dual_cndmask_b32 v57, 0, v23 :: v_dual_add_nc_u32 v22, v20, v22
	v_lshrrev_b32_e32 v23, 29, v26
	v_lshlrev_b32_e32 v58, 1, v3
	s_mul_f32 s0, s0, 0x4f7ffffe
	s_delay_alu instid0(VALU_DEP_3)
	v_ashrrev_i32_e32 v22, 3, v22
	s_add_co_i32 s6, s8, s20
	v_add_nc_u32_e32 v3, v21, v23
	s_wait_loadcnt 0x0
	v_sub_nc_u32_e32 v23, 0, v33
	s_wait_alu 0xfffe
	s_cvt_u32_f32 s0, s0
	s_sub_co_i32 s8, 0, s1
	v_lshlrev_b32_e32 v22, 2, v22
	v_lshlrev_b32_e32 v24, 2, v24
	s_wait_alu 0xfffe
	s_mul_i32 s8, s8, s0
	v_max_i32_e32 v23, v33, v23
	s_mul_hi_u32 s8, s0, s8
	v_ashrrev_i32_e32 v3, 3, v3
	s_add_co_i32 s0, s0, s8
	v_add3_u32 v26, v22, v24, 0x4200
	s_wait_alu 0xfffe
	v_mul_hi_u32 v22, v23, s0
	v_mul_lo_u32 v61, v21, s4
	v_lshlrev_b32_e32 v3, 2, v3
	v_lshlrev_b32_e32 v28, 4, v21
	v_bfe_u32 v36, v0, 5, 5
	v_lshl_add_u32 v62, v1, 7, 0x4a40
	v_cndmask_b32_e64 v25, 0, 1, vcc_lo
	v_add3_u32 v3, v3, v24, 0x4200
	v_mul_lo_u32 v21, v22, s1
	v_and_b32_e32 v24, 31, v0
	v_bfe_u32 v66, v0, 3, 7
	v_add_nc_u32_e32 v0, 1, v22
	v_xor_b32_e32 v59, s10, v33
	v_add_nc_u32_e32 v31, 32, v34
	v_lshl_add_u32 v63, v24, 2, v62
	v_lshlrev_b32_e32 v24, 2, v36
	v_sub_nc_u32_e32 v21, v23, v21
	v_ashrrev_i32_e32 v59, 31, v59
	v_lshrrev_b32_e32 v65, 3, v31
	v_add_nc_u32_e32 v32, 0x60, v34
	v_add3_u32 v67, v24, v2, 0x4e40
	v_subrev_nc_u32_e32 v24, s1, v21
	v_cmp_le_u32_e32 vcc_lo, s1, v21
	v_and_b32_e32 v23, 60, v65
	v_lshrrev_b32_e32 v76, 3, v32
	v_and_b32_e32 v30, 28, v2
	s_ashr_i32 s6, s6, 5
	s_wait_alu 0xfffd
	v_cndmask_b32_e32 v0, v22, v0, vcc_lo
	v_dual_cndmask_b32 v21, v21, v24 :: v_dual_add_nc_u32 v22, 64, v34
	v_mul_lo_u32 v60, v20, s4
	v_lshlrev_b32_e32 v20, 4, v20
	s_delay_alu instid0(VALU_DEP_4) | instskip(NEXT) | instid1(VALU_DEP_4)
	v_add_nc_u32_e32 v24, 1, v0
	v_cmp_le_u32_e32 vcc_lo, s1, v21
	v_and_b32_e32 v37, 0x7c, v2
	v_lshrrev_b32_e32 v64, 3, v22
	s_movk_i32 s1, 0x1080
	s_wait_alu 0xfffd
	v_dual_cndmask_b32 v0, v0, v24 :: v_dual_add_nc_u32 v29, 0x5050, v2
	v_lshlrev_b32_e32 v1, 4, v1
	v_and_b32_e32 v21, 60, v64
	v_lshlrev_b32_e32 v24, 2, v31
	v_add3_u32 v68, v2, v23, 0x4e40
	v_xor_b32_e32 v0, v0, v59
	v_and_b32_e32 v23, 60, v76
	v_lshlrev_b32_e32 v31, 2, v22
	v_lshlrev_b32_e32 v32, 2, v32
	s_wait_alu 0xfffe
	v_mad_u32_u24 v71, 0x84, v34, s1
	v_sub_nc_u32_e32 v0, v0, v59
	s_movk_i32 s1, 0x2100
	s_movk_i32 s8, 0x3180
	v_cmp_gt_u32_e64 s0, 4, v34
	v_add3_u32 v69, v2, v21, 0x4e40
	v_mul_lo_u32 v72, v0, s6
	s_wait_alu 0xfffe
	v_mad_u32_u24 v73, 0x84, v34, s1
	v_mad_u32_u24 v74, 0x84, v34, s8
	v_cmp_gt_i32_e64 s1, s7, v0
	v_add_co_u32 v21, s8, s2, v30
	v_add3_u32 v70, v2, v23, 0x4e40
	s_wait_alu 0xf1ff
	v_add_co_ci_u32_e64 v22, null, s3, 0, s8
	v_add_nc_u32_e32 v75, 0x5050, v1
	v_lshlrev_b32_e32 v76, 2, v76
	v_lshlrev_b32_e32 v77, 2, v64
	;; [unrolled: 1-line block ×5, first 2 shown]
	v_add_nc_u32_e32 v81, v26, v20
	v_add_nc_u32_e32 v82, v3, v28
	;; [unrolled: 1-line block ×3, first 2 shown]
	v_lshlrev_b32_e32 v84, 2, v2
	v_lshlrev_b32_e32 v85, 2, v24
	;; [unrolled: 1-line block ×3, first 2 shown]
	v_dual_mov_b32 v64, 0 :: v_dual_lshlrev_b32 v87, 2, v32
	v_dual_mov_b32 v59, 0 :: v_dual_mov_b32 v20, 0
	s_mov_b32 s17, 0
	s_and_b32 s8, s0, s1
	s_wait_alu 0xfffe
	s_mov_b32 s16, s17
	s_branch .LBB232_5
.LBB232_4:                              ;   in Loop: Header=BB232_5 Depth=1
	s_add_co_i32 s16, s16, 1
	s_wait_alu 0xfffe
	s_cmp_eq_u32 s16, s4
	s_cbranch_scc1 .LBB232_21
.LBB232_5:                              ; =>This Loop Header: Depth=1
                                        ;     Child Loop BB232_11 Depth 2
                                        ;     Child Loop BB232_19 Depth 2
	s_wait_alu 0xfffe
	s_mul_u64 s[18:19], s[16:17], 0x90
	s_wait_alu 0xfffe
	s_add_nc_u64 s[18:19], s[14:15], s[18:19]
	s_wait_alu 0xfffe
	v_mad_co_u64_u32 v[0:1], null, 0x90, v36, s[18:19]
	s_delay_alu instid0(VALU_DEP_1) | instskip(SKIP_3) | instid1(VALU_DEP_4)
	v_mad_co_i64_i32 v[2:3], null, 0x90, v38, v[0:1]
	v_mad_co_i64_i32 v[23:24], null, 0x90, v39, v[0:1]
	;; [unrolled: 1-line block ×4, first 2 shown]
	v_add_co_u32 v2, vcc_lo, v2, v37
	v_mad_co_i64_i32 v[29:30], null, 0x90, v42, v[0:1]
	s_wait_alu 0xfffd
	v_add_co_ci_u32_e64 v3, null, 0, v3, vcc_lo
	v_add_co_u32 v23, vcc_lo, v23, v37
	v_mad_co_i64_i32 v[31:32], null, 0x90, v43, v[0:1]
	s_wait_alu 0xfffd
	v_add_co_ci_u32_e64 v24, null, 0, v24, vcc_lo
	v_add_co_u32 v25, vcc_lo, v25, v37
	v_mad_co_i64_i32 v[88:89], null, 0x90, v44, v[0:1]
	s_wait_alu 0xfffd
	v_add_co_ci_u32_e64 v26, null, 0, v26, vcc_lo
	v_add_co_u32 v27, vcc_lo, v27, v37
	v_mad_co_i64_i32 v[90:91], null, 0x90, v45, v[0:1]
	s_wait_alu 0xfffd
	v_add_co_ci_u32_e64 v28, null, 0, v28, vcc_lo
	v_add_co_u32 v29, vcc_lo, v29, v37
	s_wait_alu 0xfffd
	v_add_co_ci_u32_e64 v30, null, 0, v30, vcc_lo
	v_add_co_u32 v31, vcc_lo, v31, v37
	s_wait_alu 0xfffd
	v_add_co_ci_u32_e64 v32, null, 0, v32, vcc_lo
	;; [unrolled: 3-line block ×3, first 2 shown]
	v_add_co_u32 v90, vcc_lo, v90, v37
	v_mad_co_i64_i32 v[92:93], null, 0x90, v47, v[0:1]
	s_wait_alu 0xfffd
	v_add_co_ci_u32_e64 v91, null, 0, v91, vcc_lo
	s_clause 0x7
	global_load_b32 v98, v[2:3], off offset:16
	global_load_b32 v99, v[23:24], off offset:16
	;; [unrolled: 1-line block ×8, first 2 shown]
	v_mad_co_i64_i32 v[2:3], null, 0x90, v48, v[0:1]
	v_mad_co_i64_i32 v[25:26], null, 0x90, v49, v[0:1]
	;; [unrolled: 1-line block ×3, first 2 shown]
	v_add_co_u32 v23, vcc_lo, v92, v37
	v_mad_co_i64_i32 v[29:30], null, 0x90, v51, v[0:1]
	s_wait_alu 0xfffd
	v_add_co_ci_u32_e64 v24, null, 0, v93, vcc_lo
	v_add_co_u32 v2, vcc_lo, v2, v37
	v_mad_co_i64_i32 v[88:89], null, 0x90, v60, s[18:19]
	s_wait_alu 0xfffd
	v_add_co_ci_u32_e64 v3, null, 0, v3, vcc_lo
	v_add_co_u32 v25, vcc_lo, v25, v37
	s_wait_alu 0xfffd
	v_add_co_ci_u32_e64 v26, null, 0, v26, vcc_lo
	v_add_co_u32 v27, vcc_lo, v27, v37
	v_mad_co_i64_i32 v[92:93], null, 0x90, v61, s[18:19]
	s_wait_alu 0xfffd
	v_add_co_ci_u32_e64 v28, null, 0, v28, vcc_lo
	v_add_co_u32 v29, vcc_lo, v29, v37
	s_wait_alu 0xfffd
	v_add_co_ci_u32_e64 v30, null, 0, v30, vcc_lo
	v_add_co_u32 v94, vcc_lo, v88, v79
	;; [unrolled: 3-line block ×4, first 2 shown]
	v_mad_co_i64_i32 v[31:32], null, 0x90, v52, v[0:1]
	s_wait_alu 0xfffd
	v_add_co_ci_u32_e64 v97, null, 0, v93, vcc_lo
	v_add_co_u32 v92, vcc_lo, v92, v80
	v_mad_co_i64_i32 v[90:91], null, 0x90, v53, v[0:1]
	s_wait_alu 0xfffd
	v_add_co_ci_u32_e64 v93, null, 0, v93, vcc_lo
	v_mad_co_i64_i32 v[0:1], null, 0x90, v54, v[0:1]
	s_clause 0x3
	global_load_b32 v94, v[94:95], off offset:4
	global_load_b32 v95, v[96:97], off offset:4
	;; [unrolled: 1-line block ×4, first 2 shown]
	v_add_co_u32 v31, vcc_lo, v31, v37
	s_wait_alu 0xfffd
	v_add_co_ci_u32_e64 v32, null, 0, v32, vcc_lo
	v_add_co_u32 v88, vcc_lo, v90, v37
	s_wait_alu 0xfffd
	v_add_co_ci_u32_e64 v89, null, 0, v91, vcc_lo
	;; [unrolled: 3-line block ×3, first 2 shown]
	v_mad_co_i64_i32 v[90:91], null, 0x90, v55, s[18:19]
	s_clause 0x8
	global_load_b32 v23, v[23:24], off offset:16
	global_load_b32 v2, v[2:3], off offset:16
	;; [unrolled: 1-line block ×8, first 2 shown]
	global_load_b32 v1, v[90:91], off
	s_lshl_b32 s18, s16, 8
	s_wait_loadcnt 0x14
	ds_store_b32 v4, v98
	s_wait_loadcnt 0x13
	ds_store_b32 v5, v99
	;; [unrolled: 2-line block ×14, first 2 shown]
	v_ashrrev_i32_e32 v28, v57, v94
	v_ashrrev_i32_e32 v29, v57, v95
	;; [unrolled: 1-line block ×4, first 2 shown]
	s_wait_alu 0xfffe
	s_cmp_lt_i32 s18, s5
	v_and_b32_e32 v28, 0xf0f0f0f, v28
	v_and_b32_e32 v29, 0xf0f0f0f, v29
	s_delay_alu instid0(VALU_DEP_2) | instskip(NEXT) | instid1(VALU_DEP_2)
	v_and_or_b32 v2, 0x30303030, v30, v28
	v_and_or_b32 v3, 0x30303030, v31, v29
	s_wait_loadcnt 0x2
	ds_store_b32 v18, v27
	s_wait_loadcnt 0x1
	ds_store_b32 v19, v0
	;; [unrolled: 2-line block ×3, first 2 shown]
	ds_store_b32 v81, v2
	ds_store_b32 v82, v3
	s_cbranch_scc0 .LBB232_4
; %bb.6:                                ;   in Loop: Header=BB232_5 Depth=1
	s_lshl_b32 s19, s16, 3
	s_wait_alu 0xfffe
	v_add_nc_u32_e32 v0, s19, v66
	s_delay_alu instid0(VALU_DEP_1)
	v_cmp_gt_i32_e32 vcc_lo, s6, v0
	s_and_b32 s21, s1, vcc_lo
	s_wait_alu 0xfffe
	s_and_saveexec_b32 s20, s21
	s_cbranch_execz .LBB232_8
; %bb.7:                                ;   in Loop: Header=BB232_5 Depth=1
	v_add_nc_u32_e32 v0, v72, v0
	s_delay_alu instid0(VALU_DEP_1)
	v_mad_co_i64_i32 v[0:1], null, v0, 36, v[21:22]
	global_load_b32 v0, v[0:1], off offset:4
	s_wait_loadcnt 0x0
	ds_store_b32 v63, v0
.LBB232_8:                              ;   in Loop: Header=BB232_5 Depth=1
	s_wait_alu 0xfffe
	s_or_b32 exec_lo, exec_lo, s20
	v_add_nc_u32_e32 v88, s19, v34
	s_delay_alu instid0(VALU_DEP_1)
	v_cmp_gt_i32_e32 vcc_lo, s6, v88
	s_and_b32 s21, s8, vcc_lo
	s_wait_alu 0xfffe
	s_and_saveexec_b32 s20, s21
	s_cbranch_execz .LBB232_10
; %bb.9:                                ;   in Loop: Header=BB232_5 Depth=1
	v_add_nc_u32_e32 v0, v72, v88
	s_delay_alu instid0(VALU_DEP_1)
	v_mad_co_i64_i32 v[0:1], null, v0, 36, s[2:3]
	global_load_b32 v0, v[0:1], off
	s_wait_loadcnt 0x0
	ds_store_b32 v83, v0
.LBB232_10:                             ;   in Loop: Header=BB232_5 Depth=1
	s_wait_alu 0xfffe
	s_or_b32 exec_lo, exec_lo, s20
	s_wait_dscnt 0x0
	s_barrier_signal -1
	s_barrier_wait -1
	global_inv scope:SCOPE_SE
	ds_load_b32 v0, v67
	ds_load_b32 v1, v68 offset:128
	ds_load_b32 v2, v69 offset:256
	;; [unrolled: 1-line block ×3, first 2 shown]
	s_mov_b32 s21, 0
	s_mov_b32 s20, -1
	s_wait_dscnt 0x3
	v_cvt_f32_f16_e32 v89, v0
	v_lshrrev_b32_e32 v0, 16, v0
	s_wait_dscnt 0x2
	v_cvt_f32_f16_e32 v90, v1
	v_lshrrev_b32_e32 v1, 16, v1
	s_wait_dscnt 0x1
	v_lshrrev_b32_e32 v23, 16, v2
	s_wait_dscnt 0x0
	v_lshrrev_b32_e32 v24, 16, v3
	v_cvt_f32_f16_e32 v91, v2
	v_cvt_f32_f16_e32 v92, v0
	;; [unrolled: 1-line block ×6, first 2 shown]
.LBB232_11:                             ;   Parent Loop BB232_5 Depth=1
                                        ; =>  This Inner Loop Header: Depth=2
	s_wait_alu 0xfffe
	v_lshl_or_b32 v97, s21, 1, v46
	s_lshr_b32 s22, s21, 2
	s_lshl_b32 s23, s21, 2
	s_wait_alu 0xfffe
	s_add_co_i32 s21, s22, 0x4200
	v_add_nc_u32_e32 v119, s23, v71
	v_lshlrev_b32_e32 v0, 2, v97
	s_wait_alu 0xfffe
	v_add3_u32 v153, s21, v78, v85
	v_add_nc_u32_e32 v161, s23, v74
	v_add3_u32 v154, s21, v76, v87
	s_and_b32 vcc_lo, exec_lo, s20
	ds_load_b128 v[23:26], v0 offset:19008
	ds_load_b128 v[27:30], v0 offset:19024
	s_mov_b32 s20, 0
	s_wait_dscnt 0x1
	v_lshrrev_b16 v31, 8, v23
	v_lshrrev_b16 v164, 8, v24
	;; [unrolled: 1-line block ×4, first 2 shown]
	v_ashrrev_i32_e32 v170, 24, v23
	v_bfe_i32 v172, v23, 16, 8
	v_bfe_i32 v175, v23, 0, 8
	v_ashrrev_i32_e32 v149, 24, v24
	v_bfe_i32 v150, v24, 16, 8
	v_bfe_i32 v163, v24, 0, 8
	;; [unrolled: 3-line block ×4, first 2 shown]
	ds_load_b128 v[23:26], v0 offset:19040
	ds_load_b128 v[0:3], v0 offset:19056
	s_wait_dscnt 0x2
	v_lshrrev_b16 v157, 8, v27
	v_lshrrev_b16 v143, 8, v28
	v_ashrrev_i32_e32 v121, 24, v27
	v_bfe_i32 v122, v27, 16, 8
	v_bfe_i32 v125, v27, 0, 8
	v_ashrrev_i32_e32 v114, 24, v28
	v_bfe_i32 v115, v28, 16, 8
	v_bfe_i32 v118, v28, 0, 8
	;; [unrolled: 1-line block ×3, first 2 shown]
	v_lshrrev_b16 v144, 8, v29
	v_lshrrev_b16 v138, 8, v30
	v_ashrrev_i32_e32 v107, 24, v29
	v_bfe_i32 v108, v29, 16, 8
	v_bfe_i32 v112, v29, 0, 8
	v_ashrrev_i32_e32 v98, 24, v30
	v_bfe_i32 v99, v30, 16, 8
	v_bfe_i32 v104, v30, 0, 8
	;; [unrolled: 1-line block ×3, first 2 shown]
	s_wait_dscnt 0x1
	v_lshrrev_b16 v173, 8, v23
	s_wait_dscnt 0x0
	v_lshrrev_b16 v147, 8, v0
	v_ashrrev_i32_e32 v123, 24, v0
	v_bfe_i32 v124, v0, 16, 8
	v_bfe_i32 v126, v0, 0, 8
	v_lshlrev_b32_e32 v0, 2, v66
	v_lshrrev_b16 v140, 8, v1
	v_ashrrev_i32_e32 v116, 24, v1
	v_bfe_i32 v117, v1, 16, 8
	v_bfe_i32 v120, v1, 0, 8
	v_add3_u32 v100, s21, v0, v84
	v_mul_u32_u24_e32 v0, 0x84, v34
	v_lshrrev_b16 v141, 8, v2
	v_ashrrev_i32_e32 v110, 24, v2
	v_bfe_i32 v111, v2, 16, 8
	v_bfe_i32 v113, v2, 0, 8
	v_add_nc_u32_e32 v148, s23, v0
	ds_load_u16 v102, v100 offset:8
	ds_load_2addr_b32 v[27:28], v148 offset1:1
	v_lshrrev_b16 v137, 8, v3
	v_ashrrev_i32_e32 v101, 24, v3
	v_bfe_i32 v103, v3, 16, 8
	v_bfe_i32 v106, v3, 0, 8
	v_ashrrev_i32_e32 v166, 24, v23
	v_bfe_i32 v167, v23, 16, 8
	v_bfe_i32 v168, v23, 0, 8
	v_lshrrev_b16 v160, 8, v24
	v_ashrrev_i32_e32 v151, 24, v24
	v_bfe_i32 v152, v24, 16, 8
	v_bfe_i32 v159, v24, 0, 8
	v_lshrrev_b16 v158, 8, v25
	v_ashrrev_i32_e32 v135, 24, v25
	v_bfe_i32 v136, v25, 16, 8
	v_bfe_i32 v142, v25, 0, 8
	v_lshrrev_b16 v145, 8, v26
	v_ashrrev_i32_e32 v129, 24, v26
	v_bfe_i32 v130, v26, 16, 8
	v_bfe_i32 v132, v26, 0, 8
	s_wait_dscnt 0x0
	v_and_b32_e32 v0, 15, v27
	v_bfe_u32 v1, v27, 8, 4
	v_bfe_u32 v2, v27, 24, 4
	v_bfe_i32 v173, v173, 0, 8
	v_bfe_i32 v165, v165, 0, 8
	v_mul_i32_i24_e32 v0, v175, v0
	v_bfe_i32 v160, v160, 0, 8
	v_mul_i32_i24_e32 v2, v170, v2
	v_bfe_i32 v158, v158, 0, 8
	v_bfe_i32 v155, v155, 0, 8
	v_mad_i32_i24 v0, v171, v1, v0
	v_bfe_u32 v1, v27, 16, 4
	v_bfe_i32 v157, v157, 0, 8
	v_bfe_i32 v145, v145, 0, 8
	;; [unrolled: 1-line block ×4, first 2 shown]
	v_mul_i32_i24_e32 v1, v172, v1
	v_bfe_i32 v138, v138, 0, 8
	s_delay_alu instid0(VALU_DEP_2)
	v_add3_u32 v169, v0, v1, v2
	ds_load_2addr_b32 v[2:3], v119 offset0:2 offset1:3
	ds_load_2addr_b32 v[0:1], v119 offset0:4 offset1:5
	ds_load_u16 v105, v153 offset:8
	ds_load_2addr_b32 v[29:30], v119 offset1:1
	s_wait_dscnt 0x0
	v_and_b32_e32 v23, 15, v29
	v_bfe_u32 v24, v29, 8, 4
	v_bfe_u32 v25, v29, 24, 4
	s_delay_alu instid0(VALU_DEP_3) | instskip(NEXT) | instid1(VALU_DEP_2)
	v_mul_i32_i24_e32 v23, v175, v23
	v_mul_i32_i24_e32 v25, v170, v25
	s_delay_alu instid0(VALU_DEP_2) | instskip(SKIP_1) | instid1(VALU_DEP_1)
	v_mad_i32_i24 v23, v171, v24, v23
	v_bfe_u32 v24, v29, 16, 4
	v_mul_i32_i24_e32 v24, v172, v24
	s_delay_alu instid0(VALU_DEP_1)
	v_add3_u32 v174, v23, v24, v25
	ds_load_2addr_b32 v[25:26], v161 offset0:2 offset1:3
	ds_load_2addr_b32 v[23:24], v161 offset0:4 offset1:5
	ds_load_u16 v109, v154 offset:8
	ds_load_2addr_b32 v[31:32], v161 offset1:1
	s_wait_dscnt 0x0
	v_and_b32_e32 v146, 15, v32
	v_and_b32_e32 v156, 15, v31
	v_bfe_u32 v180, v31, 16, 4
	v_bfe_u32 v181, v31, 24, 4
	v_lshrrev_b32_e32 v182, 28, v31
	v_mul_i32_i24_e32 v146, v146, v163
	s_delay_alu instid0(VALU_DEP_1)
	v_mad_i32_i24 v178, v156, v175, v146
	v_add3_u32 v146, s21, v77, v86
	v_add_nc_u32_e32 v156, s23, v73
	ds_load_u16 v162, v146 offset:8
	ds_load_2addr_b32 v[176:177], v156 offset1:1
	s_mov_b32 s21, 8
	s_wait_dscnt 0x0
	v_and_b32_e32 v179, 15, v176
	s_delay_alu instid0(VALU_DEP_1) | instskip(SKIP_1) | instid1(VALU_DEP_1)
	v_mul_i32_i24_e32 v175, v175, v179
	v_bfe_u32 v179, v32, 16, 4
	v_mul_i32_i24_e32 v179, v179, v150
	s_delay_alu instid0(VALU_DEP_1) | instskip(SKIP_1) | instid1(VALU_DEP_1)
	v_mad_i32_i24 v179, v180, v172, v179
	v_bfe_u32 v180, v176, 16, 4
	v_mul_i32_i24_e32 v172, v172, v180
	v_bfe_u32 v180, v32, 24, 4
	s_delay_alu instid0(VALU_DEP_1) | instskip(NEXT) | instid1(VALU_DEP_1)
	v_mul_i32_i24_e32 v180, v180, v149
	v_mad_i32_i24 v180, v181, v170, v180
	v_bfe_u32 v181, v176, 24, 4
	s_delay_alu instid0(VALU_DEP_1) | instskip(SKIP_1) | instid1(VALU_DEP_1)
	v_mul_i32_i24_e32 v170, v170, v181
	v_bfe_u32 v181, v176, 8, 4
	v_mad_i32_i24 v175, v171, v181, v175
	v_bfe_u32 v181, v31, 20, 4
	s_delay_alu instid0(VALU_DEP_2) | instskip(SKIP_2) | instid1(VALU_DEP_2)
	v_add3_u32 v170, v175, v172, v170
	v_bfe_u32 v172, v25, 16, 4
	v_bfe_u32 v175, v26, 16, 4
	v_mul_i32_i24_e32 v172, v172, v134
	s_delay_alu instid0(VALU_DEP_2) | instskip(NEXT) | instid1(VALU_DEP_1)
	v_mul_i32_i24_e32 v175, v175, v128
	v_add3_u32 v172, v179, v172, v175
	v_and_b32_e32 v175, 15, v25
	v_and_b32_e32 v179, 15, v26
	s_delay_alu instid0(VALU_DEP_2) | instskip(NEXT) | instid1(VALU_DEP_2)
	v_mul_i32_i24_e32 v175, v175, v139
	v_mul_i32_i24_e32 v179, v179, v131
	s_delay_alu instid0(VALU_DEP_1) | instskip(SKIP_2) | instid1(VALU_DEP_2)
	v_add3_u32 v175, v178, v175, v179
	v_bfe_u32 v178, v25, 24, 4
	v_bfe_u32 v179, v26, 24, 4
	v_mul_i32_i24_e32 v178, v178, v133
	s_delay_alu instid0(VALU_DEP_2) | instskip(NEXT) | instid1(VALU_DEP_1)
	v_mul_i32_i24_e32 v179, v179, v127
	v_add3_u32 v178, v180, v178, v179
	v_bfe_u32 v179, v27, 4, 4
	v_bfe_u32 v180, v27, 12, 4
	s_delay_alu instid0(VALU_DEP_2) | instskip(NEXT) | instid1(VALU_DEP_1)
	v_mul_i32_i24_e32 v179, v168, v179
	v_mad_i32_i24 v179, v173, v180, v179
	v_bfe_u32 v180, v27, 20, 4
	v_lshrrev_b32_e32 v27, 28, v27
	s_delay_alu instid0(VALU_DEP_2) | instskip(NEXT) | instid1(VALU_DEP_2)
	v_mul_i32_i24_e32 v180, v167, v180
	v_mul_i32_i24_e32 v27, v166, v27
	s_delay_alu instid0(VALU_DEP_1) | instskip(SKIP_2) | instid1(VALU_DEP_2)
	v_add3_u32 v27, v179, v180, v27
	v_bfe_u32 v179, v29, 4, 4
	v_bfe_u32 v180, v29, 12, 4
	v_mul_i32_i24_e32 v179, v168, v179
	s_delay_alu instid0(VALU_DEP_1) | instskip(SKIP_2) | instid1(VALU_DEP_2)
	v_mad_i32_i24 v179, v173, v180, v179
	v_bfe_u32 v180, v29, 20, 4
	v_lshrrev_b32_e32 v29, 28, v29
	v_mul_i32_i24_e32 v180, v167, v180
	s_delay_alu instid0(VALU_DEP_2) | instskip(NEXT) | instid1(VALU_DEP_1)
	v_mul_i32_i24_e32 v29, v166, v29
	v_add3_u32 v29, v179, v180, v29
	v_bfe_u32 v179, v32, 4, 4
	v_bfe_u32 v180, v31, 4, 4
	s_delay_alu instid0(VALU_DEP_2) | instskip(NEXT) | instid1(VALU_DEP_1)
	v_mul_i32_i24_e32 v179, v179, v159
	v_mad_i32_i24 v179, v180, v168, v179
	v_bfe_u32 v180, v176, 4, 4
	s_delay_alu instid0(VALU_DEP_1) | instskip(SKIP_1) | instid1(VALU_DEP_1)
	v_mul_i32_i24_e32 v168, v168, v180
	v_bfe_u32 v180, v32, 20, 4
	v_mul_i32_i24_e32 v180, v180, v152
	s_delay_alu instid0(VALU_DEP_1) | instskip(SKIP_1) | instid1(VALU_DEP_1)
	v_mad_i32_i24 v180, v181, v167, v180
	v_bfe_u32 v181, v176, 20, 4
	v_mul_i32_i24_e32 v167, v167, v181
	v_lshrrev_b32_e32 v181, 28, v32
	s_delay_alu instid0(VALU_DEP_1) | instskip(NEXT) | instid1(VALU_DEP_1)
	v_mul_i32_i24_e32 v181, v181, v151
	v_mad_i32_i24 v181, v182, v166, v181
	v_lshrrev_b32_e32 v182, 28, v176
	v_bfe_u32 v176, v176, 12, 4
	s_delay_alu instid0(VALU_DEP_2) | instskip(NEXT) | instid1(VALU_DEP_2)
	v_mul_i32_i24_e32 v166, v166, v182
	v_mad_i32_i24 v168, v173, v176, v168
	v_bfe_u32 v176, v26, 4, 4
	s_delay_alu instid0(VALU_DEP_2) | instskip(SKIP_2) | instid1(VALU_DEP_4)
	v_add3_u32 v166, v168, v167, v166
	v_bfe_u32 v167, v25, 20, 4
	v_bfe_u32 v168, v26, 20, 4
	v_mul_i32_i24_e32 v176, v176, v132
	s_delay_alu instid0(VALU_DEP_3) | instskip(NEXT) | instid1(VALU_DEP_3)
	v_mul_i32_i24_e32 v167, v167, v136
	v_mul_i32_i24_e32 v168, v168, v130
	s_delay_alu instid0(VALU_DEP_1) | instskip(SKIP_2) | instid1(VALU_DEP_2)
	v_add3_u32 v167, v180, v167, v168
	v_bfe_u32 v168, v25, 4, 4
	v_and_b32_e32 v180, 0xf0f0f0f, v25
	v_mul_i32_i24_e32 v168, v168, v142
	s_delay_alu instid0(VALU_DEP_2) | instskip(NEXT) | instid1(VALU_DEP_2)
	v_lshrrev_b16 v180, 8, v180
	v_add3_u32 v168, v179, v168, v176
	v_lshrrev_b32_e32 v176, 28, v25
	v_lshrrev_b32_e32 v179, 28, v26
	s_delay_alu instid0(VALU_DEP_4) | instskip(SKIP_1) | instid1(VALU_DEP_4)
	v_and_b32_e32 v180, 0xffff, v180
	v_lshrrev_b32_e32 v25, 4, v25
	v_mul_i32_i24_e32 v176, v176, v135
	s_delay_alu instid0(VALU_DEP_4) | instskip(NEXT) | instid1(VALU_DEP_4)
	v_mul_i32_i24_e32 v179, v179, v129
	v_mul_i32_i24_e32 v180, v180, v165
	s_delay_alu instid0(VALU_DEP_4) | instskip(NEXT) | instid1(VALU_DEP_3)
	v_lshrrev_b16 v25, 8, v25
	v_add3_u32 v176, v181, v176, v179
	v_and_b32_e32 v179, 0xf0f0f0f, v31
	v_lshrrev_b32_e32 v31, 4, v31
	s_delay_alu instid0(VALU_DEP_4) | instskip(NEXT) | instid1(VALU_DEP_3)
	v_and_b32_e32 v25, 15, v25
	v_lshrrev_b16 v179, 8, v179
	s_delay_alu instid0(VALU_DEP_3) | instskip(NEXT) | instid1(VALU_DEP_3)
	v_lshrrev_b16 v31, 8, v31
	v_and_b32_e32 v25, 0xffff, v25
	s_delay_alu instid0(VALU_DEP_3) | instskip(NEXT) | instid1(VALU_DEP_3)
	v_and_b32_e32 v179, 0xffff, v179
	v_and_b32_e32 v31, 15, v31
	s_delay_alu instid0(VALU_DEP_3) | instskip(NEXT) | instid1(VALU_DEP_3)
	v_mul_i32_i24_e32 v25, v25, v158
	v_mul_i32_i24_e32 v171, v179, v171
	v_and_b32_e32 v179, 0xf0f0f0f, v32
	v_lshrrev_b32_e32 v32, 4, v32
	v_and_b32_e32 v31, 0xffff, v31
	s_delay_alu instid0(VALU_DEP_3) | instskip(NEXT) | instid1(VALU_DEP_3)
	v_lshrrev_b16 v179, 8, v179
	v_lshrrev_b16 v32, 8, v32
	s_delay_alu instid0(VALU_DEP_3) | instskip(NEXT) | instid1(VALU_DEP_3)
	v_mul_i32_i24_e32 v31, v31, v173
	v_and_b32_e32 v179, 0xffff, v179
	s_delay_alu instid0(VALU_DEP_3) | instskip(NEXT) | instid1(VALU_DEP_2)
	v_and_b32_e32 v32, 15, v32
	v_mul_i32_i24_e32 v179, v179, v164
	s_delay_alu instid0(VALU_DEP_2) | instskip(NEXT) | instid1(VALU_DEP_2)
	v_and_b32_e32 v32, 0xffff, v32
	v_add3_u32 v171, v171, v179, v180
	v_and_b32_e32 v179, 15, v28
	v_bfe_u32 v180, v28, 8, 4
	s_delay_alu instid0(VALU_DEP_4) | instskip(NEXT) | instid1(VALU_DEP_3)
	v_mul_i32_i24_e32 v32, v32, v160
	v_mul_i32_i24_e32 v179, v163, v179
	s_delay_alu instid0(VALU_DEP_3) | instskip(NEXT) | instid1(VALU_DEP_3)
	v_mul_i32_i24_e32 v180, v164, v180
	v_add3_u32 v25, v31, v32, v25
	v_bfe_u32 v31, v28, 16, 4
	v_bfe_u32 v32, v28, 24, 4
	s_delay_alu instid0(VALU_DEP_4) | instskip(SKIP_4) | instid1(VALU_DEP_4)
	v_add3_u32 v169, v169, v180, v179
	v_and_b32_e32 v179, 15, v30
	v_bfe_u32 v180, v30, 8, 4
	v_mul_i32_i24_e32 v31, v150, v31
	v_mul_i32_i24_e32 v32, v149, v32
	;; [unrolled: 1-line block ×3, first 2 shown]
	s_delay_alu instid0(VALU_DEP_4) | instskip(NEXT) | instid1(VALU_DEP_1)
	v_mul_i32_i24_e32 v180, v164, v180
	v_add3_u32 v174, v174, v180, v179
	v_and_b32_e32 v179, 15, v177
	s_delay_alu instid0(VALU_DEP_1) | instskip(SKIP_1) | instid1(VALU_DEP_1)
	v_mul_i32_i24_e32 v163, v163, v179
	v_bfe_u32 v179, v177, 8, 4
	v_mul_i32_i24_e32 v164, v164, v179
	s_delay_alu instid0(VALU_DEP_1) | instskip(SKIP_2) | instid1(VALU_DEP_2)
	v_add3_u32 v163, v170, v164, v163
	v_bfe_u32 v164, v23, 24, 4
	v_bfe_u32 v170, v24, 24, 4
	v_mul_i32_i24_e32 v164, v164, v121
	s_delay_alu instid0(VALU_DEP_2) | instskip(NEXT) | instid1(VALU_DEP_1)
	v_mul_i32_i24_e32 v170, v170, v114
	v_add3_u32 v164, v178, v164, v170
	v_and_b32_e32 v170, 15, v23
	v_and_b32_e32 v178, 15, v24
	s_delay_alu instid0(VALU_DEP_2) | instskip(NEXT) | instid1(VALU_DEP_2)
	v_mul_i32_i24_e32 v170, v170, v125
	v_mul_i32_i24_e32 v178, v178, v118
	s_delay_alu instid0(VALU_DEP_1) | instskip(SKIP_2) | instid1(VALU_DEP_2)
	v_add3_u32 v170, v175, v170, v178
	v_bfe_u32 v175, v23, 16, 4
	v_bfe_u32 v178, v24, 16, 4
	v_mul_i32_i24_e32 v175, v175, v122
	s_delay_alu instid0(VALU_DEP_2) | instskip(NEXT) | instid1(VALU_DEP_1)
	v_mul_i32_i24_e32 v178, v178, v115
	v_add3_u32 v172, v172, v175, v178
	v_bfe_u32 v175, v28, 4, 4
	v_bfe_u32 v178, v28, 12, 4
	s_delay_alu instid0(VALU_DEP_2) | instskip(NEXT) | instid1(VALU_DEP_2)
	v_mul_i32_i24_e32 v175, v159, v175
	v_mul_i32_i24_e32 v178, v160, v178
	s_delay_alu instid0(VALU_DEP_1) | instskip(SKIP_2) | instid1(VALU_DEP_2)
	v_add3_u32 v27, v27, v175, v178
	v_bfe_u32 v175, v30, 4, 4
	v_bfe_u32 v178, v30, 12, 4
	v_mul_i32_i24_e32 v175, v159, v175
	s_delay_alu instid0(VALU_DEP_2) | instskip(NEXT) | instid1(VALU_DEP_1)
	v_mul_i32_i24_e32 v178, v160, v178
	v_add3_u32 v29, v29, v175, v178
	v_bfe_u32 v175, v177, 4, 4
	s_delay_alu instid0(VALU_DEP_1) | instskip(SKIP_1) | instid1(VALU_DEP_1)
	v_mul_i32_i24_e32 v159, v159, v175
	v_bfe_u32 v175, v177, 12, 4
	v_mul_i32_i24_e32 v175, v160, v175
	v_add3_u32 v160, v169, v31, v32
	v_bfe_u32 v31, v30, 16, 4
	v_bfe_u32 v32, v30, 24, 4
	s_delay_alu instid0(VALU_DEP_4) | instskip(SKIP_1) | instid1(VALU_DEP_4)
	v_add3_u32 v159, v166, v159, v175
	v_lshrrev_b32_e32 v166, 28, v23
	v_mul_i32_i24_e32 v31, v150, v31
	s_delay_alu instid0(VALU_DEP_4) | instskip(SKIP_1) | instid1(VALU_DEP_4)
	v_mul_i32_i24_e32 v32, v149, v32
	v_lshrrev_b32_e32 v175, 28, v24
	v_mul_i32_i24_e32 v166, v166, v123
	s_delay_alu instid0(VALU_DEP_3) | instskip(SKIP_4) | instid1(VALU_DEP_4)
	v_add3_u32 v169, v174, v31, v32
	v_bfe_u32 v31, v177, 16, 4
	v_bfe_u32 v32, v177, 24, 4
	v_mul_i32_i24_e32 v175, v175, v116
	v_bfe_i32 v174, v147, 0, 8
	v_mul_i32_i24_e32 v31, v150, v31
	s_delay_alu instid0(VALU_DEP_4) | instskip(NEXT) | instid1(VALU_DEP_4)
	v_mul_i32_i24_e32 v32, v149, v32
	v_add3_u32 v166, v176, v166, v175
	v_bfe_u32 v175, v23, 4, 4
	v_bfe_u32 v176, v24, 4, 4
	s_delay_alu instid0(VALU_DEP_4) | instskip(SKIP_3) | instid1(VALU_DEP_1)
	v_add3_u32 v163, v163, v31, v32
	ds_load_2addr_b32 v[31:32], v161 offset0:6 offset1:7
	v_mul_i32_i24_e32 v175, v175, v126
	v_mul_i32_i24_e32 v176, v176, v120
	v_add3_u32 v168, v168, v175, v176
	v_bfe_u32 v175, v23, 20, 4
	v_bfe_u32 v176, v24, 20, 4
	s_delay_alu instid0(VALU_DEP_2) | instskip(NEXT) | instid1(VALU_DEP_2)
	v_mul_i32_i24_e32 v175, v175, v124
	v_mul_i32_i24_e32 v176, v176, v117
	s_delay_alu instid0(VALU_DEP_1)
	v_add3_u32 v167, v167, v175, v176
	s_wait_dscnt 0x0
	v_bfe_u32 v149, v31, 16, 4
	v_bfe_u32 v150, v32, 16, 4
	v_and_b32_e32 v175, 0xf0f0f0f, v26
	v_and_b32_e32 v176, 0xf0f0f0f, v23
	v_lshrrev_b32_e32 v26, 4, v26
	v_mul_i32_i24_e32 v149, v149, v108
	v_mul_i32_i24_e32 v150, v150, v99
	v_lshrrev_b32_e32 v23, 4, v23
	v_lshrrev_b16 v175, 8, v175
	v_lshrrev_b16 v176, 8, v176
	;; [unrolled: 1-line block ×3, first 2 shown]
	v_add3_u32 v161, v172, v149, v150
	v_and_b32_e32 v149, 15, v31
	v_and_b32_e32 v150, 15, v32
	v_lshrrev_b16 v23, 8, v23
	v_and_b32_e32 v175, 0xffff, v175
	v_and_b32_e32 v176, 0xffff, v176
	v_mul_i32_i24_e32 v149, v149, v112
	v_mul_i32_i24_e32 v150, v150, v104
	v_and_b32_e32 v26, 15, v26
	v_and_b32_e32 v23, 15, v23
	v_mul_i32_i24_e32 v175, v175, v155
	v_mul_i32_i24_e32 v176, v176, v157
	v_add3_u32 v170, v170, v149, v150
	v_bfe_u32 v149, v31, 24, 4
	v_bfe_u32 v150, v32, 24, 4
	v_and_b32_e32 v26, 0xffff, v26
	v_and_b32_e32 v23, 0xffff, v23
	v_add3_u32 v171, v171, v175, v176
	v_mul_i32_i24_e32 v149, v149, v107
	v_mul_i32_i24_e32 v150, v150, v98
	;; [unrolled: 1-line block ×4, first 2 shown]
	s_delay_alu instid0(VALU_DEP_3) | instskip(SKIP_2) | instid1(VALU_DEP_4)
	v_add3_u32 v164, v164, v149, v150
	v_bfe_u32 v149, v28, 20, 4
	v_lshrrev_b32_e32 v28, 28, v28
	v_add3_u32 v23, v25, v26, v23
	s_delay_alu instid0(VALU_DEP_3) | instskip(NEXT) | instid1(VALU_DEP_3)
	v_mul_i32_i24_e32 v149, v152, v149
	v_mul_i32_i24_e32 v28, v151, v28
	s_delay_alu instid0(VALU_DEP_1) | instskip(SKIP_2) | instid1(VALU_DEP_2)
	v_add3_u32 v172, v27, v149, v28
	v_bfe_u32 v27, v30, 20, 4
	v_lshrrev_b32_e32 v28, 28, v30
	v_mul_i32_i24_e32 v27, v152, v27
	s_delay_alu instid0(VALU_DEP_2) | instskip(NEXT) | instid1(VALU_DEP_1)
	v_mul_i32_i24_e32 v28, v151, v28
	v_add3_u32 v173, v29, v27, v28
	v_bfe_u32 v27, v177, 20, 4
	v_lshrrev_b32_e32 v28, 28, v177
	s_delay_alu instid0(VALU_DEP_2) | instskip(NEXT) | instid1(VALU_DEP_2)
	v_mul_i32_i24_e32 v27, v152, v27
	v_mul_i32_i24_e32 v28, v151, v28
	s_delay_alu instid0(VALU_DEP_1) | instskip(SKIP_2) | instid1(VALU_DEP_2)
	v_add3_u32 v151, v159, v27, v28
	v_bfe_u32 v27, v31, 20, 4
	v_bfe_u32 v28, v32, 20, 4
	v_mul_i32_i24_e32 v27, v27, v111
	s_delay_alu instid0(VALU_DEP_2) | instskip(NEXT) | instid1(VALU_DEP_1)
	v_mul_i32_i24_e32 v28, v28, v103
	v_add3_u32 v152, v167, v27, v28
	v_bfe_u32 v27, v31, 4, 4
	v_bfe_u32 v28, v32, 4, 4
	v_bfe_i32 v167, v143, 0, 8
	s_delay_alu instid0(VALU_DEP_3) | instskip(NEXT) | instid1(VALU_DEP_3)
	v_mul_i32_i24_e32 v27, v27, v113
	v_mul_i32_i24_e32 v28, v28, v106
	s_delay_alu instid0(VALU_DEP_1) | instskip(SKIP_3) | instid1(VALU_DEP_3)
	v_add3_u32 v159, v168, v27, v28
	v_lshrrev_b32_e32 v27, 28, v31
	v_lshrrev_b32_e32 v28, 28, v32
	v_bfe_i32 v168, v144, 0, 8
	v_mul_i32_i24_e32 v27, v27, v110
	s_delay_alu instid0(VALU_DEP_3) | instskip(NEXT) | instid1(VALU_DEP_1)
	v_mul_i32_i24_e32 v28, v28, v101
	v_add3_u32 v166, v166, v27, v28
	v_and_b32_e32 v27, 0xf0f0f0f, v24
	v_and_b32_e32 v28, 0xf0f0f0f, v31
	v_lshrrev_b32_e32 v24, 4, v24
	v_lshrrev_b32_e32 v31, 4, v31
	s_delay_alu instid0(VALU_DEP_4) | instskip(NEXT) | instid1(VALU_DEP_4)
	v_lshrrev_b16 v27, 8, v27
	v_lshrrev_b16 v28, 8, v28
	s_delay_alu instid0(VALU_DEP_4) | instskip(NEXT) | instid1(VALU_DEP_4)
	v_lshrrev_b16 v24, 8, v24
	v_lshrrev_b16 v31, 8, v31
	s_delay_alu instid0(VALU_DEP_4) | instskip(NEXT) | instid1(VALU_DEP_4)
	v_and_b32_e32 v27, 0xffff, v27
	v_and_b32_e32 v28, 0xffff, v28
	s_delay_alu instid0(VALU_DEP_4) | instskip(NEXT) | instid1(VALU_DEP_4)
	v_and_b32_e32 v24, 15, v24
	v_and_b32_e32 v31, 15, v31
	s_delay_alu instid0(VALU_DEP_4) | instskip(NEXT) | instid1(VALU_DEP_4)
	v_mul_i32_i24_e32 v27, v27, v167
	v_mul_i32_i24_e32 v28, v28, v168
	s_delay_alu instid0(VALU_DEP_4) | instskip(NEXT) | instid1(VALU_DEP_4)
	v_and_b32_e32 v24, 0xffff, v24
	v_and_b32_e32 v31, 0xffff, v31
	s_delay_alu instid0(VALU_DEP_3)
	v_add3_u32 v171, v171, v27, v28
	ds_load_u16 v153, v153
	ds_load_2addr_b32 v[25:26], v148 offset0:2 offset1:3
	ds_load_2addr_b32 v[27:28], v148 offset0:4 offset1:5
	;; [unrolled: 1-line block ×3, first 2 shown]
	v_mul_i32_i24_e32 v24, v24, v140
	v_mul_i32_i24_e32 v31, v31, v141
	s_delay_alu instid0(VALU_DEP_1)
	v_add3_u32 v23, v23, v24, v31
	s_wait_dscnt 0x2
	v_and_b32_e32 v143, 15, v25
	v_bfe_u32 v144, v25, 8, 4
	v_bfe_u32 v24, v25, 16, 4
	;; [unrolled: 1-line block ×3, first 2 shown]
	s_delay_alu instid0(VALU_DEP_4) | instskip(NEXT) | instid1(VALU_DEP_4)
	v_mul_i32_i24_e32 v143, v139, v143
	v_mul_i32_i24_e32 v144, v165, v144
	s_delay_alu instid0(VALU_DEP_4) | instskip(NEXT) | instid1(VALU_DEP_4)
	v_mul_i32_i24_e32 v24, v134, v24
	v_mul_i32_i24_e32 v31, v133, v31
	s_delay_alu instid0(VALU_DEP_3) | instskip(SKIP_2) | instid1(VALU_DEP_3)
	v_add3_u32 v160, v160, v144, v143
	v_and_b32_e32 v143, 15, v2
	v_bfe_u32 v144, v2, 8, 4
	v_add3_u32 v24, v160, v24, v31
	s_delay_alu instid0(VALU_DEP_3) | instskip(NEXT) | instid1(VALU_DEP_3)
	v_mul_i32_i24_e32 v143, v139, v143
	v_mul_i32_i24_e32 v144, v165, v144
	v_bfe_u32 v31, v2, 16, 4
	s_delay_alu instid0(VALU_DEP_2)
	v_add3_u32 v169, v169, v144, v143
	ds_load_u16 v154, v154
	ds_load_2addr_b32 v[143:144], v156 offset0:2 offset1:3
	ds_load_2addr_b32 v[147:148], v156 offset0:4 offset1:5
	;; [unrolled: 1-line block ×3, first 2 shown]
	v_mul_i32_i24_e32 v31, v134, v31
	s_wait_dscnt 0x2
	v_and_b32_e32 v156, 15, v143
	s_delay_alu instid0(VALU_DEP_1) | instskip(SKIP_1) | instid1(VALU_DEP_1)
	v_mul_i32_i24_e32 v139, v139, v156
	v_bfe_u32 v156, v143, 8, 4
	v_mul_i32_i24_e32 v156, v165, v156
	v_bfe_u32 v165, v2, 12, 4
	s_delay_alu instid0(VALU_DEP_2) | instskip(SKIP_2) | instid1(VALU_DEP_4)
	v_add3_u32 v139, v163, v156, v139
	v_bfe_u32 v156, v25, 4, 4
	v_bfe_u32 v163, v25, 12, 4
	v_mul_i32_i24_e32 v165, v158, v165
	s_delay_alu instid0(VALU_DEP_3) | instskip(NEXT) | instid1(VALU_DEP_3)
	v_mul_i32_i24_e32 v156, v142, v156
	v_mul_i32_i24_e32 v163, v158, v163
	s_delay_alu instid0(VALU_DEP_1) | instskip(SKIP_1) | instid1(VALU_DEP_1)
	v_add3_u32 v156, v172, v156, v163
	v_bfe_u32 v163, v2, 4, 4
	v_mul_i32_i24_e32 v163, v142, v163
	s_delay_alu instid0(VALU_DEP_1) | instskip(SKIP_1) | instid1(VALU_DEP_1)
	v_add3_u32 v163, v173, v163, v165
	v_bfe_u32 v165, v143, 4, 4
	v_mul_i32_i24_e32 v142, v142, v165
	v_bfe_u32 v165, v143, 12, 4
	s_delay_alu instid0(VALU_DEP_1) | instskip(NEXT) | instid1(VALU_DEP_1)
	v_mul_i32_i24_e32 v158, v158, v165
	v_add3_u32 v142, v151, v142, v158
	v_bfe_u32 v158, v2, 24, 4
	v_and_b32_e32 v151, 0xf0f0f0f, v32
	v_lshrrev_b32_e32 v32, 4, v32
	s_delay_alu instid0(VALU_DEP_3) | instskip(NEXT) | instid1(VALU_DEP_3)
	v_mul_i32_i24_e32 v158, v133, v158
	v_lshrrev_b16 v151, 8, v151
	s_delay_alu instid0(VALU_DEP_3) | instskip(NEXT) | instid1(VALU_DEP_3)
	v_lshrrev_b16 v32, 8, v32
	v_add3_u32 v31, v169, v31, v158
	v_bfe_u32 v158, v143, 16, 4
	s_delay_alu instid0(VALU_DEP_3) | instskip(SKIP_1) | instid1(VALU_DEP_3)
	v_and_b32_e32 v32, 15, v32
	v_and_b32_e32 v151, 0xffff, v151
	v_mul_i32_i24_e32 v134, v134, v158
	v_bfe_u32 v158, v143, 24, 4
	s_delay_alu instid0(VALU_DEP_4) | instskip(NEXT) | instid1(VALU_DEP_4)
	v_and_b32_e32 v32, 0xffff, v32
	v_mul_i32_i24_e32 v151, v151, v138
	s_delay_alu instid0(VALU_DEP_3) | instskip(NEXT) | instid1(VALU_DEP_2)
	v_mul_i32_i24_e32 v133, v133, v158
	v_add3_u32 v151, v171, v151, v164
	s_delay_alu instid0(VALU_DEP_2) | instskip(SKIP_2) | instid1(VALU_DEP_2)
	v_add3_u32 v133, v139, v134, v133
	v_bfe_u32 v134, v25, 20, 4
	v_lshrrev_b32_e32 v25, 28, v25
	v_mul_i32_i24_e32 v134, v136, v134
	s_delay_alu instid0(VALU_DEP_2) | instskip(NEXT) | instid1(VALU_DEP_1)
	v_mul_i32_i24_e32 v25, v135, v25
	v_add3_u32 v25, v156, v134, v25
	v_bfe_u32 v134, v2, 20, 4
	v_lshrrev_b32_e32 v2, 28, v2
	s_delay_alu instid0(VALU_DEP_2) | instskip(NEXT) | instid1(VALU_DEP_2)
	v_mul_i32_i24_e32 v134, v136, v134
	v_mul_i32_i24_e32 v2, v135, v2
	s_delay_alu instid0(VALU_DEP_1) | instskip(SKIP_1) | instid1(VALU_DEP_1)
	v_add3_u32 v2, v163, v134, v2
	v_bfe_u32 v134, v143, 20, 4
	v_mul_i32_i24_e32 v134, v136, v134
	v_lshrrev_b32_e32 v136, 28, v143
	s_delay_alu instid0(VALU_DEP_1) | instskip(SKIP_2) | instid1(VALU_DEP_3)
	v_mul_i32_i24_e32 v135, v135, v136
	v_bfe_i32 v136, v137, 0, 8
	v_bfe_u32 v137, v26, 8, 4
	v_add3_u32 v134, v142, v134, v135
	s_delay_alu instid0(VALU_DEP_3) | instskip(NEXT) | instid1(VALU_DEP_3)
	v_mul_i32_i24_e32 v32, v32, v136
	v_mul_i32_i24_e32 v137, v155, v137
	v_add3_u32 v135, v170, v161, v151
	s_delay_alu instid0(VALU_DEP_3) | instskip(SKIP_1) | instid1(VALU_DEP_2)
	v_add3_u32 v23, v23, v32, v166
	v_and_b32_e32 v32, 15, v26
	v_add3_u32 v23, v159, v152, v23
	s_delay_alu instid0(VALU_DEP_2) | instskip(NEXT) | instid1(VALU_DEP_1)
	v_mul_i32_i24_e32 v32, v131, v32
	v_add3_u32 v24, v24, v137, v32
	v_and_b32_e32 v32, 15, v3
	v_bfe_u32 v137, v3, 8, 4
	s_delay_alu instid0(VALU_DEP_2) | instskip(NEXT) | instid1(VALU_DEP_2)
	v_mul_i32_i24_e32 v32, v131, v32
	v_mul_i32_i24_e32 v137, v155, v137
	s_delay_alu instid0(VALU_DEP_1) | instskip(SKIP_1) | instid1(VALU_DEP_1)
	v_add3_u32 v31, v31, v137, v32
	v_and_b32_e32 v32, 15, v144
	v_mul_i32_i24_e32 v32, v131, v32
	v_bfe_u32 v131, v144, 8, 4
	s_delay_alu instid0(VALU_DEP_1) | instskip(NEXT) | instid1(VALU_DEP_1)
	v_mul_i32_i24_e32 v131, v155, v131
	v_add3_u32 v32, v133, v131, v32
	v_bfe_u32 v131, v26, 4, 4
	v_bfe_u32 v133, v26, 12, 4
	s_delay_alu instid0(VALU_DEP_2) | instskip(NEXT) | instid1(VALU_DEP_2)
	v_mul_i32_i24_e32 v131, v132, v131
	v_mul_i32_i24_e32 v133, v145, v133
	s_delay_alu instid0(VALU_DEP_1) | instskip(SKIP_2) | instid1(VALU_DEP_2)
	v_add3_u32 v25, v25, v131, v133
	v_bfe_u32 v131, v3, 4, 4
	v_bfe_u32 v133, v3, 12, 4
	v_mul_i32_i24_e32 v131, v132, v131
	s_delay_alu instid0(VALU_DEP_2) | instskip(NEXT) | instid1(VALU_DEP_1)
	v_mul_i32_i24_e32 v133, v145, v133
	v_add3_u32 v2, v2, v131, v133
	v_bfe_u32 v131, v144, 4, 4
	v_bfe_u32 v133, v26, 24, 4
	s_delay_alu instid0(VALU_DEP_2) | instskip(SKIP_1) | instid1(VALU_DEP_3)
	v_mul_i32_i24_e32 v131, v132, v131
	v_bfe_u32 v132, v144, 12, 4
	v_mul_i32_i24_e32 v133, v127, v133
	s_delay_alu instid0(VALU_DEP_2) | instskip(NEXT) | instid1(VALU_DEP_1)
	v_mul_i32_i24_e32 v132, v145, v132
	v_add3_u32 v131, v134, v131, v132
	v_bfe_u32 v132, v26, 16, 4
	s_delay_alu instid0(VALU_DEP_1) | instskip(NEXT) | instid1(VALU_DEP_1)
	v_mul_i32_i24_e32 v132, v128, v132
	v_add3_u32 v24, v24, v132, v133
	v_bfe_u32 v132, v3, 16, 4
	v_bfe_u32 v133, v3, 24, 4
	s_delay_alu instid0(VALU_DEP_2) | instskip(NEXT) | instid1(VALU_DEP_2)
	v_mul_i32_i24_e32 v132, v128, v132
	v_mul_i32_i24_e32 v133, v127, v133
	s_delay_alu instid0(VALU_DEP_1) | instskip(SKIP_1) | instid1(VALU_DEP_1)
	v_add3_u32 v31, v31, v132, v133
	v_bfe_u32 v132, v144, 16, 4
	v_mul_i32_i24_e32 v128, v128, v132
	v_bfe_u32 v132, v144, 24, 4
	s_delay_alu instid0(VALU_DEP_1) | instskip(NEXT) | instid1(VALU_DEP_1)
	v_mul_i32_i24_e32 v127, v127, v132
	v_add3_u32 v32, v32, v128, v127
	v_bfe_u32 v127, v26, 20, 4
	v_lshrrev_b32_e32 v26, 28, v26
	s_delay_alu instid0(VALU_DEP_2) | instskip(NEXT) | instid1(VALU_DEP_2)
	v_mul_i32_i24_e32 v127, v130, v127
	v_mul_i32_i24_e32 v26, v129, v26
	s_delay_alu instid0(VALU_DEP_1) | instskip(SKIP_3) | instid1(VALU_DEP_3)
	v_add3_u32 v25, v25, v127, v26
	v_bfe_u32 v26, v3, 20, 4
	v_lshrrev_b32_e32 v3, 28, v3
	v_bfe_u32 v127, v27, 8, 4
	v_mul_i32_i24_e32 v26, v130, v26
	s_delay_alu instid0(VALU_DEP_3) | instskip(NEXT) | instid1(VALU_DEP_3)
	v_mul_i32_i24_e32 v3, v129, v3
	v_mul_i32_i24_e32 v127, v157, v127
	s_delay_alu instid0(VALU_DEP_2) | instskip(SKIP_2) | instid1(VALU_DEP_2)
	v_add3_u32 v2, v2, v26, v3
	v_bfe_u32 v3, v144, 20, 4
	v_lshrrev_b32_e32 v26, 28, v144
	v_mul_i32_i24_e32 v3, v130, v3
	s_delay_alu instid0(VALU_DEP_2) | instskip(NEXT) | instid1(VALU_DEP_1)
	v_mul_i32_i24_e32 v26, v129, v26
	v_add3_u32 v3, v131, v3, v26
	v_and_b32_e32 v26, 15, v27
	s_delay_alu instid0(VALU_DEP_1) | instskip(NEXT) | instid1(VALU_DEP_1)
	v_mul_i32_i24_e32 v26, v125, v26
	v_add3_u32 v24, v24, v127, v26
	v_and_b32_e32 v26, 15, v0
	v_bfe_u32 v127, v0, 8, 4
	s_delay_alu instid0(VALU_DEP_2) | instskip(NEXT) | instid1(VALU_DEP_2)
	v_mul_i32_i24_e32 v26, v125, v26
	v_mul_i32_i24_e32 v127, v157, v127
	s_delay_alu instid0(VALU_DEP_1) | instskip(SKIP_2) | instid1(VALU_DEP_1)
	v_add3_u32 v26, v31, v127, v26
	s_wait_dscnt 0x1
	v_and_b32_e32 v31, 15, v147
	v_mul_i32_i24_e32 v31, v125, v31
	v_bfe_u32 v125, v147, 8, 4
	s_delay_alu instid0(VALU_DEP_1) | instskip(NEXT) | instid1(VALU_DEP_1)
	v_mul_i32_i24_e32 v125, v157, v125
	v_add3_u32 v31, v32, v125, v31
	v_bfe_u32 v32, v27, 4, 4
	v_bfe_u32 v125, v27, 12, 4
	s_delay_alu instid0(VALU_DEP_2) | instskip(NEXT) | instid1(VALU_DEP_2)
	v_mul_i32_i24_e32 v32, v126, v32
	v_mul_i32_i24_e32 v125, v174, v125
	s_delay_alu instid0(VALU_DEP_1) | instskip(SKIP_2) | instid1(VALU_DEP_2)
	v_add3_u32 v25, v25, v32, v125
	v_bfe_u32 v32, v0, 4, 4
	v_bfe_u32 v125, v0, 12, 4
	v_mul_i32_i24_e32 v32, v126, v32
	s_delay_alu instid0(VALU_DEP_2) | instskip(NEXT) | instid1(VALU_DEP_1)
	v_mul_i32_i24_e32 v125, v174, v125
	v_add3_u32 v2, v2, v32, v125
	v_bfe_u32 v32, v147, 4, 4
	v_bfe_u32 v125, v147, 12, 4
	s_delay_alu instid0(VALU_DEP_2) | instskip(NEXT) | instid1(VALU_DEP_2)
	v_mul_i32_i24_e32 v32, v126, v32
	v_mul_i32_i24_e32 v125, v174, v125
	s_delay_alu instid0(VALU_DEP_1) | instskip(SKIP_2) | instid1(VALU_DEP_2)
	v_add3_u32 v3, v3, v32, v125
	v_bfe_u32 v32, v27, 16, 4
	v_bfe_u32 v125, v27, 24, 4
	v_mul_i32_i24_e32 v32, v122, v32
	s_delay_alu instid0(VALU_DEP_2) | instskip(NEXT) | instid1(VALU_DEP_1)
	v_mul_i32_i24_e32 v125, v121, v125
	v_add3_u32 v24, v24, v32, v125
	v_bfe_u32 v32, v0, 16, 4
	v_bfe_u32 v125, v0, 24, 4
	s_delay_alu instid0(VALU_DEP_2) | instskip(NEXT) | instid1(VALU_DEP_2)
	v_mul_i32_i24_e32 v32, v122, v32
	v_mul_i32_i24_e32 v125, v121, v125
	s_delay_alu instid0(VALU_DEP_1) | instskip(SKIP_1) | instid1(VALU_DEP_1)
	v_add3_u32 v26, v26, v32, v125
	v_bfe_u32 v32, v147, 16, 4
	v_mul_i32_i24_e32 v32, v122, v32
	v_bfe_u32 v122, v147, 24, 4
	s_delay_alu instid0(VALU_DEP_1) | instskip(NEXT) | instid1(VALU_DEP_1)
	v_mul_i32_i24_e32 v121, v121, v122
	v_add3_u32 v31, v31, v32, v121
	v_bfe_u32 v32, v27, 20, 4
	v_lshrrev_b32_e32 v27, 28, v27
	s_delay_alu instid0(VALU_DEP_2) | instskip(NEXT) | instid1(VALU_DEP_2)
	v_mul_i32_i24_e32 v32, v124, v32
	v_mul_i32_i24_e32 v27, v123, v27
	s_delay_alu instid0(VALU_DEP_1) | instskip(SKIP_2) | instid1(VALU_DEP_2)
	v_add3_u32 v25, v25, v32, v27
	v_bfe_u32 v27, v0, 20, 4
	v_lshrrev_b32_e32 v0, 28, v0
	v_mul_i32_i24_e32 v27, v124, v27
	s_delay_alu instid0(VALU_DEP_2) | instskip(NEXT) | instid1(VALU_DEP_1)
	v_mul_i32_i24_e32 v0, v123, v0
	v_add3_u32 v0, v2, v27, v0
	v_bfe_u32 v2, v147, 20, 4
	v_lshrrev_b32_e32 v27, 28, v147
	s_delay_alu instid0(VALU_DEP_2) | instskip(NEXT) | instid1(VALU_DEP_2)
	v_mul_i32_i24_e32 v2, v124, v2
	v_mul_i32_i24_e32 v27, v123, v27
	s_delay_alu instid0(VALU_DEP_1) | instskip(SKIP_2) | instid1(VALU_DEP_2)
	v_add3_u32 v2, v3, v2, v27
	v_and_b32_e32 v3, 15, v28
	v_bfe_u32 v27, v28, 8, 4
	v_mul_i32_i24_e32 v3, v118, v3
	s_delay_alu instid0(VALU_DEP_2) | instskip(NEXT) | instid1(VALU_DEP_1)
	v_mul_i32_i24_e32 v27, v167, v27
	v_add3_u32 v3, v24, v27, v3
	v_and_b32_e32 v24, 15, v1
	v_bfe_u32 v27, v1, 8, 4
	s_delay_alu instid0(VALU_DEP_2) | instskip(NEXT) | instid1(VALU_DEP_2)
	v_mul_i32_i24_e32 v24, v118, v24
	v_mul_i32_i24_e32 v27, v167, v27
	s_delay_alu instid0(VALU_DEP_1) | instskip(SKIP_2) | instid1(VALU_DEP_2)
	v_add3_u32 v24, v26, v27, v24
	v_and_b32_e32 v26, 15, v148
	v_bfe_u32 v27, v148, 8, 4
	v_mul_i32_i24_e32 v26, v118, v26
	s_delay_alu instid0(VALU_DEP_2) | instskip(NEXT) | instid1(VALU_DEP_1)
	v_mul_i32_i24_e32 v27, v167, v27
	v_add3_u32 v26, v31, v27, v26
	v_bfe_u32 v27, v28, 4, 4
	v_bfe_u32 v31, v28, 12, 4
	s_delay_alu instid0(VALU_DEP_2) | instskip(NEXT) | instid1(VALU_DEP_2)
	v_mul_i32_i24_e32 v27, v120, v27
	v_mul_i32_i24_e32 v31, v140, v31
	s_delay_alu instid0(VALU_DEP_1) | instskip(SKIP_2) | instid1(VALU_DEP_2)
	v_add3_u32 v25, v25, v27, v31
	v_bfe_u32 v27, v1, 4, 4
	v_bfe_u32 v31, v1, 12, 4
	v_mul_i32_i24_e32 v27, v120, v27
	s_delay_alu instid0(VALU_DEP_2) | instskip(NEXT) | instid1(VALU_DEP_1)
	v_mul_i32_i24_e32 v31, v140, v31
	v_add3_u32 v0, v0, v27, v31
	v_bfe_u32 v27, v148, 4, 4
	v_bfe_u32 v31, v148, 12, 4
	s_delay_alu instid0(VALU_DEP_2) | instskip(NEXT) | instid1(VALU_DEP_2)
	v_mul_i32_i24_e32 v27, v120, v27
	v_mul_i32_i24_e32 v31, v140, v31
	s_delay_alu instid0(VALU_DEP_1) | instskip(SKIP_2) | instid1(VALU_DEP_2)
	v_add3_u32 v2, v2, v27, v31
	v_bfe_u32 v27, v28, 16, 4
	;; [unrolled: 13-line block ×3, first 2 shown]
	v_bfe_u32 v31, v148, 24, 4
	v_mul_i32_i24_e32 v27, v115, v27
	s_delay_alu instid0(VALU_DEP_2) | instskip(NEXT) | instid1(VALU_DEP_1)
	v_mul_i32_i24_e32 v31, v114, v31
	v_add3_u32 v26, v26, v27, v31
	v_bfe_u32 v27, v28, 20, 4
	v_lshrrev_b32_e32 v28, 28, v28
	s_delay_alu instid0(VALU_DEP_2) | instskip(NEXT) | instid1(VALU_DEP_2)
	v_mul_i32_i24_e32 v27, v117, v27
	v_mul_i32_i24_e32 v28, v116, v28
	s_delay_alu instid0(VALU_DEP_1) | instskip(SKIP_2) | instid1(VALU_DEP_2)
	v_add3_u32 v25, v25, v27, v28
	v_bfe_u32 v27, v1, 20, 4
	v_lshrrev_b32_e32 v1, 28, v1
	v_mul_i32_i24_e32 v27, v117, v27
	s_delay_alu instid0(VALU_DEP_2) | instskip(NEXT) | instid1(VALU_DEP_1)
	v_mul_i32_i24_e32 v1, v116, v1
	v_add3_u32 v27, v0, v27, v1
	v_bfe_u32 v0, v148, 20, 4
	v_lshrrev_b32_e32 v1, 28, v148
	s_delay_alu instid0(VALU_DEP_2) | instskip(NEXT) | instid1(VALU_DEP_2)
	v_mul_i32_i24_e32 v0, v117, v0
	v_mul_i32_i24_e32 v1, v116, v1
	s_delay_alu instid0(VALU_DEP_1) | instskip(SKIP_2) | instid1(VALU_DEP_2)
	v_add3_u32 v2, v2, v0, v1
	v_and_b32_e32 v0, 15, v29
	v_bfe_u32 v1, v29, 8, 4
	v_mul_i32_i24_e32 v0, v112, v0
	s_delay_alu instid0(VALU_DEP_2) | instskip(NEXT) | instid1(VALU_DEP_1)
	v_mul_i32_i24_e32 v1, v168, v1
	v_add3_u32 v3, v3, v1, v0
	ds_load_u16 v28, v146
	ds_load_2addr_b32 v[0:1], v119 offset0:6 offset1:7
	s_wait_dscnt 0x0
	v_and_b32_e32 v31, 15, v0
	v_bfe_u32 v32, v0, 8, 4
	s_delay_alu instid0(VALU_DEP_2) | instskip(NEXT) | instid1(VALU_DEP_2)
	v_mul_i32_i24_e32 v31, v112, v31
	v_mul_i32_i24_e32 v32, v168, v32
	s_delay_alu instid0(VALU_DEP_1) | instskip(SKIP_2) | instid1(VALU_DEP_2)
	v_add3_u32 v24, v24, v32, v31
	v_and_b32_e32 v31, 15, v149
	v_bfe_u32 v32, v149, 8, 4
	v_mul_i32_i24_e32 v31, v112, v31
	s_delay_alu instid0(VALU_DEP_2) | instskip(NEXT) | instid1(VALU_DEP_1)
	v_mul_i32_i24_e32 v32, v168, v32
	v_add3_u32 v26, v26, v32, v31
	v_bfe_u32 v31, v29, 4, 4
	v_bfe_u32 v32, v29, 12, 4
	s_delay_alu instid0(VALU_DEP_2) | instskip(NEXT) | instid1(VALU_DEP_2)
	v_mul_i32_i24_e32 v31, v113, v31
	v_mul_i32_i24_e32 v32, v141, v32
	s_delay_alu instid0(VALU_DEP_1) | instskip(SKIP_2) | instid1(VALU_DEP_2)
	v_add3_u32 v25, v25, v31, v32
	v_bfe_u32 v31, v0, 4, 4
	v_bfe_u32 v32, v0, 12, 4
	v_mul_i32_i24_e32 v31, v113, v31
	s_delay_alu instid0(VALU_DEP_2) | instskip(NEXT) | instid1(VALU_DEP_1)
	v_mul_i32_i24_e32 v32, v141, v32
	v_add3_u32 v27, v27, v31, v32
	v_bfe_u32 v31, v149, 4, 4
	v_bfe_u32 v32, v149, 12, 4
	s_delay_alu instid0(VALU_DEP_2) | instskip(NEXT) | instid1(VALU_DEP_2)
	v_mul_i32_i24_e32 v31, v113, v31
	v_mul_i32_i24_e32 v32, v141, v32
	s_delay_alu instid0(VALU_DEP_1) | instskip(SKIP_2) | instid1(VALU_DEP_2)
	v_add3_u32 v2, v2, v31, v32
	v_bfe_u32 v31, v29, 16, 4
	;; [unrolled: 13-line block ×3, first 2 shown]
	v_bfe_u32 v32, v149, 24, 4
	v_mul_i32_i24_e32 v31, v108, v31
	s_delay_alu instid0(VALU_DEP_2) | instskip(NEXT) | instid1(VALU_DEP_1)
	v_mul_i32_i24_e32 v32, v107, v32
	v_add3_u32 v26, v26, v31, v32
	v_bfe_u32 v31, v29, 20, 4
	v_lshrrev_b32_e32 v29, 28, v29
	v_cvt_f32_ubyte1_e32 v32, v109
	s_delay_alu instid0(VALU_DEP_3) | instskip(NEXT) | instid1(VALU_DEP_3)
	v_mul_i32_i24_e32 v31, v111, v31
	v_mul_i32_i24_e32 v29, v110, v29
	s_delay_alu instid0(VALU_DEP_1) | instskip(SKIP_3) | instid1(VALU_DEP_3)
	v_add3_u32 v25, v25, v31, v29
	v_bfe_u32 v29, v0, 20, 4
	v_lshrrev_b32_e32 v0, 28, v0
	v_cvt_f32_ubyte1_e32 v31, v162
	v_mul_i32_i24_e32 v29, v111, v29
	s_delay_alu instid0(VALU_DEP_3) | instskip(NEXT) | instid1(VALU_DEP_1)
	v_mul_i32_i24_e32 v0, v110, v0
	v_add3_u32 v0, v27, v29, v0
	v_bfe_u32 v27, v149, 20, 4
	v_lshrrev_b32_e32 v29, 28, v149
	s_delay_alu instid0(VALU_DEP_2) | instskip(NEXT) | instid1(VALU_DEP_2)
	v_mul_i32_i24_e32 v27, v111, v27
	v_mul_i32_i24_e32 v29, v110, v29
	s_delay_alu instid0(VALU_DEP_1) | instskip(SKIP_2) | instid1(VALU_DEP_2)
	v_add3_u32 v2, v2, v27, v29
	v_and_b32_e32 v27, 15, v30
	v_bfe_u32 v29, v30, 8, 4
	v_mul_i32_i24_e32 v27, v104, v27
	s_delay_alu instid0(VALU_DEP_2) | instskip(NEXT) | instid1(VALU_DEP_1)
	v_mul_i32_i24_e32 v29, v138, v29
	v_add3_u32 v3, v3, v29, v27
	v_and_b32_e32 v27, 15, v1
	v_bfe_u32 v29, v1, 8, 4
	s_delay_alu instid0(VALU_DEP_2) | instskip(NEXT) | instid1(VALU_DEP_2)
	v_mul_i32_i24_e32 v27, v104, v27
	v_mul_i32_i24_e32 v29, v138, v29
	s_delay_alu instid0(VALU_DEP_1) | instskip(SKIP_2) | instid1(VALU_DEP_2)
	v_add3_u32 v24, v24, v29, v27
	v_and_b32_e32 v27, 15, v150
	v_bfe_u32 v29, v150, 8, 4
	v_mul_i32_i24_e32 v27, v104, v27
	s_delay_alu instid0(VALU_DEP_2) | instskip(NEXT) | instid1(VALU_DEP_1)
	v_mul_i32_i24_e32 v29, v138, v29
	v_add3_u32 v26, v26, v29, v27
	v_bfe_u32 v27, v30, 4, 4
	v_bfe_u32 v29, v30, 12, 4
	s_delay_alu instid0(VALU_DEP_2) | instskip(NEXT) | instid1(VALU_DEP_2)
	v_mul_i32_i24_e32 v27, v106, v27
	v_mul_i32_i24_e32 v29, v136, v29
	s_delay_alu instid0(VALU_DEP_1) | instskip(SKIP_2) | instid1(VALU_DEP_2)
	v_add3_u32 v25, v25, v27, v29
	v_bfe_u32 v27, v1, 4, 4
	v_bfe_u32 v29, v1, 12, 4
	v_mul_i32_i24_e32 v27, v106, v27
	s_delay_alu instid0(VALU_DEP_2) | instskip(NEXT) | instid1(VALU_DEP_1)
	v_mul_i32_i24_e32 v29, v136, v29
	v_add3_u32 v0, v0, v27, v29
	v_bfe_u32 v27, v150, 4, 4
	v_bfe_u32 v29, v150, 12, 4
	s_delay_alu instid0(VALU_DEP_2) | instskip(NEXT) | instid1(VALU_DEP_2)
	v_mul_i32_i24_e32 v27, v106, v27
	v_mul_i32_i24_e32 v29, v136, v29
	s_delay_alu instid0(VALU_DEP_1) | instskip(SKIP_2) | instid1(VALU_DEP_2)
	v_add3_u32 v2, v2, v27, v29
	v_bfe_u32 v27, v30, 16, 4
	;; [unrolled: 13-line block ×3, first 2 shown]
	v_bfe_u32 v29, v150, 24, 4
	v_mul_i32_i24_e32 v27, v99, v27
	s_delay_alu instid0(VALU_DEP_2) | instskip(SKIP_2) | instid1(VALU_DEP_3)
	v_mul_i32_i24_e32 v29, v98, v29
	v_lshrrev_b16 v99, 8, v154
	v_cvt_f32_ubyte1_e32 v98, v102
	v_add3_u32 v26, v26, v27, v29
	v_bfe_u32 v27, v30, 20, 4
	v_lshrrev_b32_e32 v29, 28, v30
	v_cvt_f32_ubyte1_e32 v30, v105
	v_and_b32_e32 v99, 0xffff, v99
	s_delay_alu instid0(VALU_DEP_4) | instskip(NEXT) | instid1(VALU_DEP_4)
	v_mul_i32_i24_e32 v27, v103, v27
	v_mul_i32_i24_e32 v29, v101, v29
	s_delay_alu instid0(VALU_DEP_3) | instskip(NEXT) | instid1(VALU_DEP_2)
	v_mul_lo_u32 v23, v23, v99
	v_add3_u32 v25, v25, v27, v29
	v_bfe_u32 v27, v1, 20, 4
	v_lshrrev_b32_e32 v1, 28, v1
	v_cvt_f32_ubyte0_e32 v29, v105
	v_cvt_f32_i32_e32 v23, v23
	s_delay_alu instid0(VALU_DEP_4) | instskip(NEXT) | instid1(VALU_DEP_4)
	v_mul_i32_i24_e32 v27, v103, v27
	v_mul_i32_i24_e32 v1, v101, v1
	s_delay_alu instid0(VALU_DEP_1) | instskip(SKIP_2) | instid1(VALU_DEP_2)
	v_add3_u32 v27, v0, v27, v1
	v_bfe_u32 v0, v150, 20, 4
	v_lshrrev_b32_e32 v1, 28, v150
	v_mul_i32_i24_e32 v0, v103, v0
	s_delay_alu instid0(VALU_DEP_2) | instskip(NEXT) | instid1(VALU_DEP_1)
	v_mul_i32_i24_e32 v1, v101, v1
	v_add3_u32 v2, v2, v0, v1
	v_lshrrev_b32_e32 v0, 1, v97
	v_cvt_f32_ubyte0_e32 v97, v102
	ds_load_b64 v[0:1], v0 offset:20560
	s_wait_dscnt 0x0
	v_fma_mix_f32 v29, v0, v29, 0 op_sel:[1,0,0] op_sel_hi:[1,0,0]
	v_fma_mix_f32 v97, v0, v97, 0 op_sel:[1,0,0] op_sel_hi:[1,0,0]
	s_delay_alu instid0(VALU_DEP_2) | instskip(SKIP_1) | instid1(VALU_DEP_3)
	v_fma_mix_f32 v29, v1, v30, v29 op_sel:[1,0,0] op_sel_hi:[1,0,0]
	v_cvt_f32_ubyte0_e32 v30, v162
	v_fma_mix_f32 v97, v1, v98, v97 op_sel:[1,0,0] op_sel_hi:[1,0,0]
	s_delay_alu instid0(VALU_DEP_3) | instskip(NEXT) | instid1(VALU_DEP_3)
	v_dual_mul_f32 v29, v29, v93 :: v_dual_and_b32 v98, 0xff, v154
	v_fma_mix_f32 v30, v0, v30, 0 op_sel:[1,0,0] op_sel_hi:[1,0,0]
	s_delay_alu instid0(VALU_DEP_2) | instskip(NEXT) | instid1(VALU_DEP_2)
	v_mul_lo_u32 v98, v135, v98
	v_fma_mix_f32 v30, v1, v31, v30 op_sel:[1,0,0] op_sel_hi:[1,0,0]
	v_cvt_f32_ubyte0_e32 v31, v109
	s_delay_alu instid0(VALU_DEP_3) | instskip(NEXT) | instid1(VALU_DEP_2)
	v_cvt_f32_i32_e32 v98, v98
	v_fma_mix_f32 v31, v31, v0, 0 op_sel:[0,1,0] op_sel_hi:[0,1,0]
	s_delay_alu instid0(VALU_DEP_4) | instskip(NEXT) | instid1(VALU_DEP_3)
	v_mul_f32_e32 v30, v30, v94
	v_fma_mix_f32 v98, v98, v0, 0 op_sel_hi:[0,1,0]
	s_delay_alu instid0(VALU_DEP_3) | instskip(SKIP_3) | instid1(VALU_DEP_2)
	v_fma_mix_f32 v31, v32, v1, v31 op_sel:[0,1,0] op_sel_hi:[0,1,0]
	ds_load_u16 v32, v100
	v_lshrrev_b16 v100, 8, v153
	v_fma_mix_f32 v23, v23, v1, v98 op_sel_hi:[0,1,0]
	v_dual_mul_f32 v31, v31, v95 :: v_dual_and_b32 v100, 0xffff, v100
	s_delay_alu instid0(VALU_DEP_1) | instskip(NEXT) | instid1(VALU_DEP_1)
	v_mul_lo_u32 v27, v27, v100
	v_cvt_f32_i32_e32 v27, v27
	s_wait_dscnt 0x0
	v_and_b32_e32 v99, 0xff, v32
	v_lshrrev_b16 v32, 8, v32
	s_delay_alu instid0(VALU_DEP_2) | instskip(SKIP_1) | instid1(VALU_DEP_3)
	v_mul_lo_u32 v3, v3, v99
	v_and_b32_e32 v99, 0xff, v153
	v_and_b32_e32 v32, 0xffff, v32
	s_delay_alu instid0(VALU_DEP_2) | instskip(SKIP_2) | instid1(VALU_DEP_4)
	v_mul_lo_u32 v24, v24, v99
	v_lshrrev_b16 v99, 8, v28
	v_and_b32_e32 v28, 0xff, v28
	v_mul_lo_u32 v25, v25, v32
	v_cvt_f32_i32_e32 v3, v3
	s_delay_alu instid0(VALU_DEP_4) | instskip(NEXT) | instid1(VALU_DEP_4)
	v_and_b32_e32 v99, 0xffff, v99
	v_mul_lo_u32 v26, v26, v28
	v_cvt_f32_i32_e32 v24, v24
	s_delay_alu instid0(VALU_DEP_4) | instskip(NEXT) | instid1(VALU_DEP_4)
	v_fma_mix_f32 v3, v0, v3, 0 op_sel_hi:[1,0,0]
	v_mul_lo_u32 v2, v2, v99
	v_cvt_f32_i32_e32 v25, v25
	s_delay_alu instid0(VALU_DEP_4) | instskip(SKIP_1) | instid1(VALU_DEP_3)
	v_fma_mix_f32 v24, v0, v24, 0 op_sel_hi:[1,0,0]
	v_cvt_f32_i32_e32 v26, v26
	v_fma_mix_f32 v3, v1, v25, v3 op_sel_hi:[1,0,0]
	s_delay_alu instid0(VALU_DEP_3) | instskip(SKIP_1) | instid1(VALU_DEP_4)
	v_fma_mix_f32 v24, v1, v27, v24 op_sel_hi:[1,0,0]
	v_cvt_f32_i32_e32 v2, v2
	v_fma_mix_f32 v0, v0, v26, 0 op_sel_hi:[1,0,0]
	v_mul_f32_e32 v26, v97, v92
	s_delay_alu instid0(VALU_DEP_2) | instskip(SKIP_1) | instid1(VALU_DEP_3)
	v_fma_mix_f32 v0, v1, v2, v0 op_sel_hi:[1,0,0]
	v_fma_f32 v1, v23, v96, -v31
	v_fma_f32 v2, v3, v89, -v26
	;; [unrolled: 1-line block ×3, first 2 shown]
	s_delay_alu instid0(VALU_DEP_4) | instskip(NEXT) | instid1(VALU_DEP_3)
	v_fma_f32 v0, v0, v91, -v30
	v_dual_add_f32 v20, v20, v1 :: v_dual_add_f32 v35, v35, v2
	s_delay_alu instid0(VALU_DEP_2)
	v_dual_add_f32 v64, v64, v3 :: v_dual_add_f32 v59, v59, v0
	s_wait_alu 0xfffe
	s_cbranch_vccnz .LBB232_11
; %bb.12:                               ;   in Loop: Header=BB232_5 Depth=1
	s_bitset1_b32 s18, 7
	s_wait_loadcnt 0x0
	s_wait_alu 0xfffe
	s_cmp_ge_i32 s18, s5
	s_barrier_signal -1
	s_barrier_wait -1
	global_inv scope:SCOPE_SE
	s_cbranch_scc1 .LBB232_4
; %bb.13:                               ;   in Loop: Header=BB232_5 Depth=1
	v_add_nc_u32_e32 v0, s19, v65
	s_delay_alu instid0(VALU_DEP_1)
	v_cmp_gt_i32_e32 vcc_lo, s6, v0
	s_and_b32 s19, s1, vcc_lo
	s_wait_alu 0xfffe
	s_and_saveexec_b32 s18, s19
	s_cbranch_execz .LBB232_15
; %bb.14:                               ;   in Loop: Header=BB232_5 Depth=1
	v_add_nc_u32_e32 v0, v72, v0
	s_delay_alu instid0(VALU_DEP_1)
	v_mad_co_i64_i32 v[0:1], null, v0, 36, v[21:22]
	global_load_b32 v0, v[0:1], off offset:4
	s_wait_loadcnt 0x0
	ds_store_b32 v63, v0
.LBB232_15:                             ;   in Loop: Header=BB232_5 Depth=1
	s_wait_alu 0xfffe
	s_or_b32 exec_lo, exec_lo, s18
	s_and_saveexec_b32 s18, s0
	s_cbranch_execz .LBB232_18
; %bb.16:                               ;   in Loop: Header=BB232_5 Depth=1
	v_or_b32_e32 v0, 4, v88
	s_delay_alu instid0(VALU_DEP_1)
	v_cmp_gt_i32_e32 vcc_lo, s6, v0
	s_and_b32 s19, s1, vcc_lo
	s_wait_alu 0xfffe
	s_and_b32 exec_lo, exec_lo, s19
	s_cbranch_execz .LBB232_18
; %bb.17:                               ;   in Loop: Header=BB232_5 Depth=1
	v_ashrrev_i32_e32 v0, 31, v88
	v_ashrrev_i32_e32 v1, 31, v72
	v_add_co_u32 v2, vcc_lo, v72, v88
	s_wait_alu 0xfffd
	s_delay_alu instid0(VALU_DEP_2) | instskip(NEXT) | instid1(VALU_DEP_2)
	v_add_co_ci_u32_e64 v3, null, v1, v0, vcc_lo
	v_mad_co_u64_u32 v[0:1], null, v2, 36, s[2:3]
	s_delay_alu instid0(VALU_DEP_1)
	v_mad_i32_i24 v1, v3, 36, v1
	global_load_b32 v0, v[0:1], off offset:144
	s_wait_loadcnt 0x0
	ds_store_b32 v83, v0
.LBB232_18:                             ;   in Loop: Header=BB232_5 Depth=1
	s_wait_alu 0xfffe
	s_or_b32 exec_lo, exec_lo, s18
	s_wait_loadcnt_dscnt 0x0
	s_barrier_signal -1
	s_barrier_wait -1
	global_inv scope:SCOPE_SE
	ds_load_b32 v0, v67
	ds_load_b32 v1, v68 offset:128
	ds_load_b32 v2, v69 offset:256
	;; [unrolled: 1-line block ×3, first 2 shown]
	v_dual_mov_b32 v29, v62 :: v_dual_mov_b32 v30, v75
	v_mad_u32_u24 v94, 0x84, v34, 64
	s_mov_b32 s18, 16
	s_mov_b32 s19, 0
	s_wait_dscnt 0x3
	v_cvt_f32_f16_e32 v31, v0
	v_lshrrev_b32_e32 v0, 16, v0
	s_wait_dscnt 0x2
	v_cvt_f32_f16_e32 v32, v1
	v_lshrrev_b32_e32 v1, 16, v1
	s_wait_dscnt 0x1
	v_cvt_f32_f16_e32 v88, v2
	v_lshrrev_b32_e32 v2, 16, v2
	s_wait_dscnt 0x0
	v_lshrrev_b32_e32 v23, 16, v3
	v_cvt_f32_f16_e32 v89, v3
	v_cvt_f32_f16_e32 v90, v0
	;; [unrolled: 1-line block ×5, first 2 shown]
.LBB232_19:                             ;   Parent Loop BB232_5 Depth=1
                                        ; =>  This Inner Loop Header: Depth=2
	ds_load_b128 v[0:3], v29
	ds_load_b128 v[23:26], v29 offset:16
	s_wait_alu 0xfffe
	s_lshr_b32 s21, s18, 2
	v_add_nc_u32_e32 v162, 0x2110, v94
	s_wait_alu 0xfffe
	s_and_b32 s21, s21, 0x3ffffffc
	v_add_nc_u32_e32 v176, 0x3198, v94
	s_add_co_i32 s18, s18, 8
	s_wait_dscnt 0x1
	v_lshrrev_b16 v28, 8, v0
	v_lshrrev_b16 v150, 8, v1
	;; [unrolled: 1-line block ×4, first 2 shown]
	v_ashrrev_i32_e32 v152, 24, v0
	v_bfe_i32 v154, v0, 16, 8
	v_bfe_i32 v157, v0, 0, 8
	v_ashrrev_i32_e32 v140, 24, v1
	v_bfe_i32 v143, v1, 16, 8
	v_bfe_i32 v147, v1, 0, 8
	;; [unrolled: 3-line block ×4, first 2 shown]
	s_wait_dscnt 0x0
	v_lshrrev_b16 v142, 8, v23
	v_lshrrev_b16 v134, 8, v24
	;; [unrolled: 1-line block ×4, first 2 shown]
	v_ashrrev_i32_e32 v112, 24, v23
	v_bfe_i32 v113, v23, 16, 8
	v_bfe_i32 v115, v23, 0, 8
	v_ashrrev_i32_e32 v106, 24, v24
	v_bfe_i32 v107, v24, 16, 8
	v_bfe_i32 v109, v24, 0, 8
	;; [unrolled: 3-line block ×4, first 2 shown]
	ds_load_b128 v[0:3], v29 offset:32
	ds_load_b128 v[23:26], v29 offset:48
	v_bfe_i32 v156, v28, 0, 8
	v_bfe_i32 v150, v150, 0, 8
	;; [unrolled: 1-line block ×6, first 2 shown]
	v_add_nc_u32_e32 v29, 64, v29
	s_wait_dscnt 0x1
	v_lshrrev_b16 v27, 8, v0
	v_lshrrev_b16 v149, 8, v1
	;; [unrolled: 1-line block ×4, first 2 shown]
	v_ashrrev_i32_e32 v151, 24, v0
	v_bfe_i32 v153, v0, 16, 8
	v_bfe_i32 v155, v0, 0, 8
	v_ashrrev_i32_e32 v144, 24, v1
	v_bfe_i32 v145, v1, 16, 8
	v_bfe_i32 v148, v1, 0, 8
	;; [unrolled: 3-line block ×4, first 2 shown]
	s_wait_dscnt 0x0
	v_lshrrev_b16 v137, 8, v23
	v_lshrrev_b16 v129, 8, v24
	;; [unrolled: 1-line block ×4, first 2 shown]
	v_ashrrev_i32_e32 v116, 24, v23
	v_bfe_i32 v117, v23, 16, 8
	v_bfe_i32 v120, v23, 0, 8
	v_ashrrev_i32_e32 v110, 24, v24
	v_bfe_i32 v111, v24, 16, 8
	v_bfe_i32 v114, v24, 0, 8
	v_ashrrev_i32_e32 v104, 24, v25
	v_bfe_i32 v105, v25, 16, 8
	v_bfe_i32 v108, v25, 0, 8
	v_ashrrev_i32_e32 v97, 24, v26
	v_bfe_i32 v98, v26, 16, 8
	v_bfe_i32 v102, v26, 0, 8
	ds_load_2addr_b32 v[0:1], v94 offset1:1
	ds_load_2addr_b32 v[2:3], v94 offset0:2 offset1:3
	ds_load_2addr_b32 v[23:24], v94 offset0:4 offset1:5
	ds_load_b64 v[25:26], v30
	v_bfe_i32 v178, v27, 0, 8
	v_bfe_i32 v149, v149, 0, 8
	;; [unrolled: 1-line block ×7, first 2 shown]
	v_add_nc_u32_e32 v30, 8, v30
	s_wait_dscnt 0x3
	v_and_b32_e32 v28, 15, v0
	v_bfe_u32 v158, v0, 8, 4
	v_bfe_u32 v159, v0, 24, 4
	;; [unrolled: 1-line block ×3, first 2 shown]
	s_delay_alu instid0(VALU_DEP_4) | instskip(NEXT) | instid1(VALU_DEP_3)
	v_mul_i32_i24_e32 v28, v157, v28
	v_mul_i32_i24_e32 v159, v152, v159
	s_delay_alu instid0(VALU_DEP_3) | instskip(NEXT) | instid1(VALU_DEP_3)
	v_mul_i32_i24_e32 v27, v155, v27
	v_mad_i32_i24 v28, v156, v158, v28
	v_bfe_u32 v158, v0, 16, 4
	s_delay_alu instid0(VALU_DEP_1) | instskip(NEXT) | instid1(VALU_DEP_1)
	v_mul_i32_i24_e32 v158, v154, v158
	v_add3_u32 v172, v28, v158, v159
	v_bfe_u32 v28, v0, 12, 4
	s_delay_alu instid0(VALU_DEP_1) | instskip(SKIP_2) | instid1(VALU_DEP_2)
	v_mad_i32_i24 v27, v178, v28, v27
	v_bfe_u32 v28, v0, 20, 4
	v_lshrrev_b32_e32 v0, 28, v0
	v_mul_i32_i24_e32 v28, v153, v28
	s_delay_alu instid0(VALU_DEP_2) | instskip(NEXT) | instid1(VALU_DEP_1)
	v_mul_i32_i24_e32 v0, v151, v0
	v_add3_u32 v179, v27, v28, v0
	v_lshlrev_b32_e32 v0, 4, v34
	s_delay_alu instid0(VALU_DEP_1) | instskip(SKIP_3) | instid1(VALU_DEP_2)
	v_add_nc_u32_e32 v159, s19, v0
	v_add_nc_u32_e32 v0, 0x1080, v94
	s_add_co_i32 s19, s19, 2
	s_wait_alu 0xfffe
	v_add3_u32 v158, v78, s21, v159
	ds_load_2addr_b32 v[164:165], v0 offset1:1
	v_add3_u32 v161, v76, s21, v159
	v_add3_u32 v163, v77, s21, v159
	ds_load_u16 v0, v158 offset:17416
	s_wait_dscnt 0x1
	v_and_b32_e32 v27, 15, v164
	v_bfe_u32 v28, v164, 8, 4
	v_bfe_u32 v160, v164, 24, 4
	s_delay_alu instid0(VALU_DEP_3) | instskip(NEXT) | instid1(VALU_DEP_2)
	v_mul_i32_i24_e32 v27, v157, v27
	v_mul_i32_i24_e32 v160, v152, v160
	s_delay_alu instid0(VALU_DEP_2) | instskip(SKIP_1) | instid1(VALU_DEP_1)
	v_mad_i32_i24 v27, v156, v28, v27
	v_bfe_u32 v28, v164, 16, 4
	v_mul_i32_i24_e32 v28, v154, v28
	s_delay_alu instid0(VALU_DEP_1)
	v_add3_u32 v180, v27, v28, v160
	v_add_nc_u32_e32 v27, 0x3180, v94
	ds_load_u16 v160, v161 offset:18440
	ds_load_2addr_b32 v[166:167], v27 offset1:1
	s_wait_dscnt 0x0
	v_and_b32_e32 v27, 15, v167
	v_and_b32_e32 v28, 15, v166
	v_bfe_u32 v174, v166, 16, 4
	v_bfe_u32 v185, v166, 20, 4
	v_lshrrev_b32_e32 v186, 28, v166
	v_mul_i32_i24_e32 v27, v27, v147
	s_delay_alu instid0(VALU_DEP_1)
	v_mad_i32_i24 v181, v28, v157, v27
	v_add_nc_u32_e32 v27, 0x2100, v94
	v_add_nc_u32_e32 v28, 0x2108, v94
	ds_load_2addr_b32 v[168:169], v27 offset1:1
	ds_load_2addr_b32 v[170:171], v28 offset1:1
	;; [unrolled: 1-line block ×3, first 2 shown]
	ds_load_u16 v162, v163 offset:17928
	s_wait_dscnt 0x3
	v_and_b32_e32 v173, 15, v168
	s_delay_alu instid0(VALU_DEP_1) | instskip(SKIP_1) | instid1(VALU_DEP_1)
	v_mul_i32_i24_e32 v157, v157, v173
	v_bfe_u32 v173, v167, 16, 4
	v_mul_i32_i24_e32 v173, v173, v143
	s_delay_alu instid0(VALU_DEP_1) | instskip(SKIP_2) | instid1(VALU_DEP_2)
	v_mad_i32_i24 v182, v174, v154, v173
	v_bfe_u32 v173, v168, 16, 4
	v_bfe_u32 v174, v166, 24, 4
	v_mul_i32_i24_e32 v154, v154, v173
	v_bfe_u32 v173, v167, 24, 4
	s_delay_alu instid0(VALU_DEP_1) | instskip(NEXT) | instid1(VALU_DEP_1)
	v_mul_i32_i24_e32 v173, v173, v140
	v_mad_i32_i24 v183, v174, v152, v173
	v_bfe_u32 v173, v168, 24, 4
	v_add_nc_u32_e32 v174, 0x3190, v94
	s_delay_alu instid0(VALU_DEP_2) | instskip(SKIP_1) | instid1(VALU_DEP_1)
	v_mul_i32_i24_e32 v152, v152, v173
	v_bfe_u32 v173, v168, 8, 4
	v_mad_i32_i24 v157, v156, v173, v157
	s_delay_alu instid0(VALU_DEP_1) | instskip(SKIP_2) | instid1(VALU_DEP_2)
	v_add3_u32 v152, v157, v154, v152
	v_and_b32_e32 v154, 15, v1
	v_bfe_u32 v157, v1, 8, 4
	v_mul_i32_i24_e32 v154, v147, v154
	s_delay_alu instid0(VALU_DEP_2) | instskip(NEXT) | instid1(VALU_DEP_1)
	v_mul_i32_i24_e32 v157, v150, v157
	v_add3_u32 v154, v172, v157, v154
	v_add_nc_u32_e32 v157, 0x3188, v94
	ds_load_2addr_b32 v[172:173], v157 offset1:1
	ds_load_2addr_b32 v[174:175], v174 offset1:1
	;; [unrolled: 1-line block ×3, first 2 shown]
	s_wait_dscnt 0x2
	v_bfe_u32 v157, v172, 24, 4
	v_bfe_u32 v184, v173, 24, 4
	s_delay_alu instid0(VALU_DEP_2) | instskip(NEXT) | instid1(VALU_DEP_2)
	v_mul_i32_i24_e32 v157, v157, v126
	v_mul_i32_i24_e32 v184, v184, v118
	s_delay_alu instid0(VALU_DEP_1) | instskip(SKIP_2) | instid1(VALU_DEP_2)
	v_add3_u32 v157, v183, v157, v184
	v_bfe_u32 v183, v172, 16, 4
	v_bfe_u32 v184, v173, 16, 4
	v_mul_i32_i24_e32 v183, v183, v128
	s_delay_alu instid0(VALU_DEP_2) | instskip(NEXT) | instid1(VALU_DEP_1)
	v_mul_i32_i24_e32 v184, v184, v119
	v_add3_u32 v182, v182, v183, v184
	v_and_b32_e32 v183, 15, v172
	v_and_b32_e32 v184, 15, v173
	s_delay_alu instid0(VALU_DEP_2) | instskip(NEXT) | instid1(VALU_DEP_2)
	v_mul_i32_i24_e32 v183, v183, v133
	v_mul_i32_i24_e32 v184, v184, v122
	s_delay_alu instid0(VALU_DEP_1) | instskip(SKIP_2) | instid1(VALU_DEP_2)
	v_add3_u32 v181, v181, v183, v184
	v_bfe_u32 v183, v164, 4, 4
	v_bfe_u32 v184, v164, 12, 4
	v_mul_i32_i24_e32 v183, v155, v183
	s_delay_alu instid0(VALU_DEP_1) | instskip(SKIP_2) | instid1(VALU_DEP_2)
	v_mad_i32_i24 v183, v178, v184, v183
	v_bfe_u32 v184, v164, 20, 4
	v_lshrrev_b32_e32 v164, 28, v164
	v_mul_i32_i24_e32 v184, v153, v184
	s_delay_alu instid0(VALU_DEP_2) | instskip(NEXT) | instid1(VALU_DEP_1)
	v_mul_i32_i24_e32 v164, v151, v164
	v_add3_u32 v164, v183, v184, v164
	v_bfe_u32 v183, v167, 4, 4
	v_bfe_u32 v184, v166, 4, 4
	s_delay_alu instid0(VALU_DEP_2) | instskip(NEXT) | instid1(VALU_DEP_1)
	v_mul_i32_i24_e32 v183, v183, v148
	v_mad_i32_i24 v183, v184, v155, v183
	v_bfe_u32 v184, v168, 4, 4
	s_delay_alu instid0(VALU_DEP_1) | instskip(SKIP_1) | instid1(VALU_DEP_1)
	v_mul_i32_i24_e32 v155, v155, v184
	v_bfe_u32 v184, v167, 20, 4
	v_mul_i32_i24_e32 v184, v184, v145
	s_delay_alu instid0(VALU_DEP_1) | instskip(SKIP_1) | instid1(VALU_DEP_1)
	v_mad_i32_i24 v184, v185, v153, v184
	v_bfe_u32 v185, v168, 20, 4
	v_mul_i32_i24_e32 v153, v153, v185
	v_lshrrev_b32_e32 v185, 28, v167
	s_delay_alu instid0(VALU_DEP_1) | instskip(NEXT) | instid1(VALU_DEP_1)
	v_mul_i32_i24_e32 v185, v185, v144
	v_mad_i32_i24 v185, v186, v151, v185
	v_lshrrev_b32_e32 v186, 28, v168
	v_bfe_u32 v168, v168, 12, 4
	s_delay_alu instid0(VALU_DEP_2) | instskip(NEXT) | instid1(VALU_DEP_2)
	v_mul_i32_i24_e32 v151, v151, v186
	v_mad_i32_i24 v155, v178, v168, v155
	v_lshrrev_b32_e32 v168, 28, v173
	s_delay_alu instid0(VALU_DEP_2) | instskip(SKIP_2) | instid1(VALU_DEP_4)
	v_add3_u32 v151, v155, v153, v151
	v_bfe_u32 v153, v1, 4, 4
	v_bfe_u32 v155, v1, 12, 4
	v_mul_i32_i24_e32 v168, v168, v121
	s_delay_alu instid0(VALU_DEP_3) | instskip(NEXT) | instid1(VALU_DEP_3)
	v_mul_i32_i24_e32 v153, v148, v153
	v_mul_i32_i24_e32 v155, v149, v155
	s_delay_alu instid0(VALU_DEP_1) | instskip(SKIP_2) | instid1(VALU_DEP_2)
	v_add3_u32 v153, v179, v153, v155
	v_lshrrev_b32_e32 v155, 28, v172
	v_bfe_u32 v179, v173, 20, 4
	v_mul_i32_i24_e32 v155, v155, v131
	s_delay_alu instid0(VALU_DEP_2) | instskip(NEXT) | instid1(VALU_DEP_2)
	v_mul_i32_i24_e32 v179, v179, v123
	v_add3_u32 v155, v185, v155, v168
	v_bfe_u32 v168, v172, 20, 4
	s_delay_alu instid0(VALU_DEP_1) | instskip(NEXT) | instid1(VALU_DEP_1)
	v_mul_i32_i24_e32 v168, v168, v132
	v_add3_u32 v168, v184, v168, v179
	v_bfe_u32 v179, v172, 4, 4
	v_bfe_u32 v184, v173, 4, 4
	s_delay_alu instid0(VALU_DEP_2) | instskip(NEXT) | instid1(VALU_DEP_2)
	v_mul_i32_i24_e32 v179, v179, v138
	v_mul_i32_i24_e32 v184, v184, v125
	s_delay_alu instid0(VALU_DEP_1) | instskip(SKIP_2) | instid1(VALU_DEP_2)
	v_add3_u32 v179, v183, v179, v184
	v_bfe_u32 v183, v1, 16, 4
	v_bfe_u32 v184, v1, 24, 4
	v_mul_i32_i24_e32 v183, v143, v183
	s_delay_alu instid0(VALU_DEP_2) | instskip(NEXT) | instid1(VALU_DEP_1)
	v_mul_i32_i24_e32 v184, v140, v184
	v_add3_u32 v154, v154, v183, v184
	v_and_b32_e32 v183, 15, v165
	v_bfe_u32 v184, v165, 8, 4
	s_delay_alu instid0(VALU_DEP_2) | instskip(NEXT) | instid1(VALU_DEP_2)
	v_mul_i32_i24_e32 v183, v147, v183
	v_mul_i32_i24_e32 v184, v150, v184
	s_delay_alu instid0(VALU_DEP_1) | instskip(SKIP_1) | instid1(VALU_DEP_1)
	v_add3_u32 v180, v180, v184, v183
	v_and_b32_e32 v183, 15, v169
	v_mul_i32_i24_e32 v147, v147, v183
	v_bfe_u32 v183, v169, 8, 4
	s_delay_alu instid0(VALU_DEP_1) | instskip(NEXT) | instid1(VALU_DEP_1)
	v_mul_i32_i24_e32 v183, v150, v183
	v_add3_u32 v147, v152, v183, v147
	v_and_b32_e32 v152, 0xf0f0f0f, v166
	s_delay_alu instid0(VALU_DEP_1) | instskip(NEXT) | instid1(VALU_DEP_1)
	v_lshrrev_b16 v152, 8, v152
	v_and_b32_e32 v152, 0xffff, v152
	s_delay_alu instid0(VALU_DEP_1) | instskip(SKIP_1) | instid1(VALU_DEP_1)
	v_mul_i32_i24_e32 v152, v152, v156
	v_and_b32_e32 v156, 0xf0f0f0f, v167
	v_lshrrev_b16 v156, 8, v156
	s_delay_alu instid0(VALU_DEP_1) | instskip(NEXT) | instid1(VALU_DEP_1)
	v_and_b32_e32 v156, 0xffff, v156
	v_mul_i32_i24_e32 v150, v156, v150
	v_and_b32_e32 v156, 0xf0f0f0f, v172
	s_delay_alu instid0(VALU_DEP_1) | instskip(NEXT) | instid1(VALU_DEP_1)
	v_lshrrev_b16 v156, 8, v156
	v_and_b32_e32 v156, 0xffff, v156
	s_delay_alu instid0(VALU_DEP_1) | instskip(NEXT) | instid1(VALU_DEP_1)
	v_mul_i32_i24_e32 v156, v156, v146
	v_add3_u32 v150, v152, v150, v156
	s_wait_dscnt 0x1
	v_bfe_u32 v152, v174, 24, 4
	v_bfe_u32 v156, v175, 24, 4
	s_delay_alu instid0(VALU_DEP_2) | instskip(NEXT) | instid1(VALU_DEP_2)
	v_mul_i32_i24_e32 v152, v152, v112
	v_mul_i32_i24_e32 v156, v156, v106
	s_delay_alu instid0(VALU_DEP_1) | instskip(SKIP_2) | instid1(VALU_DEP_2)
	v_add3_u32 v152, v157, v152, v156
	v_and_b32_e32 v156, 15, v174
	v_and_b32_e32 v157, 15, v175
	v_mul_i32_i24_e32 v156, v156, v115
	s_delay_alu instid0(VALU_DEP_2) | instskip(NEXT) | instid1(VALU_DEP_1)
	v_mul_i32_i24_e32 v157, v157, v109
	v_add3_u32 v156, v181, v156, v157
	v_bfe_u32 v157, v174, 16, 4
	v_bfe_u32 v181, v175, 16, 4
	s_delay_alu instid0(VALU_DEP_2) | instskip(NEXT) | instid1(VALU_DEP_2)
	v_mul_i32_i24_e32 v157, v157, v113
	v_mul_i32_i24_e32 v181, v181, v107
	s_delay_alu instid0(VALU_DEP_1) | instskip(SKIP_2) | instid1(VALU_DEP_2)
	v_add3_u32 v157, v182, v157, v181
	v_bfe_u32 v181, v1, 20, 4
	v_lshrrev_b32_e32 v1, 28, v1
	v_mul_i32_i24_e32 v181, v145, v181
	s_delay_alu instid0(VALU_DEP_2) | instskip(NEXT) | instid1(VALU_DEP_1)
	v_mul_i32_i24_e32 v1, v144, v1
	v_add3_u32 v1, v153, v181, v1
	v_bfe_u32 v153, v165, 4, 4
	v_bfe_u32 v181, v165, 12, 4
	s_delay_alu instid0(VALU_DEP_2) | instskip(NEXT) | instid1(VALU_DEP_2)
	v_mul_i32_i24_e32 v153, v148, v153
	v_mul_i32_i24_e32 v181, v149, v181
	s_delay_alu instid0(VALU_DEP_1) | instskip(SKIP_1) | instid1(VALU_DEP_1)
	v_add3_u32 v153, v164, v153, v181
	v_bfe_u32 v164, v169, 4, 4
	v_mul_i32_i24_e32 v148, v148, v164
	v_bfe_u32 v164, v169, 12, 4
	s_delay_alu instid0(VALU_DEP_1) | instskip(NEXT) | instid1(VALU_DEP_1)
	v_mul_i32_i24_e32 v164, v149, v164
	v_add3_u32 v148, v151, v148, v164
	v_lshrrev_b32_e32 v151, 28, v174
	v_lshrrev_b32_e32 v164, 28, v175
	s_delay_alu instid0(VALU_DEP_2) | instskip(NEXT) | instid1(VALU_DEP_2)
	v_mul_i32_i24_e32 v151, v151, v116
	v_mul_i32_i24_e32 v164, v164, v110
	s_delay_alu instid0(VALU_DEP_1) | instskip(SKIP_2) | instid1(VALU_DEP_2)
	v_add3_u32 v151, v155, v151, v164
	v_bfe_u32 v155, v174, 4, 4
	v_bfe_u32 v164, v175, 4, 4
	v_mul_i32_i24_e32 v155, v155, v120
	s_delay_alu instid0(VALU_DEP_2) | instskip(NEXT) | instid1(VALU_DEP_1)
	v_mul_i32_i24_e32 v164, v164, v114
	v_add3_u32 v155, v179, v155, v164
	v_bfe_u32 v164, v174, 20, 4
	v_bfe_u32 v179, v175, 20, 4
	s_delay_alu instid0(VALU_DEP_2) | instskip(NEXT) | instid1(VALU_DEP_2)
	v_mul_i32_i24_e32 v164, v164, v117
	v_mul_i32_i24_e32 v179, v179, v111
	s_delay_alu instid0(VALU_DEP_1) | instskip(SKIP_2) | instid1(VALU_DEP_2)
	v_add3_u32 v164, v168, v164, v179
	v_bfe_u32 v168, v165, 16, 4
	v_bfe_u32 v179, v165, 24, 4
	v_mul_i32_i24_e32 v168, v143, v168
	s_delay_alu instid0(VALU_DEP_2) | instskip(NEXT) | instid1(VALU_DEP_1)
	v_mul_i32_i24_e32 v179, v140, v179
	v_add3_u32 v168, v180, v168, v179
	v_bfe_u32 v179, v169, 16, 4
	s_delay_alu instid0(VALU_DEP_1) | instskip(SKIP_1) | instid1(VALU_DEP_1)
	v_mul_i32_i24_e32 v143, v143, v179
	v_bfe_u32 v179, v169, 24, 4
	v_mul_i32_i24_e32 v140, v140, v179
	v_bfe_i32 v179, v142, 0, 8
	v_and_b32_e32 v142, 0xf0f0f0f, v174
	s_delay_alu instid0(VALU_DEP_3) | instskip(SKIP_2) | instid1(VALU_DEP_4)
	v_add3_u32 v147, v147, v143, v140
	v_and_b32_e32 v140, 15, v2
	v_bfe_u32 v143, v2, 8, 4
	v_lshrrev_b16 v142, 8, v142
	s_delay_alu instid0(VALU_DEP_3) | instskip(NEXT) | instid1(VALU_DEP_3)
	v_mul_i32_i24_e32 v140, v133, v140
	v_mul_i32_i24_e32 v143, v146, v143
	s_delay_alu instid0(VALU_DEP_3) | instskip(NEXT) | instid1(VALU_DEP_2)
	v_and_b32_e32 v142, 0xffff, v142
	v_add3_u32 v140, v154, v143, v140
	v_bfe_i32 v154, v139, 0, 8
	v_and_b32_e32 v139, 0xf0f0f0f, v173
	s_delay_alu instid0(VALU_DEP_4) | instskip(SKIP_1) | instid1(VALU_DEP_3)
	v_mul_i32_i24_e32 v142, v142, v179
	v_add_nc_u32_e32 v143, 0x1098, v94
	v_lshrrev_b16 v139, 8, v139
	s_delay_alu instid0(VALU_DEP_1) | instskip(NEXT) | instid1(VALU_DEP_1)
	v_and_b32_e32 v139, 0xffff, v139
	v_mul_i32_i24_e32 v139, v139, v154
	s_delay_alu instid0(VALU_DEP_1) | instskip(SKIP_3) | instid1(VALU_DEP_2)
	v_add3_u32 v150, v150, v139, v142
	s_wait_dscnt 0x0
	v_bfe_u32 v139, v176, 24, 4
	v_bfe_u32 v142, v177, 24, 4
	v_mul_i32_i24_e32 v139, v139, v100
	s_delay_alu instid0(VALU_DEP_2) | instskip(NEXT) | instid1(VALU_DEP_1)
	v_mul_i32_i24_e32 v142, v142, v95
	v_add3_u32 v152, v152, v139, v142
	v_bfe_u32 v139, v176, 16, 4
	v_bfe_u32 v142, v177, 16, 4
	s_delay_alu instid0(VALU_DEP_2) | instskip(NEXT) | instid1(VALU_DEP_2)
	v_mul_i32_i24_e32 v139, v139, v101
	v_mul_i32_i24_e32 v142, v142, v96
	s_delay_alu instid0(VALU_DEP_1) | instskip(SKIP_2) | instid1(VALU_DEP_2)
	v_add3_u32 v157, v157, v139, v142
	v_and_b32_e32 v139, 15, v176
	v_and_b32_e32 v142, 15, v177
	v_mul_i32_i24_e32 v139, v139, v103
	s_delay_alu instid0(VALU_DEP_2) | instskip(NEXT) | instid1(VALU_DEP_1)
	v_mul_i32_i24_e32 v142, v142, v99
	v_add3_u32 v156, v156, v139, v142
	v_bfe_u32 v139, v165, 20, 4
	v_lshrrev_b32_e32 v142, 28, v165
	s_delay_alu instid0(VALU_DEP_2) | instskip(NEXT) | instid1(VALU_DEP_2)
	v_mul_i32_i24_e32 v139, v145, v139
	v_mul_i32_i24_e32 v142, v144, v142
	s_delay_alu instid0(VALU_DEP_1) | instskip(SKIP_2) | instid1(VALU_DEP_2)
	v_add3_u32 v153, v153, v139, v142
	v_bfe_u32 v139, v169, 20, 4
	v_lshrrev_b32_e32 v142, 28, v169
	v_mul_i32_i24_e32 v139, v145, v139
	s_delay_alu instid0(VALU_DEP_2) | instskip(NEXT) | instid1(VALU_DEP_1)
	v_mul_i32_i24_e32 v142, v144, v142
	v_add3_u32 v145, v148, v139, v142
	v_bfe_u32 v139, v2, 4, 4
	v_bfe_i32 v148, v141, 0, 8
	v_bfe_u32 v141, v2, 12, 4
	v_lshrrev_b32_e32 v142, 4, v172
	s_delay_alu instid0(VALU_DEP_4) | instskip(NEXT) | instid1(VALU_DEP_3)
	v_mul_i32_i24_e32 v139, v138, v139
	v_mul_i32_i24_e32 v141, v148, v141
	s_delay_alu instid0(VALU_DEP_3) | instskip(NEXT) | instid1(VALU_DEP_2)
	v_lshrrev_b16 v142, 8, v142
	v_add3_u32 v1, v1, v139, v141
	v_lshrrev_b32_e32 v139, 4, v166
	v_lshrrev_b32_e32 v141, 4, v167
	s_delay_alu instid0(VALU_DEP_4) | instskip(NEXT) | instid1(VALU_DEP_3)
	v_and_b32_e32 v142, 15, v142
	v_lshrrev_b16 v139, 8, v139
	s_delay_alu instid0(VALU_DEP_3) | instskip(NEXT) | instid1(VALU_DEP_3)
	v_lshrrev_b16 v141, 8, v141
	v_and_b32_e32 v142, 0xffff, v142
	s_delay_alu instid0(VALU_DEP_3) | instskip(NEXT) | instid1(VALU_DEP_3)
	v_and_b32_e32 v139, 15, v139
	v_and_b32_e32 v141, 15, v141
	s_delay_alu instid0(VALU_DEP_3) | instskip(NEXT) | instid1(VALU_DEP_3)
	v_mul_i32_i24_e32 v142, v142, v148
	v_and_b32_e32 v139, 0xffff, v139
	s_delay_alu instid0(VALU_DEP_3) | instskip(NEXT) | instid1(VALU_DEP_2)
	v_and_b32_e32 v141, 0xffff, v141
	v_mul_i32_i24_e32 v139, v139, v178
	s_delay_alu instid0(VALU_DEP_2) | instskip(NEXT) | instid1(VALU_DEP_1)
	v_mul_i32_i24_e32 v141, v141, v149
	v_add3_u32 v149, v139, v141, v142
	v_lshrrev_b32_e32 v139, 28, v176
	v_lshrrev_b32_e32 v141, 28, v177
	s_delay_alu instid0(VALU_DEP_2) | instskip(NEXT) | instid1(VALU_DEP_2)
	v_mul_i32_i24_e32 v139, v139, v104
	v_mul_i32_i24_e32 v141, v141, v97
	s_delay_alu instid0(VALU_DEP_1) | instskip(SKIP_2) | instid1(VALU_DEP_2)
	v_add3_u32 v151, v151, v139, v141
	v_bfe_u32 v139, v176, 20, 4
	v_bfe_u32 v141, v177, 20, 4
	v_mul_i32_i24_e32 v139, v139, v105
	s_delay_alu instid0(VALU_DEP_2) | instskip(NEXT) | instid1(VALU_DEP_1)
	v_mul_i32_i24_e32 v141, v141, v98
	v_add3_u32 v164, v164, v139, v141
	v_bfe_u32 v139, v176, 4, 4
	v_bfe_u32 v141, v177, 4, 4
	s_delay_alu instid0(VALU_DEP_2) | instskip(NEXT) | instid1(VALU_DEP_2)
	v_mul_i32_i24_e32 v139, v139, v108
	v_mul_i32_i24_e32 v141, v141, v102
	s_delay_alu instid0(VALU_DEP_1) | instskip(SKIP_2) | instid1(VALU_DEP_2)
	v_add3_u32 v155, v155, v139, v141
	v_bfe_u32 v139, v2, 16, 4
	v_bfe_u32 v141, v2, 24, 4
	v_mul_i32_i24_e32 v139, v128, v139
	s_delay_alu instid0(VALU_DEP_2) | instskip(NEXT) | instid1(VALU_DEP_1)
	v_mul_i32_i24_e32 v141, v126, v141
	v_add3_u32 v165, v140, v139, v141
	v_add_nc_u32_e32 v139, 0x1088, v94
	v_add_nc_u32_e32 v141, 0x1090, v94
	ds_load_2addr_b32 v[139:140], v139 offset1:1
	ds_load_2addr_b32 v[141:142], v141 offset1:1
	;; [unrolled: 1-line block ×3, first 2 shown]
	s_wait_dscnt 0x2
	v_and_b32_e32 v166, 15, v139
	v_bfe_u32 v167, v139, 8, 4
	s_delay_alu instid0(VALU_DEP_2) | instskip(NEXT) | instid1(VALU_DEP_2)
	v_mul_i32_i24_e32 v166, v133, v166
	v_mul_i32_i24_e32 v167, v146, v167
	s_delay_alu instid0(VALU_DEP_1) | instskip(SKIP_1) | instid1(VALU_DEP_1)
	v_add3_u32 v166, v168, v167, v166
	v_and_b32_e32 v167, 15, v170
	v_mul_i32_i24_e32 v133, v133, v167
	v_bfe_u32 v167, v170, 8, 4
	s_delay_alu instid0(VALU_DEP_1) | instskip(NEXT) | instid1(VALU_DEP_1)
	v_mul_i32_i24_e32 v146, v146, v167
	v_add3_u32 v133, v147, v146, v133
	v_and_b32_e32 v146, 0xf0f0f0f, v175
	v_and_b32_e32 v147, 0xf0f0f0f, v176
	s_delay_alu instid0(VALU_DEP_2) | instskip(NEXT) | instid1(VALU_DEP_2)
	v_lshrrev_b16 v146, 8, v146
	v_lshrrev_b16 v147, 8, v147
	s_delay_alu instid0(VALU_DEP_2) | instskip(NEXT) | instid1(VALU_DEP_2)
	v_and_b32_e32 v146, 0xffff, v146
	v_and_b32_e32 v147, 0xffff, v147
	s_delay_alu instid0(VALU_DEP_2) | instskip(NEXT) | instid1(VALU_DEP_2)
	v_mul_i32_i24_e32 v146, v146, v134
	v_mul_i32_i24_e32 v147, v147, v135
	s_delay_alu instid0(VALU_DEP_1) | instskip(SKIP_2) | instid1(VALU_DEP_2)
	v_add3_u32 v146, v150, v146, v147
	v_bfe_u32 v147, v2, 20, 4
	v_lshrrev_b32_e32 v2, 28, v2
	v_mul_i32_i24_e32 v147, v132, v147
	s_delay_alu instid0(VALU_DEP_2) | instskip(NEXT) | instid1(VALU_DEP_1)
	v_mul_i32_i24_e32 v2, v131, v2
	v_add3_u32 v1, v1, v147, v2
	v_bfe_u32 v2, v139, 4, 4
	v_bfe_u32 v147, v139, 12, 4
	s_delay_alu instid0(VALU_DEP_2) | instskip(NEXT) | instid1(VALU_DEP_2)
	v_mul_i32_i24_e32 v2, v138, v2
	v_mul_i32_i24_e32 v147, v148, v147
	s_delay_alu instid0(VALU_DEP_1) | instskip(SKIP_1) | instid1(VALU_DEP_1)
	v_add3_u32 v2, v153, v2, v147
	v_bfe_u32 v147, v170, 4, 4
	v_mul_i32_i24_e32 v138, v138, v147
	v_bfe_u32 v147, v170, 12, 4
	s_delay_alu instid0(VALU_DEP_1) | instskip(SKIP_1) | instid1(VALU_DEP_2)
	v_mul_i32_i24_e32 v147, v148, v147
	v_bfe_u32 v148, v139, 24, 4
	v_add3_u32 v138, v145, v138, v147
	v_lshrrev_b32_e32 v145, 4, v173
	v_lshrrev_b32_e32 v147, 4, v174
	s_delay_alu instid0(VALU_DEP_4) | instskip(NEXT) | instid1(VALU_DEP_3)
	v_mul_i32_i24_e32 v148, v126, v148
	v_lshrrev_b16 v145, 8, v145
	s_delay_alu instid0(VALU_DEP_3) | instskip(NEXT) | instid1(VALU_DEP_2)
	v_lshrrev_b16 v147, 8, v147
	v_and_b32_e32 v145, 15, v145
	s_delay_alu instid0(VALU_DEP_2) | instskip(NEXT) | instid1(VALU_DEP_2)
	v_and_b32_e32 v147, 15, v147
	v_and_b32_e32 v145, 0xffff, v145
	s_delay_alu instid0(VALU_DEP_2) | instskip(NEXT) | instid1(VALU_DEP_2)
	v_and_b32_e32 v147, 0xffff, v147
	v_mul_i32_i24_e32 v145, v145, v136
	s_delay_alu instid0(VALU_DEP_2) | instskip(NEXT) | instid1(VALU_DEP_1)
	v_mul_i32_i24_e32 v147, v147, v137
	v_add3_u32 v145, v149, v145, v147
	v_bfe_u32 v147, v139, 16, 4
	s_delay_alu instid0(VALU_DEP_1) | instskip(NEXT) | instid1(VALU_DEP_1)
	v_mul_i32_i24_e32 v147, v128, v147
	v_add3_u32 v147, v166, v147, v148
	v_bfe_u32 v148, v170, 16, 4
	s_delay_alu instid0(VALU_DEP_1) | instskip(SKIP_1) | instid1(VALU_DEP_1)
	v_mul_i32_i24_e32 v128, v128, v148
	v_bfe_u32 v148, v170, 24, 4
	v_mul_i32_i24_e32 v126, v126, v148
	s_delay_alu instid0(VALU_DEP_1) | instskip(SKIP_2) | instid1(VALU_DEP_2)
	v_add3_u32 v126, v133, v128, v126
	v_and_b32_e32 v128, 15, v3
	v_bfe_u32 v133, v3, 8, 4
	v_mul_i32_i24_e32 v128, v122, v128
	s_delay_alu instid0(VALU_DEP_2) | instskip(NEXT) | instid1(VALU_DEP_1)
	v_mul_i32_i24_e32 v133, v154, v133
	v_add3_u32 v128, v165, v133, v128
	v_and_b32_e32 v133, 0xf0f0f0f, v177
	s_delay_alu instid0(VALU_DEP_1) | instskip(NEXT) | instid1(VALU_DEP_1)
	v_lshrrev_b16 v133, 8, v133
	v_and_b32_e32 v133, 0xffff, v133
	s_delay_alu instid0(VALU_DEP_1) | instskip(NEXT) | instid1(VALU_DEP_1)
	v_mul_i32_i24_e32 v133, v133, v127
	v_add3_u32 v133, v146, v133, v152
	v_bfe_u32 v146, v139, 20, 4
	v_lshrrev_b32_e32 v139, 28, v139
	s_delay_alu instid0(VALU_DEP_2) | instskip(NEXT) | instid1(VALU_DEP_2)
	v_mul_i32_i24_e32 v146, v132, v146
	v_mul_i32_i24_e32 v139, v131, v139
	s_delay_alu instid0(VALU_DEP_1) | instskip(SKIP_1) | instid1(VALU_DEP_1)
	v_add3_u32 v2, v2, v146, v139
	v_bfe_u32 v139, v170, 20, 4
	v_mul_i32_i24_e32 v132, v132, v139
	v_lshrrev_b32_e32 v139, 28, v170
	s_delay_alu instid0(VALU_DEP_1) | instskip(SKIP_1) | instid1(VALU_DEP_2)
	v_mul_i32_i24_e32 v131, v131, v139
	v_bfe_u32 v139, v3, 24, 4
	v_add3_u32 v131, v138, v132, v131
	v_bfe_u32 v132, v3, 4, 4
	v_bfe_u32 v138, v3, 12, 4
	s_delay_alu instid0(VALU_DEP_4) | instskip(NEXT) | instid1(VALU_DEP_3)
	v_mul_i32_i24_e32 v139, v118, v139
	v_mul_i32_i24_e32 v132, v125, v132
	s_delay_alu instid0(VALU_DEP_3) | instskip(NEXT) | instid1(VALU_DEP_1)
	v_mul_i32_i24_e32 v138, v136, v138
	v_add3_u32 v1, v1, v132, v138
	v_lshrrev_b32_e32 v132, 4, v175
	v_lshrrev_b32_e32 v138, 4, v176
	s_delay_alu instid0(VALU_DEP_2) | instskip(NEXT) | instid1(VALU_DEP_2)
	v_lshrrev_b16 v132, 8, v132
	v_lshrrev_b16 v138, 8, v138
	s_delay_alu instid0(VALU_DEP_2) | instskip(NEXT) | instid1(VALU_DEP_2)
	v_and_b32_e32 v132, 15, v132
	v_and_b32_e32 v138, 15, v138
	s_delay_alu instid0(VALU_DEP_2) | instskip(NEXT) | instid1(VALU_DEP_2)
	v_and_b32_e32 v132, 0xffff, v132
	v_and_b32_e32 v138, 0xffff, v138
	s_delay_alu instid0(VALU_DEP_2) | instskip(NEXT) | instid1(VALU_DEP_2)
	v_mul_i32_i24_e32 v132, v132, v129
	v_mul_i32_i24_e32 v138, v138, v130
	s_delay_alu instid0(VALU_DEP_1) | instskip(SKIP_1) | instid1(VALU_DEP_1)
	v_add3_u32 v132, v145, v132, v138
	v_bfe_u32 v138, v3, 16, 4
	v_mul_i32_i24_e32 v138, v119, v138
	s_delay_alu instid0(VALU_DEP_1) | instskip(SKIP_2) | instid1(VALU_DEP_2)
	v_add3_u32 v128, v128, v138, v139
	v_and_b32_e32 v138, 15, v140
	v_bfe_u32 v139, v140, 8, 4
	v_mul_i32_i24_e32 v138, v122, v138
	s_delay_alu instid0(VALU_DEP_2) | instskip(NEXT) | instid1(VALU_DEP_1)
	v_mul_i32_i24_e32 v139, v154, v139
	v_add3_u32 v138, v147, v139, v138
	v_and_b32_e32 v139, 15, v171
	s_delay_alu instid0(VALU_DEP_1) | instskip(SKIP_1) | instid1(VALU_DEP_1)
	v_mul_i32_i24_e32 v122, v122, v139
	v_bfe_u32 v139, v171, 8, 4
	v_mul_i32_i24_e32 v139, v154, v139
	s_delay_alu instid0(VALU_DEP_1) | instskip(SKIP_3) | instid1(VALU_DEP_2)
	v_add3_u32 v122, v126, v139, v122
	v_add3_u32 v126, v156, v157, v133
	v_bfe_u32 v133, v3, 20, 4
	v_lshrrev_b32_e32 v3, 28, v3
	v_mul_i32_i24_e32 v133, v123, v133
	s_delay_alu instid0(VALU_DEP_2) | instskip(NEXT) | instid1(VALU_DEP_1)
	v_mul_i32_i24_e32 v3, v121, v3
	v_add3_u32 v1, v1, v133, v3
	v_bfe_u32 v3, v140, 4, 4
	v_bfe_u32 v133, v140, 12, 4
	s_delay_alu instid0(VALU_DEP_2) | instskip(NEXT) | instid1(VALU_DEP_2)
	v_mul_i32_i24_e32 v3, v125, v3
	v_mul_i32_i24_e32 v133, v136, v133
	s_delay_alu instid0(VALU_DEP_1) | instskip(SKIP_1) | instid1(VALU_DEP_1)
	v_add3_u32 v2, v2, v3, v133
	v_bfe_u32 v3, v171, 4, 4
	v_mul_i32_i24_e32 v3, v125, v3
	v_bfe_u32 v125, v171, 12, 4
	s_delay_alu instid0(VALU_DEP_1) | instskip(NEXT) | instid1(VALU_DEP_1)
	v_mul_i32_i24_e32 v125, v136, v125
	v_add3_u32 v3, v131, v3, v125
	v_lshrrev_b32_e32 v125, 4, v177
	v_bfe_u32 v131, v140, 16, 4
	s_delay_alu instid0(VALU_DEP_2) | instskip(NEXT) | instid1(VALU_DEP_2)
	v_lshrrev_b16 v125, 8, v125
	v_mul_i32_i24_e32 v131, v119, v131
	s_delay_alu instid0(VALU_DEP_2) | instskip(NEXT) | instid1(VALU_DEP_1)
	v_and_b32_e32 v125, 15, v125
	v_and_b32_e32 v125, 0xffff, v125
	s_delay_alu instid0(VALU_DEP_1) | instskip(NEXT) | instid1(VALU_DEP_1)
	v_mul_i32_i24_e32 v125, v125, v124
	v_add3_u32 v125, v132, v125, v151
	v_bfe_u32 v132, v140, 24, 4
	s_delay_alu instid0(VALU_DEP_1) | instskip(NEXT) | instid1(VALU_DEP_1)
	v_mul_i32_i24_e32 v132, v118, v132
	v_add3_u32 v131, v138, v131, v132
	v_bfe_u32 v132, v171, 16, 4
	s_delay_alu instid0(VALU_DEP_1) | instskip(SKIP_1) | instid1(VALU_DEP_1)
	v_mul_i32_i24_e32 v119, v119, v132
	v_bfe_u32 v132, v171, 24, 4
	v_mul_i32_i24_e32 v118, v118, v132
	s_delay_alu instid0(VALU_DEP_1) | instskip(SKIP_2) | instid1(VALU_DEP_2)
	v_add3_u32 v118, v122, v119, v118
	v_and_b32_e32 v119, 15, v23
	v_bfe_u32 v122, v23, 8, 4
	v_mul_i32_i24_e32 v119, v115, v119
	s_delay_alu instid0(VALU_DEP_2) | instskip(NEXT) | instid1(VALU_DEP_1)
	v_mul_i32_i24_e32 v122, v179, v122
	v_add3_u32 v119, v128, v122, v119
	v_bfe_u32 v122, v140, 20, 4
	v_lshrrev_b32_e32 v128, 28, v140
	s_delay_alu instid0(VALU_DEP_2) | instskip(NEXT) | instid1(VALU_DEP_2)
	v_mul_i32_i24_e32 v122, v123, v122
	v_mul_i32_i24_e32 v128, v121, v128
	s_delay_alu instid0(VALU_DEP_1) | instskip(SKIP_2) | instid1(VALU_DEP_2)
	v_add3_u32 v2, v2, v122, v128
	v_bfe_u32 v122, v171, 20, 4
	v_lshrrev_b32_e32 v128, 28, v171
	v_mul_i32_i24_e32 v122, v123, v122
	s_delay_alu instid0(VALU_DEP_2) | instskip(SKIP_1) | instid1(VALU_DEP_2)
	v_mul_i32_i24_e32 v121, v121, v128
	v_bfe_u32 v123, v23, 24, 4
	v_add3_u32 v3, v3, v122, v121
	v_bfe_u32 v121, v23, 4, 4
	v_bfe_u32 v122, v23, 12, 4
	s_delay_alu instid0(VALU_DEP_4) | instskip(NEXT) | instid1(VALU_DEP_3)
	v_mul_i32_i24_e32 v123, v112, v123
	v_mul_i32_i24_e32 v121, v120, v121
	s_delay_alu instid0(VALU_DEP_3) | instskip(NEXT) | instid1(VALU_DEP_1)
	v_mul_i32_i24_e32 v122, v137, v122
	v_add3_u32 v1, v1, v121, v122
	v_bfe_u32 v122, v23, 16, 4
	v_add3_u32 v121, v155, v164, v125
	s_delay_alu instid0(VALU_DEP_2) | instskip(NEXT) | instid1(VALU_DEP_1)
	v_mul_i32_i24_e32 v122, v113, v122
	v_add3_u32 v119, v119, v122, v123
	s_wait_dscnt 0x1
	v_and_b32_e32 v122, 15, v141
	v_bfe_u32 v123, v141, 8, 4
	s_delay_alu instid0(VALU_DEP_2) | instskip(NEXT) | instid1(VALU_DEP_2)
	v_mul_i32_i24_e32 v122, v115, v122
	v_mul_i32_i24_e32 v123, v179, v123
	s_delay_alu instid0(VALU_DEP_1) | instskip(SKIP_1) | instid1(VALU_DEP_1)
	v_add3_u32 v122, v131, v123, v122
	v_and_b32_e32 v123, 15, v27
	v_mul_i32_i24_e32 v115, v115, v123
	v_bfe_u32 v123, v27, 8, 4
	s_delay_alu instid0(VALU_DEP_1) | instskip(NEXT) | instid1(VALU_DEP_1)
	v_mul_i32_i24_e32 v123, v179, v123
	v_add3_u32 v115, v118, v123, v115
	v_bfe_u32 v118, v23, 20, 4
	v_lshrrev_b32_e32 v23, 28, v23
	s_delay_alu instid0(VALU_DEP_2) | instskip(NEXT) | instid1(VALU_DEP_2)
	v_mul_i32_i24_e32 v118, v117, v118
	v_mul_i32_i24_e32 v23, v116, v23
	s_delay_alu instid0(VALU_DEP_1) | instskip(SKIP_2) | instid1(VALU_DEP_2)
	v_add3_u32 v1, v1, v118, v23
	v_bfe_u32 v23, v141, 4, 4
	v_bfe_u32 v118, v141, 12, 4
	v_mul_i32_i24_e32 v23, v120, v23
	s_delay_alu instid0(VALU_DEP_2) | instskip(NEXT) | instid1(VALU_DEP_1)
	v_mul_i32_i24_e32 v118, v137, v118
	v_add3_u32 v2, v2, v23, v118
	v_bfe_u32 v23, v27, 4, 4
	v_bfe_u32 v118, v27, 12, 4
	s_delay_alu instid0(VALU_DEP_2) | instskip(NEXT) | instid1(VALU_DEP_2)
	v_mul_i32_i24_e32 v23, v120, v23
	v_mul_i32_i24_e32 v118, v137, v118
	s_delay_alu instid0(VALU_DEP_1) | instskip(SKIP_2) | instid1(VALU_DEP_2)
	v_add3_u32 v3, v3, v23, v118
	v_bfe_u32 v23, v141, 16, 4
	v_bfe_u32 v118, v141, 24, 4
	v_mul_i32_i24_e32 v23, v113, v23
	s_delay_alu instid0(VALU_DEP_2) | instskip(NEXT) | instid1(VALU_DEP_1)
	v_mul_i32_i24_e32 v118, v112, v118
	v_add3_u32 v23, v122, v23, v118
	v_bfe_u32 v118, v27, 16, 4
	s_delay_alu instid0(VALU_DEP_1) | instskip(SKIP_1) | instid1(VALU_DEP_1)
	v_mul_i32_i24_e32 v113, v113, v118
	v_bfe_u32 v118, v27, 24, 4
	v_mul_i32_i24_e32 v112, v112, v118
	v_lshrrev_b32_e32 v118, 28, v141
	s_delay_alu instid0(VALU_DEP_2) | instskip(SKIP_2) | instid1(VALU_DEP_4)
	v_add3_u32 v112, v115, v113, v112
	v_and_b32_e32 v113, 15, v24
	v_bfe_u32 v115, v24, 8, 4
	v_mul_i32_i24_e32 v118, v116, v118
	s_delay_alu instid0(VALU_DEP_3) | instskip(NEXT) | instid1(VALU_DEP_3)
	v_mul_i32_i24_e32 v113, v109, v113
	v_mul_i32_i24_e32 v115, v134, v115
	s_delay_alu instid0(VALU_DEP_1) | instskip(SKIP_1) | instid1(VALU_DEP_1)
	v_add3_u32 v113, v119, v115, v113
	v_bfe_u32 v115, v141, 20, 4
	v_mul_i32_i24_e32 v115, v117, v115
	s_delay_alu instid0(VALU_DEP_1) | instskip(SKIP_2) | instid1(VALU_DEP_2)
	v_add3_u32 v2, v2, v115, v118
	v_bfe_u32 v115, v27, 20, 4
	v_lshrrev_b32_e32 v27, 28, v27
	v_mul_i32_i24_e32 v115, v117, v115
	s_delay_alu instid0(VALU_DEP_2) | instskip(NEXT) | instid1(VALU_DEP_1)
	v_mul_i32_i24_e32 v27, v116, v27
	v_add3_u32 v3, v3, v115, v27
	v_bfe_u32 v27, v24, 4, 4
	v_bfe_u32 v115, v24, 12, 4
	s_delay_alu instid0(VALU_DEP_2) | instskip(NEXT) | instid1(VALU_DEP_2)
	v_mul_i32_i24_e32 v27, v114, v27
	v_mul_i32_i24_e32 v115, v129, v115
	s_delay_alu instid0(VALU_DEP_1) | instskip(SKIP_2) | instid1(VALU_DEP_2)
	v_add3_u32 v1, v1, v27, v115
	v_bfe_u32 v27, v24, 16, 4
	v_bfe_u32 v115, v24, 24, 4
	v_mul_i32_i24_e32 v27, v107, v27
	s_delay_alu instid0(VALU_DEP_2) | instskip(NEXT) | instid1(VALU_DEP_1)
	v_mul_i32_i24_e32 v115, v106, v115
	v_add3_u32 v27, v113, v27, v115
	v_and_b32_e32 v113, 15, v142
	v_bfe_u32 v115, v142, 8, 4
	s_delay_alu instid0(VALU_DEP_2) | instskip(NEXT) | instid1(VALU_DEP_2)
	v_mul_i32_i24_e32 v113, v109, v113
	v_mul_i32_i24_e32 v115, v134, v115
	s_delay_alu instid0(VALU_DEP_1) | instskip(SKIP_1) | instid1(VALU_DEP_1)
	v_add3_u32 v23, v23, v115, v113
	v_and_b32_e32 v113, 15, v28
	v_mul_i32_i24_e32 v109, v109, v113
	v_bfe_u32 v113, v28, 8, 4
	s_delay_alu instid0(VALU_DEP_1) | instskip(NEXT) | instid1(VALU_DEP_1)
	v_mul_i32_i24_e32 v113, v134, v113
	v_add3_u32 v109, v112, v113, v109
	v_bfe_u32 v112, v24, 20, 4
	v_lshrrev_b32_e32 v24, 28, v24
	s_delay_alu instid0(VALU_DEP_2) | instskip(NEXT) | instid1(VALU_DEP_2)
	v_mul_i32_i24_e32 v112, v111, v112
	v_mul_i32_i24_e32 v24, v110, v24
	s_delay_alu instid0(VALU_DEP_1) | instskip(SKIP_2) | instid1(VALU_DEP_2)
	v_add3_u32 v24, v1, v112, v24
	v_bfe_u32 v1, v142, 4, 4
	v_bfe_u32 v112, v142, 12, 4
	v_mul_i32_i24_e32 v1, v114, v1
	s_delay_alu instid0(VALU_DEP_2) | instskip(NEXT) | instid1(VALU_DEP_1)
	v_mul_i32_i24_e32 v112, v129, v112
	v_add3_u32 v112, v2, v1, v112
	v_bfe_u32 v1, v28, 4, 4
	v_bfe_u32 v2, v28, 12, 4
	s_delay_alu instid0(VALU_DEP_2) | instskip(NEXT) | instid1(VALU_DEP_2)
	v_mul_i32_i24_e32 v1, v114, v1
	v_mul_i32_i24_e32 v2, v129, v2
	s_delay_alu instid0(VALU_DEP_1) | instskip(SKIP_2) | instid1(VALU_DEP_2)
	v_add3_u32 v3, v3, v1, v2
	v_bfe_u32 v1, v142, 16, 4
	v_bfe_u32 v2, v142, 24, 4
	v_mul_i32_i24_e32 v1, v107, v1
	s_delay_alu instid0(VALU_DEP_2) | instskip(NEXT) | instid1(VALU_DEP_1)
	v_mul_i32_i24_e32 v2, v106, v2
	v_add3_u32 v23, v23, v1, v2
	ds_load_2addr_b32 v[1:2], v94 offset0:6 offset1:7
	s_wait_dscnt 0x0
	v_and_b32_e32 v113, 15, v1
	v_bfe_u32 v114, v1, 8, 4
	s_delay_alu instid0(VALU_DEP_2) | instskip(NEXT) | instid1(VALU_DEP_2)
	v_mul_i32_i24_e32 v113, v103, v113
	v_mul_i32_i24_e32 v114, v135, v114
	s_delay_alu instid0(VALU_DEP_1) | instskip(SKIP_1) | instid1(VALU_DEP_1)
	v_add3_u32 v27, v27, v114, v113
	v_bfe_u32 v113, v28, 16, 4
	v_mul_i32_i24_e32 v107, v107, v113
	v_bfe_u32 v113, v28, 24, 4
	s_delay_alu instid0(VALU_DEP_1) | instskip(NEXT) | instid1(VALU_DEP_1)
	v_mul_i32_i24_e32 v106, v106, v113
	v_add3_u32 v106, v109, v107, v106
	v_bfe_u32 v107, v142, 20, 4
	v_lshrrev_b32_e32 v109, 28, v142
	s_delay_alu instid0(VALU_DEP_2) | instskip(NEXT) | instid1(VALU_DEP_2)
	v_mul_i32_i24_e32 v107, v111, v107
	v_mul_i32_i24_e32 v109, v110, v109
	s_delay_alu instid0(VALU_DEP_1) | instskip(SKIP_2) | instid1(VALU_DEP_2)
	v_add3_u32 v107, v112, v107, v109
	v_bfe_u32 v109, v1, 4, 4
	v_bfe_u32 v112, v1, 12, 4
	v_mul_i32_i24_e32 v109, v108, v109
	s_delay_alu instid0(VALU_DEP_2) | instskip(NEXT) | instid1(VALU_DEP_1)
	v_mul_i32_i24_e32 v112, v130, v112
	v_add3_u32 v109, v24, v109, v112
	v_bfe_u32 v24, v28, 20, 4
	v_lshrrev_b32_e32 v28, 28, v28
	s_delay_alu instid0(VALU_DEP_2) | instskip(NEXT) | instid1(VALU_DEP_2)
	v_mul_i32_i24_e32 v24, v111, v24
	v_mul_i32_i24_e32 v28, v110, v28
	s_delay_alu instid0(VALU_DEP_1) | instskip(SKIP_2) | instid1(VALU_DEP_2)
	v_add3_u32 v3, v3, v24, v28
	v_bfe_u32 v24, v1, 16, 4
	v_bfe_u32 v28, v1, 24, 4
	v_mul_i32_i24_e32 v24, v101, v24
	s_delay_alu instid0(VALU_DEP_2) | instskip(NEXT) | instid1(VALU_DEP_1)
	v_mul_i32_i24_e32 v28, v100, v28
	v_add3_u32 v27, v27, v24, v28
	v_and_b32_e32 v24, 15, v143
	v_bfe_u32 v28, v143, 8, 4
	s_delay_alu instid0(VALU_DEP_2) | instskip(NEXT) | instid1(VALU_DEP_2)
	v_mul_i32_i24_e32 v24, v103, v24
	v_mul_i32_i24_e32 v28, v135, v28
	s_delay_alu instid0(VALU_DEP_1)
	v_add3_u32 v28, v23, v28, v24
	v_add_nc_u32_e32 v23, 0x2118, v94
	v_add_nc_u32_e32 v94, 32, v94
	ds_load_2addr_b32 v[23:24], v23 offset1:1
	s_wait_dscnt 0x0
	v_and_b32_e32 v110, 15, v23
	s_delay_alu instid0(VALU_DEP_1) | instskip(SKIP_1) | instid1(VALU_DEP_1)
	v_mul_i32_i24_e32 v103, v103, v110
	v_bfe_u32 v110, v23, 8, 4
	v_mul_i32_i24_e32 v110, v135, v110
	s_delay_alu instid0(VALU_DEP_1) | instskip(SKIP_2) | instid1(VALU_DEP_2)
	v_add3_u32 v103, v106, v110, v103
	v_bfe_u32 v106, v1, 20, 4
	v_lshrrev_b32_e32 v1, 28, v1
	v_mul_i32_i24_e32 v106, v105, v106
	s_delay_alu instid0(VALU_DEP_2) | instskip(NEXT) | instid1(VALU_DEP_1)
	v_mul_i32_i24_e32 v1, v104, v1
	v_add3_u32 v1, v109, v106, v1
	v_bfe_u32 v106, v143, 4, 4
	v_bfe_u32 v109, v143, 12, 4
	s_delay_alu instid0(VALU_DEP_2) | instskip(NEXT) | instid1(VALU_DEP_2)
	v_mul_i32_i24_e32 v106, v108, v106
	v_mul_i32_i24_e32 v109, v130, v109
	s_delay_alu instid0(VALU_DEP_1) | instskip(SKIP_1) | instid1(VALU_DEP_1)
	v_add3_u32 v106, v107, v106, v109
	v_bfe_u32 v107, v23, 4, 4
	v_mul_i32_i24_e32 v107, v108, v107
	v_bfe_u32 v108, v23, 12, 4
	s_delay_alu instid0(VALU_DEP_1) | instskip(NEXT) | instid1(VALU_DEP_1)
	v_mul_i32_i24_e32 v108, v130, v108
	v_add3_u32 v3, v3, v107, v108
	v_bfe_u32 v107, v143, 16, 4
	v_bfe_u32 v108, v143, 24, 4
	s_delay_alu instid0(VALU_DEP_2) | instskip(NEXT) | instid1(VALU_DEP_2)
	v_mul_i32_i24_e32 v107, v101, v107
	v_mul_i32_i24_e32 v108, v100, v108
	s_delay_alu instid0(VALU_DEP_1) | instskip(SKIP_2) | instid1(VALU_DEP_2)
	v_add3_u32 v28, v28, v107, v108
	v_and_b32_e32 v107, 15, v2
	v_bfe_u32 v108, v2, 8, 4
	v_mul_i32_i24_e32 v107, v99, v107
	s_delay_alu instid0(VALU_DEP_2) | instskip(NEXT) | instid1(VALU_DEP_1)
	v_mul_i32_i24_e32 v108, v127, v108
	v_add3_u32 v27, v27, v108, v107
	v_bfe_u32 v107, v23, 16, 4
	s_delay_alu instid0(VALU_DEP_1) | instskip(SKIP_1) | instid1(VALU_DEP_1)
	v_mul_i32_i24_e32 v101, v101, v107
	v_bfe_u32 v107, v23, 24, 4
	v_mul_i32_i24_e32 v100, v100, v107
	s_delay_alu instid0(VALU_DEP_1) | instskip(SKIP_2) | instid1(VALU_DEP_2)
	v_add3_u32 v100, v103, v101, v100
	v_bfe_u32 v101, v143, 20, 4
	v_lshrrev_b32_e32 v103, 28, v143
	v_mul_i32_i24_e32 v101, v105, v101
	s_delay_alu instid0(VALU_DEP_2) | instskip(NEXT) | instid1(VALU_DEP_1)
	v_mul_i32_i24_e32 v103, v104, v103
	v_add3_u32 v101, v106, v101, v103
	v_bfe_u32 v103, v2, 4, 4
	v_bfe_u32 v106, v2, 12, 4
	s_delay_alu instid0(VALU_DEP_2) | instskip(NEXT) | instid1(VALU_DEP_2)
	v_mul_i32_i24_e32 v103, v102, v103
	v_mul_i32_i24_e32 v106, v124, v106
	s_delay_alu instid0(VALU_DEP_1) | instskip(SKIP_2) | instid1(VALU_DEP_2)
	v_add3_u32 v1, v1, v103, v106
	v_bfe_u32 v103, v23, 20, 4
	v_lshrrev_b32_e32 v23, 28, v23
	v_mul_i32_i24_e32 v103, v105, v103
	s_delay_alu instid0(VALU_DEP_2) | instskip(SKIP_2) | instid1(VALU_DEP_3)
	v_mul_i32_i24_e32 v23, v104, v23
	v_cvt_f32_ubyte1_e32 v104, v162
	v_cvt_f32_ubyte1_e32 v105, v160
	v_add3_u32 v3, v3, v103, v23
	v_bfe_u32 v23, v2, 16, 4
	v_bfe_u32 v103, v2, 24, 4
	s_delay_alu instid0(VALU_DEP_2) | instskip(NEXT) | instid1(VALU_DEP_2)
	v_mul_i32_i24_e32 v23, v96, v23
	v_mul_i32_i24_e32 v103, v95, v103
	s_delay_alu instid0(VALU_DEP_1) | instskip(SKIP_2) | instid1(VALU_DEP_2)
	v_add3_u32 v23, v27, v23, v103
	v_and_b32_e32 v27, 15, v144
	v_bfe_u32 v103, v144, 8, 4
	v_mul_i32_i24_e32 v27, v99, v27
	s_delay_alu instid0(VALU_DEP_2) | instskip(NEXT) | instid1(VALU_DEP_1)
	v_mul_i32_i24_e32 v103, v127, v103
	v_add3_u32 v27, v28, v103, v27
	v_and_b32_e32 v28, 15, v24
	s_delay_alu instid0(VALU_DEP_1) | instskip(SKIP_1) | instid1(VALU_DEP_1)
	v_mul_i32_i24_e32 v28, v99, v28
	v_bfe_u32 v99, v24, 8, 4
	v_mul_i32_i24_e32 v99, v127, v99
	s_delay_alu instid0(VALU_DEP_1) | instskip(SKIP_3) | instid1(VALU_DEP_3)
	v_add3_u32 v28, v100, v99, v28
	v_bfe_u32 v99, v2, 20, 4
	v_lshrrev_b32_e32 v2, 28, v2
	v_bfe_u32 v100, v24, 12, 4
	v_mul_i32_i24_e32 v99, v98, v99
	s_delay_alu instid0(VALU_DEP_3) | instskip(NEXT) | instid1(VALU_DEP_3)
	v_mul_i32_i24_e32 v2, v97, v2
	v_mul_i32_i24_e32 v100, v124, v100
	s_delay_alu instid0(VALU_DEP_2) | instskip(SKIP_2) | instid1(VALU_DEP_2)
	v_add3_u32 v1, v1, v99, v2
	v_bfe_u32 v2, v144, 4, 4
	v_bfe_u32 v99, v144, 12, 4
	v_mul_i32_i24_e32 v2, v102, v2
	s_delay_alu instid0(VALU_DEP_2) | instskip(NEXT) | instid1(VALU_DEP_1)
	v_mul_i32_i24_e32 v99, v124, v99
	v_add3_u32 v2, v101, v2, v99
	v_bfe_u32 v99, v24, 4, 4
	s_delay_alu instid0(VALU_DEP_1) | instskip(SKIP_1) | instid1(VALU_DEP_2)
	v_mul_i32_i24_e32 v99, v102, v99
	v_bfe_u32 v102, v24, 20, 4
	v_add3_u32 v3, v3, v99, v100
	v_bfe_u32 v99, v144, 16, 4
	v_bfe_u32 v100, v144, 24, 4
	s_delay_alu instid0(VALU_DEP_2) | instskip(NEXT) | instid1(VALU_DEP_2)
	v_mul_i32_i24_e32 v99, v96, v99
	v_mul_i32_i24_e32 v100, v95, v100
	s_delay_alu instid0(VALU_DEP_1) | instskip(SKIP_1) | instid1(VALU_DEP_1)
	v_add3_u32 v27, v27, v99, v100
	v_bfe_u32 v99, v24, 16, 4
	v_mul_i32_i24_e32 v96, v96, v99
	v_bfe_u32 v99, v24, 24, 4
	v_lshrrev_b32_e32 v24, 28, v24
	s_delay_alu instid0(VALU_DEP_2) | instskip(SKIP_1) | instid1(VALU_DEP_3)
	v_mul_i32_i24_e32 v95, v95, v99
	v_lshrrev_b32_e32 v99, 28, v144
	v_mul_i32_i24_e32 v24, v97, v24
	s_delay_alu instid0(VALU_DEP_3) | instskip(SKIP_4) | instid1(VALU_DEP_4)
	v_add3_u32 v28, v28, v96, v95
	v_lshl_or_b32 v95, v66, 2, 0x4200
	v_bfe_u32 v96, v144, 20, 4
	v_mul_i32_i24_e32 v99, v97, v99
	v_cvt_f32_ubyte0_e32 v97, v162
	v_add3_u32 v95, v95, s21, v159
	s_delay_alu instid0(VALU_DEP_4)
	v_mul_i32_i24_e32 v96, v98, v96
	v_mul_i32_i24_e32 v98, v98, v102
	v_cvt_f32_ubyte0_e32 v102, v0
	v_cvt_f32_ubyte1_e32 v0, v0
	v_fma_mix_f32 v97, v25, v97, 0 op_sel:[1,0,0] op_sel_hi:[1,0,0]
	v_add3_u32 v2, v2, v96, v99
	ds_load_u16 v96, v95 offset:8
	ds_load_u16 v99, v163 offset:17920
	;; [unrolled: 1-line block ×4, first 2 shown]
	ds_load_u16 v95, v95
	v_fma_mix_f32 v102, v25, v102, 0 op_sel:[1,0,0] op_sel_hi:[1,0,0]
	v_add3_u32 v3, v3, v98, v24
	v_fma_mix_f32 v97, v26, v104, v97 op_sel:[1,0,0] op_sel_hi:[1,0,0]
	s_add_co_i32 s21, s20, 8
	s_add_co_i32 s20, s20, 16
	v_fma_mix_f32 v0, v26, v0, v102 op_sel:[1,0,0] op_sel_hi:[1,0,0]
	s_wait_alu 0xfffe
	s_cmp_lt_u32 s20, 24
	v_mul_f32_e32 v97, v97, v92
	s_mov_b32 s20, s21
	v_mul_f32_e32 v0, v0, v91
	s_wait_dscnt 0x4
	v_cvt_f32_ubyte0_e32 v103, v96
	v_cvt_f32_ubyte1_e32 v96, v96
	s_wait_dscnt 0x2
	v_and_b32_e32 v102, 0xff, v100
	v_lshrrev_b16 v100, 8, v100
	s_wait_dscnt 0x0
	v_and_b32_e32 v104, 0xff, v95
	v_fma_mix_f32 v103, v25, v103, 0 op_sel:[1,0,0] op_sel_hi:[1,0,0]
	v_lshrrev_b16 v95, 8, v95
	v_lshrrev_b16 v106, 8, v99
	v_and_b32_e32 v99, 0xff, v99
	v_mul_lo_u32 v102, v126, v102
	v_fma_mix_f32 v96, v26, v96, v103 op_sel:[1,0,0] op_sel_hi:[1,0,0]
	v_cvt_f32_ubyte0_e32 v103, v160
	v_and_b32_e32 v100, 0xffff, v100
	v_and_b32_e32 v95, 0xffff, v95
	;; [unrolled: 1-line block ×3, first 2 shown]
	v_mul_lo_u32 v23, v23, v104
	v_fma_mix_f32 v103, v103, v25, 0 op_sel:[0,1,0] op_sel_hi:[0,1,0]
	v_mul_lo_u32 v100, v121, v100
	v_mul_lo_u32 v1, v1, v95
	;; [unrolled: 1-line block ×3, first 2 shown]
	v_cvt_f32_i32_e32 v102, v102
	v_fma_mix_f32 v103, v105, v26, v103 op_sel:[0,1,0] op_sel_hi:[0,1,0]
	v_and_b32_e32 v105, 0xff, v101
	v_lshrrev_b16 v101, 8, v101
	v_cvt_f32_i32_e32 v23, v23
	v_cvt_f32_i32_e32 v100, v100
	v_fma_mix_f32 v102, v102, v25, 0 op_sel_hi:[0,1,0]
	v_mul_lo_u32 v24, v27, v105
	v_and_b32_e32 v101, 0xffff, v101
	v_mul_lo_u32 v27, v28, v99
	v_cvt_f32_i32_e32 v1, v1
	v_cvt_f32_i32_e32 v3, v3
	v_fma_mix_f32 v23, v25, v23, 0 op_sel_hi:[1,0,0]
	v_mul_lo_u32 v2, v2, v101
	v_mul_f32_e32 v96, v96, v90
	v_cvt_f32_i32_e32 v24, v24
	v_fma_mix_f32 v28, v100, v26, v102 op_sel_hi:[0,1,0]
	v_cvt_f32_i32_e32 v27, v27
	v_fma_mix_f32 v1, v26, v1, v23 op_sel_hi:[1,0,0]
	s_delay_alu instid0(VALU_DEP_4) | instskip(SKIP_1) | instid1(VALU_DEP_4)
	v_fma_mix_f32 v24, v25, v24, 0 op_sel_hi:[1,0,0]
	v_cvt_f32_i32_e32 v2, v2
	v_fma_mix_f32 v25, v25, v27, 0 op_sel_hi:[1,0,0]
	v_mul_f32_e32 v27, v103, v93
	v_fma_f32 v1, v1, v31, -v96
	s_delay_alu instid0(VALU_DEP_4) | instskip(NEXT) | instid1(VALU_DEP_4)
	v_fma_mix_f32 v2, v26, v2, v24 op_sel_hi:[1,0,0]
	v_fma_mix_f32 v3, v26, v3, v25 op_sel_hi:[1,0,0]
	s_delay_alu instid0(VALU_DEP_4) | instskip(NEXT) | instid1(VALU_DEP_4)
	v_fma_f32 v23, v28, v89, -v27
	v_add_f32_e32 v35, v35, v1
	s_delay_alu instid0(VALU_DEP_4) | instskip(NEXT) | instid1(VALU_DEP_4)
	v_fma_f32 v0, v2, v32, -v0
	v_fma_f32 v2, v3, v88, -v97
	s_delay_alu instid0(VALU_DEP_4) | instskip(NEXT) | instid1(VALU_DEP_2)
	v_add_f32_e32 v20, v20, v23
	v_dual_add_f32 v64, v64, v0 :: v_dual_add_f32 v59, v59, v2
	s_cbranch_scc1 .LBB232_19
; %bb.20:                               ;   in Loop: Header=BB232_5 Depth=1
	s_wait_loadcnt 0x0
	s_barrier_signal -1
	s_barrier_wait -1
	global_inv scope:SCOPE_SE
	s_branch .LBB232_4
.LBB232_21:
	s_mul_i32 s0, s10, s7
	s_wait_loadcnt 0x0
	s_wait_alu 0xfffe
	v_cmp_gt_i32_e32 vcc_lo, s0, v33
	s_and_saveexec_b32 s0, vcc_lo
	s_cbranch_execz .LBB232_30
; %bb.22:
	v_mul_lo_u32 v0, v33, s9
	v_add_nc_u32_e32 v1, s11, v34
	s_mov_b32 s0, exec_lo
	s_delay_alu instid0(VALU_DEP_1)
	v_cmpx_gt_u32_e64 s9, v1
	s_cbranch_execz .LBB232_24
; %bb.23:
	v_bfe_u32 v3, v35, 16, 1
	s_delay_alu instid0(VALU_DEP_4) | instskip(SKIP_1) | instid1(VALU_DEP_3)
	v_add_nc_u32_e32 v2, v0, v1
	v_cmp_o_f32_e32 vcc_lo, v35, v35
	v_add3_u32 v4, v35, v3, 0x7fff
	v_mov_b32_e32 v3, 0
	s_delay_alu instid0(VALU_DEP_2) | instskip(NEXT) | instid1(VALU_DEP_2)
	v_lshrrev_b32_e32 v4, 16, v4
	v_lshlrev_b64_e32 v[2:3], 1, v[2:3]
	s_wait_alu 0xfffd
	s_delay_alu instid0(VALU_DEP_2) | instskip(NEXT) | instid1(VALU_DEP_2)
	v_cndmask_b32_e32 v4, 0x7fc0, v4, vcc_lo
	v_add_co_u32 v2, vcc_lo, s12, v2
	s_wait_alu 0xfffd
	s_delay_alu instid0(VALU_DEP_3)
	v_add_co_ci_u32_e64 v3, null, s13, v3, vcc_lo
	global_store_b16 v[2:3], v4, off
.LBB232_24:
	s_wait_alu 0xfffe
	s_or_b32 exec_lo, exec_lo, s0
	v_add_nc_u32_e32 v2, 32, v1
	s_mov_b32 s0, exec_lo
	s_delay_alu instid0(VALU_DEP_1)
	v_cmpx_gt_u32_e64 s9, v2
	s_cbranch_execz .LBB232_26
; %bb.25:
	v_bfe_u32 v3, v64, 16, 1
	v_add_nc_u32_e32 v2, v0, v2
	v_cmp_o_f32_e32 vcc_lo, v64, v64
	s_delay_alu instid0(VALU_DEP_3) | instskip(SKIP_1) | instid1(VALU_DEP_2)
	v_add3_u32 v4, v64, v3, 0x7fff
	v_mov_b32_e32 v3, 0
	v_lshrrev_b32_e32 v4, 16, v4
	s_delay_alu instid0(VALU_DEP_2) | instskip(SKIP_1) | instid1(VALU_DEP_2)
	v_lshlrev_b64_e32 v[2:3], 1, v[2:3]
	s_wait_alu 0xfffd
	v_cndmask_b32_e32 v4, 0x7fc0, v4, vcc_lo
	s_delay_alu instid0(VALU_DEP_2) | instskip(SKIP_1) | instid1(VALU_DEP_3)
	v_add_co_u32 v2, vcc_lo, s12, v2
	s_wait_alu 0xfffd
	v_add_co_ci_u32_e64 v3, null, s13, v3, vcc_lo
	global_store_b16 v[2:3], v4, off
.LBB232_26:
	s_wait_alu 0xfffe
	s_or_b32 exec_lo, exec_lo, s0
	v_add_nc_u32_e32 v2, 64, v1
	s_mov_b32 s0, exec_lo
	s_delay_alu instid0(VALU_DEP_1)
	v_cmpx_gt_u32_e64 s9, v2
	s_cbranch_execz .LBB232_28
; %bb.27:
	v_bfe_u32 v3, v59, 16, 1
	v_add_nc_u32_e32 v2, v0, v2
	v_cmp_o_f32_e32 vcc_lo, v59, v59
	s_delay_alu instid0(VALU_DEP_3) | instskip(SKIP_1) | instid1(VALU_DEP_2)
	v_add3_u32 v4, v59, v3, 0x7fff
	v_mov_b32_e32 v3, 0
	v_lshrrev_b32_e32 v4, 16, v4
	s_delay_alu instid0(VALU_DEP_2) | instskip(SKIP_1) | instid1(VALU_DEP_2)
	v_lshlrev_b64_e32 v[2:3], 1, v[2:3]
	s_wait_alu 0xfffd
	v_cndmask_b32_e32 v4, 0x7fc0, v4, vcc_lo
	s_delay_alu instid0(VALU_DEP_2) | instskip(SKIP_1) | instid1(VALU_DEP_3)
	v_add_co_u32 v2, vcc_lo, s12, v2
	s_wait_alu 0xfffd
	v_add_co_ci_u32_e64 v3, null, s13, v3, vcc_lo
	global_store_b16 v[2:3], v4, off
.LBB232_28:
	s_wait_alu 0xfffe
	s_or_b32 exec_lo, exec_lo, s0
	v_add_nc_u32_e32 v1, 0x60, v1
	s_delay_alu instid0(VALU_DEP_1)
	v_cmp_gt_u32_e32 vcc_lo, s9, v1
	s_and_b32 exec_lo, exec_lo, vcc_lo
	s_cbranch_execz .LBB232_30
; %bb.29:
	v_bfe_u32 v2, v20, 16, 1
	v_dual_mov_b32 v1, 0 :: v_dual_add_nc_u32 v0, v0, v1
	v_cmp_o_f32_e32 vcc_lo, v20, v20
	s_delay_alu instid0(VALU_DEP_3) | instskip(NEXT) | instid1(VALU_DEP_3)
	v_add3_u32 v2, v20, v2, 0x7fff
	v_lshlrev_b64_e32 v[0:1], 1, v[0:1]
	s_delay_alu instid0(VALU_DEP_2) | instskip(SKIP_1) | instid1(VALU_DEP_1)
	v_lshrrev_b32_e32 v2, 16, v2
	s_wait_alu 0xfffd
	v_cndmask_b32_e32 v2, 0x7fc0, v2, vcc_lo
	s_delay_alu instid0(VALU_DEP_3)
	v_add_co_u32 v0, vcc_lo, s12, v0
	s_wait_alu 0xfffd
	v_add_co_ci_u32_e64 v1, null, s13, v1, vcc_lo
	global_store_b16 v[0:1], v2, off
.LBB232_30:
	s_nop 0
	s_sendmsg sendmsg(MSG_DEALLOC_VGPRS)
	s_endpgm
	.section	.rodata,"a",@progbits
	.p2align	6, 0x0
	.amdhsa_kernel _ZL8moe_q4_KIN3c108BFloat16ELb1EEvPKvS3_PT_PKiS7_S7_iiiiiii
		.amdhsa_group_segment_fixed_size 20688
		.amdhsa_private_segment_fixed_size 0
		.amdhsa_kernarg_size 76
		.amdhsa_user_sgpr_count 2
		.amdhsa_user_sgpr_dispatch_ptr 0
		.amdhsa_user_sgpr_queue_ptr 0
		.amdhsa_user_sgpr_kernarg_segment_ptr 1
		.amdhsa_user_sgpr_dispatch_id 0
		.amdhsa_user_sgpr_private_segment_size 0
		.amdhsa_wavefront_size32 1
		.amdhsa_uses_dynamic_stack 0
		.amdhsa_enable_private_segment 0
		.amdhsa_system_sgpr_workgroup_id_x 1
		.amdhsa_system_sgpr_workgroup_id_y 1
		.amdhsa_system_sgpr_workgroup_id_z 0
		.amdhsa_system_sgpr_workgroup_info 0
		.amdhsa_system_vgpr_workitem_id 1
		.amdhsa_next_free_vgpr 187
		.amdhsa_next_free_sgpr 24
		.amdhsa_reserve_vcc 1
		.amdhsa_float_round_mode_32 0
		.amdhsa_float_round_mode_16_64 0
		.amdhsa_float_denorm_mode_32 3
		.amdhsa_float_denorm_mode_16_64 3
		.amdhsa_fp16_overflow 0
		.amdhsa_workgroup_processor_mode 1
		.amdhsa_memory_ordered 1
		.amdhsa_forward_progress 1
		.amdhsa_inst_pref_size 132
		.amdhsa_round_robin_scheduling 0
		.amdhsa_exception_fp_ieee_invalid_op 0
		.amdhsa_exception_fp_denorm_src 0
		.amdhsa_exception_fp_ieee_div_zero 0
		.amdhsa_exception_fp_ieee_overflow 0
		.amdhsa_exception_fp_ieee_underflow 0
		.amdhsa_exception_fp_ieee_inexact 0
		.amdhsa_exception_int_div_zero 0
	.end_amdhsa_kernel
	.section	.text._ZL8moe_q4_KIN3c108BFloat16ELb1EEvPKvS3_PT_PKiS7_S7_iiiiiii,"axG",@progbits,_ZL8moe_q4_KIN3c108BFloat16ELb1EEvPKvS3_PT_PKiS7_S7_iiiiiii,comdat
.Lfunc_end232:
	.size	_ZL8moe_q4_KIN3c108BFloat16ELb1EEvPKvS3_PT_PKiS7_S7_iiiiiii, .Lfunc_end232-_ZL8moe_q4_KIN3c108BFloat16ELb1EEvPKvS3_PT_PKiS7_S7_iiiiiii
                                        ; -- End function
	.set _ZL8moe_q4_KIN3c108BFloat16ELb1EEvPKvS3_PT_PKiS7_S7_iiiiiii.num_vgpr, 187
	.set _ZL8moe_q4_KIN3c108BFloat16ELb1EEvPKvS3_PT_PKiS7_S7_iiiiiii.num_agpr, 0
	.set _ZL8moe_q4_KIN3c108BFloat16ELb1EEvPKvS3_PT_PKiS7_S7_iiiiiii.numbered_sgpr, 24
	.set _ZL8moe_q4_KIN3c108BFloat16ELb1EEvPKvS3_PT_PKiS7_S7_iiiiiii.num_named_barrier, 0
	.set _ZL8moe_q4_KIN3c108BFloat16ELb1EEvPKvS3_PT_PKiS7_S7_iiiiiii.private_seg_size, 0
	.set _ZL8moe_q4_KIN3c108BFloat16ELb1EEvPKvS3_PT_PKiS7_S7_iiiiiii.uses_vcc, 1
	.set _ZL8moe_q4_KIN3c108BFloat16ELb1EEvPKvS3_PT_PKiS7_S7_iiiiiii.uses_flat_scratch, 0
	.set _ZL8moe_q4_KIN3c108BFloat16ELb1EEvPKvS3_PT_PKiS7_S7_iiiiiii.has_dyn_sized_stack, 0
	.set _ZL8moe_q4_KIN3c108BFloat16ELb1EEvPKvS3_PT_PKiS7_S7_iiiiiii.has_recursion, 0
	.set _ZL8moe_q4_KIN3c108BFloat16ELb1EEvPKvS3_PT_PKiS7_S7_iiiiiii.has_indirect_call, 0
	.section	.AMDGPU.csdata,"",@progbits
; Kernel info:
; codeLenInByte = 16796
; TotalNumSgprs: 26
; NumVgprs: 187
; ScratchSize: 0
; MemoryBound: 0
; FloatMode: 240
; IeeeMode: 1
; LDSByteSize: 20688 bytes/workgroup (compile time only)
; SGPRBlocks: 0
; VGPRBlocks: 23
; NumSGPRsForWavesPerEU: 26
; NumVGPRsForWavesPerEU: 187
; Occupancy: 8
; WaveLimiterHint : 1
; COMPUTE_PGM_RSRC2:SCRATCH_EN: 0
; COMPUTE_PGM_RSRC2:USER_SGPR: 2
; COMPUTE_PGM_RSRC2:TRAP_HANDLER: 0
; COMPUTE_PGM_RSRC2:TGID_X_EN: 1
; COMPUTE_PGM_RSRC2:TGID_Y_EN: 1
; COMPUTE_PGM_RSRC2:TGID_Z_EN: 0
; COMPUTE_PGM_RSRC2:TIDIG_COMP_CNT: 1
	.section	.text._ZL8moe_q5_KIN3c108BFloat16ELb0EEvPKvS3_PT_PKiS7_S7_iiiiiii,"axG",@progbits,_ZL8moe_q5_KIN3c108BFloat16ELb0EEvPKvS3_PT_PKiS7_S7_iiiiiii,comdat
	.globl	_ZL8moe_q5_KIN3c108BFloat16ELb0EEvPKvS3_PT_PKiS7_S7_iiiiiii ; -- Begin function _ZL8moe_q5_KIN3c108BFloat16ELb0EEvPKvS3_PT_PKiS7_S7_iiiiiii
	.p2align	8
	.type	_ZL8moe_q5_KIN3c108BFloat16ELb0EEvPKvS3_PT_PKiS7_S7_iiiiiii,@function
_ZL8moe_q5_KIN3c108BFloat16ELb0EEvPKvS3_PT_PKiS7_S7_iiiiiii: ; @_ZL8moe_q5_KIN3c108BFloat16ELb0EEvPKvS3_PT_PKiS7_S7_iiiiiii
; %bb.0:
	s_load_b128 s[4:7], s[0:1], 0x18
	s_mov_b32 s2, ttmp7
	s_mov_b32 s3, 0
	s_delay_alu instid0(SALU_CYCLE_1)
	s_lshl_b64 s[2:3], s[2:3], 2
	s_wait_kmcnt 0x0
	s_add_nc_u64 s[2:3], s[6:7], s[2:3]
	s_load_b32 s12, s[2:3], 0x0
	s_wait_kmcnt 0x0
	s_cmp_gt_u32 s12, 0xff
	s_cbranch_scc1 .LBB233_30
; %bb.1:
	s_load_b64 s[2:3], s[0:1], 0x28
	s_wait_kmcnt 0x0
	s_load_b32 s3, s[2:3], 0x0
	s_lshl_b32 s2, ttmp7, 3
	s_wait_kmcnt 0x0
	s_cmp_gt_u32 s2, s3
	s_cbranch_scc1 .LBB233_30
; %bb.2:
	v_bfe_u32 v39, v0, 10, 10
	v_mov_b32_e32 v2, 0
	s_lshl_b32 s18, ttmp9, 7
	s_delay_alu instid0(VALU_DEP_1) | instskip(SKIP_1) | instid1(VALU_DEP_2)
	v_dual_mov_b32 v32, v2 :: v_dual_add_nc_u32 v1, s2, v39
	v_dual_mov_b32 v40, v2 :: v_dual_mov_b32 v5, v2
	v_lshlrev_b64_e32 v[3:4], 2, v[1:2]
	s_delay_alu instid0(VALU_DEP_1) | instskip(NEXT) | instid1(VALU_DEP_1)
	v_add_co_u32 v3, vcc_lo, s4, v3
	v_add_co_ci_u32_e64 v4, null, s5, v4, vcc_lo
	global_load_b32 v3, v[3:4], off
	s_clause 0x2
	s_load_b64 s[10:11], s[0:1], 0x30
	s_load_b64 s[8:9], s[0:1], 0x10
	s_load_b128 s[4:7], s[0:1], 0x3c
	v_and_b32_e32 v4, 0x3ff, v0
	s_wait_kmcnt 0x0
	s_cmp_lt_i32 s11, 0x100
	s_cbranch_scc1 .LBB233_21
; %bb.3:
	s_ashr_i32 s2, s11, 31
	s_mul_i32 s12, s12, s10
	s_wait_alu 0xfffe
	s_lshr_b32 s2, s2, 24
	s_abs_i32 s10, s7
	s_wait_alu 0xfffe
	s_add_co_i32 s13, s11, s2
	s_cvt_f32_u32 s15, s10
	s_ashr_i32 s19, s13, 8
	s_load_b128 s[0:3], s[0:1], 0x0
	s_lshl_b32 s16, s19, 3
	v_dual_mov_b32 v5, 0 :: v_dual_lshlrev_b32 v2, 2, v4
	v_mad_i32_i24 v6, s19, v39, s16
	v_and_b32_e32 v16, 7, v0
	v_lshlrev_b32_e32 v9, 5, v39
	v_and_b32_e32 v31, 3, v0
	v_rcp_iflag_f32_e32 v29, s15
	v_lshlrev_b32_e32 v22, 3, v4
	v_lshlrev_b32_e32 v23, 2, v16
	v_add_nc_u32_e32 v24, v9, v4
	v_add_nc_u32_e32 v27, 0xfe, v31
	v_and_b32_e32 v28, 4, v2
	v_cmp_lt_u32_e32 vcc_lo, 1, v31
	v_add_nc_u32_e32 v8, s16, v6
	s_ashr_i32 s13, s5, 31
	v_mul_u32_u24_e32 v25, 0x41, v39
	v_and_or_b32 v30, 0xc0, v22, v23
	v_lshrrev_b32_e32 v34, 3, v24
	v_and_b32_e32 v35, 0xff, v27
	s_wait_alu 0xfffd
	v_cndmask_b32_e32 v23, 0, v28, vcc_lo
	v_add_nc_u32_e32 v10, s16, v8
	v_cndmask_b32_e64 v40, 0, 1, vcc_lo
	v_cmp_gt_u32_e32 vcc_lo, 2, v31
	v_readfirstlane_b32 s17, v29
	s_lshr_b32 s14, s13, 27
	v_add_nc_u32_e32 v11, s16, v10
	s_wait_alu 0xfffe
	s_add_co_i32 s5, s5, s14
	s_mul_i32 s14, s19, s18
	v_lshl_add_u32 v25, v25, 2, v30
	v_and_b32_e32 v30, 12, v34
	s_wait_alu 0xfffd
	v_cndmask_b32_e32 v34, v35, v31, vcc_lo
	v_cmp_ne_u32_e32 vcc_lo, 0, v31
	s_ashr_i32 s13, s12, 31
	s_wait_alu 0xfffe
	s_ashr_i32 s15, s14, 31
	s_mul_f32 s17, s17, 0x4f7ffffe
	s_wait_alu 0xfffe
	s_mul_u64 s[14:15], s[14:15], 0xb0
	s_wait_kmcnt 0x0
	s_add_nc_u64 s[0:1], s[0:1], s[12:13]
	v_lshlrev_b32_e32 v32, 2, v31
	s_wait_alu 0xfffd
	v_add_co_ci_u32_e64 v52, null, 0, v34, vcc_lo
	v_lshlrev_b32_e32 v31, 1, v34
	s_wait_alu 0xfffe
	s_add_nc_u64 s[12:13], s[0:1], s[14:15]
	s_wait_loadcnt 0x0
	v_sub_nc_u32_e32 v34, 0, v3
	s_cvt_u32_f32 s0, s17
	s_sub_co_i32 s1, 0, s10
	v_bfe_u32 v1, v0, 2, 8
	v_and_b32_e32 v41, 31, v0
	s_mul_i32 s1, s1, s0
	v_max_i32_e32 v42, v3, v34
	s_mul_hi_u32 s1, s0, s1
	v_and_b32_e32 v15, 6, v1
	s_add_co_i32 s0, s0, s1
	v_add_nc_u32_e32 v13, s16, v11
	v_mul_hi_u32 v43, v42, s0
	v_lshlrev_b32_e32 v18, 3, v39
	v_bfe_u32 v7, v0, 5, 5
	v_lshlrev_b32_e32 v41, 2, v41
	v_dual_mov_b32 v40, 0 :: v_dual_lshlrev_b32 v53, 2, v40
	s_delay_alu instid0(VALU_DEP_4)
	v_add_nc_u32_e32 v26, v1, v18
	v_add_nc_u16 v1, v1, v18
	v_mul_lo_u32 v44, v43, s10
	v_add_nc_u32_e32 v16, s16, v13
	v_mul_i32_i24_e32 v19, s19, v39
	v_and_b32_e32 v36, 0x7f, v26
	v_lshrrev_b16 v1, 1, v1
	v_lshlrev_b32_e32 v45, 2, v7
	v_lshlrev_b32_e32 v54, 4, v39
	v_add_nc_u32_e32 v17, s16, v16
	v_lshl_or_b32 v35, v36, 4, v32
	v_and_b32_e32 v1, 60, v1
	v_xor_b32_e32 v37, 64, v36
	v_xor_b32_e32 v47, s7, v3
	v_add_nc_u32_e32 v18, s16, v17
	v_and_b32_e32 v33, 0x7f, v24
	v_add3_u32 v35, v35, v1, 0x8200
	v_lshl_or_b32 v1, v39, 7, v41
	v_bfe_u32 v39, v0, 3, 7
	v_sub_nc_u32_e32 v0, v42, v44
	v_add3_u32 v42, v45, v2, 0x8e40
	v_add_nc_u32_e32 v44, 1, v43
	v_add_nc_u32_e32 v21, s16, v18
	v_lshrrev_b32_e32 v38, 1, v37
	v_subrev_nc_u32_e32 v45, s10, v0
	v_cmp_le_u32_e32 vcc_lo, s10, v0
	v_lshl_or_b32 v32, v37, 4, v32
	v_add_nc_u32_e32 v22, s16, v21
	v_and_b32_e32 v38, 60, v38
	v_ashrrev_i32_e32 v47, 31, v47
	s_wait_alu 0xfffd
	v_dual_cndmask_b32 v43, v43, v44 :: v_dual_cndmask_b32 v0, v0, v45
	v_add_nc_u32_e32 v24, s16, v22
	v_mul_i32_i24_e32 v34, s19, v36
	v_mul_i32_i24_e32 v36, s19, v37
	s_delay_alu instid0(VALU_DEP_4)
	v_add_nc_u32_e32 v45, 1, v43
	v_cmp_le_u32_e32 vcc_lo, s10, v0
	v_add3_u32 v37, v32, v38, 0x8200
	v_add_nc_u32_e32 v38, 0x8a40, v1
	v_add_nc_u32_e32 v1, 32, v4
	s_wait_alu 0xfffd
	v_dual_cndmask_b32 v0, v43, v45 :: v_dual_add_nc_u32 v27, s16, v24
	v_add_nc_u32_e32 v44, 64, v4
	v_add_nc_u32_e32 v46, 0x60, v4
	v_lshrrev_b32_e32 v41, 3, v1
	s_ashr_i32 s5, s5, 5
	v_xor_b32_e32 v0, v0, v47
	v_mul_i32_i24_e32 v26, s19, v33
	v_lshlrev_b32_e32 v33, 2, v33
	v_add_nc_u32_e32 v28, s16, v27
	v_lshlrev_b32_e32 v58, 2, v1
	v_sub_nc_u32_e32 v0, v0, v47
	v_and_b32_e32 v1, 60, v41
	v_lshrrev_b32_e32 v59, 3, v44
	v_lshrrev_b32_e32 v61, 3, v46
	v_and_b32_e32 v14, 28, v2
	s_wait_alu 0xfffe
	v_mul_lo_u32 v48, v0, s5
	s_movk_i32 s1, 0x2080
	v_add3_u32 v29, v33, v30, 0x8e40
	v_add_nc_u32_e32 v30, s16, v28
	v_add_nc_u32_e32 v32, 0x9050, v2
	v_and_b32_e32 v45, 60, v59
	v_add3_u32 v43, v2, v1, 0x8e40
	v_and_b32_e32 v1, 60, v61
	v_lshlrev_b32_e32 v60, 2, v44
	v_lshlrev_b32_e32 v62, 2, v46
	s_wait_alu 0xfffe
	v_mad_u32_u24 v47, 0x104, v4, s1
	s_movk_i32 s1, 0x4100
	s_movk_i32 s10, 0x6180
	v_cmp_gt_u32_e64 s0, 4, v4
	s_wait_alu 0xfffe
	v_mad_u32_u24 v49, 0x104, v4, s1
	v_mad_u32_u24 v50, 0x104, v4, s10
	v_cmp_gt_i32_e64 s1, s4, v0
	v_add_co_u32 v0, s10, s2, v14
	v_and_b32_e32 v12, 0x7c, v2
	v_add_nc_u32_e32 v33, s16, v30
	v_add3_u32 v44, v2, v45, 0x8e40
	v_add3_u32 v45, v2, v1, 0x8e40
	v_mul_u32_u24_e32 v46, 0x104, v4
	s_wait_alu 0xf1ff
	v_add_co_ci_u32_e64 v1, null, s3, 0, s10
	v_ashrrev_i32_e32 v51, 31, v48
	v_lshlrev_b32_e32 v52, 2, v52
	v_add_nc_u32_e32 v54, v32, v54
	v_lshlrev_b32_e32 v55, 2, v39
	v_lshlrev_b32_e32 v56, 2, v2
	;; [unrolled: 1-line block ×8, first 2 shown]
	v_add_nc_u32_e32 v63, 0x800, v25
	v_add_nc_u32_e32 v64, 0x1000, v25
	v_add_nc_u32_e32 v65, 0x1800, v25
	v_add_nc_u32_e32 v66, 0x2000, v25
	v_add_nc_u32_e32 v67, 0x2800, v25
	v_add_nc_u32_e32 v68, 0x3000, v25
	v_add_nc_u32_e32 v69, 0x3800, v25
	v_add_nc_u32_e32 v70, 0x4000, v25
	v_add_nc_u32_e32 v71, 0x4800, v25
	v_add_nc_u32_e32 v72, 0x5000, v25
	v_add_nc_u32_e32 v73, 0x5800, v25
	v_add_nc_u32_e32 v74, 0x6000, v25
	v_add_nc_u32_e32 v75, 0x6800, v25
	v_add_nc_u32_e32 v76, 0x7000, v25
	v_dual_mov_b32 v32, 0 :: v_dual_add_nc_u32 v77, 0x7800, v25
	v_or_b32_e32 v20, 1, v15
	v_mov_b32_e32 v2, 0
	s_mov_b32 s15, 0
	s_and_b32 s10, s0, s1
	s_wait_alu 0xfffe
	s_mov_b32 s14, s15
	s_branch .LBB233_5
.LBB233_4:                              ;   in Loop: Header=BB233_5 Depth=1
	s_add_co_i32 s14, s14, 1
	s_wait_alu 0xfffe
	s_cmp_eq_u32 s14, s19
	s_cbranch_scc1 .LBB233_21
.LBB233_5:                              ; =>This Loop Header: Depth=1
                                        ;     Child Loop BB233_11 Depth 2
                                        ;     Child Loop BB233_19 Depth 2
	s_wait_alu 0xfffe
	s_mul_u64 s[16:17], s[14:15], 0xb0
	s_wait_alu 0xfffe
	s_add_nc_u64 s[16:17], s[12:13], s[16:17]
	s_wait_alu 0xfffe
	v_mad_co_u64_u32 v[78:79], null, 0xb0, v7, s[16:17]
	s_delay_alu instid0(VALU_DEP_1) | instskip(SKIP_3) | instid1(VALU_DEP_4)
	v_mad_co_u64_u32 v[80:81], null, 0xb0, v19, v[78:79]
	v_mad_co_u64_u32 v[82:83], null, 0xb0, v6, v[78:79]
	;; [unrolled: 1-line block ×4, first 2 shown]
	v_add_co_u32 v86, vcc_lo, v80, v12
	s_wait_alu 0xfffd
	v_add_co_ci_u32_e64 v87, null, 0, v81, vcc_lo
	v_add_co_u32 v80, vcc_lo, v80, v14
	s_wait_alu 0xfffd
	v_add_co_ci_u32_e64 v81, null, 0, v81, vcc_lo
	;; [unrolled: 3-line block ×6, first 2 shown]
	v_add_co_u32 v94, vcc_lo, v90, v12
	v_mad_co_u64_u32 v[96:97], null, 0xb0, v11, v[78:79]
	s_wait_alu 0xfffd
	v_add_co_ci_u32_e64 v95, null, 0, v91, vcc_lo
	v_add_co_u32 v90, vcc_lo, v90, v14
	s_wait_alu 0xfffd
	v_add_co_ci_u32_e64 v91, null, 0, v91, vcc_lo
	s_clause 0x7
	global_load_b32 v98, v[86:87], off offset:48
	global_load_b32 v99, v[80:81], off offset:16
	;; [unrolled: 1-line block ×8, first 2 shown]
	v_mad_co_u64_u32 v[80:81], null, 0xb0, v13, v[78:79]
	v_add_co_u32 v82, vcc_lo, v96, v12
	v_mad_co_u64_u32 v[88:89], null, 0xb0, v16, v[78:79]
	s_wait_alu 0xfffd
	v_add_co_ci_u32_e64 v83, null, 0, v97, vcc_lo
	v_add_co_u32 v84, vcc_lo, v96, v14
	s_wait_alu 0xfffd
	v_add_co_ci_u32_e64 v85, null, 0, v97, vcc_lo
	v_add_co_u32 v86, vcc_lo, v80, v12
	v_mad_co_u64_u32 v[90:91], null, 0xb0, v17, v[78:79]
	s_wait_alu 0xfffd
	v_add_co_ci_u32_e64 v87, null, 0, v81, vcc_lo
	v_add_co_u32 v80, vcc_lo, v80, v14
	s_wait_alu 0xfffd
	v_add_co_ci_u32_e64 v81, null, 0, v81, vcc_lo
	v_add_co_u32 v92, vcc_lo, v88, v12
	;; [unrolled: 3-line block ×4, first 2 shown]
	v_mad_co_u64_u32 v[96:97], null, 0xb0, v18, v[78:79]
	s_wait_alu 0xfffd
	v_add_co_ci_u32_e64 v95, null, 0, v91, vcc_lo
	v_add_co_u32 v90, vcc_lo, v90, v14
	s_wait_alu 0xfffd
	v_add_co_ci_u32_e64 v91, null, 0, v91, vcc_lo
	s_clause 0x7
	global_load_b32 v106, v[82:83], off offset:48
	global_load_b32 v107, v[84:85], off offset:16
	;; [unrolled: 1-line block ×8, first 2 shown]
	v_mad_co_u64_u32 v[80:81], null, 0xb0, v21, v[78:79]
	v_add_co_u32 v82, vcc_lo, v96, v12
	v_mad_co_u64_u32 v[88:89], null, 0xb0, v22, v[78:79]
	s_wait_alu 0xfffd
	v_add_co_ci_u32_e64 v83, null, 0, v97, vcc_lo
	v_add_co_u32 v84, vcc_lo, v96, v14
	s_wait_alu 0xfffd
	v_add_co_ci_u32_e64 v85, null, 0, v97, vcc_lo
	v_add_co_u32 v86, vcc_lo, v80, v12
	v_mad_co_u64_u32 v[90:91], null, 0xb0, v24, v[78:79]
	s_wait_alu 0xfffd
	v_add_co_ci_u32_e64 v87, null, 0, v81, vcc_lo
	v_add_co_u32 v80, vcc_lo, v80, v14
	s_wait_alu 0xfffd
	v_add_co_ci_u32_e64 v81, null, 0, v81, vcc_lo
	v_add_co_u32 v92, vcc_lo, v88, v12
	s_wait_alu 0xfffd
	v_add_co_ci_u32_e64 v93, null, 0, v89, vcc_lo
	v_add_co_u32 v88, vcc_lo, v88, v14
	s_wait_alu 0xfffd
	v_add_co_ci_u32_e64 v89, null, 0, v89, vcc_lo
	v_add_co_u32 v94, vcc_lo, v90, v12
	v_mad_co_u64_u32 v[96:97], null, 0xb0, v27, v[78:79]
	s_wait_alu 0xfffd
	v_add_co_ci_u32_e64 v95, null, 0, v91, vcc_lo
	v_add_co_u32 v90, vcc_lo, v90, v14
	s_wait_alu 0xfffd
	v_add_co_ci_u32_e64 v91, null, 0, v91, vcc_lo
	s_clause 0x7
	global_load_b32 v114, v[82:83], off offset:48
	global_load_b32 v115, v[84:85], off offset:16
	;; [unrolled: 1-line block ×8, first 2 shown]
	v_mad_co_u64_u32 v[80:81], null, 0xb0, v28, v[78:79]
	v_add_co_u32 v82, vcc_lo, v96, v12
	v_mad_co_u64_u32 v[88:89], null, 0xb0, v30, v[78:79]
	s_wait_alu 0xfffd
	v_add_co_ci_u32_e64 v83, null, 0, v97, vcc_lo
	v_add_co_u32 v84, vcc_lo, v96, v14
	s_wait_alu 0xfffd
	v_add_co_ci_u32_e64 v85, null, 0, v97, vcc_lo
	v_add_co_u32 v86, vcc_lo, v80, v12
	;; [unrolled: 3-line block ×3, first 2 shown]
	s_clause 0x2
	global_load_b32 v91, v[82:83], off offset:48
	global_load_b32 v95, v[84:85], off offset:16
	global_load_b32 v96, v[86:87], off offset:48
	s_wait_alu 0xfffd
	v_add_co_ci_u32_e64 v81, null, 0, v81, vcc_lo
	v_add_co_u32 v82, vcc_lo, v88, v12
	s_wait_alu 0xfffd
	v_add_co_ci_u32_e64 v83, null, 0, v89, vcc_lo
	v_add_co_u32 v84, vcc_lo, v88, v14
	v_mad_co_u64_u32 v[78:79], null, 0xb0, v33, v[78:79]
	s_wait_alu 0xfffd
	v_add_co_ci_u32_e64 v85, null, 0, v89, vcc_lo
	s_clause 0x2
	global_load_b32 v88, v[80:81], off offset:16
	global_load_b32 v89, v[82:83], off offset:48
	;; [unrolled: 1-line block ×3, first 2 shown]
	v_mad_co_u64_u32 v[80:81], null, 0xb0, v34, s[16:17]
	v_add_co_u32 v82, vcc_lo, v78, v12
	s_wait_alu 0xfffd
	v_add_co_ci_u32_e64 v83, null, 0, v79, vcc_lo
	v_add_co_u32 v78, vcc_lo, v78, v14
	v_mad_co_u64_u32 v[86:87], null, 0xb0, v36, s[16:17]
	s_wait_alu 0xfffd
	v_add_co_ci_u32_e64 v79, null, 0, v79, vcc_lo
	v_add_co_u32 v84, vcc_lo, v80, v52
	s_wait_alu 0xfffd
	v_add_co_ci_u32_e64 v85, null, 0, v81, vcc_lo
	s_clause 0x2
	global_load_b32 v118, v[82:83], off offset:48
	global_load_b32 v119, v[78:79], off offset:16
	global_load_b32 v84, v[84:85], off offset:4
	v_add_co_u32 v78, vcc_lo, v80, v53
	s_wait_alu 0xfffd
	v_add_co_ci_u32_e64 v79, null, 0, v81, vcc_lo
	v_add_co_u32 v80, vcc_lo, v86, v52
	s_wait_alu 0xfffd
	v_add_co_ci_u32_e64 v81, null, 0, v87, vcc_lo
	v_add_co_u32 v82, vcc_lo, v86, v53
	s_wait_alu 0xfffd
	v_add_co_ci_u32_e64 v83, null, 0, v87, vcc_lo
	s_clause 0x2
	global_load_b32 v80, v[80:81], off offset:4
	global_load_b32 v81, v[78:79], off offset:4
	;; [unrolled: 1-line block ×3, first 2 shown]
	v_mad_co_u64_u32 v[78:79], null, 0xb0, v26, s[16:17]
	s_lshl_b32 s16, s14, 8
	s_wait_alu 0xfffe
	s_cmp_lt_i32 s16, s11
	global_load_b32 v78, v[78:79], off
	s_wait_loadcnt 0x24
	v_lshrrev_b32_e32 v83, 4, v98
	s_wait_loadcnt 0x23
	v_ashrrev_i32_e32 v85, v15, v99
	v_ashrrev_i32_e32 v86, v20, v99
	v_and_b32_e32 v79, 0xf0f0f0f, v98
	s_wait_loadcnt 0x22
	v_and_b32_e32 v87, 0xf0f0f0f, v100
	v_lshrrev_b32_e32 v98, 4, v100
	s_wait_loadcnt 0x21
	v_ashrrev_i32_e32 v99, v15, v101
	v_ashrrev_i32_e32 v100, v20, v101
	s_wait_loadcnt 0x20
	v_and_b32_e32 v101, 0xf0f0f0f, v102
	v_lshrrev_b32_e32 v102, 4, v102
	s_wait_loadcnt 0x1f
	v_ashrrev_i32_e32 v120, v15, v103
	v_ashrrev_i32_e32 v103, v20, v103
	;; [unrolled: 6-line block ×3, first 2 shown]
	v_and_b32_e32 v83, 0xf0f0f0f, v83
	v_lshlrev_b32_e32 v85, 4, v85
	v_lshlrev_b32_e32 v86, 4, v86
	v_and_b32_e32 v98, 0xf0f0f0f, v98
	v_lshlrev_b32_e32 v99, 4, v99
	v_lshlrev_b32_e32 v100, 4, v100
	;; [unrolled: 3-line block ×4, first 2 shown]
	v_and_or_b32 v79, 0x10101010, v85, v79
	v_and_or_b32 v83, 0x10101010, v86, v83
	v_and_or_b32 v85, 0x10101010, v99, v87
	v_and_or_b32 v86, 0x10101010, v100, v98
	v_and_or_b32 v87, 0x10101010, v120, v101
	v_and_or_b32 v98, 0x10101010, v103, v102
	v_and_or_b32 v99, 0x10101010, v122, v121
	v_and_or_b32 v100, 0x10101010, v105, v104
	s_wait_loadcnt 0x1c
	v_and_b32_e32 v123, 0xf0f0f0f, v106
	v_lshrrev_b32_e32 v106, 4, v106
	s_wait_loadcnt 0x1b
	v_ashrrev_i32_e32 v124, v15, v107
	v_ashrrev_i32_e32 v107, v20, v107
	s_wait_loadcnt 0x1a
	v_and_b32_e32 v125, 0xf0f0f0f, v108
	v_lshrrev_b32_e32 v108, 4, v108
	s_wait_loadcnt 0x19
	v_ashrrev_i32_e32 v126, v15, v109
	v_ashrrev_i32_e32 v109, v20, v109
	s_wait_loadcnt 0x18
	v_and_b32_e32 v127, 0xf0f0f0f, v110
	v_lshrrev_b32_e32 v110, 4, v110
	s_wait_loadcnt 0x17
	v_ashrrev_i32_e32 v128, v15, v111
	v_ashrrev_i32_e32 v111, v20, v111
	s_wait_loadcnt 0x16
	v_and_b32_e32 v129, 0xf0f0f0f, v112
	v_lshrrev_b32_e32 v112, 4, v112
	s_wait_loadcnt 0x15
	v_ashrrev_i32_e32 v130, v15, v113
	v_ashrrev_i32_e32 v113, v20, v113
	v_and_b32_e32 v106, 0xf0f0f0f, v106
	v_lshlrev_b32_e32 v124, 4, v124
	v_lshlrev_b32_e32 v107, 4, v107
	v_and_b32_e32 v108, 0xf0f0f0f, v108
	v_lshlrev_b32_e32 v126, 4, v126
	v_lshlrev_b32_e32 v109, 4, v109
	;; [unrolled: 3-line block ×4, first 2 shown]
	v_and_or_b32 v101, 0x10101010, v124, v123
	v_and_or_b32 v102, 0x10101010, v107, v106
	;; [unrolled: 1-line block ×8, first 2 shown]
	s_wait_loadcnt 0x14
	v_and_b32_e32 v131, 0xf0f0f0f, v114
	v_lshrrev_b32_e32 v114, 4, v114
	s_wait_loadcnt 0x13
	v_ashrrev_i32_e32 v132, v15, v115
	v_ashrrev_i32_e32 v115, v20, v115
	s_wait_loadcnt 0x12
	v_and_b32_e32 v133, 0xf0f0f0f, v116
	v_lshrrev_b32_e32 v116, 4, v116
	s_wait_loadcnt 0x11
	v_ashrrev_i32_e32 v134, v15, v117
	v_ashrrev_i32_e32 v117, v20, v117
	s_wait_loadcnt 0x10
	v_and_b32_e32 v135, 0xf0f0f0f, v92
	v_lshrrev_b32_e32 v92, 4, v92
	s_wait_loadcnt 0xf
	v_ashrrev_i32_e32 v136, v15, v93
	v_ashrrev_i32_e32 v93, v20, v93
	s_wait_loadcnt 0xe
	v_and_b32_e32 v137, 0xf0f0f0f, v94
	v_lshrrev_b32_e32 v94, 4, v94
	s_wait_loadcnt 0xd
	v_ashrrev_i32_e32 v138, v15, v90
	v_ashrrev_i32_e32 v90, v20, v90
	v_and_b32_e32 v114, 0xf0f0f0f, v114
	v_lshlrev_b32_e32 v132, 4, v132
	v_lshlrev_b32_e32 v115, 4, v115
	v_and_b32_e32 v116, 0xf0f0f0f, v116
	v_lshlrev_b32_e32 v134, 4, v134
	v_lshlrev_b32_e32 v117, 4, v117
	v_and_b32_e32 v92, 0xf0f0f0f, v92
	v_lshlrev_b32_e32 v136, 4, v136
	s_wait_loadcnt 0xc
	v_and_b32_e32 v139, 0xf0f0f0f, v91
	v_lshrrev_b32_e32 v91, 4, v91
	s_wait_loadcnt 0xb
	v_ashrrev_i32_e32 v140, v15, v95
	v_ashrrev_i32_e32 v95, v20, v95
	s_wait_loadcnt 0xa
	v_and_b32_e32 v141, 0xf0f0f0f, v96
	v_lshrrev_b32_e32 v96, 4, v96
	v_lshlrev_b32_e32 v93, 4, v93
	v_and_b32_e32 v94, 0xf0f0f0f, v94
	v_lshlrev_b32_e32 v138, 4, v138
	v_lshlrev_b32_e32 v90, 4, v90
	v_and_b32_e32 v91, 0xf0f0f0f, v91
	v_lshlrev_b32_e32 v140, 4, v140
	v_lshlrev_b32_e32 v95, 4, v95
	v_and_b32_e32 v96, 0xf0f0f0f, v96
	s_wait_loadcnt 0x9
	v_ashrrev_i32_e32 v142, v15, v88
	v_ashrrev_i32_e32 v88, v20, v88
	s_wait_loadcnt 0x8
	v_and_b32_e32 v143, 0xf0f0f0f, v89
	v_lshrrev_b32_e32 v89, 4, v89
	s_wait_loadcnt 0x7
	v_ashrrev_i32_e32 v144, v15, v97
	v_ashrrev_i32_e32 v97, v20, v97
	v_lshlrev_b32_e32 v142, 4, v142
	v_lshlrev_b32_e32 v88, 4, v88
	v_and_or_b32 v109, 0x10101010, v132, v131
	v_and_or_b32 v110, 0x10101010, v115, v114
	;; [unrolled: 1-line block ×8, first 2 shown]
	ds_store_2addr_b32 v25, v79, v83 offset1:8
	ds_store_2addr_b32 v63, v85, v86 offset0:8 offset1:16
	ds_store_2addr_b32 v64, v87, v98 offset0:16 offset1:24
	;; [unrolled: 1-line block ×10, first 2 shown]
	v_and_b32_e32 v79, 0xf0f0f0f, v89
	v_lshlrev_b32_e32 v85, 4, v97
	v_and_or_b32 v94, 0x10101010, v140, v139
	v_and_or_b32 v91, 0x10101010, v95, v91
	;; [unrolled: 1-line block ×4, first 2 shown]
	ds_store_2addr_b32 v73, v93, v90 offset0:88 offset1:96
	ds_store_2addr_b32 v74, v94, v91 offset0:96 offset1:104
	;; [unrolled: 1-line block ×3, first 2 shown]
	v_and_or_b32 v79, 0x10101010, v85, v79
	s_wait_loadcnt 0x6
	v_lshrrev_b32_e32 v85, 4, v118
	s_wait_loadcnt 0x5
	v_ashrrev_i32_e32 v87, v15, v119
	v_ashrrev_i32_e32 v88, v20, v119
	v_lshlrev_b32_e32 v83, 4, v144
	s_wait_loadcnt 0x4
	v_ashrrev_i32_e32 v84, v23, v84
	s_wait_loadcnt 0x3
	v_ashrrev_i32_e32 v80, v23, v80
	v_and_b32_e32 v86, 0xf0f0f0f, v118
	v_and_b32_e32 v85, 0xf0f0f0f, v85
	v_lshlrev_b32_e32 v87, 4, v87
	v_lshlrev_b32_e32 v88, 4, v88
	v_and_or_b32 v83, 0x10101010, v83, v143
	v_and_b32_e32 v84, 0xf0f0f0f, v84
	s_wait_loadcnt 0x2
	v_ashrrev_i32_e32 v81, v31, v81
	v_and_b32_e32 v80, 0xf0f0f0f, v80
	s_wait_loadcnt 0x1
	v_ashrrev_i32_e32 v82, v31, v82
	v_and_or_b32 v86, 0x10101010, v87, v86
	v_and_or_b32 v85, 0x10101010, v88, v85
	ds_store_2addr_b32 v76, v83, v79 offset0:112 offset1:120
	v_and_or_b32 v79, 0x30303030, v81, v84
	v_and_or_b32 v80, 0x30303030, v82, v80
	ds_store_2addr_b32 v77, v86, v85 offset0:120 offset1:128
	s_wait_loadcnt 0x0
	ds_store_b32 v29, v78
	ds_store_b32 v35, v79
	ds_store_b32 v37, v80
	s_cbranch_scc0 .LBB233_4
; %bb.6:                                ;   in Loop: Header=BB233_5 Depth=1
	s_lshl_b32 s17, s14, 3
	s_wait_alu 0xfffe
	v_add_nc_u32_e32 v78, s17, v39
	s_delay_alu instid0(VALU_DEP_1)
	v_cmp_gt_i32_e32 vcc_lo, s5, v78
	s_and_b32 s21, s1, vcc_lo
	s_wait_alu 0xfffe
	s_and_saveexec_b32 s20, s21
	s_cbranch_execz .LBB233_8
; %bb.7:                                ;   in Loop: Header=BB233_5 Depth=1
	v_add_nc_u32_e32 v78, v48, v78
	s_delay_alu instid0(VALU_DEP_1)
	v_mad_co_i64_i32 v[78:79], null, v78, 36, v[0:1]
	global_load_b32 v78, v[78:79], off offset:4
	s_wait_loadcnt 0x0
	ds_store_b32 v38, v78
.LBB233_8:                              ;   in Loop: Header=BB233_5 Depth=1
	s_wait_alu 0xfffe
	s_or_b32 exec_lo, exec_lo, s20
	v_add_nc_u32_e32 v78, s17, v4
	s_delay_alu instid0(VALU_DEP_1)
	v_cmp_gt_i32_e32 vcc_lo, s5, v78
	s_and_b32 s21, s10, vcc_lo
	s_wait_alu 0xfffe
	s_and_saveexec_b32 s20, s21
	s_cbranch_execz .LBB233_10
; %bb.9:                                ;   in Loop: Header=BB233_5 Depth=1
	v_add_nc_u32_e32 v79, v48, v78
	s_delay_alu instid0(VALU_DEP_1)
	v_mad_co_i64_i32 v[79:80], null, v79, 36, s[2:3]
	global_load_b32 v79, v[79:80], off
	s_wait_loadcnt 0x0
	ds_store_b32 v54, v79
.LBB233_10:                             ;   in Loop: Header=BB233_5 Depth=1
	s_wait_alu 0xfffe
	s_or_b32 exec_lo, exec_lo, s20
	s_wait_dscnt 0x0
	s_barrier_signal -1
	s_barrier_wait -1
	global_inv scope:SCOPE_SE
	ds_load_b32 v80, v42
	ds_load_b32 v81, v43 offset:128
	ds_load_b32 v82, v44 offset:256
	;; [unrolled: 1-line block ×3, first 2 shown]
	s_mov_b32 s21, 0
	s_mov_b32 s20, -1
	s_wait_dscnt 0x3
	v_lshrrev_b32_e32 v83, 16, v80
	s_wait_dscnt 0x2
	v_lshrrev_b32_e32 v84, 16, v81
	;; [unrolled: 2-line block ×4, first 2 shown]
	v_cvt_f32_f16_e32 v79, v80
	v_cvt_f32_f16_e32 v80, v81
	;; [unrolled: 1-line block ×8, first 2 shown]
.LBB233_11:                             ;   Parent Loop BB233_5 Depth=1
                                        ; =>  This Inner Loop Header: Depth=2
	s_wait_alu 0xfffe
	s_lshr_b32 s22, s21, 2
	v_lshl_or_b32 v87, s21, 1, v9
	s_lshl_b32 s21, s21, 3
	s_wait_alu 0xfffe
	s_add_co_i32 s22, s22, 0x8200
	v_add_nc_u32_e32 v88, s21, v46
	v_add_nc_u32_e32 v89, s21, v47
	;; [unrolled: 1-line block ×4, first 2 shown]
	s_wait_alu 0xfffe
	v_add3_u32 v92, s22, v55, v56
	v_add3_u32 v93, s22, v57, v58
	;; [unrolled: 1-line block ×4, first 2 shown]
	v_lshlrev_b32_e32 v99, 2, v87
	v_lshrrev_b32_e32 v167, 1, v87
	ds_load_2addr_b32 v[103:104], v88 offset0:2 offset1:3
	ds_load_2addr_b32 v[105:106], v88 offset0:4 offset1:5
	ds_load_2addr_b32 v[107:108], v88 offset0:6 offset1:7
	ds_load_2addr_b32 v[109:110], v88 offset0:8 offset1:9
	ds_load_2addr_b32 v[111:112], v88 offset0:10 offset1:11
	ds_load_2addr_b32 v[113:114], v88 offset0:12 offset1:13
	ds_load_2addr_b32 v[115:116], v88 offset0:14 offset1:15
	ds_load_2addr_b32 v[117:118], v89 offset1:1
	ds_load_2addr_b32 v[119:120], v89 offset0:2 offset1:3
	ds_load_2addr_b32 v[121:122], v89 offset0:4 offset1:5
	ds_load_2addr_b32 v[123:124], v89 offset0:6 offset1:7
	ds_load_2addr_b32 v[125:126], v89 offset0:8 offset1:9
	ds_load_2addr_b32 v[127:128], v89 offset0:10 offset1:11
	ds_load_2addr_b32 v[129:130], v89 offset0:12 offset1:13
	ds_load_2addr_b32 v[131:132], v89 offset0:14 offset1:15
	ds_load_2addr_b32 v[133:134], v90 offset1:1
	;; [unrolled: 8-line block ×4, first 2 shown]
	ds_load_u16 v169, v92
	ds_load_u16 v170, v92 offset:8
	ds_load_u16 v171, v93
	ds_load_u16 v172, v93 offset:8
	;; [unrolled: 2-line block ×4, first 2 shown]
	ds_load_b128 v[87:90], v99 offset:35392
	ds_load_b128 v[91:94], v99 offset:35408
	;; [unrolled: 1-line block ×4, first 2 shown]
	ds_load_b64 v[167:168], v167 offset:36944
	s_wait_dscnt 0x15
	v_perm_b32 v177, v149, v150, 0xc0c0501
	s_wait_dscnt 0x14
	v_perm_b32 v178, v152, v151, 0x5010c0c
	v_perm_b32 v179, v149, v150, 0xc0c0703
	;; [unrolled: 1-line block ×7, first 2 shown]
	s_wait_dscnt 0x13
	v_perm_b32 v151, v154, v153, 0xc0c0602
	s_wait_dscnt 0x12
	v_perm_b32 v152, v156, v155, 0x6020c0c
	v_perm_b32 v183, v154, v153, 0xc0c0400
	s_wait_dscnt 0x8
	v_lshrrev_b16 v197, 8, v173
	v_and_b32_e32 v173, 0xff, v173
	v_perm_b32 v184, v156, v155, 0x4000c0c
	v_perm_b32 v185, v154, v153, 0xc0c0703
	s_wait_dscnt 0x4
	v_dot4_i32_iu8 v165, v87, v165, 0 neg_lo:[1,1,0]
	v_dot4_i32_iu8 v117, v87, v117, 0 neg_lo:[1,1,0]
	;; [unrolled: 1-line block ×3, first 2 shown]
	s_wait_dscnt 0x2
	v_dot4_i32_iu8 v109, v95, v109, 0 neg_lo:[1,1,0]
	v_dot4_i32_iu8 v125, v95, v125, 0 neg_lo:[1,1,0]
	v_dot4_i32_iu8 v141, v95, v141, 0 neg_lo:[1,1,0]
	v_perm_b32 v201, v87, v88, 0xc0c0501
	v_perm_b32 v203, v87, v88, 0xc0c0703
	;; [unrolled: 1-line block ×4, first 2 shown]
	v_dot4_i32_iu8 v165, v88, v166, v165 neg_lo:[1,1,0]
	v_dot4_i32_iu8 v117, v88, v118, v117 neg_lo:[1,1,0]
	;; [unrolled: 1-line block ×3, first 2 shown]
	v_perm_b32 v216, v95, v96, 0xc0c0501
	v_perm_b32 v218, v95, v96, 0xc0c0703
	;; [unrolled: 1-line block ×4, first 2 shown]
	v_dot4_i32_iu8 v109, v96, v110, v109 neg_lo:[1,1,0]
	v_dot4_i32_iu8 v110, v96, v126, v125 neg_lo:[1,1,0]
	;; [unrolled: 1-line block ×4, first 2 shown]
	v_perm_b32 v202, v90, v89, 0x5010c0c
	v_perm_b32 v204, v90, v89, 0x7030c0c
	;; [unrolled: 1-line block ×4, first 2 shown]
	v_dot4_i32_iu8 v103, v89, v103, v165 neg_lo:[1,1,0]
	v_dot4_i32_iu8 v117, v89, v119, v117 neg_lo:[1,1,0]
	;; [unrolled: 1-line block ×4, first 2 shown]
	v_perm_b32 v186, v156, v155, 0x7030c0c
	v_perm_b32 v153, v154, v153, 0xc0c0501
	;; [unrolled: 1-line block ×3, first 2 shown]
	v_dot4_i32_iu8 v89, v98, v144, v89 neg_lo:[1,1,0]
	v_dot4_i32_iu8 v88, v91, v137, v88 neg_lo:[1,1,0]
	v_perm_b32 v155, v157, v158, 0xc0c0501
	v_perm_b32 v156, v160, v159, 0x5010c0c
	;; [unrolled: 1-line block ×3, first 2 shown]
	s_wait_dscnt 0x1
	v_dot4_i32_iu8 v89, v99, v145, v89 neg_lo:[1,1,0]
	v_dot4_i32_iu8 v88, v92, v138, v88 neg_lo:[1,1,0]
	v_perm_b32 v188, v160, v159, 0x7030c0c
	v_perm_b32 v212, v92, v91, 0xc0c0703
	;; [unrolled: 1-line block ×3, first 2 shown]
	v_dot4_i32_iu8 v89, v100, v146, v89 neg_lo:[1,1,0]
	v_dot4_i32_iu8 v88, v93, v139, v88 neg_lo:[1,1,0]
	v_perm_b32 v214, v92, v91, 0xc0c0501
	v_perm_b32 v215, v94, v93, 0x5010c0c
	v_perm_b32 v217, v98, v97, 0x5010c0c
	v_dot4_i32_iu8 v89, v101, v147, v89 neg_lo:[1,1,0]
	v_dot4_i32_iu8 v88, v94, v140, v88 neg_lo:[1,1,0]
	v_perm_b32 v219, v98, v97, 0x7030c0c
	v_or_b32_e32 v177, v178, v177
	v_or_b32_e32 v178, v180, v179
	;; [unrolled: 1-line block ×5, first 2 shown]
	v_and_b32_e32 v182, 0xffff, v197
	v_dot4_i32_iu8 v89, v102, v148, v89 neg_lo:[1,1,0]
	v_mul_lo_u32 v88, v88, v173
	v_perm_b32 v189, v157, v158, 0xc0c0400
	v_perm_b32 v190, v160, v159, 0x4000c0c
	;; [unrolled: 1-line block ×12, first 2 shown]
	v_lshrrev_b16 v163, 8, v169
	v_and_b32_e32 v164, 0xff, v169
	v_cvt_f32_ubyte0_e32 v169, v170
	v_cvt_f32_ubyte0_e32 v198, v174
	v_perm_b32 v208, v92, v91, 0xc0c0602
	v_perm_b32 v209, v94, v93, 0x6020c0c
	v_perm_b32 v210, v92, v91, 0xc0c0400
	v_perm_b32 v211, v94, v93, 0x4000c0c
	v_perm_b32 v221, v98, v97, 0x4000c0c
	v_perm_b32 v222, v98, v97, 0x6020c0c
	v_perm_b32 v227, v100, v99, 0xc0c0703
	v_perm_b32 v228, v102, v101, 0x7030c0c
	v_perm_b32 v229, v100, v99, 0xc0c0501
	v_perm_b32 v230, v102, v101, 0x5010c0c
	v_or_b32_e32 v149, v150, v149
	v_or_b32_e32 v150, v152, v151
	v_or_b32_e32 v152, v186, v185
	v_or_b32_e32 v153, v154, v153
	v_or_b32_e32 v154, v156, v155
	v_or_b32_e32 v155, v188, v187
	v_or_b32_e32 v126, v206, v205
	v_or_b32_e32 v87, v207, v87
	v_or_b32_e32 v141, v213, v212
	v_or_b32_e32 v142, v215, v214
	v_or_b32_e32 v166, v217, v216
	v_or_b32_e32 v185, v219, v218
	v_dot4_i32_iu8 v109, v97, v111, v109 neg_lo:[1,1,0]
	v_dot4_i32_iu8 v110, v97, v127, v110 neg_lo:[1,1,0]
	;; [unrolled: 1-line block ×6, first 2 shown]
	v_mul_lo_u32 v89, v89, v182
	v_cvt_f32_ubyte1_e32 v170, v170
	v_cvt_f32_ubyte1_e32 v174, v174
	v_perm_b32 v223, v100, v99, 0xc0c0602
	v_perm_b32 v224, v102, v101, 0x6020c0c
	;; [unrolled: 1-line block ×4, first 2 shown]
	v_or_b32_e32 v151, v184, v183
	v_or_b32_e32 v156, v190, v189
	;; [unrolled: 1-line block ×6, first 2 shown]
	v_and_b32_e32 v162, 0xffff, v163
	s_wait_dscnt 0x0
	v_fma_mix_f32 v163, v167, v169, 0 op_sel:[1,0,0] op_sel_hi:[1,0,0]
	v_fma_mix_f32 v181, v167, v198, 0 op_sel:[1,0,0] op_sel_hi:[1,0,0]
	v_or_b32_e32 v133, v209, v208
	v_or_b32_e32 v134, v211, v210
	;; [unrolled: 1-line block ×6, first 2 shown]
	v_dot4_i32_iu8 v111, v179, v126, 0 neg_lo:[1,1,0]
	v_dot4_i32_iu8 v87, v149, v87, 0 neg_lo:[1,1,0]
	;; [unrolled: 1-line block ×10, first 2 shown]
	v_cvt_f32_i32_e32 v88, v88
	v_or_b32_e32 v159, v192, v191
	v_or_b32_e32 v187, v224, v223
	;; [unrolled: 1-line block ×3, first 2 shown]
	v_fma_mix_f32 v163, v168, v170, v163 op_sel:[1,0,0] op_sel_hi:[1,0,0]
	v_fma_mix_f32 v170, v168, v174, v181 op_sel:[1,0,0] op_sel_hi:[1,0,0]
	v_dot4_i32_iu8 v125, v156, v186, 0 neg_lo:[1,1,0]
	v_dot4_i32_iu8 v95, v157, v95, 0 neg_lo:[1,1,0]
	;; [unrolled: 1-line block ×8, first 2 shown]
	v_add_nc_u32_e32 v91, v96, v97
	v_dot4_i32_iu8 v97, v92, v106, v103 neg_lo:[1,1,0]
	v_dot4_i32_iu8 v99, v92, v122, v104 neg_lo:[1,1,0]
	v_cvt_f32_i32_e32 v89, v89
	v_fma_mix_f32 v88, v167, v88, 0 op_sel_hi:[1,0,0]
	v_cvt_f32_ubyte0_e32 v196, v172
	v_cvt_f32_ubyte0_e32 v200, v176
	v_mul_f32_e32 v135, v170, v84
	v_dot4_i32_iu8 v95, v158, v187, v95 neg_lo:[1,1,0]
	v_dot4_i32_iu8 v98, v159, v188, v125 neg_lo:[1,1,0]
	v_add_nc_u32_e32 v96, v112, v111
	v_dot4_i32_iu8 v103, v100, v114, v105 neg_lo:[1,1,0]
	v_dot4_i32_iu8 v104, v100, v130, v109 neg_lo:[1,1,0]
	v_add3_u32 v87, v90, v87, v91
	v_dot4_i32_iu8 v91, v93, v107, v97 neg_lo:[1,1,0]
	v_dot4_i32_iu8 v92, v93, v123, v99 neg_lo:[1,1,0]
	v_fma_mix_f32 v88, v168, v89, v88 op_sel_hi:[1,0,0]
	v_lshrrev_b16 v195, 8, v171
	v_cvt_f32_ubyte1_e32 v172, v172
	v_lshrrev_b16 v199, 8, v175
	v_and_b32_e32 v175, 0xff, v175
	v_cvt_f32_ubyte1_e32 v176, v176
	v_fma_mix_f32 v169, v167, v196, 0 op_sel:[1,0,0] op_sel_hi:[1,0,0]
	v_fma_mix_f32 v183, v200, v167, 0 op_sel:[0,1,0] op_sel_hi:[0,1,0]
	v_add3_u32 v90, v98, v95, v96
	v_dot4_i32_iu8 v95, v101, v115, v103 neg_lo:[1,1,0]
	v_dot4_i32_iu8 v96, v101, v131, v104 neg_lo:[1,1,0]
	;; [unrolled: 1-line block ×4, first 2 shown]
	v_fma_f32 v88, v88, v81, -v135
	v_and_b32_e32 v171, 0xff, v171
	v_and_b32_e32 v180, 0xffff, v195
	;; [unrolled: 1-line block ×3, first 2 shown]
	v_fma_mix_f32 v169, v168, v172, v169 op_sel:[1,0,0] op_sel_hi:[1,0,0]
	v_fma_mix_f32 v172, v176, v168, v183 op_sel:[0,1,0] op_sel_hi:[0,1,0]
	v_mul_lo_u32 v87, v87, v175
	v_dot4_i32_iu8 v93, v102, v116, v95 neg_lo:[1,1,0]
	v_dot4_i32_iu8 v95, v102, v132, v96 neg_lo:[1,1,0]
	v_mul_lo_u32 v91, v91, v164
	v_add_f32_e32 v32, v32, v88
	v_mul_lo_u32 v92, v92, v171
	v_mul_lo_u32 v90, v90, v184
	;; [unrolled: 1-line block ×3, first 2 shown]
	v_mul_f32_e32 v95, v172, v85
	v_mul_lo_u32 v93, v93, v162
	v_cvt_f32_i32_e32 v87, v87
	v_cvt_f32_i32_e32 v91, v91
	v_mul_f32_e32 v126, v163, v82
	v_cvt_f32_i32_e32 v92, v92
	v_cvt_f32_i32_e32 v90, v90
	v_fma_mix_f32 v87, v87, v167, 0 op_sel_hi:[0,1,0]
	v_cvt_f32_i32_e32 v94, v94
	v_cvt_f32_i32_e32 v93, v93
	v_fma_mix_f32 v91, v167, v91, 0 op_sel_hi:[1,0,0]
	v_fma_mix_f32 v92, v167, v92, 0 op_sel_hi:[1,0,0]
	v_mul_f32_e32 v127, v169, v83
	v_fma_mix_f32 v87, v90, v168, v87 op_sel_hi:[0,1,0]
	s_mov_b32 s21, 8
	v_fma_mix_f32 v90, v168, v93, v91 op_sel_hi:[1,0,0]
	v_fma_mix_f32 v91, v168, v94, v92 op_sel_hi:[1,0,0]
	s_and_b32 vcc_lo, exec_lo, s20
	v_fma_f32 v87, v87, v86, -v95
	s_mov_b32 s20, 0
	v_fma_f32 v89, v90, v79, -v126
	v_fma_f32 v90, v91, v80, -v127
	s_delay_alu instid0(VALU_DEP_2) | instskip(NEXT) | instid1(VALU_DEP_2)
	v_dual_add_f32 v2, v2, v87 :: v_dual_add_f32 v5, v5, v89
	v_add_f32_e32 v40, v40, v90
	s_wait_alu 0xfffe
	s_cbranch_vccnz .LBB233_11
; %bb.12:                               ;   in Loop: Header=BB233_5 Depth=1
	s_bitset1_b32 s16, 7
	s_wait_loadcnt 0x0
	s_wait_alu 0xfffe
	s_cmp_ge_i32 s16, s11
	s_barrier_signal -1
	s_barrier_wait -1
	global_inv scope:SCOPE_SE
	s_cbranch_scc1 .LBB233_4
; %bb.13:                               ;   in Loop: Header=BB233_5 Depth=1
	v_add_nc_u32_e32 v79, s17, v41
	s_delay_alu instid0(VALU_DEP_1)
	v_cmp_gt_i32_e32 vcc_lo, s5, v79
	s_and_b32 s17, s1, vcc_lo
	s_wait_alu 0xfffe
	s_and_saveexec_b32 s16, s17
	s_cbranch_execz .LBB233_15
; %bb.14:                               ;   in Loop: Header=BB233_5 Depth=1
	v_add_nc_u32_e32 v79, v48, v79
	s_delay_alu instid0(VALU_DEP_1)
	v_mad_co_i64_i32 v[79:80], null, v79, 36, v[0:1]
	global_load_b32 v79, v[79:80], off offset:4
	s_wait_loadcnt 0x0
	ds_store_b32 v38, v79
.LBB233_15:                             ;   in Loop: Header=BB233_5 Depth=1
	s_wait_alu 0xfffe
	s_or_b32 exec_lo, exec_lo, s16
	s_and_saveexec_b32 s16, s0
	s_cbranch_execz .LBB233_18
; %bb.16:                               ;   in Loop: Header=BB233_5 Depth=1
	v_or_b32_e32 v79, 4, v78
	s_delay_alu instid0(VALU_DEP_1)
	v_cmp_gt_i32_e32 vcc_lo, s5, v79
	s_and_b32 s17, s1, vcc_lo
	s_wait_alu 0xfffe
	s_and_b32 exec_lo, exec_lo, s17
	s_cbranch_execz .LBB233_18
; %bb.17:                               ;   in Loop: Header=BB233_5 Depth=1
	v_ashrrev_i32_e32 v79, 31, v78
	v_add_co_u32 v78, vcc_lo, v48, v78
	s_wait_alu 0xfffd
	s_delay_alu instid0(VALU_DEP_2) | instskip(NEXT) | instid1(VALU_DEP_2)
	v_add_co_ci_u32_e64 v80, null, v51, v79, vcc_lo
	v_mad_co_u64_u32 v[78:79], null, v78, 36, s[2:3]
	s_delay_alu instid0(VALU_DEP_1)
	v_mad_i32_i24 v79, v80, 36, v79
	global_load_b32 v78, v[78:79], off offset:144
	s_wait_loadcnt 0x0
	ds_store_b32 v54, v78
.LBB233_18:                             ;   in Loop: Header=BB233_5 Depth=1
	s_wait_alu 0xfffe
	s_or_b32 exec_lo, exec_lo, s16
	s_wait_loadcnt_dscnt 0x0
	s_barrier_signal -1
	s_barrier_wait -1
	global_inv scope:SCOPE_SE
	ds_load_b32 v79, v42
	ds_load_b32 v80, v43 offset:128
	ds_load_b32 v81, v44 offset:256
	;; [unrolled: 1-line block ×3, first 2 shown]
	s_mov_b32 s16, 16
	s_wait_dscnt 0x3
	v_lshrrev_b32_e32 v82, 16, v79
	s_wait_dscnt 0x2
	v_lshrrev_b32_e32 v83, 16, v80
	;; [unrolled: 2-line block ×4, first 2 shown]
	v_cvt_f32_f16_e32 v78, v79
	v_cvt_f32_f16_e32 v79, v80
	;; [unrolled: 1-line block ×8, first 2 shown]
.LBB233_19:                             ;   Parent Loop BB233_5 Depth=1
                                        ; =>  This Inner Loop Header: Depth=2
	s_wait_alu 0xfffe
	s_lshl_b32 s20, s16, 1
	s_lshr_b32 s17, s16, 2
	s_lshl_b32 s21, s16, 3
	s_wait_alu 0xfffe
	v_and_or_b32 v86, s20, 16, v9
	s_and_b32 s17, s17, 0x3ffffffe
	v_add_nc_u32_e32 v87, s21, v46
	s_wait_alu 0xfffe
	s_add_co_i32 s17, s17, 0x8200
	v_add_nc_u32_e32 v88, s21, v47
	v_add_nc_u32_e32 v89, s21, v49
	;; [unrolled: 1-line block ×3, first 2 shown]
	s_wait_alu 0xfffe
	v_add3_u32 v91, s17, v55, v56
	v_add3_u32 v92, s17, v57, v58
	;; [unrolled: 1-line block ×4, first 2 shown]
	v_lshlrev_b32_e32 v98, 2, v86
	v_lshrrev_b32_e32 v166, 1, v86
	ds_load_2addr_b32 v[102:103], v87 offset0:2 offset1:3
	ds_load_2addr_b32 v[104:105], v87 offset0:4 offset1:5
	ds_load_2addr_b32 v[106:107], v87 offset0:6 offset1:7
	ds_load_2addr_b32 v[108:109], v87 offset0:8 offset1:9
	ds_load_2addr_b32 v[110:111], v87 offset0:10 offset1:11
	ds_load_2addr_b32 v[112:113], v87 offset0:12 offset1:13
	ds_load_2addr_b32 v[114:115], v87 offset0:14 offset1:15
	ds_load_2addr_b32 v[116:117], v88 offset1:1
	ds_load_2addr_b32 v[118:119], v88 offset0:2 offset1:3
	ds_load_2addr_b32 v[120:121], v88 offset0:4 offset1:5
	ds_load_2addr_b32 v[122:123], v88 offset0:6 offset1:7
	ds_load_2addr_b32 v[124:125], v88 offset0:8 offset1:9
	ds_load_2addr_b32 v[126:127], v88 offset0:10 offset1:11
	ds_load_2addr_b32 v[128:129], v88 offset0:12 offset1:13
	ds_load_2addr_b32 v[130:131], v88 offset0:14 offset1:15
	ds_load_2addr_b32 v[132:133], v89 offset1:1
	;; [unrolled: 8-line block ×4, first 2 shown]
	ds_load_u16 v168, v91
	ds_load_u16 v169, v91 offset:8
	ds_load_u16 v170, v92
	ds_load_u16 v171, v92 offset:8
	;; [unrolled: 2-line block ×4, first 2 shown]
	ds_load_b128 v[86:89], v98 offset:35392
	ds_load_b128 v[90:93], v98 offset:35408
	ds_load_b128 v[94:97], v98 offset:35424
	ds_load_b128 v[98:101], v98 offset:35440
	ds_load_b64 v[166:167], v166 offset:36944
	s_wait_dscnt 0x15
	v_perm_b32 v176, v148, v149, 0xc0c0501
	s_wait_dscnt 0x14
	v_perm_b32 v177, v151, v150, 0x5010c0c
	v_perm_b32 v178, v148, v149, 0xc0c0703
	;; [unrolled: 1-line block ×7, first 2 shown]
	s_wait_dscnt 0x13
	v_perm_b32 v150, v153, v152, 0xc0c0602
	s_wait_dscnt 0x12
	v_perm_b32 v151, v155, v154, 0x6020c0c
	v_perm_b32 v182, v153, v152, 0xc0c0400
	;; [unrolled: 1-line block ×7, first 2 shown]
	s_wait_dscnt 0x11
	v_perm_b32 v154, v156, v157, 0xc0c0501
	s_wait_dscnt 0x10
	v_perm_b32 v155, v159, v158, 0x5010c0c
	v_perm_b32 v186, v156, v157, 0xc0c0703
	;; [unrolled: 1-line block ×5, first 2 shown]
	s_wait_dscnt 0x4
	v_dot4_i32_iu8 v164, v86, v164, 0 neg_lo:[1,1,0]
	v_dot4_i32_iu8 v116, v86, v116, 0 neg_lo:[1,1,0]
	s_wait_dscnt 0x2
	v_dot4_i32_iu8 v108, v94, v108, 0 neg_lo:[1,1,0]
	v_dot4_i32_iu8 v124, v94, v124, 0 neg_lo:[1,1,0]
	;; [unrolled: 1-line block ×4, first 2 shown]
	v_or_b32_e32 v176, v177, v176
	v_perm_b32 v177, v86, v87, 0xc0c0501
	v_perm_b32 v200, v89, v88, 0x5010c0c
	v_or_b32_e32 v178, v179, v178
	v_perm_b32 v179, v86, v87, 0xc0c0703
	v_perm_b32 v201, v89, v88, 0x7030c0c
	;; [unrolled: 1-line block ×11, first 2 shown]
	v_or_b32_e32 v180, v181, v180
	v_perm_b32 v181, v86, v87, 0xc0c0400
	v_perm_b32 v202, v89, v88, 0x4000c0c
	v_or_b32_e32 v148, v149, v148
	v_perm_b32 v86, v86, v87, 0xc0c0602
	v_perm_b32 v149, v89, v88, 0x6020c0c
	v_or_b32_e32 v150, v151, v150
	v_perm_b32 v151, v91, v90, 0xc0c0602
	v_perm_b32 v203, v93, v92, 0x6020c0c
	v_or_b32_e32 v184, v185, v184
	v_perm_b32 v185, v91, v90, 0xc0c0703
	v_perm_b32 v205, v93, v92, 0x7030c0c
	v_or_b32_e32 v152, v153, v152
	v_perm_b32 v153, v91, v90, 0xc0c0501
	v_perm_b32 v206, v93, v92, 0x5010c0c
	v_or_b32_e32 v154, v155, v154
	v_perm_b32 v155, v94, v95, 0xc0c0501
	v_perm_b32 v207, v97, v96, 0x5010c0c
	v_or_b32_e32 v186, v187, v186
	v_perm_b32 v187, v94, v95, 0xc0c0703
	v_perm_b32 v208, v97, v96, 0x7030c0c
	v_or_b32_e32 v188, v189, v188
	v_perm_b32 v189, v94, v95, 0xc0c0400
	v_perm_b32 v94, v94, v95, 0xc0c0602
	v_dot4_i32_iu8 v164, v87, v165, v164 neg_lo:[1,1,0]
	v_dot4_i32_iu8 v116, v87, v117, v116 neg_lo:[1,1,0]
	;; [unrolled: 1-line block ×6, first 2 shown]
	v_or_b32_e32 v117, v200, v177
	v_or_b32_e32 v124, v201, v179
	v_perm_b32 v191, v163, v162, 0x4000c0c
	v_or_b32_e32 v182, v183, v182
	v_perm_b32 v183, v91, v90, 0xc0c0400
	v_perm_b32 v204, v93, v92, 0x4000c0c
	;; [unrolled: 1-line block ×3, first 2 shown]
	v_or_b32_e32 v156, v157, v156
	v_perm_b32 v157, v97, v96, 0x6020c0c
	v_or_b32_e32 v158, v159, v158
	s_wait_dscnt 0x1
	v_perm_b32 v159, v99, v98, 0xc0c0602
	v_perm_b32 v210, v101, v100, 0x6020c0c
	v_or_b32_e32 v192, v193, v192
	v_perm_b32 v193, v99, v98, 0xc0c0703
	v_perm_b32 v212, v101, v100, 0x7030c0c
	v_or_b32_e32 v160, v161, v160
	;; [unrolled: 3-line block ×3, first 2 shown]
	v_or_b32_e32 v86, v149, v86
	v_or_b32_e32 v132, v203, v151
	v_or_b32_e32 v140, v205, v185
	v_or_b32_e32 v141, v206, v153
	v_or_b32_e32 v149, v207, v155
	v_or_b32_e32 v151, v208, v187
	v_dot4_i32_iu8 v102, v88, v102, v164 neg_lo:[1,1,0]
	v_dot4_i32_iu8 v116, v88, v118, v116 neg_lo:[1,1,0]
	;; [unrolled: 1-line block ×8, first 2 shown]
	v_or_b32_e32 v190, v191, v190
	v_perm_b32 v191, v99, v98, 0xc0c0400
	v_perm_b32 v211, v101, v100, 0x4000c0c
	v_or_b32_e32 v133, v204, v183
	v_or_b32_e32 v153, v209, v189
	;; [unrolled: 1-line block ×6, first 2 shown]
	v_dot4_i32_iu8 v110, v180, v125, 0 neg_lo:[1,1,0]
	v_dot4_i32_iu8 v86, v148, v86, 0 neg_lo:[1,1,0]
	;; [unrolled: 1-line block ×9, first 2 shown]
	v_or_b32_e32 v157, v211, v191
	v_dot4_i32_iu8 v124, v188, v153, 0 neg_lo:[1,1,0]
	v_dot4_i32_iu8 v94, v156, v94, 0 neg_lo:[1,1,0]
	v_dot4_i32_iu8 v108, v97, v111, v108 neg_lo:[1,1,0]
	v_dot4_i32_iu8 v86, v150, v132, v86 neg_lo:[1,1,0]
	v_dot4_i32_iu8 v89, v182, v133, v110 neg_lo:[1,1,0]
	v_dot4_i32_iu8 v110, v192, v159, v118 neg_lo:[1,1,0]
	v_dot4_i32_iu8 v111, v160, v161, v117 neg_lo:[1,1,0]
	v_dot4_i32_iu8 v102, v90, v104, v102 neg_lo:[1,1,0]
	v_dot4_i32_iu8 v103, v90, v120, v103 neg_lo:[1,1,0]
	v_dot4_i32_iu8 v87, v90, v136, v87 neg_lo:[1,1,0]
	v_add_nc_u32_e32 v90, v95, v96
	v_dot4_i32_iu8 v109, v97, v127, v109 neg_lo:[1,1,0]
	v_lshrrev_b16 v198, 8, v174
	v_and_b32_e32 v174, 0xff, v174
	v_dot4_i32_iu8 v88, v97, v143, v88 neg_lo:[1,1,0]
	v_dot4_i32_iu8 v94, v158, v155, v94 neg_lo:[1,1,0]
	;; [unrolled: 1-line block ×3, first 2 shown]
	v_add_nc_u32_e32 v95, v111, v110
	v_add3_u32 v86, v89, v86, v90
	v_dot4_i32_iu8 v104, v98, v112, v108 neg_lo:[1,1,0]
	v_dot4_i32_iu8 v108, v98, v128, v109 neg_lo:[1,1,0]
	v_and_b32_e32 v198, 0xffff, v198
	v_add3_u32 v89, v97, v94, v95
	v_mul_lo_u32 v86, v86, v174
	v_lshrrev_b16 v162, 8, v168
	v_and_b32_e32 v163, 0xff, v168
	v_cvt_f32_ubyte0_e32 v168, v169
	v_cvt_f32_ubyte0_e32 v195, v171
	;; [unrolled: 1-line block ×3, first 2 shown]
	v_dot4_i32_iu8 v88, v98, v144, v88 neg_lo:[1,1,0]
	v_dot4_i32_iu8 v96, v91, v105, v102 neg_lo:[1,1,0]
	;; [unrolled: 1-line block ×5, first 2 shown]
	v_mul_lo_u32 v89, v89, v198
	v_cvt_f32_ubyte1_e32 v169, v169
	v_lshrrev_b16 v194, 8, v170
	v_cvt_f32_ubyte1_e32 v171, v171
	v_cvt_f32_ubyte1_e32 v175, v175
	s_wait_dscnt 0x0
	v_fma_mix_f32 v168, v166, v168, 0 op_sel:[1,0,0] op_sel_hi:[1,0,0]
	v_fma_mix_f32 v195, v166, v195, 0 op_sel:[1,0,0] op_sel_hi:[1,0,0]
	;; [unrolled: 1-line block ×3, first 2 shown]
	v_dot4_i32_iu8 v87, v91, v137, v87 neg_lo:[1,1,0]
	v_dot4_i32_iu8 v94, v100, v114, v102 neg_lo:[1,1,0]
	v_dot4_i32_iu8 v95, v100, v130, v103 neg_lo:[1,1,0]
	v_cvt_f32_i32_e32 v86, v86
	v_and_b32_e32 v194, 0xffff, v194
	v_fma_mix_f32 v165, v167, v169, v168 op_sel:[1,0,0] op_sel_hi:[1,0,0]
	v_fma_mix_f32 v168, v167, v171, v195 op_sel:[1,0,0] op_sel_hi:[1,0,0]
	;; [unrolled: 1-line block ×3, first 2 shown]
	v_dot4_i32_iu8 v90, v92, v106, v96 neg_lo:[1,1,0]
	v_dot4_i32_iu8 v91, v92, v122, v98 neg_lo:[1,1,0]
	;; [unrolled: 1-line block ×5, first 2 shown]
	v_cvt_f32_i32_e32 v89, v89
	v_fma_mix_f32 v86, v86, v166, 0 op_sel_hi:[0,1,0]
	v_dot4_i32_iu8 v88, v99, v145, v88 neg_lo:[1,1,0]
	v_dot4_i32_iu8 v90, v93, v107, v90 neg_lo:[1,1,0]
	;; [unrolled: 1-line block ×4, first 2 shown]
	v_mul_lo_u32 v93, v94, v194
	v_mul_f32_e32 v94, v171, v84
	v_fma_mix_f32 v86, v89, v167, v86 op_sel_hi:[0,1,0]
	v_and_b32_e32 v170, 0xff, v170
	v_lshrrev_b16 v196, 8, v172
	v_and_b32_e32 v172, 0xff, v172
	v_dot4_i32_iu8 v88, v100, v146, v88 neg_lo:[1,1,0]
	v_fma_f32 v86, v86, v85, -v94
	v_and_b32_e32 v162, 0xffff, v162
	v_and_b32_e32 v196, 0xffff, v196
	v_mul_lo_u32 v91, v91, v170
	v_dot4_i32_iu8 v88, v101, v147, v88 neg_lo:[1,1,0]
	v_mul_lo_u32 v87, v87, v172
	v_add_f32_e32 v2, v2, v86
	v_mul_lo_u32 v90, v90, v163
	v_cvt_f32_ubyte0_e32 v197, v173
	v_mul_lo_u32 v92, v92, v162
	v_mul_lo_u32 v88, v88, v196
	v_cvt_f32_ubyte1_e32 v173, v173
	v_cvt_f32_i32_e32 v91, v91
	v_fma_mix_f32 v197, v166, v197, 0 op_sel:[1,0,0] op_sel_hi:[1,0,0]
	v_cvt_f32_i32_e32 v87, v87
	v_cvt_f32_i32_e32 v90, v90
	;; [unrolled: 1-line block ×4, first 2 shown]
	v_fma_mix_f32 v169, v167, v173, v197 op_sel:[1,0,0] op_sel_hi:[1,0,0]
	v_cvt_f32_i32_e32 v88, v88
	v_fma_mix_f32 v90, v166, v90, 0 op_sel_hi:[1,0,0]
	v_fma_mix_f32 v91, v166, v91, 0 op_sel_hi:[1,0,0]
	;; [unrolled: 1-line block ×3, first 2 shown]
	v_dual_mul_f32 v125, v165, v81 :: v_dual_mul_f32 v126, v168, v82
	v_mul_f32_e32 v134, v169, v83
	v_fma_mix_f32 v89, v167, v92, v90 op_sel_hi:[1,0,0]
	v_fma_mix_f32 v90, v167, v93, v91 op_sel_hi:[1,0,0]
	;; [unrolled: 1-line block ×3, first 2 shown]
	s_add_co_i32 s17, s16, 8
	s_cmp_lt_u32 s16, 24
	v_fma_f32 v88, v89, v78, -v125
	v_fma_f32 v89, v90, v79, -v126
	;; [unrolled: 1-line block ×3, first 2 shown]
	s_wait_alu 0xfffe
	s_mov_b32 s16, s17
	s_delay_alu instid0(VALU_DEP_2) | instskip(NEXT) | instid1(VALU_DEP_2)
	v_dual_add_f32 v5, v5, v88 :: v_dual_add_f32 v40, v40, v89
	v_add_f32_e32 v32, v32, v87
	s_cbranch_scc1 .LBB233_19
; %bb.20:                               ;   in Loop: Header=BB233_5 Depth=1
	s_wait_loadcnt 0x0
	s_barrier_signal -1
	s_barrier_wait -1
	global_inv scope:SCOPE_SE
	s_branch .LBB233_4
.LBB233_21:
	s_mul_i32 s0, s7, s4
	s_wait_loadcnt 0x0
	s_wait_alu 0xfffe
	v_cmp_gt_i32_e32 vcc_lo, s0, v3
	s_and_saveexec_b32 s0, vcc_lo
	s_cbranch_execz .LBB233_30
; %bb.22:
	v_mul_lo_u32 v0, v3, s6
	v_add_nc_u32_e32 v1, s18, v4
	s_mov_b32 s0, exec_lo
	s_delay_alu instid0(VALU_DEP_1)
	v_cmpx_gt_u32_e64 s6, v1
	s_cbranch_execz .LBB233_24
; %bb.23:
	v_bfe_u32 v4, v5, 16, 1
	s_delay_alu instid0(VALU_DEP_4) | instskip(SKIP_1) | instid1(VALU_DEP_3)
	v_add_nc_u32_e32 v3, v0, v1
	v_cmp_o_f32_e32 vcc_lo, v5, v5
	v_add3_u32 v6, v5, v4, 0x7fff
	v_mov_b32_e32 v4, 0
	s_delay_alu instid0(VALU_DEP_2) | instskip(NEXT) | instid1(VALU_DEP_2)
	v_lshrrev_b32_e32 v6, 16, v6
	v_lshlrev_b64_e32 v[3:4], 1, v[3:4]
	s_wait_alu 0xfffd
	s_delay_alu instid0(VALU_DEP_2) | instskip(NEXT) | instid1(VALU_DEP_2)
	v_cndmask_b32_e32 v5, 0x7fc0, v6, vcc_lo
	v_add_co_u32 v3, vcc_lo, s8, v3
	s_wait_alu 0xfffd
	s_delay_alu instid0(VALU_DEP_3)
	v_add_co_ci_u32_e64 v4, null, s9, v4, vcc_lo
	global_store_b16 v[3:4], v5, off
.LBB233_24:
	s_wait_alu 0xfffe
	s_or_b32 exec_lo, exec_lo, s0
	v_add_nc_u32_e32 v3, 32, v1
	s_mov_b32 s0, exec_lo
	s_delay_alu instid0(VALU_DEP_1)
	v_cmpx_gt_u32_e64 s6, v3
	s_cbranch_execz .LBB233_26
; %bb.25:
	v_bfe_u32 v4, v40, 16, 1
	v_add_nc_u32_e32 v3, v0, v3
	v_cmp_o_f32_e32 vcc_lo, v40, v40
	s_delay_alu instid0(VALU_DEP_3) | instskip(SKIP_1) | instid1(VALU_DEP_2)
	v_add3_u32 v5, v40, v4, 0x7fff
	v_mov_b32_e32 v4, 0
	v_lshrrev_b32_e32 v5, 16, v5
	s_delay_alu instid0(VALU_DEP_2) | instskip(SKIP_1) | instid1(VALU_DEP_2)
	v_lshlrev_b64_e32 v[3:4], 1, v[3:4]
	s_wait_alu 0xfffd
	v_cndmask_b32_e32 v5, 0x7fc0, v5, vcc_lo
	s_delay_alu instid0(VALU_DEP_2) | instskip(SKIP_1) | instid1(VALU_DEP_3)
	v_add_co_u32 v3, vcc_lo, s8, v3
	s_wait_alu 0xfffd
	v_add_co_ci_u32_e64 v4, null, s9, v4, vcc_lo
	global_store_b16 v[3:4], v5, off
.LBB233_26:
	s_wait_alu 0xfffe
	s_or_b32 exec_lo, exec_lo, s0
	v_add_nc_u32_e32 v3, 64, v1
	s_mov_b32 s0, exec_lo
	s_delay_alu instid0(VALU_DEP_1)
	v_cmpx_gt_u32_e64 s6, v3
	s_cbranch_execz .LBB233_28
; %bb.27:
	v_bfe_u32 v4, v32, 16, 1
	v_add_nc_u32_e32 v3, v0, v3
	v_cmp_o_f32_e32 vcc_lo, v32, v32
	s_delay_alu instid0(VALU_DEP_3) | instskip(SKIP_1) | instid1(VALU_DEP_2)
	v_add3_u32 v5, v32, v4, 0x7fff
	v_mov_b32_e32 v4, 0
	v_lshrrev_b32_e32 v5, 16, v5
	s_delay_alu instid0(VALU_DEP_2) | instskip(SKIP_1) | instid1(VALU_DEP_2)
	v_lshlrev_b64_e32 v[3:4], 1, v[3:4]
	s_wait_alu 0xfffd
	v_cndmask_b32_e32 v5, 0x7fc0, v5, vcc_lo
	s_delay_alu instid0(VALU_DEP_2) | instskip(SKIP_1) | instid1(VALU_DEP_3)
	v_add_co_u32 v3, vcc_lo, s8, v3
	s_wait_alu 0xfffd
	v_add_co_ci_u32_e64 v4, null, s9, v4, vcc_lo
	global_store_b16 v[3:4], v5, off
.LBB233_28:
	s_wait_alu 0xfffe
	s_or_b32 exec_lo, exec_lo, s0
	v_add_nc_u32_e32 v1, 0x60, v1
	s_delay_alu instid0(VALU_DEP_1)
	v_cmp_gt_u32_e32 vcc_lo, s6, v1
	s_and_b32 exec_lo, exec_lo, vcc_lo
	s_cbranch_execz .LBB233_30
; %bb.29:
	v_bfe_u32 v3, v2, 16, 1
	v_dual_mov_b32 v1, 0 :: v_dual_add_nc_u32 v0, v0, v1
	v_cmp_o_f32_e32 vcc_lo, v2, v2
	s_delay_alu instid0(VALU_DEP_3) | instskip(NEXT) | instid1(VALU_DEP_3)
	v_add3_u32 v3, v2, v3, 0x7fff
	v_lshlrev_b64_e32 v[0:1], 1, v[0:1]
	s_delay_alu instid0(VALU_DEP_2) | instskip(SKIP_1) | instid1(VALU_DEP_1)
	v_lshrrev_b32_e32 v3, 16, v3
	s_wait_alu 0xfffd
	v_cndmask_b32_e32 v2, 0x7fc0, v3, vcc_lo
	s_delay_alu instid0(VALU_DEP_3)
	v_add_co_u32 v0, vcc_lo, s8, v0
	s_wait_alu 0xfffd
	v_add_co_ci_u32_e64 v1, null, s9, v1, vcc_lo
	global_store_b16 v[0:1], v2, off
.LBB233_30:
	s_nop 0
	s_sendmsg sendmsg(MSG_DEALLOC_VGPRS)
	s_endpgm
	.section	.rodata,"a",@progbits
	.p2align	6, 0x0
	.amdhsa_kernel _ZL8moe_q5_KIN3c108BFloat16ELb0EEvPKvS3_PT_PKiS7_S7_iiiiiii
		.amdhsa_group_segment_fixed_size 37072
		.amdhsa_private_segment_fixed_size 0
		.amdhsa_kernarg_size 76
		.amdhsa_user_sgpr_count 2
		.amdhsa_user_sgpr_dispatch_ptr 0
		.amdhsa_user_sgpr_queue_ptr 0
		.amdhsa_user_sgpr_kernarg_segment_ptr 1
		.amdhsa_user_sgpr_dispatch_id 0
		.amdhsa_user_sgpr_private_segment_size 0
		.amdhsa_wavefront_size32 1
		.amdhsa_uses_dynamic_stack 0
		.amdhsa_enable_private_segment 0
		.amdhsa_system_sgpr_workgroup_id_x 1
		.amdhsa_system_sgpr_workgroup_id_y 1
		.amdhsa_system_sgpr_workgroup_id_z 0
		.amdhsa_system_sgpr_workgroup_info 0
		.amdhsa_system_vgpr_workitem_id 1
		.amdhsa_next_free_vgpr 231
		.amdhsa_next_free_sgpr 23
		.amdhsa_reserve_vcc 1
		.amdhsa_float_round_mode_32 0
		.amdhsa_float_round_mode_16_64 0
		.amdhsa_float_denorm_mode_32 3
		.amdhsa_float_denorm_mode_16_64 3
		.amdhsa_fp16_overflow 0
		.amdhsa_workgroup_processor_mode 1
		.amdhsa_memory_ordered 1
		.amdhsa_forward_progress 1
		.amdhsa_inst_pref_size 79
		.amdhsa_round_robin_scheduling 0
		.amdhsa_exception_fp_ieee_invalid_op 0
		.amdhsa_exception_fp_denorm_src 0
		.amdhsa_exception_fp_ieee_div_zero 0
		.amdhsa_exception_fp_ieee_overflow 0
		.amdhsa_exception_fp_ieee_underflow 0
		.amdhsa_exception_fp_ieee_inexact 0
		.amdhsa_exception_int_div_zero 0
	.end_amdhsa_kernel
	.section	.text._ZL8moe_q5_KIN3c108BFloat16ELb0EEvPKvS3_PT_PKiS7_S7_iiiiiii,"axG",@progbits,_ZL8moe_q5_KIN3c108BFloat16ELb0EEvPKvS3_PT_PKiS7_S7_iiiiiii,comdat
.Lfunc_end233:
	.size	_ZL8moe_q5_KIN3c108BFloat16ELb0EEvPKvS3_PT_PKiS7_S7_iiiiiii, .Lfunc_end233-_ZL8moe_q5_KIN3c108BFloat16ELb0EEvPKvS3_PT_PKiS7_S7_iiiiiii
                                        ; -- End function
	.set _ZL8moe_q5_KIN3c108BFloat16ELb0EEvPKvS3_PT_PKiS7_S7_iiiiiii.num_vgpr, 231
	.set _ZL8moe_q5_KIN3c108BFloat16ELb0EEvPKvS3_PT_PKiS7_S7_iiiiiii.num_agpr, 0
	.set _ZL8moe_q5_KIN3c108BFloat16ELb0EEvPKvS3_PT_PKiS7_S7_iiiiiii.numbered_sgpr, 23
	.set _ZL8moe_q5_KIN3c108BFloat16ELb0EEvPKvS3_PT_PKiS7_S7_iiiiiii.num_named_barrier, 0
	.set _ZL8moe_q5_KIN3c108BFloat16ELb0EEvPKvS3_PT_PKiS7_S7_iiiiiii.private_seg_size, 0
	.set _ZL8moe_q5_KIN3c108BFloat16ELb0EEvPKvS3_PT_PKiS7_S7_iiiiiii.uses_vcc, 1
	.set _ZL8moe_q5_KIN3c108BFloat16ELb0EEvPKvS3_PT_PKiS7_S7_iiiiiii.uses_flat_scratch, 0
	.set _ZL8moe_q5_KIN3c108BFloat16ELb0EEvPKvS3_PT_PKiS7_S7_iiiiiii.has_dyn_sized_stack, 0
	.set _ZL8moe_q5_KIN3c108BFloat16ELb0EEvPKvS3_PT_PKiS7_S7_iiiiiii.has_recursion, 0
	.set _ZL8moe_q5_KIN3c108BFloat16ELb0EEvPKvS3_PT_PKiS7_S7_iiiiiii.has_indirect_call, 0
	.section	.AMDGPU.csdata,"",@progbits
; Kernel info:
; codeLenInByte = 10064
; TotalNumSgprs: 25
; NumVgprs: 231
; ScratchSize: 0
; MemoryBound: 0
; FloatMode: 240
; IeeeMode: 1
; LDSByteSize: 37072 bytes/workgroup (compile time only)
; SGPRBlocks: 0
; VGPRBlocks: 28
; NumSGPRsForWavesPerEU: 25
; NumVGPRsForWavesPerEU: 231
; Occupancy: 6
; WaveLimiterHint : 1
; COMPUTE_PGM_RSRC2:SCRATCH_EN: 0
; COMPUTE_PGM_RSRC2:USER_SGPR: 2
; COMPUTE_PGM_RSRC2:TRAP_HANDLER: 0
; COMPUTE_PGM_RSRC2:TGID_X_EN: 1
; COMPUTE_PGM_RSRC2:TGID_Y_EN: 1
; COMPUTE_PGM_RSRC2:TGID_Z_EN: 0
; COMPUTE_PGM_RSRC2:TIDIG_COMP_CNT: 1
	.section	.text._ZL8moe_q5_KIN3c108BFloat16ELb1EEvPKvS3_PT_PKiS7_S7_iiiiiii,"axG",@progbits,_ZL8moe_q5_KIN3c108BFloat16ELb1EEvPKvS3_PT_PKiS7_S7_iiiiiii,comdat
	.globl	_ZL8moe_q5_KIN3c108BFloat16ELb1EEvPKvS3_PT_PKiS7_S7_iiiiiii ; -- Begin function _ZL8moe_q5_KIN3c108BFloat16ELb1EEvPKvS3_PT_PKiS7_S7_iiiiiii
	.p2align	8
	.type	_ZL8moe_q5_KIN3c108BFloat16ELb1EEvPKvS3_PT_PKiS7_S7_iiiiiii,@function
_ZL8moe_q5_KIN3c108BFloat16ELb1EEvPKvS3_PT_PKiS7_S7_iiiiiii: ; @_ZL8moe_q5_KIN3c108BFloat16ELb1EEvPKvS3_PT_PKiS7_S7_iiiiiii
; %bb.0:
	s_load_b128 s[4:7], s[0:1], 0x18
	s_mov_b32 s2, ttmp7
	s_mov_b32 s3, 0
	s_delay_alu instid0(SALU_CYCLE_1)
	s_lshl_b64 s[2:3], s[2:3], 2
	s_wait_kmcnt 0x0
	s_add_nc_u64 s[2:3], s[6:7], s[2:3]
	s_load_b32 s14, s[2:3], 0x0
	s_wait_kmcnt 0x0
	s_cmp_gt_u32 s14, 0xff
	s_cbranch_scc1 .LBB234_30
; %bb.1:
	s_load_b64 s[2:3], s[0:1], 0x28
	s_wait_kmcnt 0x0
	s_load_b32 s3, s[2:3], 0x0
	s_lshl_b32 s2, ttmp7, 3
	s_wait_kmcnt 0x0
	s_cmp_gt_u32 s2, s3
	s_cbranch_scc1 .LBB234_30
; %bb.2:
	v_bfe_u32 v18, v0, 10, 10
	v_mov_b32_e32 v17, 0
	s_lshl_b32 s11, ttmp9, 7
	s_delay_alu instid0(VALU_DEP_2) | instskip(NEXT) | instid1(VALU_DEP_2)
	v_add_nc_u32_e32 v16, s2, v18
	v_dual_mov_b32 v22, v17 :: v_dual_and_b32 v21, 0x3ff, v0
	v_mov_b32_e32 v47, v17
	v_mov_b32_e32 v51, v17
	s_delay_alu instid0(VALU_DEP_4) | instskip(NEXT) | instid1(VALU_DEP_1)
	v_lshlrev_b64_e32 v[1:2], 2, v[16:17]
	v_add_co_u32 v1, vcc_lo, s4, v1
	s_delay_alu instid0(VALU_DEP_1)
	v_add_co_ci_u32_e64 v2, null, s5, v2, vcc_lo
	global_load_b32 v20, v[1:2], off
	s_clause 0x2
	s_load_b128 s[4:7], s[0:1], 0x30
	s_load_b64 s[12:13], s[0:1], 0x10
	s_load_b96 s[8:10], s[0:1], 0x40
	s_wait_kmcnt 0x0
	s_cmp_lt_i32 s5, 0x100
	s_cbranch_scc1 .LBB234_21
; %bb.3:
	v_and_b32_e32 v51, 3, v0
	s_ashr_i32 s15, s5, 31
	s_mul_i32 s14, s14, s4
	s_lshr_b32 s4, s15, 24
	v_dual_mov_b32 v22, 0 :: v_dual_lshlrev_b32 v1, 1, v0
	s_wait_alu 0xfffe
	s_add_co_i32 s4, s5, s4
	v_cmp_gt_u32_e32 vcc_lo, 2, v51
	v_and_b32_e32 v2, 7, v0
	s_wait_alu 0xfffe
	s_ashr_i32 s4, s4, 8
	v_lshlrev_b32_e32 v36, 5, v18
	s_ashr_i32 s17, s8, 31
	s_wait_alu 0xfffe
	s_mul_i32 s16, s4, s11
	v_and_or_b32 v1, v1, 48, v2
	s_not_b32 s20, s11
	s_lshr_b32 s21, s17, 27
	s_ashr_i32 s17, s16, 31
	v_add_nc_u32_e32 v2, 8, v18
	v_add_nc_u32_e32 v5, 16, v18
	;; [unrolled: 1-line block ×3, first 2 shown]
	s_mul_u64 s[18:19], s[16:17], 0xb0
	s_add_co_i32 s16, s6, s20
	v_add_nc_u32_e32 v6, 24, v18
	v_add_nc_u32_e32 v7, 32, v18
	v_min_i32_e32 v3, s16, v18
	v_lshlrev_b32_e32 v17, 2, v1
	v_add_nc_u32_e32 v8, 40, v18
	v_min_i32_e32 v4, s16, v2
	v_add_nc_u32_e32 v9, 48, v18
	v_min_i32_e32 v5, s16, v5
	v_add_nc_u32_e32 v10, 56, v18
	v_and_b32_e32 v14, 0x7f, v14
	v_min_i32_e32 v6, s16, v6
	v_add_nc_u32_e32 v11, 64, v18
	v_min_i32_e32 v7, s16, v7
	v_add_nc_u32_e32 v12, 0x48, v18
	v_mad_co_u64_u32 v[1:2], null, 0x104, v3, v[17:18]
	v_min_i32_e32 v8, s16, v8
	v_add_nc_u32_e32 v13, 0x50, v18
	v_mul_lo_u32 v28, v3, s4
	v_mad_co_u64_u32 v[2:3], null, 0x104, v4, v[17:18]
	v_min_i32_e32 v9, s16, v9
	v_add_nc_u32_e32 v15, 0x58, v18
	v_add_nc_u32_e32 v16, 0x60, v18
	v_mul_lo_u32 v29, v4, s4
	v_mad_co_u64_u32 v[3:4], null, 0x104, v5, v[17:18]
	v_min_i32_e32 v10, s16, v10
	v_min_i32_e32 v45, s16, v14
	v_mul_lo_u32 v30, v5, s4
	v_mad_co_u64_u32 v[4:5], null, 0x104, v6, v[17:18]
	v_min_i32_e32 v11, s16, v11
	v_mul_lo_u32 v31, v6, s4
	v_mad_co_u64_u32 v[5:6], null, 0x104, v7, v[17:18]
	;; [unrolled: 3-line block ×4, first 2 shown]
	v_min_i32_e32 v15, s16, v15
	v_min_i32_e32 v14, s16, v16
	v_add_nc_u32_e32 v16, 0x68, v18
	v_mul_lo_u32 v34, v9, s4
	v_mad_co_u64_u32 v[8:9], null, 0x104, v10, v[17:18]
	v_ashrrev_i32_e32 v42, 31, v45
	v_mul_lo_u32 v35, v10, s4
	v_mad_co_u64_u32 v[9:10], null, 0x104, v11, v[17:18]
	v_mul_lo_u32 v37, v11, s4
	v_mad_co_u64_u32 v[10:11], null, 0x104, v12, v[17:18]
	s_load_b128 s[0:3], s[0:1], 0x0
	v_mul_lo_u32 v38, v12, s4
	v_mad_co_u64_u32 v[11:12], null, 0x104, v13, v[17:18]
	v_mul_lo_u32 v39, v13, s4
	v_mul_lo_u32 v40, v15, s4
	v_mad_co_u64_u32 v[12:13], null, 0x104, v15, v[17:18]
	v_min_i32_e32 v15, s16, v16
	v_add_nc_u32_e32 v16, 0x70, v18
	v_lshrrev_b32_e32 v43, 27, v42
	v_bfe_u32 v19, v0, 2, 8
	v_mul_lo_u32 v41, v14, s4
	v_mad_co_u64_u32 v[13:14], null, 0x104, v14, v[17:18]
	v_min_i32_e32 v16, s16, v16
	v_add_nc_u32_e32 v46, v45, v43
	v_mul_lo_u32 v42, v15, s4
	v_mad_co_u64_u32 v[14:15], null, 0x104, v15, v[17:18]
	s_delay_alu instid0(VALU_DEP_4)
	v_mul_lo_u32 v43, v16, s4
	v_mad_co_u64_u32 v[15:16], null, 0x104, v16, v[17:18]
	v_ashrrev_i32_e32 v46, 5, v46
	v_lshl_add_u32 v16, v18, 3, v19
	v_add_nc_u32_e32 v44, 0x78, v18
	v_and_b32_e32 v25, 6, v19
	s_ashr_i32 s15, s14, 31
	v_lshlrev_b32_e32 v19, 2, v46
	v_lshlrev_b32_e32 v46, 2, v45
	v_and_b32_e32 v50, 0x7f, v16
	s_wait_kmcnt 0x0
	s_add_nc_u64 s[0:1], s[0:1], s[14:15]
	v_min_i32_e32 v48, s16, v44
	s_add_nc_u64 s[14:15], s[0:1], s[18:19]
	v_add_nc_u32_e32 v49, 0xfe, v51
	v_add3_u32 v46, v19, v46, 0x8e40
	v_min_i32_e32 v19, s16, v50
	s_abs_i32 s1, s10
	v_mad_co_u64_u32 v[16:17], null, 0x104, v48, v[17:18]
	s_cvt_f32_u32 s0, s1
	v_mul_lo_u32 v44, v48, s4
	v_and_b32_e32 v17, 0xff, v49
	v_xor_b32_e32 v48, 64, v50
	v_ashrrev_i32_e32 v49, 31, v19
	v_rcp_iflag_f32_e32 v50, s0
	v_cmp_ne_u32_e64 s0, 0, v51
	v_cndmask_b32_e32 v17, v17, v51, vcc_lo
	v_min_i32_e32 v53, s16, v48
	v_lshrrev_b32_e32 v49, 29, v49
	s_add_co_i32 s6, s8, s21
	s_sub_co_i32 s8, 0, s1
	v_add_co_ci_u32_e64 v65, null, 0, v17, s0
	v_ashrrev_i32_e32 v52, 31, v53
	v_add_nc_u32_e32 v49, v19, v49
	v_readfirstlane_b32 s0, v50
	v_and_b32_e32 v55, 31, v0
	v_bfe_u32 v23, v0, 5, 5
	v_lshrrev_b32_e32 v52, 29, v52
	v_ashrrev_i32_e32 v54, 3, v49
	s_mul_f32 s0, s0, 0x4f7ffffe
	v_lshlrev_b32_e32 v49, 1, v17
	v_cmp_lt_u32_e32 vcc_lo, 1, v51
	v_add_nc_u32_e32 v17, v53, v52
	v_lshlrev_b32_e32 v52, 2, v54
	s_wait_loadcnt 0x0
	v_sub_nc_u32_e32 v54, 0, v20
	s_wait_alu 0xfffe
	s_cvt_u32_f32 s0, s0
	v_lshlrev_b32_e32 v47, 2, v21
	v_mul_lo_u32 v50, v19, s4
	v_lshlrev_b32_e32 v68, 4, v19
	s_wait_alu 0xfffe
	s_mul_i32 s8, s8, s0
	v_max_i32_e32 v56, v20, v54
	s_mul_hi_u32 s8, s0, s8
	v_lshlrev_b32_e32 v54, 2, v55
	s_add_co_i32 s0, s0, s8
	v_and_b32_e32 v48, 4, v47
	s_wait_alu 0xfffe
	v_mul_hi_u32 v57, v56, s0
	v_lshlrev_b32_e32 v58, 2, v23
	v_lshl_or_b32 v19, v18, 7, v54
	v_lshlrev_b32_e32 v70, 4, v18
	s_wait_alu 0xfffd
	v_cndmask_b32_e32 v48, 0, v48, vcc_lo
	v_cndmask_b32_e64 v66, 0, 1, vcc_lo
	v_ashrrev_i32_e32 v17, 3, v17
	v_xor_b32_e32 v60, s10, v20
	v_mul_lo_u32 v55, v57, s1
	v_add_nc_u32_e32 v59, 0x60, v21
	s_ashr_i32 s6, s6, 5
	v_lshlrev_b32_e32 v17, 2, v17
	v_ashrrev_i32_e32 v60, 31, v60
	v_and_b32_e32 v26, 28, v47
	v_lshrrev_b32_e32 v76, 3, v59
	v_add_nc_u32_e32 v69, 0x9050, v47
	v_sub_nc_u32_e32 v18, v56, v55
	v_add3_u32 v55, v58, v47, 0x8e40
	v_add_nc_u32_e32 v56, 1, v57
	v_bfe_u32 v0, v0, 3, 7
	v_lshlrev_b32_e32 v77, 2, v59
	v_subrev_nc_u32_e32 v58, s1, v18
	v_cmp_le_u32_e32 vcc_lo, s1, v18
	s_movk_i32 s8, 0x6180
	v_mul_lo_u32 v45, v45, s4
	v_cmp_gt_u32_e64 s0, 4, v21
	v_mad_u32_u24 v63, 0x104, v21, s8
	s_wait_alu 0xfffd
	v_cndmask_b32_e32 v56, v57, v56, vcc_lo
	v_dual_cndmask_b32 v18, v18, v58 :: v_dual_add_nc_u32 v57, 64, v21
	v_and_b32_e32 v24, 0x7c, v47
	v_or_b32_e32 v27, 1, v25
	s_delay_alu instid0(VALU_DEP_4) | instskip(NEXT) | instid1(VALU_DEP_4)
	v_add_nc_u32_e32 v58, 1, v56
	v_cmp_le_u32_e32 vcc_lo, s1, v18
	v_lshrrev_b32_e32 v74, 3, v57
	s_movk_i32 s1, 0x2080
	v_lshlrev_b32_e32 v75, 2, v57
	v_mul_u32_u24_e32 v59, 0x104, v21
	s_wait_alu 0xfffd
	v_dual_cndmask_b32 v18, v56, v58 :: v_dual_lshlrev_b32 v51, 2, v51
	v_and_b32_e32 v58, 60, v74
	v_lshlrev_b32_e32 v65, 2, v65
	v_lshlrev_b32_e32 v66, 2, v66
	s_delay_alu instid0(VALU_DEP_4)
	v_xor_b32_e32 v18, v18, v60
	v_add3_u32 v67, v52, v51, 0x8200
	v_mul_lo_u32 v52, v53, s4
	v_add3_u32 v17, v17, v51, 0x8200
	v_lshlrev_b32_e32 v51, 4, v53
	v_add_nc_u32_e32 v53, 0x8a40, v19
	v_add_nc_u32_e32 v19, 32, v21
	v_sub_nc_u32_e32 v18, v18, v60
	s_wait_alu 0xfffe
	v_mad_u32_u24 v60, 0x104, v21, s1
	s_movk_i32 s1, 0x4100
	v_add_nc_u32_e32 v67, v67, v68
	v_lshrrev_b32_e32 v54, 3, v19
	v_lshlrev_b32_e32 v73, 2, v19
	v_mul_lo_u32 v61, v18, s6
	s_wait_alu 0xfffe
	v_mad_u32_u24 v62, 0x104, v21, s1
	v_cmp_gt_i32_e64 s1, s7, v18
	v_and_b32_e32 v19, 60, v54
	v_dual_mov_b32 v17, 0 :: v_dual_add_nc_u32 v68, v17, v51
	v_add_co_u32 v18, s8, s2, v26
	s_delay_alu instid0(VALU_DEP_3)
	v_add3_u32 v56, v47, v19, 0x8e40
	v_and_b32_e32 v19, 60, v76
	v_add3_u32 v57, v47, v58, 0x8e40
	v_ashrrev_i32_e32 v64, 31, v61
	v_add_nc_u32_e32 v69, v69, v70
	v_lshlrev_b32_e32 v70, 2, v0
	v_add3_u32 v58, v47, v19, 0x8e40
	s_wait_alu 0xf1ff
	v_add_co_ci_u32_e64 v19, null, s3, 0, s8
	v_lshlrev_b32_e32 v71, 2, v47
	v_lshlrev_b32_e32 v72, 2, v54
	;; [unrolled: 1-line block ×7, first 2 shown]
	v_mov_b32_e32 v51, 0
	v_mov_b32_e32 v47, 0
	s_mov_b32 s17, 0
	s_and_b32 s8, s0, s1
	s_wait_alu 0xfffe
	s_mov_b32 s16, s17
	s_branch .LBB234_5
.LBB234_4:                              ;   in Loop: Header=BB234_5 Depth=1
	s_add_co_i32 s16, s16, 1
	s_wait_alu 0xfffe
	s_cmp_eq_u32 s16, s4
	s_cbranch_scc1 .LBB234_21
.LBB234_5:                              ; =>This Loop Header: Depth=1
                                        ;     Child Loop BB234_11 Depth 2
                                        ;     Child Loop BB234_19 Depth 2
	s_wait_alu 0xfffe
	s_mul_u64 s[18:19], s[16:17], 0xb0
	s_wait_alu 0xfffe
	s_add_nc_u64 s[18:19], s[14:15], s[18:19]
	s_wait_alu 0xfffe
	v_mad_co_u64_u32 v[78:79], null, 0xb0, v23, s[18:19]
	s_delay_alu instid0(VALU_DEP_1) | instskip(SKIP_3) | instid1(VALU_DEP_4)
	v_mad_co_i64_i32 v[80:81], null, 0xb0, v28, v[78:79]
	v_mad_co_i64_i32 v[82:83], null, 0xb0, v29, v[78:79]
	;; [unrolled: 1-line block ×4, first 2 shown]
	v_add_co_u32 v86, vcc_lo, v80, v24
	s_wait_alu 0xfffd
	v_add_co_ci_u32_e64 v87, null, 0, v81, vcc_lo
	v_add_co_u32 v80, vcc_lo, v80, v26
	s_wait_alu 0xfffd
	v_add_co_ci_u32_e64 v81, null, 0, v81, vcc_lo
	v_add_co_u32 v88, vcc_lo, v82, v24
	s_wait_alu 0xfffd
	v_add_co_ci_u32_e64 v89, null, 0, v83, vcc_lo
	v_add_co_u32 v82, vcc_lo, v82, v26
	s_wait_alu 0xfffd
	v_add_co_ci_u32_e64 v83, null, 0, v83, vcc_lo
	v_add_co_u32 v92, vcc_lo, v84, v24
	s_wait_alu 0xfffd
	v_add_co_ci_u32_e64 v93, null, 0, v85, vcc_lo
	v_add_co_u32 v84, vcc_lo, v84, v26
	s_wait_alu 0xfffd
	v_add_co_ci_u32_e64 v85, null, 0, v85, vcc_lo
	v_add_co_u32 v94, vcc_lo, v90, v24
	v_mad_co_i64_i32 v[96:97], null, 0xb0, v32, v[78:79]
	s_wait_alu 0xfffd
	v_add_co_ci_u32_e64 v95, null, 0, v91, vcc_lo
	v_add_co_u32 v90, vcc_lo, v90, v26
	s_wait_alu 0xfffd
	v_add_co_ci_u32_e64 v91, null, 0, v91, vcc_lo
	s_clause 0x7
	global_load_b32 v102, v[86:87], off offset:48
	global_load_b32 v103, v[80:81], off offset:16
	;; [unrolled: 1-line block ×8, first 2 shown]
	v_mad_co_i64_i32 v[80:81], null, 0xb0, v33, v[78:79]
	v_add_co_u32 v82, vcc_lo, v96, v24
	v_mad_co_i64_i32 v[88:89], null, 0xb0, v34, v[78:79]
	s_wait_alu 0xfffd
	v_add_co_ci_u32_e64 v83, null, 0, v97, vcc_lo
	v_add_co_u32 v84, vcc_lo, v96, v26
	s_wait_alu 0xfffd
	v_add_co_ci_u32_e64 v85, null, 0, v97, vcc_lo
	v_add_co_u32 v86, vcc_lo, v80, v24
	v_mad_co_i64_i32 v[90:91], null, 0xb0, v35, v[78:79]
	s_wait_alu 0xfffd
	v_add_co_ci_u32_e64 v87, null, 0, v81, vcc_lo
	v_add_co_u32 v80, vcc_lo, v80, v26
	s_wait_alu 0xfffd
	v_add_co_ci_u32_e64 v81, null, 0, v81, vcc_lo
	v_add_co_u32 v92, vcc_lo, v88, v24
	;; [unrolled: 3-line block ×4, first 2 shown]
	v_mad_co_i64_i32 v[96:97], null, 0xb0, v37, v[78:79]
	s_wait_alu 0xfffd
	v_add_co_ci_u32_e64 v95, null, 0, v91, vcc_lo
	v_add_co_u32 v90, vcc_lo, v90, v26
	s_wait_alu 0xfffd
	v_add_co_ci_u32_e64 v91, null, 0, v91, vcc_lo
	s_clause 0x7
	global_load_b32 v110, v[82:83], off offset:48
	global_load_b32 v111, v[84:85], off offset:16
	;; [unrolled: 1-line block ×8, first 2 shown]
	v_mad_co_i64_i32 v[82:83], null, 0xb0, v38, v[78:79]
	v_add_co_u32 v80, vcc_lo, v96, v24
	v_mad_co_i64_i32 v[86:87], null, 0xb0, v39, v[78:79]
	s_wait_alu 0xfffd
	v_add_co_ci_u32_e64 v81, null, 0, v97, vcc_lo
	v_add_co_u32 v84, vcc_lo, v96, v26
	s_wait_alu 0xfffd
	v_add_co_ci_u32_e64 v85, null, 0, v97, vcc_lo
	v_add_co_u32 v88, vcc_lo, v82, v24
	v_mad_co_i64_i32 v[92:93], null, 0xb0, v40, v[78:79]
	s_wait_alu 0xfffd
	v_add_co_ci_u32_e64 v89, null, 0, v83, vcc_lo
	v_add_co_u32 v82, vcc_lo, v82, v26
	s_wait_alu 0xfffd
	v_add_co_ci_u32_e64 v83, null, 0, v83, vcc_lo
	;; [unrolled: 7-line block ×3, first 2 shown]
	v_add_co_u32 v96, vcc_lo, v92, v24
	s_wait_alu 0xfffd
	v_add_co_ci_u32_e64 v97, null, 0, v93, vcc_lo
	v_add_co_u32 v92, vcc_lo, v92, v26
	s_wait_alu 0xfffd
	v_add_co_ci_u32_e64 v93, null, 0, v93, vcc_lo
	v_add_co_u32 v98, vcc_lo, v94, v24
	v_mad_co_i64_i32 v[100:101], null, 0xb0, v42, v[78:79]
	s_wait_alu 0xfffd
	v_add_co_ci_u32_e64 v99, null, 0, v95, vcc_lo
	v_add_co_u32 v94, vcc_lo, v94, v26
	s_wait_alu 0xfffd
	v_add_co_ci_u32_e64 v95, null, 0, v95, vcc_lo
	s_clause 0x9
	global_load_b32 v118, v[80:81], off offset:48
	global_load_b32 v119, v[84:85], off offset:16
	;; [unrolled: 1-line block ×10, first 2 shown]
	v_mad_co_i64_i32 v[80:81], null, 0xb0, v43, v[78:79]
	v_add_co_u32 v82, vcc_lo, v100, v24
	s_wait_alu 0xfffd
	v_add_co_ci_u32_e64 v83, null, 0, v101, vcc_lo
	v_add_co_u32 v84, vcc_lo, v100, v26
	v_mad_co_i64_i32 v[78:79], null, 0xb0, v44, v[78:79]
	s_wait_alu 0xfffd
	v_add_co_ci_u32_e64 v85, null, 0, v101, vcc_lo
	v_add_co_u32 v86, vcc_lo, v80, v24
	s_wait_alu 0xfffd
	v_add_co_ci_u32_e64 v87, null, 0, v81, vcc_lo
	v_add_co_u32 v80, vcc_lo, v80, v26
	s_wait_alu 0xfffd
	v_add_co_ci_u32_e64 v81, null, 0, v81, vcc_lo
	s_clause 0x3
	global_load_b32 v95, v[82:83], off offset:48
	global_load_b32 v97, v[84:85], off offset:16
	;; [unrolled: 1-line block ×4, first 2 shown]
	v_add_co_u32 v80, vcc_lo, v78, v24
	v_mad_co_i64_i32 v[82:83], null, 0xb0, v50, s[18:19]
	s_wait_alu 0xfffd
	v_add_co_ci_u32_e64 v81, null, 0, v79, vcc_lo
	v_add_co_u32 v78, vcc_lo, v78, v26
	v_mad_co_i64_i32 v[84:85], null, 0xb0, v52, s[18:19]
	s_wait_alu 0xfffd
	v_add_co_ci_u32_e64 v79, null, 0, v79, vcc_lo
	s_clause 0x1
	global_load_b32 v98, v[80:81], off offset:48
	global_load_b32 v99, v[78:79], off offset:16
	v_add_co_u32 v78, vcc_lo, v82, v65
	s_wait_alu 0xfffd
	v_add_co_ci_u32_e64 v79, null, 0, v83, vcc_lo
	v_add_co_u32 v80, vcc_lo, v84, v65
	s_wait_alu 0xfffd
	v_add_co_ci_u32_e64 v81, null, 0, v85, vcc_lo
	;; [unrolled: 3-line block ×3, first 2 shown]
	s_clause 0x1
	global_load_b32 v100, v[78:79], off offset:4
	global_load_b32 v101, v[80:81], off offset:4
	v_add_co_u32 v78, vcc_lo, v84, v66
	v_mad_co_i64_i32 v[80:81], null, 0xb0, v45, s[18:19]
	s_wait_alu 0xfffd
	v_add_co_ci_u32_e64 v79, null, 0, v85, vcc_lo
	s_clause 0x2
	global_load_b32 v82, v[82:83], off offset:4
	global_load_b32 v78, v[78:79], off offset:4
	global_load_b32 v79, v[80:81], off
	s_lshl_b32 s18, s16, 8
	s_wait_alu 0xfffe
	s_cmp_lt_i32 s18, s5
	s_wait_loadcnt 0x24
	v_lshrrev_b32_e32 v81, 4, v102
	s_wait_loadcnt 0x23
	v_ashrrev_i32_e32 v83, v25, v103
	v_ashrrev_i32_e32 v84, v27, v103
	v_and_b32_e32 v80, 0xf0f0f0f, v102
	s_wait_loadcnt 0x22
	v_and_b32_e32 v85, 0xf0f0f0f, v104
	v_lshrrev_b32_e32 v102, 4, v104
	s_wait_loadcnt 0x21
	v_ashrrev_i32_e32 v103, v25, v105
	v_ashrrev_i32_e32 v104, v27, v105
	s_wait_loadcnt 0x20
	v_and_b32_e32 v105, 0xf0f0f0f, v106
	v_lshrrev_b32_e32 v106, 4, v106
	s_wait_loadcnt 0x1f
	v_ashrrev_i32_e32 v120, v25, v107
	v_ashrrev_i32_e32 v107, v27, v107
	;; [unrolled: 6-line block ×3, first 2 shown]
	v_and_b32_e32 v81, 0xf0f0f0f, v81
	v_lshlrev_b32_e32 v83, 4, v83
	v_lshlrev_b32_e32 v84, 4, v84
	v_and_b32_e32 v102, 0xf0f0f0f, v102
	v_lshlrev_b32_e32 v103, 4, v103
	v_lshlrev_b32_e32 v104, 4, v104
	;; [unrolled: 3-line block ×4, first 2 shown]
	v_and_or_b32 v80, 0x10101010, v83, v80
	v_and_or_b32 v81, 0x10101010, v84, v81
	;; [unrolled: 1-line block ×8, first 2 shown]
	s_wait_loadcnt 0x1c
	v_and_b32_e32 v123, 0xf0f0f0f, v110
	v_lshrrev_b32_e32 v110, 4, v110
	s_wait_loadcnt 0x1b
	v_ashrrev_i32_e32 v124, v25, v111
	v_ashrrev_i32_e32 v111, v27, v111
	s_wait_loadcnt 0x1a
	v_and_b32_e32 v125, 0xf0f0f0f, v112
	v_lshrrev_b32_e32 v112, 4, v112
	s_wait_loadcnt 0x19
	v_ashrrev_i32_e32 v126, v25, v113
	v_ashrrev_i32_e32 v113, v27, v113
	;; [unrolled: 6-line block ×4, first 2 shown]
	v_and_b32_e32 v110, 0xf0f0f0f, v110
	v_lshlrev_b32_e32 v124, 4, v124
	v_lshlrev_b32_e32 v111, 4, v111
	v_and_b32_e32 v112, 0xf0f0f0f, v112
	v_lshlrev_b32_e32 v126, 4, v126
	v_lshlrev_b32_e32 v113, 4, v113
	;; [unrolled: 3-line block ×4, first 2 shown]
	v_and_or_b32 v105, 0x10101010, v124, v123
	v_and_or_b32 v106, 0x10101010, v111, v110
	;; [unrolled: 1-line block ×8, first 2 shown]
	s_wait_loadcnt 0x14
	v_and_b32_e32 v131, 0xf0f0f0f, v118
	v_lshrrev_b32_e32 v118, 4, v118
	s_wait_loadcnt 0x13
	v_ashrrev_i32_e32 v132, v25, v119
	v_ashrrev_i32_e32 v119, v27, v119
	s_wait_loadcnt 0x12
	v_and_b32_e32 v133, 0xf0f0f0f, v88
	v_lshrrev_b32_e32 v88, 4, v88
	s_wait_loadcnt 0x11
	v_ashrrev_i32_e32 v134, v25, v89
	v_ashrrev_i32_e32 v89, v27, v89
	;; [unrolled: 6-line block ×5, first 2 shown]
	v_and_b32_e32 v118, 0xf0f0f0f, v118
	v_lshlrev_b32_e32 v132, 4, v132
	v_lshlrev_b32_e32 v119, 4, v119
	v_and_b32_e32 v88, 0xf0f0f0f, v88
	v_lshlrev_b32_e32 v134, 4, v134
	v_lshlrev_b32_e32 v89, 4, v89
	;; [unrolled: 3-line block ×3, first 2 shown]
	v_and_b32_e32 v96, 0xf0f0f0f, v96
	s_wait_loadcnt 0x7
	v_ashrrev_i32_e32 v144, v25, v87
	v_ashrrev_i32_e32 v87, v27, v87
	v_lshlrev_b32_e32 v138, 4, v138
	v_lshlrev_b32_e32 v92, 4, v92
	v_and_b32_e32 v93, 0xf0f0f0f, v93
	v_lshlrev_b32_e32 v140, 4, v140
	v_lshlrev_b32_e32 v94, 4, v94
	v_lshrrev_b32_e32 v143, 4, v86
	v_and_b32_e32 v141, 0xf0f0f0f, v95
	v_lshrrev_b32_e32 v95, 4, v95
	v_ashrrev_i32_e32 v142, v25, v97
	v_ashrrev_i32_e32 v97, v27, v97
	v_and_or_b32 v113, 0x10101010, v132, v131
	v_and_or_b32 v114, 0x10101010, v119, v118
	;; [unrolled: 1-line block ×10, first 2 shown]
	ds_store_2addr_b32 v1, v80, v81 offset1:8
	ds_store_2addr_b32 v2, v83, v84 offset1:8
	ds_store_2addr_b32 v3, v85, v102 offset1:8
	ds_store_2addr_b32 v4, v103, v104 offset1:8
	ds_store_2addr_b32 v5, v105, v106 offset1:8
	ds_store_2addr_b32 v6, v107, v108 offset1:8
	ds_store_2addr_b32 v7, v109, v110 offset1:8
	ds_store_2addr_b32 v8, v111, v112 offset1:8
	ds_store_2addr_b32 v9, v113, v114 offset1:8
	ds_store_2addr_b32 v10, v115, v88 offset1:8
	ds_store_2addr_b32 v11, v89, v90 offset1:8
	ds_store_2addr_b32 v12, v91, v92 offset1:8
	ds_store_2addr_b32 v13, v96, v93 offset1:8
	v_and_b32_e32 v81, 0xf0f0f0f, v86
	v_lshlrev_b32_e32 v84, 4, v144
	v_lshlrev_b32_e32 v85, 4, v87
	s_wait_loadcnt 0x5
	v_ashrrev_i32_e32 v87, v25, v99
	v_and_b32_e32 v83, 0xf0f0f0f, v143
	v_lshrrev_b32_e32 v86, 4, v98
	v_ashrrev_i32_e32 v88, v27, v99
	v_and_b32_e32 v95, 0xf0f0f0f, v95
	v_lshlrev_b32_e32 v142, 4, v142
	v_lshlrev_b32_e32 v97, 4, v97
	v_and_or_b32 v81, 0x10101010, v84, v81
	v_and_b32_e32 v84, 0xf0f0f0f, v98
	v_lshlrev_b32_e32 v87, 4, v87
	s_wait_loadcnt 0x4
	v_ashrrev_i32_e32 v89, v48, v100
	v_and_or_b32 v83, 0x10101010, v85, v83
	s_wait_loadcnt 0x3
	v_ashrrev_i32_e32 v85, v48, v101
	v_and_b32_e32 v86, 0xf0f0f0f, v86
	v_lshlrev_b32_e32 v88, 4, v88
	v_and_or_b32 v94, 0x10101010, v142, v141
	v_and_or_b32 v80, 0x10101010, v97, v95
	v_and_or_b32 v84, 0x10101010, v87, v84
	v_and_b32_e32 v87, 0xf0f0f0f, v89
	s_wait_loadcnt 0x2
	v_ashrrev_i32_e32 v82, v49, v82
	v_and_b32_e32 v85, 0xf0f0f0f, v85
	s_wait_loadcnt 0x1
	v_ashrrev_i32_e32 v78, v49, v78
	v_and_or_b32 v86, 0x10101010, v88, v86
	ds_store_2addr_b32 v14, v94, v80 offset1:8
	ds_store_2addr_b32 v15, v81, v83 offset1:8
	;; [unrolled: 1-line block ×3, first 2 shown]
	v_and_or_b32 v80, 0x30303030, v82, v87
	v_and_or_b32 v78, 0x30303030, v78, v85
	s_wait_loadcnt 0x0
	ds_store_b32 v46, v79
	ds_store_b32 v67, v80
	;; [unrolled: 1-line block ×3, first 2 shown]
	s_cbranch_scc0 .LBB234_4
; %bb.6:                                ;   in Loop: Header=BB234_5 Depth=1
	s_lshl_b32 s19, s16, 3
	s_wait_alu 0xfffe
	v_add_nc_u32_e32 v78, s19, v0
	s_delay_alu instid0(VALU_DEP_1)
	v_cmp_gt_i32_e32 vcc_lo, s6, v78
	s_and_b32 s21, s1, vcc_lo
	s_wait_alu 0xfffe
	s_and_saveexec_b32 s20, s21
	s_cbranch_execz .LBB234_8
; %bb.7:                                ;   in Loop: Header=BB234_5 Depth=1
	v_add_nc_u32_e32 v78, v61, v78
	s_delay_alu instid0(VALU_DEP_1)
	v_mad_co_i64_i32 v[78:79], null, v78, 36, v[18:19]
	global_load_b32 v78, v[78:79], off offset:4
	s_wait_loadcnt 0x0
	ds_store_b32 v53, v78
.LBB234_8:                              ;   in Loop: Header=BB234_5 Depth=1
	s_wait_alu 0xfffe
	s_or_b32 exec_lo, exec_lo, s20
	v_add_nc_u32_e32 v78, s19, v21
	s_delay_alu instid0(VALU_DEP_1)
	v_cmp_gt_i32_e32 vcc_lo, s6, v78
	s_and_b32 s21, s8, vcc_lo
	s_wait_alu 0xfffe
	s_and_saveexec_b32 s20, s21
	s_cbranch_execz .LBB234_10
; %bb.9:                                ;   in Loop: Header=BB234_5 Depth=1
	v_add_nc_u32_e32 v79, v61, v78
	s_delay_alu instid0(VALU_DEP_1)
	v_mad_co_i64_i32 v[79:80], null, v79, 36, s[2:3]
	global_load_b32 v79, v[79:80], off
	s_wait_loadcnt 0x0
	ds_store_b32 v69, v79
.LBB234_10:                             ;   in Loop: Header=BB234_5 Depth=1
	s_wait_alu 0xfffe
	s_or_b32 exec_lo, exec_lo, s20
	s_wait_dscnt 0x0
	s_barrier_signal -1
	s_barrier_wait -1
	global_inv scope:SCOPE_SE
	ds_load_b32 v80, v55
	ds_load_b32 v81, v56 offset:128
	ds_load_b32 v82, v57 offset:256
	ds_load_b32 v86, v58 offset:384
	s_mov_b32 s21, 0
	s_mov_b32 s20, -1
	s_wait_dscnt 0x3
	v_lshrrev_b32_e32 v83, 16, v80
	s_wait_dscnt 0x2
	v_lshrrev_b32_e32 v84, 16, v81
	;; [unrolled: 2-line block ×4, first 2 shown]
	v_cvt_f32_f16_e32 v79, v80
	v_cvt_f32_f16_e32 v80, v81
	;; [unrolled: 1-line block ×8, first 2 shown]
.LBB234_11:                             ;   Parent Loop BB234_5 Depth=1
                                        ; =>  This Inner Loop Header: Depth=2
	s_wait_alu 0xfffe
	s_lshr_b32 s22, s21, 2
	v_lshl_or_b32 v87, s21, 1, v36
	s_lshl_b32 s21, s21, 3
	s_wait_alu 0xfffe
	s_add_co_i32 s22, s22, 0x8200
	v_add_nc_u32_e32 v88, s21, v59
	v_add_nc_u32_e32 v89, s21, v60
	;; [unrolled: 1-line block ×4, first 2 shown]
	s_wait_alu 0xfffe
	v_add3_u32 v92, s22, v70, v71
	v_add3_u32 v93, s22, v72, v73
	;; [unrolled: 1-line block ×4, first 2 shown]
	v_lshlrev_b32_e32 v99, 2, v87
	v_lshrrev_b32_e32 v167, 1, v87
	ds_load_2addr_b32 v[103:104], v88 offset0:2 offset1:3
	ds_load_2addr_b32 v[105:106], v88 offset0:4 offset1:5
	ds_load_2addr_b32 v[107:108], v88 offset0:6 offset1:7
	ds_load_2addr_b32 v[109:110], v88 offset0:8 offset1:9
	ds_load_2addr_b32 v[111:112], v88 offset0:10 offset1:11
	ds_load_2addr_b32 v[113:114], v88 offset0:12 offset1:13
	ds_load_2addr_b32 v[115:116], v88 offset0:14 offset1:15
	ds_load_2addr_b32 v[117:118], v89 offset1:1
	ds_load_2addr_b32 v[119:120], v89 offset0:2 offset1:3
	ds_load_2addr_b32 v[121:122], v89 offset0:4 offset1:5
	ds_load_2addr_b32 v[123:124], v89 offset0:6 offset1:7
	ds_load_2addr_b32 v[125:126], v89 offset0:8 offset1:9
	ds_load_2addr_b32 v[127:128], v89 offset0:10 offset1:11
	ds_load_2addr_b32 v[129:130], v89 offset0:12 offset1:13
	ds_load_2addr_b32 v[131:132], v89 offset0:14 offset1:15
	ds_load_2addr_b32 v[133:134], v90 offset1:1
	;; [unrolled: 8-line block ×4, first 2 shown]
	ds_load_u16 v169, v92
	ds_load_u16 v170, v92 offset:8
	ds_load_u16 v171, v93
	ds_load_u16 v172, v93 offset:8
	;; [unrolled: 2-line block ×4, first 2 shown]
	ds_load_b128 v[87:90], v99 offset:35392
	ds_load_b128 v[91:94], v99 offset:35408
	;; [unrolled: 1-line block ×4, first 2 shown]
	ds_load_b64 v[167:168], v167 offset:36944
	s_wait_dscnt 0x15
	v_perm_b32 v177, v149, v150, 0xc0c0501
	s_wait_dscnt 0x14
	v_perm_b32 v178, v152, v151, 0x5010c0c
	v_perm_b32 v179, v149, v150, 0xc0c0703
	;; [unrolled: 1-line block ×7, first 2 shown]
	s_wait_dscnt 0x13
	v_perm_b32 v151, v154, v153, 0xc0c0602
	s_wait_dscnt 0x12
	v_perm_b32 v152, v156, v155, 0x6020c0c
	v_perm_b32 v183, v154, v153, 0xc0c0400
	;; [unrolled: 1-line block ×6, first 2 shown]
	s_wait_dscnt 0x4
	v_dot4_i32_iu8 v165, v87, v165, 0 neg_lo:[1,1,0]
	v_dot4_i32_iu8 v117, v87, v117, 0 neg_lo:[1,1,0]
	s_wait_dscnt 0x2
	v_dot4_i32_iu8 v109, v95, v109, 0 neg_lo:[1,1,0]
	v_dot4_i32_iu8 v125, v95, v125, 0 neg_lo:[1,1,0]
	;; [unrolled: 1-line block ×4, first 2 shown]
	v_perm_b32 v201, v87, v88, 0xc0c0501
	v_perm_b32 v202, v90, v89, 0x5010c0c
	;; [unrolled: 1-line block ×23, first 2 shown]
	v_or_b32_e32 v177, v178, v177
	v_or_b32_e32 v178, v180, v179
	v_dot4_i32_iu8 v165, v88, v166, v165 neg_lo:[1,1,0]
	v_dot4_i32_iu8 v117, v88, v118, v117 neg_lo:[1,1,0]
	;; [unrolled: 1-line block ×6, first 2 shown]
	v_or_b32_e32 v118, v202, v201
	v_or_b32_e32 v125, v204, v203
	v_perm_b32 v189, v157, v158, 0xc0c0400
	v_perm_b32 v190, v160, v159, 0x4000c0c
	v_perm_b32 v157, v157, v158, 0xc0c0602
	v_perm_b32 v158, v160, v159, 0x6020c0c
	v_perm_b32 v159, v162, v161, 0xc0c0602
	v_perm_b32 v160, v164, v163, 0x6020c0c
	v_perm_b32 v191, v162, v161, 0xc0c0400
	v_perm_b32 v193, v162, v161, 0xc0c0703
	v_perm_b32 v194, v164, v163, 0x7030c0c
	v_perm_b32 v161, v162, v161, 0xc0c0501
	v_perm_b32 v162, v164, v163, 0x5010c0c
	v_perm_b32 v208, v92, v91, 0xc0c0602
	v_perm_b32 v209, v94, v93, 0x6020c0c
	v_perm_b32 v210, v92, v91, 0xc0c0400
	v_perm_b32 v211, v94, v93, 0x4000c0c
	v_perm_b32 v221, v98, v97, 0x4000c0c
	v_perm_b32 v222, v98, v97, 0x6020c0c
	s_wait_dscnt 0x1
	v_perm_b32 v227, v100, v99, 0xc0c0703
	v_perm_b32 v228, v102, v101, 0x7030c0c
	;; [unrolled: 1-line block ×4, first 2 shown]
	v_or_b32_e32 v179, v182, v181
	v_or_b32_e32 v149, v150, v149
	;; [unrolled: 1-line block ×13, first 2 shown]
	v_dot4_i32_iu8 v103, v89, v103, v165 neg_lo:[1,1,0]
	v_dot4_i32_iu8 v117, v89, v119, v117 neg_lo:[1,1,0]
	;; [unrolled: 1-line block ×8, first 2 shown]
	v_perm_b32 v192, v164, v163, 0x4000c0c
	v_perm_b32 v223, v100, v99, 0xc0c0602
	;; [unrolled: 1-line block ×5, first 2 shown]
	v_or_b32_e32 v151, v184, v183
	v_or_b32_e32 v156, v190, v189
	;; [unrolled: 1-line block ×12, first 2 shown]
	v_dot4_i32_iu8 v111, v179, v126, 0 neg_lo:[1,1,0]
	v_dot4_i32_iu8 v87, v149, v87, 0 neg_lo:[1,1,0]
	v_dot4_i32_iu8 v118, v154, v166, 0 neg_lo:[1,1,0]
	v_dot4_i32_iu8 v119, v155, v185, 0 neg_lo:[1,1,0]
	v_dot4_i32_iu8 v103, v90, v104, v103 neg_lo:[1,1,0]
	v_dot4_i32_iu8 v104, v90, v120, v117 neg_lo:[1,1,0]
	v_dot4_i32_iu8 v88, v90, v136, v88 neg_lo:[1,1,0]
	v_dot4_i32_iu8 v97, v152, v141, v97 neg_lo:[1,1,0]
	v_dot4_i32_iu8 v96, v153, v142, v96 neg_lo:[1,1,0]
	v_or_b32_e32 v159, v192, v191
	v_or_b32_e32 v187, v224, v223
	;; [unrolled: 1-line block ×3, first 2 shown]
	v_dot4_i32_iu8 v125, v156, v186, 0 neg_lo:[1,1,0]
	v_dot4_i32_iu8 v95, v157, v95, 0 neg_lo:[1,1,0]
	;; [unrolled: 1-line block ×10, first 2 shown]
	v_add_nc_u32_e32 v91, v96, v97
	v_dot4_i32_iu8 v110, v98, v128, v110 neg_lo:[1,1,0]
	v_lshrrev_b16 v199, 8, v175
	v_and_b32_e32 v175, 0xff, v175
	v_dot4_i32_iu8 v89, v98, v144, v89 neg_lo:[1,1,0]
	v_dot4_i32_iu8 v95, v158, v187, v95 neg_lo:[1,1,0]
	;; [unrolled: 1-line block ×3, first 2 shown]
	v_add_nc_u32_e32 v96, v112, v111
	v_add3_u32 v87, v90, v87, v91
	v_dot4_i32_iu8 v105, v99, v113, v109 neg_lo:[1,1,0]
	v_dot4_i32_iu8 v109, v99, v129, v110 neg_lo:[1,1,0]
	v_and_b32_e32 v184, 0xffff, v199
	v_add3_u32 v90, v98, v95, v96
	v_mul_lo_u32 v87, v87, v175
	v_lshrrev_b16 v163, 8, v169
	v_and_b32_e32 v164, 0xff, v169
	v_cvt_f32_ubyte0_e32 v169, v170
	v_cvt_f32_ubyte0_e32 v196, v172
	v_cvt_f32_ubyte0_e32 v200, v176
	v_dot4_i32_iu8 v89, v99, v145, v89 neg_lo:[1,1,0]
	v_dot4_i32_iu8 v97, v92, v106, v103 neg_lo:[1,1,0]
	;; [unrolled: 1-line block ×5, first 2 shown]
	v_mul_lo_u32 v90, v90, v184
	v_lshrrev_b16 v195, 8, v171
	v_cvt_f32_ubyte1_e32 v172, v172
	v_cvt_f32_ubyte1_e32 v176, v176
	v_and_b32_e32 v162, 0xffff, v163
	s_wait_dscnt 0x0
	v_fma_mix_f32 v163, v167, v169, 0 op_sel:[1,0,0] op_sel_hi:[1,0,0]
	v_fma_mix_f32 v169, v167, v196, 0 op_sel:[1,0,0] op_sel_hi:[1,0,0]
	;; [unrolled: 1-line block ×3, first 2 shown]
	v_dot4_i32_iu8 v88, v92, v138, v88 neg_lo:[1,1,0]
	v_dot4_i32_iu8 v95, v101, v115, v103 neg_lo:[1,1,0]
	;; [unrolled: 1-line block ×3, first 2 shown]
	v_cvt_f32_i32_e32 v87, v87
	v_and_b32_e32 v180, 0xffff, v195
	v_fma_mix_f32 v169, v168, v172, v169 op_sel:[1,0,0] op_sel_hi:[1,0,0]
	v_fma_mix_f32 v172, v176, v168, v183 op_sel:[0,1,0] op_sel_hi:[0,1,0]
	v_dot4_i32_iu8 v91, v93, v107, v97 neg_lo:[1,1,0]
	v_dot4_i32_iu8 v92, v93, v123, v99 neg_lo:[1,1,0]
	;; [unrolled: 1-line block ×5, first 2 shown]
	v_cvt_f32_i32_e32 v90, v90
	v_fma_mix_f32 v87, v87, v167, 0 op_sel_hi:[0,1,0]
	v_dot4_i32_iu8 v89, v100, v146, v89 neg_lo:[1,1,0]
	v_dot4_i32_iu8 v91, v94, v108, v91 neg_lo:[1,1,0]
	;; [unrolled: 1-line block ×4, first 2 shown]
	v_mul_lo_u32 v94, v95, v180
	v_mul_f32_e32 v95, v172, v85
	v_fma_mix_f32 v87, v90, v168, v87 op_sel_hi:[0,1,0]
	v_and_b32_e32 v171, 0xff, v171
	v_lshrrev_b16 v197, 8, v173
	v_and_b32_e32 v173, 0xff, v173
	v_dot4_i32_iu8 v89, v101, v147, v89 neg_lo:[1,1,0]
	v_fma_f32 v87, v87, v86, -v95
	v_mul_lo_u32 v92, v92, v171
	v_and_b32_e32 v182, 0xffff, v197
	v_mul_lo_u32 v88, v88, v173
	v_dot4_i32_iu8 v89, v102, v148, v89 neg_lo:[1,1,0]
	v_add_f32_e32 v17, v17, v87
	v_mul_lo_u32 v91, v91, v164
	v_cvt_f32_ubyte0_e32 v198, v174
	v_mul_lo_u32 v93, v93, v162
	v_mul_lo_u32 v89, v89, v182
	v_cvt_f32_ubyte1_e32 v170, v170
	v_cvt_f32_ubyte1_e32 v174, v174
	v_fma_mix_f32 v181, v167, v198, 0 op_sel:[1,0,0] op_sel_hi:[1,0,0]
	v_cvt_f32_i32_e32 v92, v92
	v_cvt_f32_i32_e32 v91, v91
	v_cvt_f32_i32_e32 v88, v88
	v_fma_mix_f32 v163, v168, v170, v163 op_sel:[1,0,0] op_sel_hi:[1,0,0]
	v_fma_mix_f32 v170, v168, v174, v181 op_sel:[1,0,0] op_sel_hi:[1,0,0]
	v_cvt_f32_i32_e32 v93, v93
	v_cvt_f32_i32_e32 v94, v94
	v_cvt_f32_i32_e32 v89, v89
	v_fma_mix_f32 v91, v167, v91, 0 op_sel_hi:[1,0,0]
	v_fma_mix_f32 v92, v167, v92, 0 op_sel_hi:[1,0,0]
	;; [unrolled: 1-line block ×3, first 2 shown]
	v_dual_mul_f32 v126, v163, v82 :: v_dual_mul_f32 v127, v169, v83
	v_mul_f32_e32 v135, v170, v84
	v_fma_mix_f32 v90, v168, v93, v91 op_sel_hi:[1,0,0]
	v_fma_mix_f32 v91, v168, v94, v92 op_sel_hi:[1,0,0]
	;; [unrolled: 1-line block ×3, first 2 shown]
	s_mov_b32 s21, 8
	s_and_b32 vcc_lo, exec_lo, s20
	v_fma_f32 v89, v90, v79, -v126
	v_fma_f32 v90, v91, v80, -v127
	;; [unrolled: 1-line block ×3, first 2 shown]
	s_mov_b32 s20, 0
	s_delay_alu instid0(VALU_DEP_2) | instskip(NEXT) | instid1(VALU_DEP_2)
	v_dual_add_f32 v22, v22, v89 :: v_dual_add_f32 v51, v51, v90
	v_add_f32_e32 v47, v47, v88
	s_wait_alu 0xfffe
	s_cbranch_vccnz .LBB234_11
; %bb.12:                               ;   in Loop: Header=BB234_5 Depth=1
	s_bitset1_b32 s18, 7
	s_wait_loadcnt 0x0
	s_wait_alu 0xfffe
	s_cmp_ge_i32 s18, s5
	s_barrier_signal -1
	s_barrier_wait -1
	global_inv scope:SCOPE_SE
	s_cbranch_scc1 .LBB234_4
; %bb.13:                               ;   in Loop: Header=BB234_5 Depth=1
	v_add_nc_u32_e32 v79, s19, v54
	s_delay_alu instid0(VALU_DEP_1)
	v_cmp_gt_i32_e32 vcc_lo, s6, v79
	s_and_b32 s19, s1, vcc_lo
	s_wait_alu 0xfffe
	s_and_saveexec_b32 s18, s19
	s_cbranch_execz .LBB234_15
; %bb.14:                               ;   in Loop: Header=BB234_5 Depth=1
	v_add_nc_u32_e32 v79, v61, v79
	s_delay_alu instid0(VALU_DEP_1)
	v_mad_co_i64_i32 v[79:80], null, v79, 36, v[18:19]
	global_load_b32 v79, v[79:80], off offset:4
	s_wait_loadcnt 0x0
	ds_store_b32 v53, v79
.LBB234_15:                             ;   in Loop: Header=BB234_5 Depth=1
	s_wait_alu 0xfffe
	s_or_b32 exec_lo, exec_lo, s18
	s_and_saveexec_b32 s18, s0
	s_cbranch_execz .LBB234_18
; %bb.16:                               ;   in Loop: Header=BB234_5 Depth=1
	v_or_b32_e32 v79, 4, v78
	s_delay_alu instid0(VALU_DEP_1)
	v_cmp_gt_i32_e32 vcc_lo, s6, v79
	s_and_b32 s19, s1, vcc_lo
	s_wait_alu 0xfffe
	s_and_b32 exec_lo, exec_lo, s19
	s_cbranch_execz .LBB234_18
; %bb.17:                               ;   in Loop: Header=BB234_5 Depth=1
	v_ashrrev_i32_e32 v79, 31, v78
	v_add_co_u32 v78, vcc_lo, v61, v78
	s_wait_alu 0xfffd
	s_delay_alu instid0(VALU_DEP_2) | instskip(NEXT) | instid1(VALU_DEP_2)
	v_add_co_ci_u32_e64 v80, null, v64, v79, vcc_lo
	v_mad_co_u64_u32 v[78:79], null, v78, 36, s[2:3]
	s_delay_alu instid0(VALU_DEP_1)
	v_mad_i32_i24 v79, v80, 36, v79
	global_load_b32 v78, v[78:79], off offset:144
	s_wait_loadcnt 0x0
	ds_store_b32 v69, v78
.LBB234_18:                             ;   in Loop: Header=BB234_5 Depth=1
	s_wait_alu 0xfffe
	s_or_b32 exec_lo, exec_lo, s18
	s_wait_loadcnt_dscnt 0x0
	s_barrier_signal -1
	s_barrier_wait -1
	global_inv scope:SCOPE_SE
	ds_load_b32 v79, v55
	ds_load_b32 v80, v56 offset:128
	ds_load_b32 v81, v57 offset:256
	;; [unrolled: 1-line block ×3, first 2 shown]
	s_mov_b32 s18, 16
	s_wait_dscnt 0x3
	v_lshrrev_b32_e32 v82, 16, v79
	s_wait_dscnt 0x2
	v_lshrrev_b32_e32 v83, 16, v80
	;; [unrolled: 2-line block ×4, first 2 shown]
	v_cvt_f32_f16_e32 v78, v79
	v_cvt_f32_f16_e32 v79, v80
	;; [unrolled: 1-line block ×8, first 2 shown]
.LBB234_19:                             ;   Parent Loop BB234_5 Depth=1
                                        ; =>  This Inner Loop Header: Depth=2
	s_wait_alu 0xfffe
	s_lshl_b32 s20, s18, 1
	s_lshr_b32 s19, s18, 2
	s_lshl_b32 s21, s18, 3
	s_wait_alu 0xfffe
	v_and_or_b32 v86, s20, 16, v36
	s_and_b32 s19, s19, 0x3ffffffe
	v_add_nc_u32_e32 v87, s21, v59
	s_wait_alu 0xfffe
	s_add_co_i32 s19, s19, 0x8200
	v_add_nc_u32_e32 v88, s21, v60
	v_add_nc_u32_e32 v89, s21, v62
	;; [unrolled: 1-line block ×3, first 2 shown]
	s_wait_alu 0xfffe
	v_add3_u32 v91, s19, v70, v71
	v_add3_u32 v92, s19, v72, v73
	;; [unrolled: 1-line block ×4, first 2 shown]
	v_lshlrev_b32_e32 v98, 2, v86
	v_lshrrev_b32_e32 v166, 1, v86
	ds_load_2addr_b32 v[102:103], v87 offset0:2 offset1:3
	ds_load_2addr_b32 v[104:105], v87 offset0:4 offset1:5
	ds_load_2addr_b32 v[106:107], v87 offset0:6 offset1:7
	ds_load_2addr_b32 v[108:109], v87 offset0:8 offset1:9
	ds_load_2addr_b32 v[110:111], v87 offset0:10 offset1:11
	ds_load_2addr_b32 v[112:113], v87 offset0:12 offset1:13
	ds_load_2addr_b32 v[114:115], v87 offset0:14 offset1:15
	ds_load_2addr_b32 v[116:117], v88 offset1:1
	ds_load_2addr_b32 v[118:119], v88 offset0:2 offset1:3
	ds_load_2addr_b32 v[120:121], v88 offset0:4 offset1:5
	ds_load_2addr_b32 v[122:123], v88 offset0:6 offset1:7
	ds_load_2addr_b32 v[124:125], v88 offset0:8 offset1:9
	ds_load_2addr_b32 v[126:127], v88 offset0:10 offset1:11
	ds_load_2addr_b32 v[128:129], v88 offset0:12 offset1:13
	ds_load_2addr_b32 v[130:131], v88 offset0:14 offset1:15
	ds_load_2addr_b32 v[132:133], v89 offset1:1
	ds_load_2addr_b32 v[134:135], v89 offset0:2 offset1:3
	ds_load_2addr_b32 v[136:137], v89 offset0:4 offset1:5
	ds_load_2addr_b32 v[138:139], v89 offset0:6 offset1:7
	ds_load_2addr_b32 v[140:141], v89 offset0:8 offset1:9
	ds_load_2addr_b32 v[142:143], v89 offset0:10 offset1:11
	ds_load_2addr_b32 v[144:145], v89 offset0:12 offset1:13
	ds_load_2addr_b32 v[146:147], v89 offset0:14 offset1:15
	ds_load_2addr_b32 v[148:149], v90 offset1:1
	ds_load_2addr_b32 v[150:151], v90 offset0:2 offset1:3
	ds_load_2addr_b32 v[152:153], v90 offset0:4 offset1:5
	ds_load_2addr_b32 v[154:155], v90 offset0:6 offset1:7
	ds_load_2addr_b32 v[156:157], v90 offset0:8 offset1:9
	ds_load_2addr_b32 v[158:159], v90 offset0:10 offset1:11
	ds_load_2addr_b32 v[160:161], v90 offset0:12 offset1:13
	ds_load_2addr_b32 v[162:163], v90 offset0:14 offset1:15
	ds_load_2addr_b32 v[164:165], v87 offset1:1
	ds_load_u16 v168, v91
	ds_load_u16 v169, v91 offset:8
	ds_load_u16 v170, v92
	ds_load_u16 v171, v92 offset:8
	;; [unrolled: 2-line block ×4, first 2 shown]
	ds_load_b128 v[86:89], v98 offset:35392
	ds_load_b128 v[90:93], v98 offset:35408
	;; [unrolled: 1-line block ×4, first 2 shown]
	ds_load_b64 v[166:167], v166 offset:36944
	s_wait_dscnt 0x15
	v_perm_b32 v176, v148, v149, 0xc0c0501
	s_wait_dscnt 0x14
	v_perm_b32 v177, v151, v150, 0x5010c0c
	v_perm_b32 v178, v148, v149, 0xc0c0703
	;; [unrolled: 1-line block ×7, first 2 shown]
	s_wait_dscnt 0x13
	v_perm_b32 v150, v153, v152, 0xc0c0602
	s_wait_dscnt 0x12
	v_perm_b32 v151, v155, v154, 0x6020c0c
	v_perm_b32 v182, v153, v152, 0xc0c0400
	;; [unrolled: 1-line block ×6, first 2 shown]
	s_wait_dscnt 0x4
	v_dot4_i32_iu8 v164, v86, v164, 0 neg_lo:[1,1,0]
	v_dot4_i32_iu8 v116, v86, v116, 0 neg_lo:[1,1,0]
	;; [unrolled: 1-line block ×3, first 2 shown]
	v_perm_b32 v153, v155, v154, 0x5010c0c
	v_perm_b32 v154, v156, v157, 0xc0c0501
	;; [unrolled: 1-line block ×7, first 2 shown]
	s_wait_dscnt 0x2
	v_dot4_i32_iu8 v108, v94, v108, 0 neg_lo:[1,1,0]
	v_dot4_i32_iu8 v124, v94, v124, 0 neg_lo:[1,1,0]
	;; [unrolled: 1-line block ×3, first 2 shown]
	v_or_b32_e32 v176, v177, v176
	v_perm_b32 v177, v86, v87, 0xc0c0501
	v_or_b32_e32 v178, v179, v178
	v_perm_b32 v179, v86, v87, 0xc0c0703
	v_or_b32_e32 v180, v181, v180
	v_perm_b32 v181, v86, v87, 0xc0c0400
	v_perm_b32 v86, v86, v87, 0xc0c0602
	v_dot4_i32_iu8 v164, v87, v165, v164 neg_lo:[1,1,0]
	v_dot4_i32_iu8 v116, v87, v117, v116 neg_lo:[1,1,0]
	;; [unrolled: 1-line block ×3, first 2 shown]
	v_or_b32_e32 v154, v155, v154
	v_perm_b32 v155, v94, v95, 0xc0c0501
	v_or_b32_e32 v186, v187, v186
	v_perm_b32 v187, v94, v95, 0xc0c0703
	;; [unrolled: 2-line block ×3, first 2 shown]
	v_perm_b32 v94, v94, v95, 0xc0c0602
	v_dot4_i32_iu8 v108, v95, v109, v108 neg_lo:[1,1,0]
	v_dot4_i32_iu8 v109, v95, v125, v124 neg_lo:[1,1,0]
	;; [unrolled: 1-line block ×4, first 2 shown]
	v_perm_b32 v200, v89, v88, 0x5010c0c
	v_perm_b32 v201, v89, v88, 0x7030c0c
	;; [unrolled: 1-line block ×3, first 2 shown]
	v_or_b32_e32 v148, v149, v148
	v_perm_b32 v149, v89, v88, 0x6020c0c
	v_dot4_i32_iu8 v102, v88, v102, v164 neg_lo:[1,1,0]
	v_dot4_i32_iu8 v116, v88, v118, v116 neg_lo:[1,1,0]
	;; [unrolled: 1-line block ×4, first 2 shown]
	v_lshrrev_b16 v196, 8, v172
	v_and_b32_e32 v172, 0xff, v172
	v_perm_b32 v156, v156, v157, 0xc0c0602
	v_dot4_i32_iu8 v88, v97, v143, v88 neg_lo:[1,1,0]
	v_dot4_i32_iu8 v87, v90, v136, v87 neg_lo:[1,1,0]
	v_perm_b32 v157, v159, v158, 0x6020c0c
	v_perm_b32 v158, v161, v160, 0xc0c0602
	;; [unrolled: 1-line block ×3, first 2 shown]
	s_wait_dscnt 0x1
	v_dot4_i32_iu8 v88, v98, v144, v88 neg_lo:[1,1,0]
	v_dot4_i32_iu8 v87, v91, v137, v87 neg_lo:[1,1,0]
	v_perm_b32 v190, v161, v160, 0xc0c0400
	v_perm_b32 v192, v161, v160, 0xc0c0703
	;; [unrolled: 1-line block ×3, first 2 shown]
	v_dot4_i32_iu8 v88, v99, v145, v88 neg_lo:[1,1,0]
	v_dot4_i32_iu8 v87, v92, v138, v87 neg_lo:[1,1,0]
	v_perm_b32 v160, v161, v160, 0xc0c0501
	v_perm_b32 v161, v163, v162, 0x5010c0c
	v_or_b32_e32 v150, v151, v150
	v_dot4_i32_iu8 v88, v100, v146, v88 neg_lo:[1,1,0]
	v_dot4_i32_iu8 v87, v93, v139, v87 neg_lo:[1,1,0]
	v_perm_b32 v151, v91, v90, 0xc0c0602
	v_perm_b32 v203, v93, v92, 0x6020c0c
	v_or_b32_e32 v184, v185, v184
	v_perm_b32 v185, v91, v90, 0xc0c0703
	v_perm_b32 v205, v93, v92, 0x7030c0c
	v_or_b32_e32 v152, v153, v152
	v_perm_b32 v153, v91, v90, 0xc0c0501
	v_perm_b32 v206, v93, v92, 0x5010c0c
	;; [unrolled: 1-line block ×4, first 2 shown]
	v_or_b32_e32 v117, v200, v177
	v_or_b32_e32 v124, v201, v179
	v_and_b32_e32 v196, 0xffff, v196
	v_dot4_i32_iu8 v88, v101, v147, v88 neg_lo:[1,1,0]
	v_mul_lo_u32 v87, v87, v172
	v_perm_b32 v191, v163, v162, 0x4000c0c
	v_lshrrev_b16 v162, 8, v168
	v_and_b32_e32 v163, 0xff, v168
	v_cvt_f32_ubyte0_e32 v168, v169
	v_cvt_f32_ubyte0_e32 v197, v173
	v_or_b32_e32 v182, v183, v182
	v_perm_b32 v183, v91, v90, 0xc0c0400
	v_perm_b32 v204, v93, v92, 0x4000c0c
	v_perm_b32 v209, v97, v96, 0x4000c0c
	v_or_b32_e32 v156, v157, v156
	v_perm_b32 v157, v97, v96, 0x6020c0c
	v_or_b32_e32 v158, v159, v158
	v_perm_b32 v159, v99, v98, 0xc0c0602
	v_perm_b32 v210, v101, v100, 0x6020c0c
	v_or_b32_e32 v192, v193, v192
	v_perm_b32 v193, v99, v98, 0xc0c0703
	;; [unrolled: 3-line block ×3, first 2 shown]
	v_perm_b32 v213, v101, v100, 0x5010c0c
	v_or_b32_e32 v125, v202, v181
	v_or_b32_e32 v86, v149, v86
	;; [unrolled: 1-line block ×7, first 2 shown]
	v_dot4_i32_iu8 v108, v96, v110, v108 neg_lo:[1,1,0]
	v_dot4_i32_iu8 v109, v96, v126, v109 neg_lo:[1,1,0]
	;; [unrolled: 1-line block ×6, first 2 shown]
	v_mul_lo_u32 v88, v88, v196
	v_cvt_f32_ubyte1_e32 v169, v169
	v_cvt_f32_ubyte1_e32 v173, v173
	v_or_b32_e32 v190, v191, v190
	v_perm_b32 v191, v99, v98, 0xc0c0400
	v_perm_b32 v211, v101, v100, 0x4000c0c
	s_wait_dscnt 0x0
	v_fma_mix_f32 v168, v166, v168, 0 op_sel:[1,0,0] op_sel_hi:[1,0,0]
	v_fma_mix_f32 v197, v166, v197, 0 op_sel:[1,0,0] op_sel_hi:[1,0,0]
	v_or_b32_e32 v133, v204, v183
	v_or_b32_e32 v153, v209, v189
	;; [unrolled: 1-line block ×6, first 2 shown]
	v_dot4_i32_iu8 v110, v180, v125, 0 neg_lo:[1,1,0]
	v_dot4_i32_iu8 v86, v148, v86, 0 neg_lo:[1,1,0]
	;; [unrolled: 1-line block ×10, first 2 shown]
	v_cvt_f32_i32_e32 v87, v87
	v_or_b32_e32 v157, v211, v191
	v_fma_mix_f32 v165, v167, v169, v168 op_sel:[1,0,0] op_sel_hi:[1,0,0]
	v_fma_mix_f32 v169, v167, v173, v197 op_sel:[1,0,0] op_sel_hi:[1,0,0]
	v_dot4_i32_iu8 v124, v188, v153, 0 neg_lo:[1,1,0]
	v_dot4_i32_iu8 v94, v156, v94, 0 neg_lo:[1,1,0]
	;; [unrolled: 1-line block ×8, first 2 shown]
	v_add_nc_u32_e32 v90, v95, v96
	v_dot4_i32_iu8 v96, v91, v105, v102 neg_lo:[1,1,0]
	v_dot4_i32_iu8 v98, v91, v121, v103 neg_lo:[1,1,0]
	v_cvt_f32_i32_e32 v88, v88
	v_fma_mix_f32 v87, v166, v87, 0 op_sel_hi:[1,0,0]
	v_mul_f32_e32 v134, v169, v83
	v_dot4_i32_iu8 v94, v158, v155, v94 neg_lo:[1,1,0]
	v_dot4_i32_iu8 v97, v190, v157, v124 neg_lo:[1,1,0]
	v_add_nc_u32_e32 v95, v111, v110
	v_dot4_i32_iu8 v102, v99, v113, v104 neg_lo:[1,1,0]
	v_dot4_i32_iu8 v103, v99, v129, v108 neg_lo:[1,1,0]
	v_add3_u32 v86, v89, v86, v90
	v_dot4_i32_iu8 v90, v92, v106, v96 neg_lo:[1,1,0]
	v_dot4_i32_iu8 v91, v92, v122, v98 neg_lo:[1,1,0]
	v_fma_mix_f32 v87, v167, v88, v87 op_sel_hi:[1,0,0]
	v_lshrrev_b16 v194, 8, v170
	v_lshrrev_b16 v198, 8, v174
	v_and_b32_e32 v174, 0xff, v174
	v_add3_u32 v89, v97, v94, v95
	v_dot4_i32_iu8 v94, v100, v114, v102 neg_lo:[1,1,0]
	v_dot4_i32_iu8 v95, v100, v130, v103 neg_lo:[1,1,0]
	;; [unrolled: 1-line block ×4, first 2 shown]
	v_fma_f32 v87, v87, v80, -v134
	v_and_b32_e32 v170, 0xff, v170
	v_and_b32_e32 v162, 0xffff, v162
	;; [unrolled: 1-line block ×4, first 2 shown]
	v_mul_lo_u32 v86, v86, v174
	v_dot4_i32_iu8 v92, v101, v115, v94 neg_lo:[1,1,0]
	v_dot4_i32_iu8 v94, v101, v131, v95 neg_lo:[1,1,0]
	v_mul_lo_u32 v90, v90, v163
	v_add_f32_e32 v47, v47, v87
	v_mul_lo_u32 v91, v91, v170
	v_cvt_f32_ubyte0_e32 v195, v171
	v_cvt_f32_ubyte0_e32 v199, v175
	v_mul_lo_u32 v89, v89, v198
	v_mul_lo_u32 v92, v92, v162
	v_mul_lo_u32 v93, v94, v194
	v_cvt_f32_ubyte1_e32 v171, v171
	v_cvt_f32_ubyte1_e32 v175, v175
	v_fma_mix_f32 v195, v166, v195, 0 op_sel:[1,0,0] op_sel_hi:[1,0,0]
	v_fma_mix_f32 v199, v199, v166, 0 op_sel:[0,1,0] op_sel_hi:[0,1,0]
	v_cvt_f32_i32_e32 v86, v86
	v_cvt_f32_i32_e32 v90, v90
	;; [unrolled: 1-line block ×3, first 2 shown]
	v_fma_mix_f32 v168, v167, v171, v195 op_sel:[1,0,0] op_sel_hi:[1,0,0]
	v_fma_mix_f32 v171, v175, v167, v199 op_sel:[0,1,0] op_sel_hi:[0,1,0]
	v_cvt_f32_i32_e32 v89, v89
	v_fma_mix_f32 v86, v86, v166, 0 op_sel_hi:[0,1,0]
	v_cvt_f32_i32_e32 v92, v92
	v_cvt_f32_i32_e32 v93, v93
	v_fma_mix_f32 v90, v166, v90, 0 op_sel_hi:[1,0,0]
	v_fma_mix_f32 v91, v166, v91, 0 op_sel_hi:[1,0,0]
	v_dual_mul_f32 v125, v165, v81 :: v_dual_mul_f32 v126, v168, v82
	v_mul_f32_e32 v94, v171, v84
	v_fma_mix_f32 v86, v89, v167, v86 op_sel_hi:[0,1,0]
	v_fma_mix_f32 v89, v167, v92, v90 op_sel_hi:[1,0,0]
	;; [unrolled: 1-line block ×3, first 2 shown]
	s_add_co_i32 s19, s18, 8
	s_cmp_lt_u32 s18, 24
	v_fma_f32 v86, v86, v85, -v94
	v_fma_f32 v88, v89, v78, -v125
	;; [unrolled: 1-line block ×3, first 2 shown]
	s_wait_alu 0xfffe
	s_mov_b32 s18, s19
	s_delay_alu instid0(VALU_DEP_2) | instskip(NEXT) | instid1(VALU_DEP_2)
	v_dual_add_f32 v17, v17, v86 :: v_dual_add_f32 v22, v22, v88
	v_add_f32_e32 v51, v51, v89
	s_cbranch_scc1 .LBB234_19
; %bb.20:                               ;   in Loop: Header=BB234_5 Depth=1
	s_wait_loadcnt 0x0
	s_barrier_signal -1
	s_barrier_wait -1
	global_inv scope:SCOPE_SE
	s_branch .LBB234_4
.LBB234_21:
	s_mul_i32 s0, s10, s7
	s_wait_loadcnt 0x0
	s_wait_alu 0xfffe
	v_cmp_gt_i32_e32 vcc_lo, s0, v20
	s_and_saveexec_b32 s0, vcc_lo
	s_cbranch_execz .LBB234_30
; %bb.22:
	v_mul_lo_u32 v0, v20, s9
	v_add_nc_u32_e32 v1, s11, v21
	s_mov_b32 s0, exec_lo
	s_delay_alu instid0(VALU_DEP_1)
	v_cmpx_gt_u32_e64 s9, v1
	s_cbranch_execz .LBB234_24
; %bb.23:
	v_bfe_u32 v3, v22, 16, 1
	s_delay_alu instid0(VALU_DEP_4) | instskip(SKIP_1) | instid1(VALU_DEP_3)
	v_add_nc_u32_e32 v2, v0, v1
	v_cmp_o_f32_e32 vcc_lo, v22, v22
	v_add3_u32 v4, v22, v3, 0x7fff
	v_mov_b32_e32 v3, 0
	s_delay_alu instid0(VALU_DEP_2) | instskip(NEXT) | instid1(VALU_DEP_2)
	v_lshrrev_b32_e32 v4, 16, v4
	v_lshlrev_b64_e32 v[2:3], 1, v[2:3]
	s_wait_alu 0xfffd
	s_delay_alu instid0(VALU_DEP_2) | instskip(NEXT) | instid1(VALU_DEP_2)
	v_cndmask_b32_e32 v4, 0x7fc0, v4, vcc_lo
	v_add_co_u32 v2, vcc_lo, s12, v2
	s_wait_alu 0xfffd
	s_delay_alu instid0(VALU_DEP_3)
	v_add_co_ci_u32_e64 v3, null, s13, v3, vcc_lo
	global_store_b16 v[2:3], v4, off
.LBB234_24:
	s_wait_alu 0xfffe
	s_or_b32 exec_lo, exec_lo, s0
	v_add_nc_u32_e32 v2, 32, v1
	s_mov_b32 s0, exec_lo
	s_delay_alu instid0(VALU_DEP_1)
	v_cmpx_gt_u32_e64 s9, v2
	s_cbranch_execz .LBB234_26
; %bb.25:
	v_bfe_u32 v3, v51, 16, 1
	v_add_nc_u32_e32 v2, v0, v2
	v_cmp_o_f32_e32 vcc_lo, v51, v51
	s_delay_alu instid0(VALU_DEP_3) | instskip(SKIP_1) | instid1(VALU_DEP_2)
	v_add3_u32 v4, v51, v3, 0x7fff
	v_mov_b32_e32 v3, 0
	v_lshrrev_b32_e32 v4, 16, v4
	s_delay_alu instid0(VALU_DEP_2) | instskip(SKIP_1) | instid1(VALU_DEP_2)
	v_lshlrev_b64_e32 v[2:3], 1, v[2:3]
	s_wait_alu 0xfffd
	v_cndmask_b32_e32 v4, 0x7fc0, v4, vcc_lo
	s_delay_alu instid0(VALU_DEP_2) | instskip(SKIP_1) | instid1(VALU_DEP_3)
	v_add_co_u32 v2, vcc_lo, s12, v2
	s_wait_alu 0xfffd
	v_add_co_ci_u32_e64 v3, null, s13, v3, vcc_lo
	global_store_b16 v[2:3], v4, off
.LBB234_26:
	s_wait_alu 0xfffe
	s_or_b32 exec_lo, exec_lo, s0
	v_add_nc_u32_e32 v2, 64, v1
	s_mov_b32 s0, exec_lo
	s_delay_alu instid0(VALU_DEP_1)
	v_cmpx_gt_u32_e64 s9, v2
	s_cbranch_execz .LBB234_28
; %bb.27:
	v_bfe_u32 v3, v47, 16, 1
	v_add_nc_u32_e32 v2, v0, v2
	v_cmp_o_f32_e32 vcc_lo, v47, v47
	s_delay_alu instid0(VALU_DEP_3) | instskip(SKIP_1) | instid1(VALU_DEP_2)
	v_add3_u32 v4, v47, v3, 0x7fff
	v_mov_b32_e32 v3, 0
	v_lshrrev_b32_e32 v4, 16, v4
	s_delay_alu instid0(VALU_DEP_2) | instskip(SKIP_1) | instid1(VALU_DEP_2)
	v_lshlrev_b64_e32 v[2:3], 1, v[2:3]
	s_wait_alu 0xfffd
	v_cndmask_b32_e32 v4, 0x7fc0, v4, vcc_lo
	s_delay_alu instid0(VALU_DEP_2) | instskip(SKIP_1) | instid1(VALU_DEP_3)
	v_add_co_u32 v2, vcc_lo, s12, v2
	s_wait_alu 0xfffd
	v_add_co_ci_u32_e64 v3, null, s13, v3, vcc_lo
	global_store_b16 v[2:3], v4, off
.LBB234_28:
	s_wait_alu 0xfffe
	s_or_b32 exec_lo, exec_lo, s0
	v_add_nc_u32_e32 v1, 0x60, v1
	s_delay_alu instid0(VALU_DEP_1)
	v_cmp_gt_u32_e32 vcc_lo, s9, v1
	s_and_b32 exec_lo, exec_lo, vcc_lo
	s_cbranch_execz .LBB234_30
; %bb.29:
	v_bfe_u32 v2, v17, 16, 1
	v_dual_mov_b32 v1, 0 :: v_dual_add_nc_u32 v0, v0, v1
	v_cmp_o_f32_e32 vcc_lo, v17, v17
	s_delay_alu instid0(VALU_DEP_3) | instskip(NEXT) | instid1(VALU_DEP_3)
	v_add3_u32 v2, v17, v2, 0x7fff
	v_lshlrev_b64_e32 v[0:1], 1, v[0:1]
	s_delay_alu instid0(VALU_DEP_2) | instskip(SKIP_1) | instid1(VALU_DEP_1)
	v_lshrrev_b32_e32 v2, 16, v2
	s_wait_alu 0xfffd
	v_cndmask_b32_e32 v2, 0x7fc0, v2, vcc_lo
	s_delay_alu instid0(VALU_DEP_3)
	v_add_co_u32 v0, vcc_lo, s12, v0
	s_wait_alu 0xfffd
	v_add_co_ci_u32_e64 v1, null, s13, v1, vcc_lo
	global_store_b16 v[0:1], v2, off
.LBB234_30:
	s_nop 0
	s_sendmsg sendmsg(MSG_DEALLOC_VGPRS)
	s_endpgm
	.section	.rodata,"a",@progbits
	.p2align	6, 0x0
	.amdhsa_kernel _ZL8moe_q5_KIN3c108BFloat16ELb1EEvPKvS3_PT_PKiS7_S7_iiiiiii
		.amdhsa_group_segment_fixed_size 37072
		.amdhsa_private_segment_fixed_size 0
		.amdhsa_kernarg_size 76
		.amdhsa_user_sgpr_count 2
		.amdhsa_user_sgpr_dispatch_ptr 0
		.amdhsa_user_sgpr_queue_ptr 0
		.amdhsa_user_sgpr_kernarg_segment_ptr 1
		.amdhsa_user_sgpr_dispatch_id 0
		.amdhsa_user_sgpr_private_segment_size 0
		.amdhsa_wavefront_size32 1
		.amdhsa_uses_dynamic_stack 0
		.amdhsa_enable_private_segment 0
		.amdhsa_system_sgpr_workgroup_id_x 1
		.amdhsa_system_sgpr_workgroup_id_y 1
		.amdhsa_system_sgpr_workgroup_id_z 0
		.amdhsa_system_sgpr_workgroup_info 0
		.amdhsa_system_vgpr_workitem_id 1
		.amdhsa_next_free_vgpr 231
		.amdhsa_next_free_sgpr 23
		.amdhsa_reserve_vcc 1
		.amdhsa_float_round_mode_32 0
		.amdhsa_float_round_mode_16_64 0
		.amdhsa_float_denorm_mode_32 3
		.amdhsa_float_denorm_mode_16_64 3
		.amdhsa_fp16_overflow 0
		.amdhsa_workgroup_processor_mode 1
		.amdhsa_memory_ordered 1
		.amdhsa_forward_progress 1
		.amdhsa_inst_pref_size 81
		.amdhsa_round_robin_scheduling 0
		.amdhsa_exception_fp_ieee_invalid_op 0
		.amdhsa_exception_fp_denorm_src 0
		.amdhsa_exception_fp_ieee_div_zero 0
		.amdhsa_exception_fp_ieee_overflow 0
		.amdhsa_exception_fp_ieee_underflow 0
		.amdhsa_exception_fp_ieee_inexact 0
		.amdhsa_exception_int_div_zero 0
	.end_amdhsa_kernel
	.section	.text._ZL8moe_q5_KIN3c108BFloat16ELb1EEvPKvS3_PT_PKiS7_S7_iiiiiii,"axG",@progbits,_ZL8moe_q5_KIN3c108BFloat16ELb1EEvPKvS3_PT_PKiS7_S7_iiiiiii,comdat
.Lfunc_end234:
	.size	_ZL8moe_q5_KIN3c108BFloat16ELb1EEvPKvS3_PT_PKiS7_S7_iiiiiii, .Lfunc_end234-_ZL8moe_q5_KIN3c108BFloat16ELb1EEvPKvS3_PT_PKiS7_S7_iiiiiii
                                        ; -- End function
	.set _ZL8moe_q5_KIN3c108BFloat16ELb1EEvPKvS3_PT_PKiS7_S7_iiiiiii.num_vgpr, 231
	.set _ZL8moe_q5_KIN3c108BFloat16ELb1EEvPKvS3_PT_PKiS7_S7_iiiiiii.num_agpr, 0
	.set _ZL8moe_q5_KIN3c108BFloat16ELb1EEvPKvS3_PT_PKiS7_S7_iiiiiii.numbered_sgpr, 23
	.set _ZL8moe_q5_KIN3c108BFloat16ELb1EEvPKvS3_PT_PKiS7_S7_iiiiiii.num_named_barrier, 0
	.set _ZL8moe_q5_KIN3c108BFloat16ELb1EEvPKvS3_PT_PKiS7_S7_iiiiiii.private_seg_size, 0
	.set _ZL8moe_q5_KIN3c108BFloat16ELb1EEvPKvS3_PT_PKiS7_S7_iiiiiii.uses_vcc, 1
	.set _ZL8moe_q5_KIN3c108BFloat16ELb1EEvPKvS3_PT_PKiS7_S7_iiiiiii.uses_flat_scratch, 0
	.set _ZL8moe_q5_KIN3c108BFloat16ELb1EEvPKvS3_PT_PKiS7_S7_iiiiiii.has_dyn_sized_stack, 0
	.set _ZL8moe_q5_KIN3c108BFloat16ELb1EEvPKvS3_PT_PKiS7_S7_iiiiiii.has_recursion, 0
	.set _ZL8moe_q5_KIN3c108BFloat16ELb1EEvPKvS3_PT_PKiS7_S7_iiiiiii.has_indirect_call, 0
	.section	.AMDGPU.csdata,"",@progbits
; Kernel info:
; codeLenInByte = 10356
; TotalNumSgprs: 25
; NumVgprs: 231
; ScratchSize: 0
; MemoryBound: 0
; FloatMode: 240
; IeeeMode: 1
; LDSByteSize: 37072 bytes/workgroup (compile time only)
; SGPRBlocks: 0
; VGPRBlocks: 28
; NumSGPRsForWavesPerEU: 25
; NumVGPRsForWavesPerEU: 231
; Occupancy: 6
; WaveLimiterHint : 1
; COMPUTE_PGM_RSRC2:SCRATCH_EN: 0
; COMPUTE_PGM_RSRC2:USER_SGPR: 2
; COMPUTE_PGM_RSRC2:TRAP_HANDLER: 0
; COMPUTE_PGM_RSRC2:TGID_X_EN: 1
; COMPUTE_PGM_RSRC2:TGID_Y_EN: 1
; COMPUTE_PGM_RSRC2:TGID_Z_EN: 0
; COMPUTE_PGM_RSRC2:TIDIG_COMP_CNT: 1
	.section	.text._ZL8moe_q6_KIN3c108BFloat16ELb0EEvPKvS3_PT_PKiS7_S7_iiiiiii,"axG",@progbits,_ZL8moe_q6_KIN3c108BFloat16ELb0EEvPKvS3_PT_PKiS7_S7_iiiiiii,comdat
	.globl	_ZL8moe_q6_KIN3c108BFloat16ELb0EEvPKvS3_PT_PKiS7_S7_iiiiiii ; -- Begin function _ZL8moe_q6_KIN3c108BFloat16ELb0EEvPKvS3_PT_PKiS7_S7_iiiiiii
	.p2align	8
	.type	_ZL8moe_q6_KIN3c108BFloat16ELb0EEvPKvS3_PT_PKiS7_S7_iiiiiii,@function
_ZL8moe_q6_KIN3c108BFloat16ELb0EEvPKvS3_PT_PKiS7_S7_iiiiiii: ; @_ZL8moe_q6_KIN3c108BFloat16ELb0EEvPKvS3_PT_PKiS7_S7_iiiiiii
; %bb.0:
	s_load_b128 s[4:7], s[0:1], 0x18
	s_mov_b32 s2, ttmp7
	s_mov_b32 s3, 0
	s_delay_alu instid0(SALU_CYCLE_1)
	s_lshl_b64 s[2:3], s[2:3], 2
	s_wait_kmcnt 0x0
	s_add_nc_u64 s[2:3], s[6:7], s[2:3]
	s_load_b32 s12, s[2:3], 0x0
	s_wait_kmcnt 0x0
	s_cmp_gt_u32 s12, 0xff
	s_cbranch_scc1 .LBB235_30
; %bb.1:
	s_load_b64 s[2:3], s[0:1], 0x28
	s_wait_kmcnt 0x0
	s_load_b32 s3, s[2:3], 0x0
	s_lshl_b32 s2, ttmp7, 3
	s_wait_kmcnt 0x0
	s_cmp_gt_u32 s2, s3
	s_cbranch_scc1 .LBB235_30
; %bb.2:
	v_bfe_u32 v3, v0, 10, 10
	v_mov_b32_e32 v2, 0
	s_lshl_b32 s18, ttmp9, 7
	s_delay_alu instid0(VALU_DEP_2) | instskip(NEXT) | instid1(VALU_DEP_2)
	v_add_nc_u32_e32 v1, s2, v3
	v_dual_mov_b32 v7, v2 :: v_dual_and_b32 v6, 0x3ff, v0
	v_mov_b32_e32 v28, v2
	v_mov_b32_e32 v42, v2
	s_delay_alu instid0(VALU_DEP_4) | instskip(NEXT) | instid1(VALU_DEP_1)
	v_lshlrev_b64_e32 v[4:5], 2, v[1:2]
	v_add_co_u32 v4, vcc_lo, s4, v4
	s_delay_alu instid0(VALU_DEP_1)
	v_add_co_ci_u32_e64 v5, null, s5, v5, vcc_lo
	global_load_b32 v5, v[4:5], off
	s_clause 0x2
	s_load_b64 s[10:11], s[0:1], 0x30
	s_load_b64 s[8:9], s[0:1], 0x10
	s_load_b128 s[4:7], s[0:1], 0x3c
	s_wait_kmcnt 0x0
	s_cmp_lt_i32 s11, 0x100
	s_cbranch_scc1 .LBB235_21
; %bb.3:
	s_ashr_i32 s2, s11, 31
	s_abs_i32 s16, s7
	s_wait_alu 0xfffe
	s_lshr_b32 s13, s2, 24
	s_load_b128 s[0:3], s[0:1], 0x0
	s_cvt_f32_u32 s15, s16
	s_add_co_i32 s13, s11, s13
	s_ashr_i32 s14, s5, 31
	s_ashr_i32 s19, s13, 8
	v_rcp_iflag_f32_e32 v30, s15
	s_lshr_b32 s14, s14, 27
	s_mul_i32 s12, s12, s10
	s_wait_alu 0xfffe
	s_add_co_i32 s5, s5, s14
	s_mul_i32 s14, s19, s18
	s_ashr_i32 s13, s12, 31
	s_wait_alu 0xfffe
	s_ashr_i32 s15, s14, 31
	v_and_b32_e32 v1, 31, v0
	s_wait_alu 0xfffe
	s_mul_u64 s[14:15], s[14:15], 0xd2
	v_lshlrev_b32_e32 v28, 2, v0
	v_readfirstlane_b32 s17, v30
	s_lshl_b32 s10, s19, 3
	v_dual_mov_b32 v7, 0 :: v_dual_and_b32 v4, 7, v0
	v_mad_i32_i24 v9, s19, v3, s10
	s_wait_kmcnt 0x0
	s_add_nc_u64 s[0:1], s[0:1], s[12:13]
	v_lshrrev_b32_e32 v2, 1, v0
	s_wait_alu 0xfffe
	s_add_nc_u64 s[12:13], s[0:1], s[14:15]
	s_mul_f32 s0, s17, 0x4f7ffffe
	v_lshlrev_b32_e32 v19, 3, v3
	v_bfe_u32 v20, v0, 2, 8
	v_lshlrev_b32_e32 v23, 1, v1
	v_and_b32_e32 v39, 12, v28
	s_wait_loadcnt 0x0
	v_sub_nc_u32_e32 v28, 0, v5
	s_cvt_u32_f32 s0, s0
	s_sub_co_i32 s1, 0, s16
	v_add_nc_u32_e32 v10, s10, v9
	v_and_or_b32 v2, v2, 8, v4
	s_mul_i32 s1, s1, s0
	v_add_nc_u16 v4, v1, -16
	v_cmp_gt_u32_e32 vcc_lo, 16, v1
	v_add_nc_u32_e32 v25, v20, v19
	v_add_nc_u16 v42, v20, v19
	v_add_nc_u32_e32 v19, 0xe0, v23
	v_max_i32_e32 v28, v5, v28
	s_mul_hi_u32 s1, s0, s1
	v_add_nc_u32_e32 v12, s10, v10
	s_add_co_i32 s0, s0, s1
	v_lshlrev_b32_e32 v15, 2, v1
	s_wait_alu 0xfffd
	v_dual_cndmask_b32 v1, v4, v1 :: v_dual_cndmask_b32 v4, v19, v23
	v_mul_hi_u32 v51, v28, s0
	v_lshlrev_b32_e32 v11, 5, v3
	v_lshlrev_b32_e32 v21, 2, v2
	v_and_b32_e32 v17, 15, v0
	v_and_b32_e32 v2, 0xfe, v4
	v_mul_u32_u24_e32 v18, 0x41, v3
	v_add_nc_u32_e32 v24, v11, v6
	v_and_b32_e32 v43, 0x7f, v25
	v_cmp_lt_u16_e32 vcc_lo, 7, v1
	v_sub_nc_u32_e32 v2, v23, v2
	v_lshlrev_b32_e32 v27, 2, v17
	v_and_b32_e32 v4, 0x7f, v24
	v_lshrrev_b32_e32 v26, 3, v24
	v_lshlrev_b32_e32 v29, 2, v18
	v_lshlrev_b32_e32 v1, 2, v2
	v_bfe_u32 v8, v0, 5, 5
	v_mul_i32_i24_e32 v25, s19, v4
	v_and_b32_e32 v2, 12, v26
	v_lshlrev_b32_e32 v4, 2, v4
	v_add3_u32 v27, v1, v27, v29
	v_lshrrev_b16 v1, 1, v42
	v_bfe_u32 v48, v0, 3, 7
	s_wait_alu 0xfffd
	v_cndmask_b32_e64 v24, 0, 2, vcc_lo
	v_add3_u32 v40, v4, v2, 0x8e40
	v_xor_b32_e32 v4, 64, v43
	v_add_nc_u32_e32 v54, 64, v6
	v_mul_i32_i24_e32 v41, s19, v43
	v_lshl_or_b32 v2, v43, 4, v39
	v_lshlrev_b32_e32 v43, 2, v6
	v_lshrrev_b32_e32 v42, 1, v4
	v_lshl_or_b32 v46, v4, 4, v39
	v_add_nc_u32_e32 v55, 0x60, v6
	v_add_nc_u32_e32 v13, s10, v12
	v_lshlrev_b32_e32 v72, 2, v54
	v_and_b32_e32 v42, 60, v42
	v_and_b32_e32 v1, 60, v1
	v_xor_b32_e32 v53, s7, v5
	s_ashr_i32 s5, s5, 5
	v_mul_i32_i24_e32 v45, s19, v4
	v_add3_u32 v46, v46, v42, 0x8200
	v_mul_lo_u32 v42, v51, s16
	v_add3_u32 v44, v2, v1, 0x8200
	v_lshl_or_b32 v1, v3, 7, v15
	v_ashrrev_i32_e32 v57, 31, v53
	v_and_b32_e32 v4, 28, v43
	v_mul_i32_i24_e32 v19, s19, v3
	v_add_nc_u32_e32 v30, 0x30c0, v27
	v_add_nc_u32_e32 v47, 0x8a40, v1
	v_sub_nc_u32_e32 v0, v28, v42
	v_add_nc_u32_e32 v28, 1, v51
	v_add_nc_u32_e32 v1, 32, v6
	;; [unrolled: 1-line block ×3, first 2 shown]
	v_lshlrev_b32_e32 v50, 2, v8
	v_subrev_nc_u32_e32 v52, s16, v0
	v_cmp_le_u32_e32 vcc_lo, s16, v0
	v_lshrrev_b32_e32 v49, 3, v1
	v_lshlrev_b32_e32 v42, 2, v1
	v_lshlrev_b32_e32 v3, 4, v3
	s_movk_i32 s1, 0x104
	s_wait_alu 0xfffd
	v_cndmask_b32_e32 v28, v51, v28, vcc_lo
	v_cndmask_b32_e32 v0, v0, v52, vcc_lo
	v_lshrrev_b32_e32 v51, 3, v54
	v_and_b32_e32 v1, 60, v49
	v_lshrrev_b32_e32 v52, 3, v55
	v_add_nc_u32_e32 v56, 1, v28
	v_cmp_le_u32_e32 vcc_lo, s16, v0
	v_cmp_gt_u32_e64 s0, 4, v6
	v_add3_u32 v53, v43, v1, 0x8e40
	v_and_b32_e32 v1, 60, v52
	s_wait_alu 0xfffe
	v_mad_u32_u24 v60, v6, s1, 0x6180
	s_wait_alu 0xfffd
	v_cndmask_b32_e32 v0, v28, v56, vcc_lo
	v_and_b32_e32 v28, 60, v51
	v_add_nc_u32_e32 v31, 0x5140, v27
	v_add_nc_u32_e32 v32, 0x5960, v27
	;; [unrolled: 1-line block ×3, first 2 shown]
	v_xor_b32_e32 v0, v0, v57
	v_add3_u32 v54, v43, v28, 0x8e40
	v_lshlrev_b32_e32 v28, 2, v55
	v_add_nc_u32_e32 v35, 0x69a0, v27
	v_add_nc_u32_e32 v36, 0x71c0, v27
	v_sub_nc_u32_e32 v0, v0, v57
	v_add_nc_u32_e32 v37, 0x79e0, v27
	v_dual_mov_b32 v28, 0 :: v_dual_lshlrev_b32 v73, 2, v28
	v_add_nc_u32_e32 v14, s10, v13
	s_delay_alu instid0(VALU_DEP_4)
	v_mul_lo_u32 v58, v0, s5
	v_cmp_gt_i32_e64 s1, s4, v0
	v_add3_u32 v50, v50, v43, 0x8e40
	v_add3_u32 v55, v43, v1, 0x8e40
	v_add_nc_u32_e32 v16, s10, v14
	v_mul_u32_u24_e32 v56, 0x104, v6
	v_add_nc_u32_e32 v62, 0x800, v27
	v_add_nc_u32_e32 v63, 0x1000, v27
	v_ashrrev_i32_e32 v61, 31, v58
	v_add_nc_u32_e32 v17, s10, v16
	v_add_nc_u32_e32 v64, 0x1800, v27
	;; [unrolled: 1-line block ×9, first 2 shown]
	v_lshlrev_b32_e32 v71, 2, v42
	v_add_nc_u32_e32 v20, s10, v18
	v_lshlrev_b32_e32 v72, 2, v72
	v_mov_b32_e32 v42, 0
	v_mov_b32_e32 v2, 0
	s_mov_b32 s15, 0
	v_add_nc_u32_e32 v22, s10, v20
	s_wait_alu 0xfffe
	s_mov_b32 s14, s15
	s_delay_alu instid0(VALU_DEP_1) | instskip(NEXT) | instid1(VALU_DEP_1)
	v_add_nc_u32_e32 v23, s10, v22
	v_add_nc_u32_e32 v26, s10, v23
	s_delay_alu instid0(VALU_DEP_1) | instskip(NEXT) | instid1(VALU_DEP_1)
	v_add_nc_u32_e32 v29, s10, v26
	v_add_nc_u32_e32 v33, s10, v29
	s_delay_alu instid0(VALU_DEP_1)
	v_add_nc_u32_e32 v38, s10, v33
	s_movk_i32 s10, 0x2080
	s_wait_alu 0xfffe
	v_mad_u32_u24 v57, 0x104, v6, s10
	s_movk_i32 s10, 0x4100
	s_wait_alu 0xfffe
	v_mad_u32_u24 v59, 0x104, v6, s10
	v_add_co_u32 v0, s10, s2, v4
	s_wait_alu 0xf1ff
	v_add_co_ci_u32_e64 v1, null, s3, 0, s10
	s_and_b32 s10, s0, s1
	s_branch .LBB235_5
.LBB235_4:                              ;   in Loop: Header=BB235_5 Depth=1
	s_add_co_i32 s14, s14, 1
	s_wait_alu 0xfffe
	s_cmp_eq_u32 s14, s19
	s_cbranch_scc1 .LBB235_21
.LBB235_5:                              ; =>This Loop Header: Depth=1
                                        ;     Child Loop BB235_11 Depth 2
                                        ;     Child Loop BB235_19 Depth 2
	s_mul_u64 s[16:17], s[14:15], 0xd2
	s_wait_alu 0xfffe
	s_add_nc_u64 s[16:17], s[12:13], s[16:17]
	s_wait_alu 0xfffe
	v_mad_co_u64_u32 v[3:4], null, 0xd2, v8, s[16:17]
	s_delay_alu instid0(VALU_DEP_1) | instskip(SKIP_3) | instid1(VALU_DEP_4)
	v_mad_co_u64_u32 v[74:75], null, 0xd2, v19, v[3:4]
	v_mad_co_u64_u32 v[76:77], null, 0xd2, v9, v[3:4]
	;; [unrolled: 1-line block ×4, first 2 shown]
	v_add_co_u32 v80, vcc_lo, v74, v15
	s_wait_alu 0xfffd
	v_add_co_ci_u32_e64 v81, null, 0, v75, vcc_lo
	v_add_co_u32 v74, vcc_lo, v74, v21
	s_wait_alu 0xfffd
	v_add_co_ci_u32_e64 v75, null, 0, v75, vcc_lo
	;; [unrolled: 3-line block ×4, first 2 shown]
	v_add_co_u32 v84, vcc_lo, v78, v15
	v_mad_co_u64_u32 v[93:94], null, 0xd2, v13, v[3:4]
	s_wait_alu 0xfffd
	v_add_co_ci_u32_e64 v85, null, 0, v79, vcc_lo
	v_add_co_u32 v78, vcc_lo, v78, v21
	s_wait_alu 0xfffd
	v_add_co_ci_u32_e64 v79, null, 0, v79, vcc_lo
	v_add_co_u32 v95, vcc_lo, v86, v15
	;; [unrolled: 3-line block ×4, first 2 shown]
	s_wait_alu 0xfffd
	v_add_co_ci_u32_e64 v100, null, 0, v94, vcc_lo
	s_clause 0x8
	global_load_b32 v91, v[80:81], off
	global_load_b32 v92, v[74:75], off offset:128
	global_load_b32 v89, v[82:83], off
	global_load_b32 v90, v[76:77], off offset:128
	;; [unrolled: 2-line block ×4, first 2 shown]
	global_load_b32 v88, v[99:100], off
	v_mad_co_u64_u32 v[74:75], null, 0xd2, v14, v[3:4]
	v_mad_co_u64_u32 v[78:79], null, 0xd2, v16, v[3:4]
	v_add_co_u32 v76, vcc_lo, v93, v21
	s_wait_alu 0xfffd
	v_add_co_ci_u32_e64 v77, null, 0, v94, vcc_lo
	s_delay_alu instid0(VALU_DEP_4)
	v_add_co_u32 v80, vcc_lo, v74, v15
	s_wait_alu 0xfffd
	v_add_co_ci_u32_e64 v81, null, 0, v75, vcc_lo
	v_add_co_u32 v74, vcc_lo, v74, v21
	s_wait_alu 0xfffd
	v_add_co_ci_u32_e64 v75, null, 0, v75, vcc_lo
	;; [unrolled: 3-line block ×4, first 2 shown]
	s_clause 0x4
	global_load_b32 v113, v[76:77], off offset:128
	global_load_b32 v114, v[80:81], off
	global_load_b32 v115, v[74:75], off offset:128
	global_load_b32 v77, v[82:83], off
	global_load_b32 v116, v[78:79], off offset:128
	v_mad_co_u64_u32 v[74:75], null, 0xd2, v17, v[3:4]
	v_mad_co_u64_u32 v[78:79], null, 0xd2, v18, v[3:4]
	;; [unrolled: 1-line block ×4, first 2 shown]
	s_delay_alu instid0(VALU_DEP_4)
	v_add_co_u32 v99, vcc_lo, v74, v15
	s_wait_alu 0xfffd
	v_add_co_ci_u32_e64 v100, null, 0, v75, vcc_lo
	v_add_co_u32 v74, vcc_lo, v74, v21
	s_wait_alu 0xfffd
	v_add_co_ci_u32_e64 v75, null, 0, v75, vcc_lo
	s_clause 0x1
	global_load_b32 v117, v[99:100], off
	global_load_b32 v118, v[74:75], off offset:128
	v_add_co_u32 v101, vcc_lo, v78, v15
	s_wait_alu 0xfffd
	v_add_co_ci_u32_e64 v102, null, 0, v79, vcc_lo
	v_add_co_u32 v78, vcc_lo, v78, v21
	v_mad_co_u64_u32 v[93:94], null, 0xd2, v23, v[3:4]
	s_wait_alu 0xfffd
	v_add_co_ci_u32_e64 v79, null, 0, v79, vcc_lo
	v_add_co_u32 v103, vcc_lo, v80, v15
	s_wait_alu 0xfffd
	v_add_co_ci_u32_e64 v104, null, 0, v81, vcc_lo
	v_add_co_u32 v80, vcc_lo, v80, v21
	v_mad_co_u64_u32 v[95:96], null, 0xd2, v26, v[3:4]
	s_wait_alu 0xfffd
	v_add_co_ci_u32_e64 v81, null, 0, v81, vcc_lo
	v_add_co_u32 v105, vcc_lo, v82, v15
	s_wait_alu 0xfffd
	v_add_co_ci_u32_e64 v106, null, 0, v83, vcc_lo
	v_add_co_u32 v107, vcc_lo, v82, v21
	v_mad_co_u64_u32 v[97:98], null, 0xd2, v29, v[3:4]
	s_wait_alu 0xfffd
	v_add_co_ci_u32_e64 v108, null, 0, v83, vcc_lo
	v_add_co_u32 v74, vcc_lo, v93, v15
	s_wait_alu 0xfffd
	v_add_co_ci_u32_e64 v75, null, 0, v94, vcc_lo
	v_add_co_u32 v99, vcc_lo, v93, v21
	s_wait_alu 0xfffd
	v_add_co_ci_u32_e64 v100, null, 0, v94, vcc_lo
	;; [unrolled: 3-line block ×6, first 2 shown]
	s_clause 0xb
	global_load_b32 v98, v[101:102], off
	global_load_b32 v101, v[78:79], off offset:128
	global_load_b32 v83, v[103:104], off
	global_load_b32 v93, v[80:81], off offset:128
	global_load_b32 v81, v[105:106], off
	global_load_b32 v82, v[107:108], off offset:128
	global_load_b32 v79, v[74:75], off
	global_load_b32 v80, v[99:100], off offset:128
	global_load_b32 v76, v[109:110], off
	global_load_b32 v78, v[94:95], off offset:128
	global_load_b32 v74, v[111:112], off
	global_load_b32 v75, v[96:97], off offset:128
	s_wait_loadcnt 0x1b
	v_and_b32_e32 v94, 0xf0f0f0f, v91
	v_lshrrev_b32_e32 v91, 4, v91
	s_wait_loadcnt 0x1a
	v_ashrrev_i32_e32 v92, v24, v92
	s_wait_loadcnt 0x19
	v_and_b32_e32 v95, 0xf0f0f0f, v89
	v_lshrrev_b32_e32 v89, 4, v89
	s_wait_loadcnt 0x18
	v_ashrrev_i32_e32 v90, v24, v90
	s_wait_loadcnt 0x17
	v_and_b32_e32 v96, 0xf0f0f0f, v86
	v_lshrrev_b32_e32 v86, 4, v86
	s_wait_loadcnt 0x16
	v_ashrrev_i32_e32 v87, v24, v87
	s_wait_loadcnt 0x15
	v_and_b32_e32 v97, 0xf0f0f0f, v84
	v_lshrrev_b32_e32 v84, 4, v84
	s_wait_loadcnt 0x14
	v_ashrrev_i32_e32 v85, v24, v85
	s_wait_loadcnt 0x13
	v_and_b32_e32 v99, 0xf0f0f0f, v88
	v_lshrrev_b32_e32 v88, 4, v88
	v_and_b32_e32 v91, 0xf0f0f0f, v91
	v_lshlrev_b32_e32 v107, 4, v92
	v_and_b32_e32 v89, 0xf0f0f0f, v89
	v_lshlrev_b32_e32 v108, 4, v90
	;; [unrolled: 2-line block ×4, first 2 shown]
	v_and_b32_e32 v88, 0xf0f0f0f, v88
	v_and_or_b32 v94, 0x30303030, v107, v94
	v_and_or_b32 v91, 0x30303030, v92, v91
	;; [unrolled: 1-line block ×6, first 2 shown]
	s_wait_loadcnt 0x12
	v_ashrrev_i32_e32 v100, v24, v113
	s_wait_loadcnt 0x11
	v_lshrrev_b32_e32 v103, 4, v114
	s_wait_loadcnt 0x10
	v_ashrrev_i32_e32 v104, v24, v115
	v_and_b32_e32 v102, 0xf0f0f0f, v114
	v_and_or_b32 v87, 0x30303030, v110, v97
	v_lshlrev_b32_e32 v111, 4, v100
	v_and_b32_e32 v103, 0xf0f0f0f, v103
	v_lshlrev_b32_e32 v112, 4, v104
	v_and_or_b32 v84, 0x30303030, v85, v84
	v_and_or_b32 v88, 0x30303030, v100, v88
	;; [unrolled: 1-line block ×3, first 2 shown]
	v_lshrrev_b32_e32 v97, 16, v94
	v_and_b32_e32 v99, 0x3f00, v94
	v_lshlrev_b16 v94, 8, v94
	v_lshrrev_b32_e32 v100, 16, v91
	v_and_or_b32 v95, 0x30303030, v112, v102
	v_and_or_b32 v96, 0x30303030, v104, v103
	v_and_b32_e32 v102, 0x3f00, v91
	v_lshlrev_b16 v91, 8, v91
	v_lshrrev_b32_e32 v103, 16, v92
	v_lshrrev_b32_e32 v107, 16, v89
	v_and_b32_e32 v104, 0x3f00, v92
	v_lshlrev_b16 v92, 8, v92
	v_lshrrev_b32_e32 v109, 16, v90
	v_lshrrev_b32_e32 v111, 16, v86
	s_wait_loadcnt 0xe
	v_ashrrev_i32_e32 v106, v24, v116
	v_and_b32_e32 v108, 0x3f00, v89
	v_lshlrev_b16 v89, 8, v89
	v_lshrrev_b32_e32 v114, 16, v87
	v_lshrrev_b32_e32 v116, 16, v84
	v_and_b32_e32 v110, 0x3f00, v90
	v_lshlrev_b16 v90, 8, v90
	v_lshrrev_b32_e32 v120, 16, v85
	v_lshrrev_b32_e32 v122, 16, v88
	v_add_nc_u16 v94, 0xe000, v94
	v_and_b32_e32 v128, 0x3f00, v97
	v_lshlrev_b16 v97, 8, v97
	v_and_b32_e32 v129, 0x3f00, v100
	v_lshlrev_b16 v100, 8, v100
	v_add_nc_u16 v91, 0xe000, v91
	v_and_b32_e32 v130, 0x3f00, v103
	v_lshlrev_b16 v103, 8, v103
	v_and_b32_e32 v131, 0x3f00, v107
	v_lshlrev_b16 v107, 8, v107
	v_and_b32_e32 v112, 0x3f00, v86
	v_lshlrev_b16 v86, 8, v86
	v_add_nc_u16 v92, 0xe000, v92
	v_and_b32_e32 v132, 0x3f00, v109
	v_lshlrev_b16 v109, 8, v109
	v_and_b32_e32 v133, 0x3f00, v111
	v_lshlrev_b16 v111, 8, v111
	v_and_b32_e32 v115, 0x3f00, v87
	v_lshlrev_b16 v87, 8, v87
	v_and_b32_e32 v119, 0x3f00, v84
	v_lshlrev_b16 v84, 8, v84
	v_add_nc_u16 v89, 0xe000, v89
	v_and_b32_e32 v134, 0x3f00, v114
	v_lshlrev_b16 v114, 8, v114
	;; [unrolled: 9-line block ×3, first 2 shown]
	v_and_b32_e32 v137, 0x3f00, v122
	v_lshlrev_b16 v122, 8, v122
	v_lshrrev_b16 v94, 8, v94
	v_add_nc_u16 v97, 0xe000, v97
	v_add_nc_u16 v100, 0xe000, v100
	v_lshrrev_b16 v91, 8, v91
	v_add_nc_u16 v103, 0xe000, v103
	v_add_nc_u16 v107, 0xe000, v107
	v_add_nc_u16 v86, 0xe000, v86
	v_lshrrev_b16 v92, 8, v92
	v_add_nc_u16 v109, 0xe000, v109
	v_add_nc_u16 v111, 0xe000, v111
	v_add_nc_u16 v87, 0xe000, v87
	v_add_nc_u16 v84, 0xe000, v84
	v_lshrrev_b16 v89, 8, v89
	v_add_nc_u16 v114, 0xe000, v114
	;; [unrolled: 5-line block ×3, first 2 shown]
	v_add_nc_u16 v122, 0xe000, v122
	v_or_b32_e32 v94, v99, v94
	v_lshrrev_b16 v97, 8, v97
	v_lshrrev_b16 v99, 8, v100
	v_or_b32_e32 v91, v102, v91
	v_lshrrev_b16 v100, 8, v103
	v_lshrrev_b16 v102, 8, v107
	v_lshrrev_b16 v86, 8, v86
	v_or_b32_e32 v92, v104, v92
	v_lshrrev_b16 v103, 8, v109
	v_lshrrev_b16 v104, 8, v111
	v_lshrrev_b16 v87, 8, v87
	v_lshrrev_b16 v84, 8, v84
	v_or_b32_e32 v89, v108, v89
	v_lshrrev_b16 v107, 8, v114
	;; [unrolled: 5-line block ×3, first 2 shown]
	v_lshrrev_b16 v110, 8, v122
	v_or_b32_e32 v97, v128, v97
	v_or_b32_e32 v99, v129, v99
	;; [unrolled: 1-line block ×11, first 2 shown]
	v_lshrrev_b32_e32 v126, 16, v96
	v_or_b32_e32 v85, v121, v85
	v_or_b32_e32 v88, v123, v88
	v_add_nc_u16 v94, 0xe000, v94
	v_add_nc_u16 v91, 0xe000, v91
	v_or_b32_e32 v109, v136, v109
	v_or_b32_e32 v110, v137, v110
	v_add_nc_u16 v97, 0xe000, v97
	v_add_nc_u16 v99, 0xe000, v99
	;; [unrolled: 1-line block ×14, first 2 shown]
	v_and_b32_e32 v139, 0x3f00, v126
	v_lshlrev_b16 v126, 8, v126
	v_add_nc_u16 v85, 0xe000, v85
	v_add_nc_u16 v88, 0xe000, v88
	v_and_b32_e32 v94, 0xffff, v94
	v_and_b32_e32 v91, 0xffff, v91
	v_add_nc_u16 v109, 0xe000, v109
	v_add_nc_u16 v110, 0xe000, v110
	v_lshlrev_b32_e32 v97, 16, v97
	v_lshlrev_b32_e32 v99, 16, v99
	v_and_b32_e32 v92, 0xffff, v92
	v_and_b32_e32 v89, 0xffff, v89
	v_lshlrev_b32_e32 v100, 16, v100
	v_lshlrev_b32_e32 v102, 16, v102
	v_and_b32_e32 v90, 0xffff, v90
	v_and_b32_e32 v86, 0xffff, v86
	v_lshlrev_b32_e32 v103, 16, v103
	v_lshlrev_b32_e32 v104, 16, v104
	v_and_b32_e32 v127, 0x3f00, v96
	v_lshlrev_b16 v96, 8, v96
	v_and_b32_e32 v87, 0xffff, v87
	v_and_b32_e32 v84, 0xffff, v84
	v_lshlrev_b32_e32 v107, 16, v107
	v_lshlrev_b32_e32 v108, 16, v108
	v_add_nc_u16 v126, 0xe000, v126
	v_and_b32_e32 v85, 0xffff, v85
	v_and_b32_e32 v88, 0xffff, v88
	v_lshlrev_b32_e32 v109, 16, v109
	v_lshlrev_b32_e32 v110, 16, v110
	v_or_b32_e32 v94, v94, v97
	v_or_b32_e32 v91, v91, v99
	;; [unrolled: 1-line block ×6, first 2 shown]
	v_add_nc_u16 v96, 0xe000, v96
	v_or_b32_e32 v87, v87, v107
	v_or_b32_e32 v84, v84, v108
	;; [unrolled: 1-line block ×4, first 2 shown]
	ds_store_2addr_b32 v27, v94, v91 offset1:16
	ds_store_2addr_b32 v62, v92, v89 offset0:8 offset1:24
	ds_store_2addr_b32 v63, v90, v86 offset0:16 offset1:32
	;; [unrolled: 1-line block ×3, first 2 shown]
	v_lshrrev_b16 v84, 8, v126
	v_lshrrev_b32_e32 v124, 16, v95
	v_lshrrev_b16 v96, 8, v96
	ds_store_2addr_b32 v65, v85, v88 offset0:32 offset1:48
	v_and_b32_e32 v105, 0xf0f0f0f, v77
	v_or_b32_e32 v87, v139, v84
	v_mad_co_u64_u32 v[84:85], null, 0xd2, v33, v[3:4]
	v_lshlrev_b32_e32 v113, 4, v106
	v_and_b32_e32 v125, 0x3f00, v95
	v_lshlrev_b16 v95, 8, v95
	v_and_b32_e32 v138, 0x3f00, v124
	v_lshlrev_b16 v124, 8, v124
	v_or_b32_e32 v86, v127, v96
	v_and_or_b32 v89, 0x30303030, v113, v105
	v_add_nc_u16 v95, 0xe000, v95
	v_add_nc_u16 v92, 0xe000, v87
	;; [unrolled: 1-line block ×4, first 2 shown]
	v_add_co_u32 v86, vcc_lo, v84, v15
	s_wait_alu 0xfffd
	v_add_co_ci_u32_e64 v87, null, 0, v85, vcc_lo
	v_add_co_u32 v84, vcc_lo, v84, v21
	s_wait_alu 0xfffd
	v_add_co_ci_u32_e64 v85, null, 0, v85, vcc_lo
	v_lshrrev_b16 v95, 8, v95
	v_lshrrev_b16 v111, 8, v124
	v_lshrrev_b32_e32 v77, 4, v77
	v_lshlrev_b16 v90, 8, v89
	s_clause 0x1
	global_load_b32 v96, v[86:87], off
	global_load_b32 v97, v[84:85], off offset:128
	v_or_b32_e32 v95, v125, v95
	v_or_b32_e32 v111, v138, v111
	v_and_b32_e32 v77, 0xf0f0f0f, v77
	v_add_nc_u16 v90, 0xe000, v90
	v_lshrrev_b32_e32 v94, 16, v89
	v_add_nc_u16 v95, 0xe000, v95
	v_add_nc_u16 v111, 0xe000, v111
	v_and_b32_e32 v89, 0x3f00, v89
	v_lshrrev_b16 v90, 8, v90
	v_and_or_b32 v77, 0x30303030, v106, v77
	v_and_b32_e32 v95, 0xffff, v95
	v_lshlrev_b32_e32 v111, 16, v111
	v_and_b32_e32 v84, 0xffff, v91
	v_lshlrev_b32_e32 v85, 16, v92
	v_or_b32_e32 v87, v89, v90
	v_lshlrev_b16 v89, 8, v77
	v_lshrrev_b32_e32 v91, 16, v77
	v_or_b32_e32 v88, v95, v111
	v_or_b32_e32 v84, v84, v85
	v_lshlrev_b16 v95, 8, v94
	v_add_nc_u16 v85, 0xe000, v89
	v_lshlrev_b16 v89, 8, v91
	v_and_b32_e32 v77, 0x3f00, v77
	ds_store_2addr_b32 v66, v88, v84 offset0:40 offset1:56
	v_mad_co_u64_u32 v[3:4], null, 0xd2, v38, v[3:4]
	v_lshrrev_b16 v85, 8, v85
	v_add_nc_u16 v84, 0xe000, v89
	v_add_nc_u16 v86, 0xe000, v95
	v_and_b32_e32 v90, 0x3f00, v94
	s_wait_loadcnt 0xe
	v_ashrrev_i32_e32 v88, v24, v118
	v_or_b32_e32 v77, v77, v85
	v_and_b32_e32 v85, 0x3f00, v91
	v_lshrrev_b16 v84, 8, v84
	v_lshrrev_b16 v86, 8, v86
	v_lshlrev_b32_e32 v91, 4, v88
	v_lshrrev_b32_e32 v92, 4, v117
	v_add_nc_u16 v77, 0xe000, v77
	v_or_b32_e32 v89, v85, v84
	v_add_co_u32 v84, vcc_lo, v3, v15
	s_wait_alu 0xfffd
	v_add_co_ci_u32_e64 v85, null, 0, v4, vcc_lo
	v_add_co_u32 v3, vcc_lo, v3, v21
	v_or_b32_e32 v86, v90, v86
	v_and_b32_e32 v90, 0xf0f0f0f, v117
	s_wait_alu 0xfffd
	v_add_co_ci_u32_e64 v4, null, 0, v4, vcc_lo
	v_add_nc_u16 v89, 0xe000, v89
	v_add_nc_u16 v87, 0xe000, v87
	v_and_or_b32 v90, 0x30303030, v91, v90
	s_clause 0x1
	global_load_b32 v91, v[84:85], off
	global_load_b32 v94, v[3:4], off offset:128
	v_and_b32_e32 v3, 0xf0f0f0f, v92
	v_add_nc_u16 v86, 0xe000, v86
	v_and_b32_e32 v4, 0xffff, v77
	v_lshlrev_b32_e32 v77, 16, v89
	v_lshrrev_b32_e32 v84, 16, v90
	v_and_or_b32 v3, 0x30303030, v88, v3
	v_and_b32_e32 v87, 0xffff, v87
	v_lshlrev_b32_e32 v86, 16, v86
	v_or_b32_e32 v4, v4, v77
	v_lshlrev_b16 v77, 8, v84
	v_lshrrev_b32_e32 v89, 16, v3
	v_lshlrev_b16 v85, 8, v90
	v_or_b32_e32 v86, v87, v86
	v_lshlrev_b16 v87, 8, v3
	v_and_b32_e32 v88, 0x3f00, v90
	v_add_nc_u16 v77, 0xe000, v77
	v_lshlrev_b16 v90, 8, v89
	v_add_nc_u16 v85, 0xe000, v85
	v_add_nc_u16 v87, 0xe000, v87
	v_and_b32_e32 v84, 0x3f00, v84
	v_lshrrev_b16 v77, 8, v77
	ds_store_2addr_b32 v30, v86, v4 offset1:16
	v_add_nc_u16 v4, 0xe000, v90
	v_lshrrev_b16 v85, 8, v85
	v_and_b32_e32 v3, 0x3f00, v3
	v_lshrrev_b16 v87, 8, v87
	v_or_b32_e32 v77, v84, v77
	v_and_b32_e32 v84, 0x3f00, v89
	v_lshrrev_b16 v4, 8, v4
	v_or_b32_e32 v85, v88, v85
	v_or_b32_e32 v3, v3, v87
	s_wait_loadcnt 0xe
	v_ashrrev_i32_e32 v88, v24, v101
	v_add_nc_u16 v77, 0xe000, v77
	v_or_b32_e32 v4, v84, v4
	v_add_nc_u16 v85, 0xe000, v85
	v_add_nc_u16 v3, 0xe000, v3
	v_and_b32_e32 v84, 0xf0f0f0f, v98
	v_lshlrev_b32_e32 v86, 4, v88
	v_add_nc_u16 v87, 0xe000, v4
	v_and_b32_e32 v89, 0xffff, v85
	v_and_b32_e32 v90, 0xffff, v3
	v_mad_co_u64_u32 v[3:4], null, 0xd2, v25, s[16:17]
	v_and_or_b32 v92, 0x30303030, v86, v84
	v_mad_co_u64_u32 v[84:85], null, 0xd2, v41, s[16:17]
	v_lshlrev_b32_e32 v95, 16, v87
	v_mad_co_u64_u32 v[86:87], null, 0xd2, v45, s[16:17]
	global_load_u16 v100, v[3:4], off offset:208
	v_lshrrev_b32_e32 v98, 4, v98
	v_lshlrev_b16 v99, 8, v92
	v_add_co_u32 v3, vcc_lo, v84, v39
	s_wait_alu 0xfffd
	v_add_co_ci_u32_e64 v4, null, 0, v85, vcc_lo
	v_add_co_u32 v84, vcc_lo, v86, v39
	s_wait_alu 0xfffd
	v_add_co_ci_u32_e64 v85, null, 0, v87, vcc_lo
	s_clause 0x1
	global_load_b32 v3, v[3:4], off offset:192
	global_load_b32 v4, v[84:85], off offset:192
	v_and_b32_e32 v86, 0xf0f0f0f, v98
	v_lshlrev_b32_e32 v77, 16, v77
	v_add_nc_u16 v98, 0xe000, v99
	v_lshrrev_b32_e32 v87, 16, v92
	v_and_b32_e32 v84, 0x3f00, v92
	v_and_or_b32 v85, 0x30303030, v88, v86
	v_or_b32_e32 v77, v89, v77
	v_lshrrev_b16 v86, 8, v98
	v_or_b32_e32 v88, v90, v95
	v_lshlrev_b16 v89, 8, v87
	v_lshrrev_b32_e32 v90, 16, v85
	v_and_b32_e32 v87, 0x3f00, v87
	v_or_b32_e32 v84, v84, v86
	v_lshlrev_b16 v86, 8, v85
	ds_store_2addr_b32 v67, v77, v88 offset0:8 offset1:24
	v_lshlrev_b16 v88, 8, v90
	v_add_nc_u16 v77, 0xe000, v89
	v_and_b32_e32 v85, 0x3f00, v85
	v_add_nc_u16 v86, 0xe000, v86
	v_and_b32_e32 v89, 0x3f00, v90
	v_add_nc_u16 v88, 0xe000, v88
	v_lshrrev_b16 v77, 8, v77
	s_wait_loadcnt 0xf
	v_ashrrev_i32_e32 v90, v24, v93
	v_lshrrev_b16 v86, 8, v86
	v_add_nc_u16 v84, 0xe000, v84
	v_lshrrev_b16 v88, 8, v88
	v_or_b32_e32 v77, v87, v77
	v_lshlrev_b32_e32 v87, 4, v90
	v_or_b32_e32 v85, v85, v86
	v_and_b32_e32 v86, 0xf0f0f0f, v83
	v_or_b32_e32 v88, v89, v88
	v_add_nc_u16 v77, 0xe000, v77
	v_lshrrev_b32_e32 v83, 4, v83
	v_add_nc_u16 v85, 0xe000, v85
	v_and_or_b32 v86, 0x30303030, v87, v86
	v_add_nc_u16 v87, 0xe000, v88
	v_and_b32_e32 v84, 0xffff, v84
	v_lshlrev_b32_e32 v77, 16, v77
	v_and_b32_e32 v85, 0xffff, v85
	v_lshlrev_b16 v88, 8, v86
	v_lshlrev_b32_e32 v87, 16, v87
	v_and_b32_e32 v83, 0xf0f0f0f, v83
	v_or_b32_e32 v77, v84, v77
	v_lshrrev_b32_e32 v84, 16, v86
	v_add_nc_u16 v88, 0xe000, v88
	v_or_b32_e32 v85, v85, v87
	v_and_or_b32 v83, 0x30303030, v90, v83
	v_and_b32_e32 v86, 0x3f00, v86
	v_lshlrev_b16 v87, 8, v84
	v_lshrrev_b16 v88, 8, v88
	ds_store_2addr_b32 v68, v77, v85 offset0:16 offset1:32
	v_lshrrev_b32_e32 v77, 16, v83
	v_lshlrev_b16 v85, 8, v83
	v_add_nc_u16 v87, 0xe000, v87
	v_or_b32_e32 v86, v86, v88
	v_and_b32_e32 v84, 0x3f00, v84
	v_lshlrev_b16 v88, 8, v77
	v_add_nc_u16 v85, 0xe000, v85
	v_lshrrev_b16 v87, 8, v87
	v_and_b32_e32 v83, 0x3f00, v83
	s_wait_loadcnt 0xd
	v_ashrrev_i32_e32 v82, v24, v82
	v_add_nc_u16 v88, 0xe000, v88
	v_lshrrev_b16 v85, 8, v85
	v_or_b32_e32 v84, v84, v87
	v_and_b32_e32 v77, 0x3f00, v77
	v_add_nc_u16 v86, 0xe000, v86
	v_lshrrev_b16 v87, 8, v88
	v_or_b32_e32 v83, v83, v85
	v_and_b32_e32 v85, 0xf0f0f0f, v81
	v_lshlrev_b32_e32 v88, 4, v82
	v_add_nc_u16 v84, 0xe000, v84
	v_or_b32_e32 v77, v77, v87
	v_lshrrev_b32_e32 v81, 4, v81
	v_and_b32_e32 v86, 0xffff, v86
	v_and_or_b32 v85, 0x30303030, v88, v85
	v_add_nc_u16 v83, 0xe000, v83
	v_lshlrev_b32_e32 v84, 16, v84
	v_add_nc_u16 v77, 0xe000, v77
	v_and_b32_e32 v81, 0xf0f0f0f, v81
	v_lshrrev_b32_e32 v87, 16, v85
	v_lshlrev_b16 v88, 8, v85
	v_and_b32_e32 v83, 0xffff, v83
	v_lshlrev_b32_e32 v77, 16, v77
	v_or_b32_e32 v84, v86, v84
	v_lshlrev_b16 v86, 8, v87
	v_add_nc_u16 v88, 0xe000, v88
	v_and_or_b32 v81, 0x30303030, v82, v81
	v_or_b32_e32 v77, v83, v77
	v_and_b32_e32 v82, 0x3f00, v85
	v_add_nc_u16 v83, 0xe000, v86
	v_lshrrev_b16 v85, 8, v88
	v_and_b32_e32 v86, 0x3f00, v87
	v_lshrrev_b32_e32 v87, 16, v81
	v_lshlrev_b16 v88, 8, v81
	v_lshrrev_b16 v83, 8, v83
	ds_store_2addr_b32 v69, v84, v77 offset0:24 offset1:40
	v_or_b32_e32 v77, v82, v85
	v_lshlrev_b16 v82, 8, v87
	v_add_nc_u16 v84, 0xe000, v88
	s_wait_loadcnt 0xb
	v_ashrrev_i32_e32 v80, v24, v80
	v_or_b32_e32 v83, v86, v83
	v_and_b32_e32 v81, 0x3f00, v81
	v_add_nc_u16 v82, 0xe000, v82
	v_lshrrev_b16 v84, 8, v84
	v_and_b32_e32 v85, 0x3f00, v87
	v_and_b32_e32 v86, 0xf0f0f0f, v79
	v_lshlrev_b32_e32 v87, 4, v80
	v_lshrrev_b16 v82, 8, v82
	v_or_b32_e32 v81, v81, v84
	v_lshrrev_b32_e32 v79, 4, v79
	v_add_nc_u16 v77, 0xe000, v77
	v_and_or_b32 v84, 0x30303030, v87, v86
	v_or_b32_e32 v82, v85, v82
	v_add_nc_u16 v83, 0xe000, v83
	v_add_nc_u16 v81, 0xe000, v81
	v_and_b32_e32 v79, 0xf0f0f0f, v79
	v_lshlrev_b16 v85, 8, v84
	v_add_nc_u16 v82, 0xe000, v82
	v_and_b32_e32 v77, 0xffff, v77
	v_lshlrev_b32_e32 v83, 16, v83
	v_and_b32_e32 v81, 0xffff, v81
	v_add_nc_u16 v85, 0xe000, v85
	v_lshrrev_b32_e32 v86, 16, v84
	v_lshlrev_b32_e32 v82, 16, v82
	v_and_b32_e32 v84, 0x3f00, v84
	v_and_or_b32 v79, 0x30303030, v80, v79
	v_lshrrev_b16 v85, 8, v85
	v_lshlrev_b16 v87, 8, v86
	v_or_b32_e32 v77, v77, v83
	v_or_b32_e32 v80, v81, v82
	v_and_b32_e32 v83, 0x3f00, v86
	v_or_b32_e32 v82, v84, v85
	v_lshrrev_b32_e32 v84, 16, v79
	v_add_nc_u16 v81, 0xe000, v87
	v_lshlrev_b16 v85, 8, v79
	ds_store_2addr_b32 v31, v77, v80 offset1:16
	v_add_nc_u16 v77, 0xe000, v82
	v_lshlrev_b16 v80, 8, v84
	v_lshrrev_b16 v81, 8, v81
	v_add_nc_u16 v82, 0xe000, v85
	s_wait_loadcnt 0x9
	v_ashrrev_i32_e32 v78, v24, v78
	v_and_b32_e32 v79, 0x3f00, v79
	v_add_nc_u16 v80, 0xe000, v80
	v_or_b32_e32 v81, v83, v81
	v_lshrrev_b16 v82, 8, v82
	v_and_b32_e32 v83, 0x3f00, v84
	v_and_b32_e32 v84, 0xf0f0f0f, v76
	v_lshlrev_b32_e32 v85, 4, v78
	v_lshrrev_b16 v80, 8, v80
	v_or_b32_e32 v79, v79, v82
	v_lshrrev_b32_e32 v76, 4, v76
	v_add_nc_u16 v81, 0xe000, v81
	v_and_or_b32 v82, 0x30303030, v85, v84
	v_or_b32_e32 v80, v83, v80
	v_add_nc_u16 v79, 0xe000, v79
	v_and_b32_e32 v76, 0xf0f0f0f, v76
	v_and_b32_e32 v77, 0xffff, v77
	v_lshlrev_b16 v83, 8, v82
	v_add_nc_u16 v80, 0xe000, v80
	v_lshrrev_b32_e32 v84, 16, v82
	v_lshlrev_b32_e32 v81, 16, v81
	v_and_b32_e32 v79, 0xffff, v79
	v_add_nc_u16 v83, 0xe000, v83
	v_lshlrev_b32_e32 v80, 16, v80
	v_lshlrev_b16 v85, 8, v84
	v_and_or_b32 v76, 0x30303030, v78, v76
	v_and_b32_e32 v82, 0x3f00, v82
	v_lshrrev_b16 v78, 8, v83
	v_or_b32_e32 v77, v77, v81
	v_add_nc_u16 v81, 0xe000, v85
	v_or_b32_e32 v79, v79, v80
	v_lshrrev_b32_e32 v80, 16, v76
	v_or_b32_e32 v78, v82, v78
	v_and_b32_e32 v82, 0x3f00, v84
	v_lshrrev_b16 v81, 8, v81
	v_lshlrev_b16 v83, 8, v76
	v_lshlrev_b16 v84, 8, v80
	s_wait_loadcnt 0x7
	v_ashrrev_i32_e32 v75, v24, v75
	v_and_b32_e32 v76, 0x3f00, v76
	v_or_b32_e32 v81, v82, v81
	v_add_nc_u16 v82, 0xe000, v83
	v_add_nc_u16 v83, 0xe000, v84
	v_and_b32_e32 v84, 0xf0f0f0f, v74
	v_lshlrev_b32_e32 v85, 4, v75
	v_add_nc_u16 v78, 0xe000, v78
	v_lshrrev_b16 v82, 8, v82
	v_and_b32_e32 v80, 0x3f00, v80
	v_lshrrev_b16 v83, 8, v83
	v_and_or_b32 v84, 0x30303030, v85, v84
	v_add_nc_u16 v81, 0xe000, v81
	v_or_b32_e32 v76, v76, v82
	v_and_b32_e32 v78, 0xffff, v78
	v_or_b32_e32 v80, v80, v83
	v_lshrrev_b32_e32 v82, 16, v84
	v_lshlrev_b32_e32 v81, 16, v81
	v_lshlrev_b16 v83, 8, v84
	v_add_nc_u16 v76, 0xe000, v76
	v_add_nc_u16 v80, 0xe000, v80
	v_lshlrev_b16 v85, 8, v82
	v_or_b32_e32 v78, v78, v81
	v_add_nc_u16 v81, 0xe000, v83
	v_lshrrev_b32_e32 v74, 4, v74
	v_and_b32_e32 v76, 0xffff, v76
	v_add_nc_u16 v83, 0xe000, v85
	v_lshlrev_b32_e32 v80, 16, v80
	v_and_b32_e32 v84, 0x3f00, v84
	v_lshrrev_b16 v81, 8, v81
	v_and_b32_e32 v82, 0x3f00, v82
	v_lshrrev_b16 v83, 8, v83
	v_and_b32_e32 v74, 0xf0f0f0f, v74
	v_or_b32_e32 v76, v76, v80
	ds_store_2addr_b32 v32, v77, v79 offset1:16
	v_or_b32_e32 v77, v84, v81
	v_or_b32_e32 v79, v82, v83
	v_and_or_b32 v74, 0x30303030, v75, v74
	s_wait_loadcnt 0x5
	v_ashrrev_i32_e32 v75, v24, v97
	ds_store_2addr_b32 v34, v78, v76 offset1:16
	v_add_nc_u16 v76, 0xe000, v77
	v_add_nc_u16 v77, 0xe000, v79
	v_lshlrev_b16 v78, 8, v74
	v_and_b32_e32 v79, 0xf0f0f0f, v96
	v_lshlrev_b32_e32 v80, 4, v75
	v_and_b32_e32 v76, 0xffff, v76
	v_lshrrev_b32_e32 v81, 16, v74
	v_add_nc_u16 v78, 0xe000, v78
	v_lshlrev_b32_e32 v77, 16, v77
	v_and_or_b32 v79, 0x30303030, v80, v79
	v_and_b32_e32 v74, 0x3f00, v74
	v_lshlrev_b16 v80, 8, v81
	v_lshrrev_b16 v78, 8, v78
	v_or_b32_e32 v76, v76, v77
	v_lshlrev_b16 v77, 8, v79
	v_lshrrev_b32_e32 v82, 4, v96
	v_add_nc_u16 v80, 0xe000, v80
	v_or_b32_e32 v74, v74, v78
	v_and_b32_e32 v78, 0x3f00, v81
	v_add_nc_u16 v77, 0xe000, v77
	v_and_b32_e32 v81, 0xf0f0f0f, v82
	v_lshrrev_b32_e32 v82, 16, v79
	v_lshrrev_b16 v80, 8, v80
	v_and_b32_e32 v79, 0x3f00, v79
	v_lshrrev_b16 v77, 8, v77
	v_and_or_b32 v75, 0x30303030, v75, v81
	v_lshlrev_b16 v81, 8, v82
	v_or_b32_e32 v78, v78, v80
	v_add_nc_u16 v74, 0xe000, v74
	v_or_b32_e32 v77, v79, v77
	v_lshlrev_b16 v79, 8, v75
	v_add_nc_u16 v80, 0xe000, v81
	v_and_b32_e32 v81, 0x3f00, v82
	v_and_b32_e32 v82, 0x3f00, v75
	v_lshrrev_b32_e32 v75, 16, v75
	v_add_nc_u16 v79, 0xe000, v79
	v_lshrrev_b16 v80, 8, v80
	v_add_nc_u16 v78, 0xe000, v78
	s_wait_loadcnt 0x4
	v_lshrrev_b32_e32 v83, 4, v91
	v_lshlrev_b16 v85, 8, v75
	v_lshrrev_b16 v79, 8, v79
	v_or_b32_e32 v80, v81, v80
	s_wait_loadcnt 0x3
	v_ashrrev_i32_e32 v81, v24, v94
	v_and_b32_e32 v83, 0xf0f0f0f, v83
	v_and_b32_e32 v75, 0x3f00, v75
	v_or_b32_e32 v79, v82, v79
	v_and_b32_e32 v82, 0xf0f0f0f, v91
	v_lshlrev_b32_e32 v84, 4, v81
	v_and_or_b32 v81, 0x30303030, v81, v83
	v_and_b32_e32 v74, 0xffff, v74
	v_add_nc_u16 v77, 0xe000, v77
	v_lshlrev_b32_e32 v78, 16, v78
	v_and_or_b32 v82, 0x30303030, v84, v82
	v_lshrrev_b32_e32 v86, 16, v81
	v_add_nc_u16 v84, 0xe000, v85
	v_lshlrev_b16 v88, 8, v81
	v_and_b32_e32 v81, 0x3f00, v81
	v_lshrrev_b32_e32 v83, 16, v82
	v_lshlrev_b16 v85, 8, v82
	v_lshlrev_b16 v89, 8, v86
	v_add_nc_u16 v88, 0xe000, v88
	v_lshrrev_b16 v84, 8, v84
	v_lshlrev_b16 v87, 8, v83
	v_add_nc_u16 v85, 0xe000, v85
	v_add_nc_u16 v89, 0xe000, v89
	v_and_b32_e32 v82, 0x3f00, v82
	v_and_b32_e32 v83, 0x3f00, v83
	v_add_nc_u16 v87, 0xe000, v87
	v_lshrrev_b16 v85, 8, v85
	v_lshrrev_b16 v88, 8, v88
	v_and_b32_e32 v86, 0x3f00, v86
	v_lshrrev_b16 v89, 8, v89
	v_lshrrev_b16 v87, 8, v87
	v_or_b32_e32 v75, v75, v84
	v_or_b32_e32 v82, v82, v85
	v_or_b32_e32 v81, v81, v88
	v_or_b32_e32 v84, v86, v89
	v_or_b32_e32 v83, v83, v87
	v_add_nc_u16 v80, 0xe000, v80
	v_add_nc_u16 v79, 0xe000, v79
	;; [unrolled: 1-line block ×7, first 2 shown]
	v_and_b32_e32 v77, 0xffff, v77
	v_lshlrev_b32_e32 v80, 16, v80
	v_and_b32_e32 v79, 0xffff, v79
	v_lshlrev_b32_e32 v75, 16, v75
	;; [unrolled: 2-line block ×4, first 2 shown]
	v_or_b32_e32 v74, v74, v78
	v_or_b32_e32 v77, v77, v80
	;; [unrolled: 1-line block ×5, first 2 shown]
	ds_store_2addr_b32 v35, v76, v74 offset1:16
	s_wait_loadcnt 0x2
	v_cvt_f32_f16_e32 v74, v100
	s_lshl_b32 s16, s14, 8
	ds_store_2addr_b32 v36, v77, v75 offset1:16
	s_wait_alu 0xfffe
	s_cmp_lt_i32 s16, s11
	ds_store_2addr_b32 v37, v78, v79 offset1:16
	ds_store_b32 v40, v74
	s_wait_loadcnt 0x1
	ds_store_b32 v44, v3
	s_wait_loadcnt 0x0
	ds_store_b32 v46, v4
	s_cbranch_scc0 .LBB235_4
; %bb.6:                                ;   in Loop: Header=BB235_5 Depth=1
	s_lshl_b32 s17, s14, 3
	s_wait_alu 0xfffe
	v_add_nc_u32_e32 v3, s17, v48
	s_delay_alu instid0(VALU_DEP_1)
	v_cmp_gt_i32_e32 vcc_lo, s5, v3
	s_and_b32 s21, s1, vcc_lo
	s_wait_alu 0xfffe
	s_and_saveexec_b32 s20, s21
	s_cbranch_execz .LBB235_8
; %bb.7:                                ;   in Loop: Header=BB235_5 Depth=1
	v_add_nc_u32_e32 v3, v58, v3
	s_delay_alu instid0(VALU_DEP_1)
	v_mad_co_i64_i32 v[3:4], null, v3, 36, v[0:1]
	global_load_b32 v3, v[3:4], off offset:4
	s_wait_loadcnt 0x0
	ds_store_b32 v47, v3
.LBB235_8:                              ;   in Loop: Header=BB235_5 Depth=1
	s_wait_alu 0xfffe
	s_or_b32 exec_lo, exec_lo, s20
	v_add_nc_u32_e32 v77, s17, v6
	s_delay_alu instid0(VALU_DEP_1)
	v_cmp_gt_i32_e32 vcc_lo, s5, v77
	s_and_b32 s21, s10, vcc_lo
	s_wait_alu 0xfffe
	s_and_saveexec_b32 s20, s21
	s_cbranch_execz .LBB235_10
; %bb.9:                                ;   in Loop: Header=BB235_5 Depth=1
	v_add_nc_u32_e32 v3, v58, v77
	s_delay_alu instid0(VALU_DEP_1)
	v_mad_co_i64_i32 v[3:4], null, v3, 36, s[2:3]
	global_load_b32 v3, v[3:4], off
	s_wait_loadcnt 0x0
	v_cvt_f32_f16_e32 v3, v3
	ds_store_b32 v70, v3
.LBB235_10:                             ;   in Loop: Header=BB235_5 Depth=1
	s_wait_alu 0xfffe
	s_or_b32 exec_lo, exec_lo, s20
	s_wait_dscnt 0x0
	s_barrier_signal -1
	s_barrier_wait -1
	global_inv scope:SCOPE_SE
	ds_load_b32 v78, v50
	ds_load_b32 v79, v53 offset:128
	ds_load_b32 v80, v54 offset:256
	;; [unrolled: 1-line block ×3, first 2 shown]
	s_mov_b32 s21, 0
	s_mov_b32 s20, -1
.LBB235_11:                             ;   Parent Loop BB235_5 Depth=1
                                        ; =>  This Inner Loop Header: Depth=2
	s_wait_alu 0xfffe
	s_lshl_b32 s22, s21, 3
	v_lshlrev_b32_e32 v3, 2, v49
	s_wait_alu 0xfffe
	v_add_nc_u32_e32 v76, s22, v60
	v_lshl_or_b32 v82, s21, 1, v11
	s_lshr_b32 s21, s21, 1
	v_add_nc_u32_e32 v107, s22, v56
	s_wait_alu 0xfffe
	s_add_co_i32 s21, s21, 0x8200
	ds_load_b128 v[83:86], v76 offset:34
	ds_load_b64 v[91:92], v76 offset:50
	s_wait_alu 0xfffe
	v_add3_u32 v4, s21, v3, v71
	v_lshlrev_b32_e32 v120, 2, v82
	v_add_nc_u32_e32 v123, s22, v57
	v_add_nc_u32_e32 v124, s22, v59
	v_lshrrev_b32_e32 v82, 1, v82
	s_and_b32 vcc_lo, exec_lo, s20
	s_mov_b32 s20, 0
	s_wait_dscnt 0x1
	v_ashrrev_i32_e32 v108, 24, v86
	v_bfe_i32 v109, v86, 16, 8
	v_ashrrev_i32_e32 v110, 24, v84
	v_bfe_i32 v111, v84, 0, 8
	v_bfe_i32 v112, v85, 8, 8
	v_bfe_i32 v113, v85, 0, 8
	v_bfe_i32 v114, v84, 16, 8
	v_bfe_i32 v115, v84, 8, 8
	v_perm_b32 v116, v86, v83, 0xc0c0402
	v_perm_b32 v117, v85, v83, 0xc0c0600
	;; [unrolled: 1-line block ×4, first 2 shown]
	ds_load_2addr_b32 v[74:75], v107 offset0:12 offset1:13
	ds_load_b32 v121, v4
	ds_load_2addr_b32 v[93:94], v107 offset0:14 offset1:15
	ds_load_b128 v[83:86], v120 offset:35440
	ds_load_b128 v[87:90], v120 offset:35424
	s_wait_dscnt 0x1
	v_perm_b32 v4, v74, v85, 0x6040501
	v_perm_b32 v95, v83, v93, 0x6040501
	;; [unrolled: 1-line block ×3, first 2 shown]
	v_bfe_i32 v129, v84, 16, 8
	v_ashrrev_i32_e32 v133, 24, v84
	v_bfe_i32 v134, v83, 8, 8
	v_dot4_i32_iu8 v4, v95, v4, 0 neg_lo:[1,1,0]
	v_perm_b32 v95, v75, v83, 0x6040503
	v_perm_b32 v75, v93, v75, 0x7060403
	v_bfe_i32 v135, v83, 0, 8
	v_perm_b32 v136, v86, v83, 0xc0c0503
	v_perm_b32 v137, v86, v84, 0xc0c0701
	v_dot4_i32_iu8 v74, v95, v74, v4 neg_lo:[1,1,0]
	v_lshlrev_b32_e32 v4, 2, v51
	v_perm_b32 v138, v86, v84, 0xc0c0600
	v_perm_b32 v139, v86, v83, 0xc0c0402
	v_bfe_i32 v128, v85, 8, 8
	v_ashrrev_i32_e32 v130, 24, v85
	v_add3_u32 v95, s21, v4, v72
	v_bfe_i32 v131, v85, 16, 8
	v_bfe_i32 v132, v85, 0, 8
	s_wait_dscnt 0x0
	v_bfe_i32 v143, v89, 8, 8
	v_bfe_i32 v144, v88, 16, 8
	ds_load_b32 v122, v95
	ds_load_2addr_b32 v[95:96], v123 offset0:12 offset1:13
	ds_load_2addr_b32 v[97:98], v123 offset0:14 offset1:15
	;; [unrolled: 1-line block ×3, first 2 shown]
	v_ashrrev_i32_e32 v145, 24, v89
	v_bfe_i32 v146, v89, 16, 8
	v_bfe_i32 v147, v89, 0, 8
	v_ashrrev_i32_e32 v148, 24, v88
	v_bfe_i32 v149, v87, 8, 8
	v_bfe_i32 v150, v87, 0, 8
	v_perm_b32 v151, v90, v88, 0xc0c0600
	v_perm_b32 v152, v90, v87, 0xc0c0402
	;; [unrolled: 1-line block ×4, first 2 shown]
	s_wait_dscnt 0x2
	v_perm_b32 v101, v95, v85, 0x6040501
	s_wait_dscnt 0x1
	v_perm_b32 v102, v83, v97, 0x6040501
	v_perm_b32 v95, v84, v95, 0x6040503
	;; [unrolled: 1-line block ×3, first 2 shown]
	s_delay_alu instid0(VALU_DEP_3) | instskip(SKIP_2) | instid1(VALU_DEP_2)
	v_dot4_i32_iu8 v101, v102, v101, 0 neg_lo:[1,1,0]
	v_perm_b32 v102, v96, v83, 0x6040503
	v_perm_b32 v96, v85, v84, 0x7060403
	v_dot4_i32_iu8 v95, v102, v95, v101 neg_lo:[1,1,0]
	ds_load_2addr_b32 v[101:102], v124 offset0:12 offset1:13
	ds_load_2addr_b32 v[103:104], v124 offset0:14 offset1:15
	;; [unrolled: 1-line block ×3, first 2 shown]
	v_dot4_i32_iu8 v74, v96, v75, v74 neg_lo:[1,1,0]
	v_dot4_i32_iu8 v75, v96, v93, v95 neg_lo:[1,1,0]
	s_wait_dscnt 0x2
	v_perm_b32 v125, v101, v85, 0x6040501
	s_wait_dscnt 0x1
	v_perm_b32 v126, v83, v103, 0x6040501
	v_perm_b32 v101, v84, v101, 0x6040503
	s_delay_alu instid0(VALU_DEP_2) | instskip(SKIP_2) | instid1(VALU_DEP_2)
	v_dot4_i32_iu8 v125, v126, v125, 0 neg_lo:[1,1,0]
	v_perm_b32 v126, v102, v83, 0x6040503
	v_perm_b32 v102, v103, v102, 0x7060403
	v_dot4_i32_iu8 v101, v126, v101, v125 neg_lo:[1,1,0]
	v_dot4_i32_iu8 v125, v86, v94, v74 neg_lo:[1,1,0]
	;; [unrolled: 1-line block ×3, first 2 shown]
	v_perm_b32 v98, v87, v99, 0x6040501
	s_delay_alu instid0(VALU_DEP_4) | instskip(SKIP_2) | instid1(VALU_DEP_2)
	v_dot4_i32_iu8 v93, v96, v102, v101 neg_lo:[1,1,0]
	s_wait_dscnt 0x0
	v_perm_b32 v102, v87, v105, 0x6040501
	v_dot4_i32_iu8 v127, v86, v104, v93 neg_lo:[1,1,0]
	ds_load_2addr_b32 v[74:75], v107 offset0:8 offset1:9
	ds_load_2addr_b32 v[83:84], v107 offset0:10 offset1:11
	;; [unrolled: 1-line block ×3, first 2 shown]
	s_wait_dscnt 0x2
	v_perm_b32 v85, v74, v89, 0x6040501
	s_wait_dscnt 0x1
	v_perm_b32 v86, v87, v83, 0x6040501
	v_perm_b32 v74, v88, v74, 0x6040503
	s_delay_alu instid0(VALU_DEP_2) | instskip(SKIP_2) | instid1(VALU_DEP_2)
	v_dot4_i32_iu8 v85, v86, v85, 0 neg_lo:[1,1,0]
	v_perm_b32 v86, v75, v87, 0x6040503
	v_perm_b32 v75, v83, v75, 0x7060403
	v_dot4_i32_iu8 v74, v86, v74, v85 neg_lo:[1,1,0]
	ds_load_2addr_b32 v[85:86], v123 offset0:8 offset1:9
	ds_load_2addr_b32 v[95:96], v123 offset0:6 offset1:7
	s_wait_dscnt 0x1
	v_perm_b32 v97, v85, v89, 0x6040501
	v_perm_b32 v85, v88, v85, 0x6040503
	s_delay_alu instid0(VALU_DEP_2) | instskip(SKIP_2) | instid1(VALU_DEP_2)
	v_dot4_i32_iu8 v97, v98, v97, 0 neg_lo:[1,1,0]
	v_perm_b32 v98, v86, v87, 0x6040503
	v_perm_b32 v86, v99, v86, 0x7060403
	v_dot4_i32_iu8 v85, v98, v85, v97 neg_lo:[1,1,0]
	ds_load_2addr_b32 v[97:98], v124 offset0:8 offset1:9
	s_wait_dscnt 0x0
	v_perm_b32 v101, v97, v89, 0x6040501
	v_perm_b32 v97, v88, v97, 0x6040503
	;; [unrolled: 1-line block ×3, first 2 shown]
	s_delay_alu instid0(VALU_DEP_3) | instskip(SKIP_2) | instid1(VALU_DEP_2)
	v_dot4_i32_iu8 v101, v102, v101, 0 neg_lo:[1,1,0]
	v_perm_b32 v102, v98, v87, 0x6040503
	v_perm_b32 v98, v89, v88, 0x7060403
	v_dot4_i32_iu8 v97, v102, v97, v101 neg_lo:[1,1,0]
	s_delay_alu instid0(VALU_DEP_2) | instskip(SKIP_1) | instid1(VALU_DEP_3)
	v_dot4_i32_iu8 v74, v98, v75, v74 neg_lo:[1,1,0]
	v_dot4_i32_iu8 v75, v98, v86, v85 neg_lo:[1,1,0]
	;; [unrolled: 1-line block ×3, first 2 shown]
	s_delay_alu instid0(VALU_DEP_3) | instskip(NEXT) | instid1(VALU_DEP_3)
	v_dot4_i32_iu8 v140, v90, v84, v74 neg_lo:[1,1,0]
	v_dot4_i32_iu8 v141, v90, v100, v75 neg_lo:[1,1,0]
	ds_load_2addr_b32 v[74:75], v107 offset0:4 offset1:5
	v_dot4_i32_iu8 v142, v90, v106, v83 neg_lo:[1,1,0]
	ds_load_b128 v[83:86], v120 offset:35408
	ds_load_b128 v[87:90], v120 offset:35392
	s_wait_dscnt 0x2
	v_perm_b32 v97, v74, v93, 0x6050401
	s_wait_dscnt 0x1
	v_perm_b32 v120, v83, v85, 0x6050401
	v_perm_b32 v98, v75, v83, 0x6040503
	;; [unrolled: 1-line block ×4, first 2 shown]
	v_bfe_i32 v165, v83, 8, 8
	v_dot4_i32_iu8 v97, v97, v120, 0 neg_lo:[1,1,0]
	v_bfe_i32 v166, v83, 0, 8
	v_bfe_i32 v156, v86, 16, 8
	v_ashrrev_i32_e32 v157, 24, v86
	v_ashrrev_i32_e32 v158, 24, v84
	v_dot4_i32_iu8 v74, v74, v98, v97 neg_lo:[1,1,0]
	ds_load_2addr_b32 v[97:98], v123 offset0:4 offset1:5
	ds_load_2addr_b32 v[99:100], v123 offset0:2 offset1:3
	v_bfe_i32 v159, v84, 0, 8
	v_bfe_i32 v160, v84, 16, 8
	;; [unrolled: 1-line block ×4, first 2 shown]
	v_ashrrev_i32_e32 v163, 24, v85
	v_bfe_i32 v164, v85, 16, 8
	s_wait_dscnt 0x2
	v_bfe_i32 v168, v88, 0, 8
	v_bfe_i32 v169, v88, 16, 8
	v_ashrrev_i32_e32 v172, 24, v89
	v_bfe_i32 v173, v89, 16, 8
	v_bfe_i32 v174, v87, 8, 8
	;; [unrolled: 1-line block ×5, first 2 shown]
	s_wait_dscnt 0x1
	v_perm_b32 v101, v97, v95, 0x6050401
	v_perm_b32 v102, v98, v83, 0x6040503
	;; [unrolled: 1-line block ×5, first 2 shown]
	v_dot4_i32_iu8 v101, v101, v120, 0 neg_lo:[1,1,0]
	s_delay_alu instid0(VALU_DEP_2) | instskip(NEXT) | instid1(VALU_DEP_2)
	v_dot4_i32_iu8 v74, v98, v75, v74 neg_lo:[1,1,0]
	v_dot4_i32_iu8 v97, v97, v102, v101 neg_lo:[1,1,0]
	ds_load_2addr_b32 v[101:102], v124 offset0:6 offset1:7
	ds_load_2addr_b32 v[103:104], v124 offset0:4 offset1:5
	;; [unrolled: 1-line block ×3, first 2 shown]
	v_dot4_i32_iu8 v75, v98, v93, v97 neg_lo:[1,1,0]
	v_dot4_i32_iu8 v97, v94, v86, v74 neg_lo:[1,1,0]
	v_lshlrev_b32_e32 v74, 2, v48
	s_wait_dscnt 0x1
	v_perm_b32 v155, v103, v101, 0x6050401
	v_perm_b32 v103, v84, v103, 0x6040503
	;; [unrolled: 1-line block ×3, first 2 shown]
	s_delay_alu instid0(VALU_DEP_3) | instskip(SKIP_2) | instid1(VALU_DEP_2)
	v_dot4_i32_iu8 v120, v155, v120, 0 neg_lo:[1,1,0]
	v_perm_b32 v155, v104, v83, 0x6040503
	v_bfe_i32 v104, v83, 16, 8
	v_dot4_i32_iu8 v103, v103, v155, v120 neg_lo:[1,1,0]
	v_ashrrev_i32_e32 v120, 24, v83
	v_bfe_i32 v155, v85, 0, 8
	s_delay_alu instid0(VALU_DEP_3) | instskip(SKIP_3) | instid1(VALU_DEP_4)
	v_dot4_i32_iu8 v93, v98, v95, v103 neg_lo:[1,1,0]
	v_dot4_i32_iu8 v98, v96, v86, v75 neg_lo:[1,1,0]
	v_lshlrev_b32_e32 v75, 2, v43
	v_bfe_i32 v103, v85, 8, 8
	v_dot4_i32_iu8 v101, v102, v86, v93 neg_lo:[1,1,0]
	v_lshrrev_b16 v102, 8, v84
	s_delay_alu instid0(VALU_DEP_4)
	v_add3_u32 v83, s21, v74, v75
	ds_load_b32 v167, v83
	ds_load_2addr_b32 v[83:84], v107 offset0:2 offset1:3
	ds_load_2addr_b32 v[85:86], v107 offset1:1
	v_perm_b32 v107, v87, v89, 0x6050401
	v_bfe_i32 v102, v102, 0, 8
	s_wait_dscnt 0x0
	v_perm_b32 v93, v85, v83, 0x6050401
	v_perm_b32 v94, v86, v87, 0x6040503
	;; [unrolled: 1-line block ×4, first 2 shown]
	s_delay_alu instid0(VALU_DEP_4) | instskip(NEXT) | instid1(VALU_DEP_1)
	v_dot4_i32_iu8 v93, v93, v107, 0 neg_lo:[1,1,0]
	v_dot4_i32_iu8 v85, v85, v94, v93 neg_lo:[1,1,0]
	ds_load_2addr_b32 v[93:94], v123 offset1:1
	s_wait_dscnt 0x0
	v_perm_b32 v95, v93, v99, 0x6050401
	v_perm_b32 v96, v94, v87, 0x6040503
	v_perm_b32 v93, v88, v93, 0x6040503
	v_perm_b32 v86, v99, v94, 0x7060403
	v_bfe_i32 v99, v89, 8, 8
	v_dot4_i32_iu8 v95, v95, v107, 0 neg_lo:[1,1,0]
	s_delay_alu instid0(VALU_DEP_1)
	v_dot4_i32_iu8 v93, v93, v96, v95 neg_lo:[1,1,0]
	ds_load_2addr_b32 v[95:96], v124 offset1:1
	v_ashrrev_i32_e32 v124, 24, v88
	s_wait_dscnt 0x0
	v_perm_b32 v123, v95, v105, 0x6050401
	v_perm_b32 v94, v105, v96, 0x7060403
	v_perm_b32 v95, v88, v95, 0x6040503
	v_ashrrev_i32_e32 v105, 24, v87
	s_delay_alu instid0(VALU_DEP_4) | instskip(SKIP_2) | instid1(VALU_DEP_2)
	v_dot4_i32_iu8 v107, v123, v107, 0 neg_lo:[1,1,0]
	v_perm_b32 v123, v96, v87, 0x6040503
	v_perm_b32 v96, v89, v88, 0x7060403
	v_dot4_i32_iu8 v95, v95, v123, v107 neg_lo:[1,1,0]
	s_delay_alu instid0(VALU_DEP_2)
	v_dot4_i32_iu8 v83, v96, v83, v85 neg_lo:[1,1,0]
	v_dot4_i32_iu8 v85, v96, v86, v93 neg_lo:[1,1,0]
	v_bfe_i32 v107, v90, 16, 8
	v_ashrrev_i32_e32 v123, 24, v90
	v_dot4_i32_iu8 v86, v96, v94, v95 neg_lo:[1,1,0]
	v_dot4_i32_iu8 v93, v84, v90, v83 neg_lo:[1,1,0]
	v_bfe_i32 v83, v92, 16, 8
	v_dot4_i32_iu8 v94, v100, v90, v85 neg_lo:[1,1,0]
	v_lshrrev_b16 v96, 8, v88
	v_dot4_i32_iu8 v95, v106, v90, v86 neg_lo:[1,1,0]
	v_bfe_i32 v100, v87, 16, 8
	v_mul_i32_i24_e32 v83, v83, v132
	ds_load_b32 v132, v76 offset:60
	ds_load_u16 v176, v76 offset:58
	v_bfe_i32 v106, v89, 0, 8
	v_bfe_i32 v96, v96, 0, 8
	s_wait_dscnt 0x1
	v_perm_b32 v84, v132, v91, 0xc0c0501
	s_delay_alu instid0(VALU_DEP_1) | instskip(SKIP_3) | instid1(VALU_DEP_2)
	v_dot4_i32_iu8 v136, v84, v136, v83 neg_lo:[1,1,0]
	s_wait_dscnt 0x0
	v_bfe_i32 v83, v176, 0, 8
	v_perm_b32 v84, v132, v91, 0xc0c0602
	v_mul_i32_i24_e32 v83, v83, v131
	s_delay_alu instid0(VALU_DEP_1) | instskip(SKIP_3) | instid1(VALU_DEP_3)
	v_dot4_i32_iu8 v131, v84, v138, v83 neg_lo:[1,1,0]
	v_bfe_i32 v83, v92, 8, 8
	v_perm_b32 v84, v132, v91, 0xc0c0400
	v_perm_b32 v91, v132, v91, 0xc0c0703
	v_mul_i32_i24_e32 v83, v83, v133
	s_delay_alu instid0(VALU_DEP_1) | instskip(SKIP_2) | instid1(VALU_DEP_1)
	v_dot4_i32_iu8 v133, v84, v139, v83 neg_lo:[1,1,0]
	v_mul_i32_i24_e32 v83, v109, v135
	v_ashrrev_i32_e32 v84, 24, v92
	v_mad_i32_i24 v109, v84, v128, v83
	v_mul_i32_i24_e32 v83, v113, v146
	s_delay_alu instid0(VALU_DEP_1) | instskip(SKIP_1) | instid1(VALU_DEP_1)
	v_dot4_i32_iu8 v113, v116, v151, v83 neg_lo:[1,1,0]
	v_mul_i32_i24_e32 v83, v115, v148
	v_dot4_i32_iu8 v115, v117, v152, v83 neg_lo:[1,1,0]
	v_mul_i32_i24_e32 v83, v112, v145
	s_delay_alu instid0(VALU_DEP_1) | instskip(SKIP_1) | instid1(VALU_DEP_1)
	v_dot4_i32_iu8 v112, v118, v153, v83 neg_lo:[1,1,0]
	v_mul_i32_i24_e32 v83, v114, v147
	v_dot4_i32_iu8 v114, v119, v154, v83 neg_lo:[1,1,0]
	ds_load_u16 v116, v76 offset:32
	ds_load_2addr_b32 v[83:84], v76 offset0:6 offset1:7
	s_wait_dscnt 0x1
	v_bfe_i32 v85, v116, 0, 8
	s_delay_alu instid0(VALU_DEP_1) | instskip(NEXT) | instid1(VALU_DEP_1)
	v_mul_i32_i24_e32 v85, v85, v150
	v_mad_i32_i24 v110, v110, v143, v85
	s_wait_dscnt 0x0
	v_bfe_i32 v85, v84, 0, 8
	s_delay_alu instid0(VALU_DEP_1) | instskip(SKIP_4) | instid1(VALU_DEP_1)
	v_mul_i32_i24_e32 v89, v85, v162
	ds_load_2addr_b32 v[85:86], v76 offset0:4 offset1:5
	ds_load_2addr_b32 v[87:88], v76 offset0:2 offset1:3
	s_wait_dscnt 0x1
	v_bfe_i32 v90, v86, 16, 8
	v_mad_i32_i24 v117, v90, v160, v89
	v_bfe_i32 v89, v83, 16, 8
	v_bfe_i32 v90, v86, 0, 8
	s_delay_alu instid0(VALU_DEP_2) | instskip(NEXT) | instid1(VALU_DEP_1)
	v_mul_i32_i24_e32 v89, v89, v164
	v_mad_i32_i24 v118, v90, v159, v89
	v_bfe_i32 v89, v84, 8, 8
	v_ashrrev_i32_e32 v90, 24, v86
	v_lshrrev_b16 v86, 8, v86
	s_delay_alu instid0(VALU_DEP_3) | instskip(NEXT) | instid1(VALU_DEP_2)
	v_mul_i32_i24_e32 v89, v89, v161
	v_bfe_i32 v86, v86, 0, 8
	s_delay_alu instid0(VALU_DEP_2) | instskip(SKIP_2) | instid1(VALU_DEP_4)
	v_mad_i32_i24 v119, v90, v158, v89
	v_bfe_i32 v89, v85, 8, 8
	v_bfe_i32 v90, v83, 8, 8
	v_mul_i32_i24_e32 v86, v86, v102
	v_ashrrev_i32_e32 v102, 24, v85
	s_delay_alu instid0(VALU_DEP_4) | instskip(NEXT) | instid1(VALU_DEP_2)
	v_mul_i32_i24_e32 v89, v89, v165
	v_mul_i32_i24_e32 v102, v102, v120
	s_delay_alu instid0(VALU_DEP_2) | instskip(SKIP_4) | instid1(VALU_DEP_4)
	v_mad_i32_i24 v103, v90, v103, v89
	v_bfe_i32 v89, v84, 16, 8
	v_bfe_i32 v90, v83, 0, 8
	v_ashrrev_i32_e32 v83, 24, v83
	v_ashrrev_i32_e32 v84, 24, v84
	v_mul_i32_i24_e32 v89, v89, v156
	s_delay_alu instid0(VALU_DEP_3) | instskip(NEXT) | instid1(VALU_DEP_3)
	v_mul_i32_i24_e32 v83, v83, v163
	v_mul_i32_i24_e32 v84, v84, v157
	s_delay_alu instid0(VALU_DEP_3)
	v_mad_i32_i24 v128, v90, v155, v89
	ds_load_2addr_b32 v[89:90], v76 offset1:1
	s_wait_dscnt 0x1
	v_bfe_i32 v76, v88, 0, 8
	v_add3_u32 v83, v86, v83, v119
	v_bfe_i32 v86, v85, 16, 8
	v_bfe_i32 v85, v85, 0, 8
	s_delay_alu instid0(VALU_DEP_4) | instskip(NEXT) | instid1(VALU_DEP_4)
	v_mul_i32_i24_e32 v135, v76, v171
	v_add3_u32 v83, v118, v117, v83
	s_delay_alu instid0(VALU_DEP_4) | instskip(NEXT) | instid1(VALU_DEP_4)
	v_mul_i32_i24_e32 v86, v86, v104
	v_mul_i32_i24_e32 v85, v85, v166
	v_lshlrev_b32_e32 v76, 2, v52
	s_delay_alu instid0(VALU_DEP_3) | instskip(NEXT) | instid1(VALU_DEP_3)
	v_add3_u32 v86, v86, v102, v128
	v_add3_u32 v83, v83, v85, v103
	v_add_nc_u32_e32 v102, v115, v113
	s_delay_alu instid0(VALU_DEP_4)
	v_add3_u32 v138, s21, v76, v73
	s_mov_b32 s21, 8
	s_wait_dscnt 0x0
	v_bfe_i32 v139, v90, 16, 8
	v_bfe_i32 v143, v90, 0, 8
	v_ashrrev_i32_e32 v145, 24, v90
	v_lshrrev_b16 v90, 8, v90
	v_bfe_i32 v85, v89, 0, 8
	v_mad_i32_i24 v135, v139, v169, v135
	v_bfe_i32 v139, v87, 16, 8
	ds_load_b32 v138, v138
	v_bfe_i32 v90, v90, 0, 8
	v_mul_i32_i24_e32 v85, v85, v175
	v_mul_i32_i24_e32 v139, v139, v173
	s_delay_alu instid0(VALU_DEP_3) | instskip(SKIP_1) | instid1(VALU_DEP_3)
	v_mul_i32_i24_e32 v90, v90, v96
	v_ashrrev_i32_e32 v96, 24, v89
	v_mad_i32_i24 v139, v143, v168, v139
	v_bfe_i32 v143, v88, 8, 8
	s_delay_alu instid0(VALU_DEP_3) | instskip(NEXT) | instid1(VALU_DEP_2)
	v_mul_i32_i24_e32 v96, v96, v105
	v_mul_i32_i24_e32 v143, v143, v170
	s_delay_alu instid0(VALU_DEP_1) | instskip(SKIP_2) | instid1(VALU_DEP_2)
	v_mad_i32_i24 v124, v145, v124, v143
	v_bfe_i32 v143, v89, 8, 8
	v_bfe_i32 v145, v87, 8, 8
	v_mul_i32_i24_e32 v143, v143, v174
	s_delay_alu instid0(VALU_DEP_1) | instskip(SKIP_1) | instid1(VALU_DEP_1)
	v_mad_i32_i24 v99, v145, v99, v143
	v_bfe_i32 v143, v88, 16, 8
	v_mul_i32_i24_e32 v107, v143, v107
	v_bfe_i32 v143, v87, 0, 8
	v_ashrrev_i32_e32 v87, 24, v87
	s_delay_alu instid0(VALU_DEP_2) | instskip(NEXT) | instid1(VALU_DEP_2)
	v_mad_i32_i24 v106, v143, v106, v107
	v_mul_i32_i24_e32 v87, v87, v172
	v_lshrrev_b16 v107, 8, v176
	s_delay_alu instid0(VALU_DEP_2) | instskip(SKIP_1) | instid1(VALU_DEP_3)
	v_add3_u32 v87, v90, v87, v124
	v_bfe_i32 v90, v89, 16, 8
	v_bfe_i32 v107, v107, 0, 8
	;; [unrolled: 1-line block ×3, first 2 shown]
	s_delay_alu instid0(VALU_DEP_4) | instskip(NEXT) | instid1(VALU_DEP_4)
	v_add3_u32 v87, v139, v135, v87
	v_mul_i32_i24_e32 v90, v90, v100
	s_delay_alu instid0(VALU_DEP_4) | instskip(SKIP_1) | instid1(VALU_DEP_4)
	v_mul_i32_i24_e32 v107, v107, v130
	v_add_nc_u32_e32 v100, v114, v112
	v_add3_u32 v85, v87, v85, v99
	s_delay_alu instid0(VALU_DEP_4) | instskip(SKIP_3) | instid1(VALU_DEP_3)
	v_add3_u32 v90, v90, v96, v106
	v_lshrrev_b16 v96, 8, v116
	v_dot4_i32_iu8 v91, v91, v137, v107 neg_lo:[1,1,0]
	v_bfe_i32 v87, v92, 0, 8
	v_bfe_i32 v96, v96, 0, 8
	s_delay_alu instid0(VALU_DEP_3) | instskip(NEXT) | instid1(VALU_DEP_3)
	v_add_nc_u32_e32 v91, v136, v91
	v_mul_i32_i24_e32 v87, v87, v129
	s_delay_alu instid0(VALU_DEP_3) | instskip(NEXT) | instid1(VALU_DEP_1)
	v_mul_i32_i24_e32 v96, v96, v149
	v_add3_u32 v96, v102, v100, v96
	v_mul_i32_i24_e32 v100, v108, v134
	v_add_nc_u32_e32 v102, v133, v131
	s_delay_alu instid0(VALU_DEP_1) | instskip(SKIP_1) | instid1(VALU_DEP_2)
	v_add3_u32 v91, v102, v91, v100
	v_mul_i32_i24_e32 v100, v111, v144
	v_add3_u32 v92, v91, v109, v87
	v_add3_u32 v91, v83, v86, v84
	v_ashrrev_i32_e32 v83, 24, v88
	v_bfe_i32 v84, v167, 16, 8
	v_ashrrev_i32_e32 v86, 24, v121
	v_ashrrev_i32_e32 v87, 24, v122
	v_bfe_i32 v88, v167, 0, 8
	v_mul_i32_i24_e32 v83, v83, v123
	v_mul_lo_u32 v84, v140, v84
	v_add3_u32 v96, v96, v110, v100
	s_delay_alu instid0(VALU_DEP_3)
	v_add3_u32 v99, v85, v90, v83
	v_ashrrev_i32_e32 v85, 24, v167
	v_bfe_i32 v90, v122, 0, 8
	ds_load_b64 v[82:83], v82 offset:36944
	v_mad_co_u64_u32 v[84:85], null, v125, v85, v[84:85]
	v_bfe_i32 v85, v121, 16, 8
	s_delay_alu instid0(VALU_DEP_1) | instskip(NEXT) | instid1(VALU_DEP_3)
	v_mul_lo_u32 v85, v141, v85
	v_cvt_f32_i32_e32 v84, v84
	s_delay_alu instid0(VALU_DEP_2) | instskip(SKIP_1) | instid1(VALU_DEP_1)
	v_mad_co_u64_u32 v[85:86], null, v126, v86, v[85:86]
	v_bfe_i32 v86, v122, 16, 8
	v_mul_lo_u32 v86, v142, v86
	s_delay_alu instid0(VALU_DEP_3) | instskip(NEXT) | instid1(VALU_DEP_2)
	v_cvt_f32_i32_e32 v85, v85
	v_mad_co_u64_u32 v[86:87], null, v127, v87, v[86:87]
	v_bfe_i32 v87, v167, 8, 8
	s_delay_alu instid0(VALU_DEP_1) | instskip(NEXT) | instid1(VALU_DEP_3)
	v_mul_lo_u32 v87, v97, v87
	v_cvt_f32_i32_e32 v86, v86
	s_delay_alu instid0(VALU_DEP_2) | instskip(SKIP_3) | instid1(VALU_DEP_2)
	v_mad_co_u64_u32 v[87:88], null, v93, v88, v[87:88]
	v_bfe_i32 v88, v121, 8, 8
	s_wait_dscnt 0x1
	v_ashrrev_i32_e32 v93, 24, v138
	v_mul_lo_u32 v88, v98, v88
	s_delay_alu instid0(VALU_DEP_4) | instskip(SKIP_1) | instid1(VALU_DEP_1)
	v_cvt_f32_i32_e32 v87, v87
	s_wait_dscnt 0x0
	v_fma_f32 v87, v82, v87, 0
	s_delay_alu instid0(VALU_DEP_3) | instskip(SKIP_1) | instid1(VALU_DEP_3)
	v_mad_co_u64_u32 v[88:89], null, v94, v89, v[88:89]
	v_bfe_i32 v89, v122, 8, 8
	v_fmac_f32_e32 v87, v83, v84
	s_delay_alu instid0(VALU_DEP_2) | instskip(NEXT) | instid1(VALU_DEP_4)
	v_mul_lo_u32 v89, v101, v89
	v_cvt_f32_i32_e32 v88, v88
	s_delay_alu instid0(VALU_DEP_3) | instskip(NEXT) | instid1(VALU_DEP_2)
	v_fmac_f32_e32 v7, v78, v87
	v_fma_f32 v88, v82, v88, 0
	s_delay_alu instid0(VALU_DEP_4) | instskip(SKIP_1) | instid1(VALU_DEP_3)
	v_mad_co_u64_u32 v[89:90], null, v95, v90, v[89:90]
	v_bfe_i32 v90, v138, 8, 8
	v_fmac_f32_e32 v88, v83, v85
	s_delay_alu instid0(VALU_DEP_2) | instskip(SKIP_2) | instid1(VALU_DEP_4)
	v_mul_lo_u32 v90, v91, v90
	v_bfe_i32 v91, v138, 0, 8
	v_cvt_f32_i32_e32 v89, v89
	v_fmac_f32_e32 v42, v79, v88
	s_delay_alu instid0(VALU_DEP_2) | instskip(NEXT) | instid1(VALU_DEP_4)
	v_fma_f32 v89, v82, v89, 0
	v_mad_co_u64_u32 v[90:91], null, v99, v91, v[90:91]
	v_bfe_i32 v91, v138, 16, 8
	s_delay_alu instid0(VALU_DEP_3) | instskip(NEXT) | instid1(VALU_DEP_2)
	v_fmac_f32_e32 v89, v83, v86
	v_mul_lo_u32 v91, v96, v91
	s_delay_alu instid0(VALU_DEP_4) | instskip(NEXT) | instid1(VALU_DEP_3)
	v_cvt_f32_i32_e32 v90, v90
	v_fmac_f32_e32 v28, v80, v89
	s_delay_alu instid0(VALU_DEP_2) | instskip(NEXT) | instid1(VALU_DEP_4)
	v_fma_f32 v82, v82, v90, 0
	v_mad_co_u64_u32 v[91:92], null, v92, v93, v[91:92]
	s_delay_alu instid0(VALU_DEP_1) | instskip(NEXT) | instid1(VALU_DEP_1)
	v_cvt_f32_i32_e32 v91, v91
	v_fmac_f32_e32 v82, v83, v91
	s_delay_alu instid0(VALU_DEP_1)
	v_fmac_f32_e32 v2, v81, v82
	s_wait_alu 0xfffe
	s_cbranch_vccnz .LBB235_11
; %bb.12:                               ;   in Loop: Header=BB235_5 Depth=1
	s_bitset1_b32 s16, 7
	s_wait_loadcnt 0x0
	s_wait_alu 0xfffe
	s_cmp_ge_i32 s16, s11
	s_barrier_signal -1
	s_barrier_wait -1
	global_inv scope:SCOPE_SE
	s_cbranch_scc1 .LBB235_4
; %bb.13:                               ;   in Loop: Header=BB235_5 Depth=1
	v_add_nc_u32_e32 v78, s17, v49
	s_delay_alu instid0(VALU_DEP_1)
	v_cmp_gt_i32_e32 vcc_lo, s5, v78
	s_and_b32 s17, s1, vcc_lo
	s_wait_alu 0xfffe
	s_and_saveexec_b32 s16, s17
	s_cbranch_execz .LBB235_15
; %bb.14:                               ;   in Loop: Header=BB235_5 Depth=1
	v_add_nc_u32_e32 v78, v58, v78
	s_delay_alu instid0(VALU_DEP_1)
	v_mad_co_i64_i32 v[78:79], null, v78, 36, v[0:1]
	global_load_b32 v78, v[78:79], off offset:4
	s_wait_loadcnt 0x0
	ds_store_b32 v47, v78
.LBB235_15:                             ;   in Loop: Header=BB235_5 Depth=1
	s_wait_alu 0xfffe
	s_or_b32 exec_lo, exec_lo, s16
	s_and_saveexec_b32 s16, s0
	s_cbranch_execz .LBB235_18
; %bb.16:                               ;   in Loop: Header=BB235_5 Depth=1
	v_or_b32_e32 v78, 4, v77
	s_delay_alu instid0(VALU_DEP_1)
	v_cmp_gt_i32_e32 vcc_lo, s5, v78
	s_and_b32 s17, s1, vcc_lo
	s_wait_alu 0xfffe
	s_and_b32 exec_lo, exec_lo, s17
	s_cbranch_execz .LBB235_18
; %bb.17:                               ;   in Loop: Header=BB235_5 Depth=1
	v_ashrrev_i32_e32 v78, 31, v77
	v_add_co_u32 v77, vcc_lo, v58, v77
	s_wait_alu 0xfffd
	s_delay_alu instid0(VALU_DEP_2) | instskip(NEXT) | instid1(VALU_DEP_2)
	v_add_co_ci_u32_e64 v79, null, v61, v78, vcc_lo
	v_mad_co_u64_u32 v[77:78], null, v77, 36, s[2:3]
	s_delay_alu instid0(VALU_DEP_1)
	v_mad_i32_i24 v78, v79, 36, v78
	global_load_b32 v77, v[77:78], off offset:144
	s_wait_loadcnt 0x0
	v_cvt_f32_f16_e32 v77, v77
	ds_store_b32 v70, v77
.LBB235_18:                             ;   in Loop: Header=BB235_5 Depth=1
	s_wait_alu 0xfffe
	s_or_b32 exec_lo, exec_lo, s16
	s_wait_loadcnt_dscnt 0x0
	s_barrier_signal -1
	s_barrier_wait -1
	global_inv scope:SCOPE_SE
	ds_load_b32 v77, v50
	ds_load_b32 v78, v53 offset:128
	ds_load_b32 v79, v54 offset:256
	;; [unrolled: 1-line block ×3, first 2 shown]
	s_mov_b32 s16, 16
.LBB235_19:                             ;   Parent Loop BB235_5 Depth=1
                                        ; =>  This Inner Loop Header: Depth=2
	s_wait_alu 0xfffe
	s_lshl_b32 s17, s16, 3
	s_lshl_b32 s20, s16, 1
	s_wait_alu 0xfffe
	v_add_nc_u32_e32 v107, s17, v60
	s_lshr_b32 s21, s16, 1
	v_and_or_b32 v108, s20, 16, v11
	s_wait_alu 0xfffe
	s_add_co_i32 s20, s21, 0x8200
	v_add_nc_u32_e32 v109, s17, v56
	ds_load_b128 v[81:84], v107 offset:34
	ds_load_b64 v[89:90], v107 offset:50
	s_wait_alu 0xfffe
	v_add3_u32 v85, s20, v3, v71
	v_lshlrev_b32_e32 v110, 2, v108
	v_add_nc_u32_e32 v125, s17, v57
	v_add_nc_u32_e32 v126, s17, v59
	s_add_co_i32 s17, s16, 8
	s_cmp_lt_u32 s16, 24
	s_wait_alu 0xfffe
	s_mov_b32 s16, s17
	s_wait_dscnt 0x1
	v_ashrrev_i32_e32 v111, 24, v84
	v_bfe_i32 v112, v84, 16, 8
	v_ashrrev_i32_e32 v113, 24, v82
	v_bfe_i32 v114, v82, 0, 8
	v_bfe_i32 v115, v83, 8, 8
	;; [unrolled: 1-line block ×5, first 2 shown]
	v_perm_b32 v119, v84, v81, 0xc0c0402
	v_perm_b32 v120, v83, v81, 0xc0c0600
	;; [unrolled: 1-line block ×4, first 2 shown]
	ds_load_2addr_b32 v[91:92], v109 offset0:12 offset1:13
	ds_load_b32 v123, v85
	ds_load_2addr_b32 v[93:94], v109 offset0:14 offset1:15
	ds_load_b128 v[81:84], v110 offset:35440
	ds_load_b128 v[85:88], v110 offset:35424
	s_wait_dscnt 0x1
	v_perm_b32 v95, v91, v83, 0x6040501
	v_perm_b32 v96, v81, v93, 0x6040501
	;; [unrolled: 1-line block ×3, first 2 shown]
	v_bfe_i32 v130, v83, 8, 8
	v_bfe_i32 v131, v82, 16, 8
	v_ashrrev_i32_e32 v132, 24, v83
	v_dot4_i32_iu8 v95, v96, v95, 0 neg_lo:[1,1,0]
	v_perm_b32 v96, v92, v81, 0x6040503
	v_perm_b32 v92, v93, v92, 0x7060403
	v_bfe_i32 v133, v83, 16, 8
	v_bfe_i32 v134, v83, 0, 8
	v_ashrrev_i32_e32 v135, 24, v82
	v_dot4_i32_iu8 v91, v96, v91, v95 neg_lo:[1,1,0]
	v_add3_u32 v95, s20, v4, v72
	v_bfe_i32 v136, v81, 8, 8
	v_bfe_i32 v137, v81, 0, 8
	v_perm_b32 v138, v84, v82, 0xc0c0600
	v_perm_b32 v139, v84, v81, 0xc0c0402
	ds_load_b32 v124, v95
	ds_load_2addr_b32 v[95:96], v125 offset0:12 offset1:13
	ds_load_2addr_b32 v[97:98], v125 offset0:14 offset1:15
	;; [unrolled: 1-line block ×3, first 2 shown]
	v_perm_b32 v140, v84, v82, 0xc0c0701
	v_perm_b32 v141, v84, v81, 0xc0c0503
	s_wait_dscnt 0x4
	v_bfe_i32 v145, v87, 8, 8
	v_bfe_i32 v146, v86, 16, 8
	v_ashrrev_i32_e32 v147, 24, v87
	v_bfe_i32 v148, v87, 16, 8
	v_bfe_i32 v149, v87, 0, 8
	v_ashrrev_i32_e32 v150, 24, v86
	v_bfe_i32 v151, v85, 8, 8
	v_bfe_i32 v152, v85, 0, 8
	v_perm_b32 v153, v88, v86, 0xc0c0600
	v_perm_b32 v154, v88, v85, 0xc0c0402
	;; [unrolled: 1-line block ×4, first 2 shown]
	s_wait_dscnt 0x2
	v_perm_b32 v101, v95, v83, 0x6040501
	s_wait_dscnt 0x1
	v_perm_b32 v102, v81, v97, 0x6040501
	v_perm_b32 v95, v82, v95, 0x6040503
	;; [unrolled: 1-line block ×3, first 2 shown]
	s_delay_alu instid0(VALU_DEP_3) | instskip(SKIP_2) | instid1(VALU_DEP_2)
	v_dot4_i32_iu8 v101, v102, v101, 0 neg_lo:[1,1,0]
	v_perm_b32 v102, v96, v81, 0x6040503
	v_perm_b32 v96, v83, v82, 0x7060403
	v_dot4_i32_iu8 v95, v102, v95, v101 neg_lo:[1,1,0]
	ds_load_2addr_b32 v[101:102], v126 offset0:12 offset1:13
	ds_load_2addr_b32 v[103:104], v126 offset0:14 offset1:15
	;; [unrolled: 1-line block ×3, first 2 shown]
	v_dot4_i32_iu8 v91, v96, v92, v91 neg_lo:[1,1,0]
	v_dot4_i32_iu8 v92, v96, v93, v95 neg_lo:[1,1,0]
	s_wait_dscnt 0x2
	v_perm_b32 v127, v101, v83, 0x6040501
	s_wait_dscnt 0x1
	v_perm_b32 v128, v81, v103, 0x6040501
	v_perm_b32 v101, v82, v101, 0x6040503
	s_delay_alu instid0(VALU_DEP_2) | instskip(SKIP_2) | instid1(VALU_DEP_2)
	v_dot4_i32_iu8 v127, v128, v127, 0 neg_lo:[1,1,0]
	v_perm_b32 v128, v102, v81, 0x6040503
	v_perm_b32 v102, v103, v102, 0x7060403
	v_dot4_i32_iu8 v101, v128, v101, v127 neg_lo:[1,1,0]
	v_dot4_i32_iu8 v127, v84, v94, v91 neg_lo:[1,1,0]
	;; [unrolled: 1-line block ×3, first 2 shown]
	v_perm_b32 v98, v85, v99, 0x6040501
	s_delay_alu instid0(VALU_DEP_4) | instskip(SKIP_2) | instid1(VALU_DEP_2)
	v_dot4_i32_iu8 v93, v96, v102, v101 neg_lo:[1,1,0]
	s_wait_dscnt 0x0
	v_perm_b32 v102, v85, v105, 0x6040501
	v_dot4_i32_iu8 v129, v84, v104, v93 neg_lo:[1,1,0]
	ds_load_2addr_b32 v[81:82], v109 offset0:8 offset1:9
	ds_load_2addr_b32 v[83:84], v109 offset0:10 offset1:11
	;; [unrolled: 1-line block ×3, first 2 shown]
	s_wait_dscnt 0x2
	v_perm_b32 v93, v81, v87, 0x6040501
	s_wait_dscnt 0x1
	v_perm_b32 v94, v85, v83, 0x6040501
	v_perm_b32 v81, v86, v81, 0x6040503
	s_delay_alu instid0(VALU_DEP_2) | instskip(SKIP_2) | instid1(VALU_DEP_2)
	v_dot4_i32_iu8 v93, v94, v93, 0 neg_lo:[1,1,0]
	v_perm_b32 v94, v82, v85, 0x6040503
	v_perm_b32 v82, v83, v82, 0x7060403
	v_dot4_i32_iu8 v81, v94, v81, v93 neg_lo:[1,1,0]
	ds_load_2addr_b32 v[93:94], v125 offset0:8 offset1:9
	ds_load_2addr_b32 v[95:96], v125 offset0:6 offset1:7
	s_wait_dscnt 0x1
	v_perm_b32 v97, v93, v87, 0x6040501
	v_perm_b32 v93, v86, v93, 0x6040503
	s_delay_alu instid0(VALU_DEP_2) | instskip(SKIP_2) | instid1(VALU_DEP_2)
	v_dot4_i32_iu8 v97, v98, v97, 0 neg_lo:[1,1,0]
	v_perm_b32 v98, v94, v85, 0x6040503
	v_perm_b32 v94, v99, v94, 0x7060403
	v_dot4_i32_iu8 v93, v98, v93, v97 neg_lo:[1,1,0]
	ds_load_2addr_b32 v[97:98], v126 offset0:8 offset1:9
	s_wait_dscnt 0x0
	v_perm_b32 v101, v97, v87, 0x6040501
	v_perm_b32 v97, v86, v97, 0x6040503
	;; [unrolled: 1-line block ×3, first 2 shown]
	s_delay_alu instid0(VALU_DEP_3) | instskip(SKIP_2) | instid1(VALU_DEP_2)
	v_dot4_i32_iu8 v101, v102, v101, 0 neg_lo:[1,1,0]
	v_perm_b32 v102, v98, v85, 0x6040503
	v_perm_b32 v98, v87, v86, 0x7060403
	v_dot4_i32_iu8 v97, v102, v97, v101 neg_lo:[1,1,0]
	s_delay_alu instid0(VALU_DEP_2)
	v_dot4_i32_iu8 v81, v98, v82, v81 neg_lo:[1,1,0]
	v_dot4_i32_iu8 v82, v98, v94, v93 neg_lo:[1,1,0]
	ds_load_2addr_b32 v[93:94], v109 offset0:4 offset1:5
	v_dot4_i32_iu8 v83, v98, v83, v97 neg_lo:[1,1,0]
	v_dot4_i32_iu8 v142, v88, v84, v81 neg_lo:[1,1,0]
	v_dot4_i32_iu8 v143, v88, v100, v82 neg_lo:[1,1,0]
	s_delay_alu instid0(VALU_DEP_3)
	v_dot4_i32_iu8 v144, v88, v106, v83 neg_lo:[1,1,0]
	ds_load_b128 v[81:84], v110 offset:35408
	ds_load_b128 v[85:88], v110 offset:35392
	s_wait_dscnt 0x2
	v_perm_b32 v97, v93, v91, 0x6050401
	v_perm_b32 v91, v91, v94, 0x7060403
	s_wait_dscnt 0x1
	v_perm_b32 v110, v81, v83, 0x6050401
	v_perm_b32 v98, v94, v81, 0x6040503
	;; [unrolled: 1-line block ×3, first 2 shown]
	v_bfe_i32 v165, v81, 8, 8
	v_bfe_i32 v166, v81, 0, 8
	v_dot4_i32_iu8 v97, v97, v110, 0 neg_lo:[1,1,0]
	v_ashrrev_i32_e32 v158, 24, v82
	v_bfe_i32 v159, v82, 0, 8
	v_bfe_i32 v160, v82, 16, 8
	;; [unrolled: 1-line block ×3, first 2 shown]
	v_dot4_i32_iu8 v93, v93, v98, v97 neg_lo:[1,1,0]
	ds_load_2addr_b32 v[97:98], v125 offset0:4 offset1:5
	ds_load_2addr_b32 v[99:100], v125 offset0:2 offset1:3
	v_bfe_i32 v162, v84, 0, 8
	v_ashrrev_i32_e32 v163, 24, v83
	v_bfe_i32 v164, v83, 16, 8
	s_wait_dscnt 0x2
	v_bfe_i32 v168, v86, 0, 8
	v_bfe_i32 v169, v86, 16, 8
	v_ashrrev_i32_e32 v172, 24, v87
	v_bfe_i32 v173, v87, 16, 8
	v_bfe_i32 v174, v85, 8, 8
	v_bfe_i32 v175, v85, 0, 8
	v_bfe_i32 v170, v88, 8, 8
	v_bfe_i32 v171, v88, 0, 8
	s_wait_dscnt 0x1
	v_perm_b32 v101, v97, v95, 0x6050401
	v_perm_b32 v102, v98, v81, 0x6040503
	v_perm_b32 v97, v82, v97, 0x6040503
	v_perm_b32 v94, v95, v98, 0x7060403
	v_perm_b32 v98, v83, v82, 0x7060403
	v_dot4_i32_iu8 v101, v101, v110, 0 neg_lo:[1,1,0]
	s_delay_alu instid0(VALU_DEP_2) | instskip(NEXT) | instid1(VALU_DEP_2)
	v_dot4_i32_iu8 v91, v98, v91, v93 neg_lo:[1,1,0]
	v_dot4_i32_iu8 v97, v97, v102, v101 neg_lo:[1,1,0]
	ds_load_2addr_b32 v[101:102], v126 offset0:6 offset1:7
	ds_load_2addr_b32 v[103:104], v126 offset0:4 offset1:5
	;; [unrolled: 1-line block ×3, first 2 shown]
	v_dot4_i32_iu8 v93, v98, v94, v97 neg_lo:[1,1,0]
	s_delay_alu instid0(VALU_DEP_1)
	v_dot4_i32_iu8 v96, v96, v84, v93 neg_lo:[1,1,0]
	s_wait_dscnt 0x1
	v_perm_b32 v157, v103, v101, 0x6050401
	v_perm_b32 v103, v82, v103, 0x6040503
	;; [unrolled: 1-line block ×3, first 2 shown]
	v_bfe_i32 v101, v83, 8, 8
	s_delay_alu instid0(VALU_DEP_4) | instskip(SKIP_2) | instid1(VALU_DEP_2)
	v_dot4_i32_iu8 v110, v157, v110, 0 neg_lo:[1,1,0]
	v_perm_b32 v157, v104, v81, 0x6040503
	v_bfe_i32 v104, v83, 0, 8
	v_dot4_i32_iu8 v103, v103, v157, v110 neg_lo:[1,1,0]
	v_bfe_i32 v110, v84, 16, 8
	v_ashrrev_i32_e32 v157, 24, v84
	s_delay_alu instid0(VALU_DEP_3) | instskip(SKIP_3) | instid1(VALU_DEP_4)
	v_dot4_i32_iu8 v94, v98, v95, v103 neg_lo:[1,1,0]
	v_ashrrev_i32_e32 v103, 24, v81
	v_dot4_i32_iu8 v95, v92, v84, v91 neg_lo:[1,1,0]
	v_lshrrev_b16 v98, 8, v82
	v_dot4_i32_iu8 v97, v102, v84, v94 neg_lo:[1,1,0]
	v_bfe_i32 v102, v81, 16, 8
	v_add3_u32 v81, s20, v74, v75
	ds_load_b32 v167, v81
	ds_load_2addr_b32 v[81:82], v109 offset0:2 offset1:3
	ds_load_2addr_b32 v[83:84], v109 offset1:1
	v_perm_b32 v109, v85, v87, 0x6050401
	v_bfe_i32 v98, v98, 0, 8
	s_wait_dscnt 0x0
	v_perm_b32 v91, v83, v81, 0x6050401
	v_perm_b32 v92, v84, v85, 0x6040503
	;; [unrolled: 1-line block ×4, first 2 shown]
	s_delay_alu instid0(VALU_DEP_4) | instskip(NEXT) | instid1(VALU_DEP_1)
	v_dot4_i32_iu8 v91, v91, v109, 0 neg_lo:[1,1,0]
	v_dot4_i32_iu8 v83, v83, v92, v91 neg_lo:[1,1,0]
	ds_load_2addr_b32 v[91:92], v125 offset1:1
	s_wait_dscnt 0x0
	v_perm_b32 v93, v91, v99, 0x6050401
	v_perm_b32 v94, v92, v85, 0x6040503
	;; [unrolled: 1-line block ×4, first 2 shown]
	v_bfe_i32 v99, v87, 8, 8
	v_dot4_i32_iu8 v93, v93, v109, 0 neg_lo:[1,1,0]
	s_delay_alu instid0(VALU_DEP_1)
	v_dot4_i32_iu8 v91, v91, v94, v93 neg_lo:[1,1,0]
	ds_load_2addr_b32 v[93:94], v126 offset1:1
	v_ashrrev_i32_e32 v126, 24, v86
	s_wait_dscnt 0x0
	v_perm_b32 v125, v93, v105, 0x6050401
	v_perm_b32 v92, v105, v94, 0x7060403
	;; [unrolled: 1-line block ×3, first 2 shown]
	v_ashrrev_i32_e32 v105, 24, v85
	s_delay_alu instid0(VALU_DEP_4) | instskip(SKIP_2) | instid1(VALU_DEP_2)
	v_dot4_i32_iu8 v109, v125, v109, 0 neg_lo:[1,1,0]
	v_perm_b32 v125, v94, v85, 0x6040503
	v_perm_b32 v94, v87, v86, 0x7060403
	v_dot4_i32_iu8 v93, v93, v125, v109 neg_lo:[1,1,0]
	s_delay_alu instid0(VALU_DEP_2)
	v_dot4_i32_iu8 v81, v94, v81, v83 neg_lo:[1,1,0]
	v_dot4_i32_iu8 v83, v94, v84, v91 neg_lo:[1,1,0]
	v_bfe_i32 v109, v88, 16, 8
	v_ashrrev_i32_e32 v125, 24, v88
	v_dot4_i32_iu8 v84, v94, v92, v93 neg_lo:[1,1,0]
	v_dot4_i32_iu8 v91, v82, v88, v81 neg_lo:[1,1,0]
	ds_load_u16 v81, v107 offset:58
	ds_load_b32 v82, v107 offset:60
	v_dot4_i32_iu8 v92, v100, v88, v83 neg_lo:[1,1,0]
	v_lshrrev_b16 v94, 8, v86
	v_dot4_i32_iu8 v93, v106, v88, v84 neg_lo:[1,1,0]
	v_bfe_i32 v100, v85, 16, 8
	v_bfe_i32 v106, v87, 0, 8
	s_delay_alu instid0(VALU_DEP_4)
	v_bfe_i32 v94, v94, 0, 8
	s_wait_dscnt 0x1
	v_bfe_i32 v83, v81, 0, 8
	s_wait_dscnt 0x0
	v_perm_b32 v84, v82, v89, 0xc0c0602
	v_lshrrev_b16 v81, 8, v81
	s_delay_alu instid0(VALU_DEP_3) | instskip(NEXT) | instid1(VALU_DEP_2)
	v_mul_i32_i24_e32 v83, v83, v133
	v_bfe_i32 v81, v81, 0, 8
	s_delay_alu instid0(VALU_DEP_2) | instskip(SKIP_2) | instid1(VALU_DEP_4)
	v_dot4_i32_iu8 v133, v84, v138, v83 neg_lo:[1,1,0]
	v_bfe_i32 v83, v90, 8, 8
	v_perm_b32 v84, v82, v89, 0xc0c0400
	v_mul_i32_i24_e32 v81, v81, v132
	s_delay_alu instid0(VALU_DEP_3) | instskip(NEXT) | instid1(VALU_DEP_1)
	v_mul_i32_i24_e32 v83, v83, v135
	v_dot4_i32_iu8 v135, v84, v139, v83 neg_lo:[1,1,0]
	v_perm_b32 v83, v82, v89, 0xc0c0703
	v_perm_b32 v82, v82, v89, 0xc0c0501
	s_delay_alu instid0(VALU_DEP_2) | instskip(SKIP_1) | instid1(VALU_DEP_1)
	v_dot4_i32_iu8 v132, v83, v140, v81 neg_lo:[1,1,0]
	v_bfe_i32 v81, v90, 16, 8
	v_mul_i32_i24_e32 v81, v81, v134
	s_delay_alu instid0(VALU_DEP_1) | instskip(SKIP_3) | instid1(VALU_DEP_4)
	v_dot4_i32_iu8 v89, v82, v141, v81 neg_lo:[1,1,0]
	v_mul_i32_i24_e32 v81, v112, v137
	v_ashrrev_i32_e32 v82, 24, v90
	v_bfe_i32 v90, v90, 0, 8
	v_add_nc_u32_e32 v89, v89, v132
	s_delay_alu instid0(VALU_DEP_3) | instskip(SKIP_1) | instid1(VALU_DEP_4)
	v_mad_i32_i24 v112, v82, v130, v81
	v_mul_i32_i24_e32 v81, v116, v148
	v_mul_i32_i24_e32 v90, v90, v131
	s_delay_alu instid0(VALU_DEP_2) | instskip(SKIP_1) | instid1(VALU_DEP_1)
	v_dot4_i32_iu8 v116, v119, v153, v81 neg_lo:[1,1,0]
	v_mul_i32_i24_e32 v81, v118, v150
	v_dot4_i32_iu8 v118, v120, v154, v81 neg_lo:[1,1,0]
	v_mul_i32_i24_e32 v81, v115, v147
	s_delay_alu instid0(VALU_DEP_1) | instskip(SKIP_1) | instid1(VALU_DEP_1)
	v_dot4_i32_iu8 v115, v121, v155, v81 neg_lo:[1,1,0]
	v_mul_i32_i24_e32 v81, v117, v149
	v_dot4_i32_iu8 v117, v122, v156, v81 neg_lo:[1,1,0]
	ds_load_u16 v119, v107 offset:32
	ds_load_2addr_b32 v[81:82], v107 offset0:6 offset1:7
	s_wait_dscnt 0x1
	v_bfe_i32 v83, v119, 0, 8
	s_delay_alu instid0(VALU_DEP_1) | instskip(NEXT) | instid1(VALU_DEP_1)
	v_mul_i32_i24_e32 v83, v83, v152
	v_mad_i32_i24 v113, v113, v145, v83
	s_wait_dscnt 0x0
	v_bfe_i32 v83, v82, 0, 8
	s_delay_alu instid0(VALU_DEP_1) | instskip(SKIP_4) | instid1(VALU_DEP_1)
	v_mul_i32_i24_e32 v87, v83, v162
	ds_load_2addr_b32 v[83:84], v107 offset0:4 offset1:5
	ds_load_2addr_b32 v[85:86], v107 offset0:2 offset1:3
	s_wait_dscnt 0x1
	v_bfe_i32 v88, v84, 16, 8
	v_mad_i32_i24 v120, v88, v160, v87
	v_bfe_i32 v87, v81, 16, 8
	v_bfe_i32 v88, v84, 0, 8
	s_delay_alu instid0(VALU_DEP_2) | instskip(NEXT) | instid1(VALU_DEP_1)
	v_mul_i32_i24_e32 v87, v87, v164
	v_mad_i32_i24 v121, v88, v159, v87
	v_bfe_i32 v87, v82, 8, 8
	v_ashrrev_i32_e32 v88, 24, v84
	v_lshrrev_b16 v84, 8, v84
	s_delay_alu instid0(VALU_DEP_3) | instskip(NEXT) | instid1(VALU_DEP_2)
	v_mul_i32_i24_e32 v87, v87, v161
	v_bfe_i32 v84, v84, 0, 8
	s_delay_alu instid0(VALU_DEP_2) | instskip(SKIP_2) | instid1(VALU_DEP_4)
	v_mad_i32_i24 v122, v88, v158, v87
	v_bfe_i32 v87, v83, 8, 8
	v_bfe_i32 v88, v81, 8, 8
	v_mul_i32_i24_e32 v84, v84, v98
	v_ashrrev_i32_e32 v98, 24, v83
	s_delay_alu instid0(VALU_DEP_4) | instskip(NEXT) | instid1(VALU_DEP_2)
	v_mul_i32_i24_e32 v87, v87, v165
	v_mul_i32_i24_e32 v98, v98, v103
	s_delay_alu instid0(VALU_DEP_2) | instskip(SKIP_4) | instid1(VALU_DEP_4)
	v_mad_i32_i24 v101, v88, v101, v87
	v_bfe_i32 v87, v82, 16, 8
	v_bfe_i32 v88, v81, 0, 8
	v_ashrrev_i32_e32 v81, 24, v81
	v_ashrrev_i32_e32 v82, 24, v82
	v_mul_i32_i24_e32 v87, v87, v110
	v_add3_u32 v110, s20, v76, v73
	s_delay_alu instid0(VALU_DEP_4) | instskip(NEXT) | instid1(VALU_DEP_4)
	v_mul_i32_i24_e32 v81, v81, v163
	v_mul_i32_i24_e32 v82, v82, v157
	s_delay_alu instid0(VALU_DEP_4)
	v_mad_i32_i24 v104, v88, v104, v87
	ds_load_2addr_b32 v[87:88], v107 offset1:1
	s_wait_dscnt 0x1
	v_bfe_i32 v107, v86, 0, 8
	v_add3_u32 v81, v84, v81, v122
	v_bfe_i32 v84, v83, 16, 8
	v_bfe_i32 v83, v83, 0, 8
	ds_load_b32 v110, v110
	v_mul_i32_i24_e32 v107, v107, v171
	v_add3_u32 v81, v121, v120, v81
	v_mul_i32_i24_e32 v84, v84, v102
	v_mul_i32_i24_e32 v83, v83, v166
	s_delay_alu instid0(VALU_DEP_2) | instskip(SKIP_1) | instid1(VALU_DEP_3)
	v_add3_u32 v84, v84, v98, v104
	v_add_nc_u32_e32 v98, v135, v133
	v_add3_u32 v81, v81, v83, v101
	s_wait_dscnt 0x1
	v_bfe_i32 v130, v88, 16, 8
	v_bfe_i32 v134, v88, 0, 8
	v_ashrrev_i32_e32 v137, 24, v88
	v_lshrrev_b16 v88, 8, v88
	v_bfe_i32 v83, v87, 0, 8
	v_mad_i32_i24 v107, v130, v169, v107
	v_bfe_i32 v130, v85, 16, 8
	s_delay_alu instid0(VALU_DEP_4) | instskip(NEXT) | instid1(VALU_DEP_4)
	v_bfe_i32 v88, v88, 0, 8
	v_mul_i32_i24_e32 v83, v83, v175
	s_delay_alu instid0(VALU_DEP_3) | instskip(NEXT) | instid1(VALU_DEP_3)
	v_mul_i32_i24_e32 v130, v130, v173
	v_mul_i32_i24_e32 v88, v88, v94
	v_ashrrev_i32_e32 v94, 24, v87
	s_delay_alu instid0(VALU_DEP_3) | instskip(SKIP_1) | instid1(VALU_DEP_3)
	v_mad_i32_i24 v130, v134, v168, v130
	v_bfe_i32 v134, v86, 8, 8
	v_mul_i32_i24_e32 v94, v94, v105
	s_delay_alu instid0(VALU_DEP_2) | instskip(NEXT) | instid1(VALU_DEP_1)
	v_mul_i32_i24_e32 v134, v134, v170
	v_mad_i32_i24 v126, v137, v126, v134
	v_bfe_i32 v134, v87, 8, 8
	v_bfe_i32 v137, v85, 8, 8
	s_delay_alu instid0(VALU_DEP_2) | instskip(NEXT) | instid1(VALU_DEP_1)
	v_mul_i32_i24_e32 v134, v134, v174
	v_mad_i32_i24 v99, v137, v99, v134
	v_bfe_i32 v134, v86, 16, 8
	s_delay_alu instid0(VALU_DEP_1) | instskip(SKIP_2) | instid1(VALU_DEP_2)
	v_mul_i32_i24_e32 v109, v134, v109
	v_bfe_i32 v134, v85, 0, 8
	v_ashrrev_i32_e32 v85, 24, v85
	v_mad_i32_i24 v106, v134, v106, v109
	s_delay_alu instid0(VALU_DEP_2) | instskip(NEXT) | instid1(VALU_DEP_1)
	v_mul_i32_i24_e32 v85, v85, v172
	v_add3_u32 v85, v88, v85, v126
	v_bfe_i32 v88, v87, 16, 8
	v_bfe_i32 v87, v167, 0, 8
	s_delay_alu instid0(VALU_DEP_3) | instskip(NEXT) | instid1(VALU_DEP_3)
	v_add3_u32 v85, v130, v107, v85
	v_mul_i32_i24_e32 v88, v88, v100
	v_add_nc_u32_e32 v100, v118, v116
	s_delay_alu instid0(VALU_DEP_3) | instskip(NEXT) | instid1(VALU_DEP_3)
	v_add3_u32 v83, v85, v83, v99
	v_add3_u32 v88, v88, v94, v106
	v_mul_i32_i24_e32 v94, v111, v136
	v_ashrrev_i32_e32 v85, 24, v123
	s_delay_alu instid0(VALU_DEP_2) | instskip(SKIP_2) | instid1(VALU_DEP_2)
	v_add3_u32 v89, v98, v89, v94
	v_lshrrev_b16 v94, 8, v119
	v_add_nc_u32_e32 v98, v117, v115
	v_bfe_i32 v94, v94, 0, 8
	s_delay_alu instid0(VALU_DEP_1) | instskip(NEXT) | instid1(VALU_DEP_1)
	v_mul_i32_i24_e32 v94, v94, v151
	v_add3_u32 v94, v100, v98, v94
	v_add3_u32 v98, v89, v112, v90
	v_mul_i32_i24_e32 v89, v114, v146
	s_delay_alu instid0(VALU_DEP_1)
	v_add3_u32 v90, v94, v113, v89
	v_add3_u32 v94, v81, v84, v82
	v_ashrrev_i32_e32 v81, 24, v86
	v_ashrrev_i32_e32 v84, 24, v167
	;; [unrolled: 1-line block ×3, first 2 shown]
	v_bfe_i32 v89, v124, 0, 8
	s_delay_alu instid0(VALU_DEP_4) | instskip(NEXT) | instid1(VALU_DEP_1)
	v_mul_i32_i24_e32 v81, v81, v125
	v_add3_u32 v99, v83, v88, v81
	v_bfe_i32 v83, v167, 16, 8
	v_bfe_i32 v88, v123, 0, 8
	v_lshrrev_b32_e32 v81, 1, v108
	s_delay_alu instid0(VALU_DEP_3) | instskip(SKIP_3) | instid1(VALU_DEP_1)
	v_mul_lo_u32 v83, v142, v83
	ds_load_b64 v[81:82], v81 offset:36944
	v_mad_co_u64_u32 v[83:84], null, v127, v84, v[83:84]
	v_bfe_i32 v84, v123, 16, 8
	v_mul_lo_u32 v84, v143, v84
	s_delay_alu instid0(VALU_DEP_3) | instskip(NEXT) | instid1(VALU_DEP_2)
	v_cvt_f32_i32_e32 v83, v83
	v_mad_co_u64_u32 v[84:85], null, v128, v85, v[84:85]
	v_bfe_i32 v85, v124, 16, 8
	s_delay_alu instid0(VALU_DEP_1) | instskip(NEXT) | instid1(VALU_DEP_3)
	v_mul_lo_u32 v85, v144, v85
	v_cvt_f32_i32_e32 v84, v84
	s_delay_alu instid0(VALU_DEP_2) | instskip(SKIP_1) | instid1(VALU_DEP_1)
	v_mad_co_u64_u32 v[85:86], null, v129, v86, v[85:86]
	v_bfe_i32 v86, v167, 8, 8
	v_mul_lo_u32 v86, v95, v86
	s_wait_dscnt 0x1
	v_bfe_i32 v95, v110, 0, 8
	s_delay_alu instid0(VALU_DEP_4) | instskip(NEXT) | instid1(VALU_DEP_3)
	v_cvt_f32_i32_e32 v85, v85
	v_mad_co_u64_u32 v[86:87], null, v91, v87, v[86:87]
	v_bfe_i32 v87, v123, 8, 8
	v_bfe_i32 v91, v110, 8, 8
	s_delay_alu instid0(VALU_DEP_2) | instskip(NEXT) | instid1(VALU_DEP_4)
	v_mul_lo_u32 v87, v96, v87
	v_cvt_f32_i32_e32 v86, v86
	s_wait_dscnt 0x0
	s_delay_alu instid0(VALU_DEP_1) | instskip(NEXT) | instid1(VALU_DEP_3)
	v_fma_f32 v86, v81, v86, 0
	v_mad_co_u64_u32 v[87:88], null, v92, v88, v[87:88]
	v_bfe_i32 v88, v124, 8, 8
	v_bfe_i32 v92, v110, 16, 8
	s_delay_alu instid0(VALU_DEP_4) | instskip(NEXT) | instid1(VALU_DEP_3)
	v_fmac_f32_e32 v86, v82, v83
	v_mul_lo_u32 v88, v97, v88
	s_delay_alu instid0(VALU_DEP_3) | instskip(SKIP_1) | instid1(VALU_DEP_4)
	v_mul_lo_u32 v90, v90, v92
	v_cvt_f32_i32_e32 v87, v87
	v_fmac_f32_e32 v7, v77, v86
	s_delay_alu instid0(VALU_DEP_2) | instskip(SKIP_3) | instid1(VALU_DEP_4)
	v_fma_f32 v87, v81, v87, 0
	v_mad_co_u64_u32 v[88:89], null, v93, v89, v[88:89]
	v_mul_lo_u32 v89, v94, v91
	v_ashrrev_i32_e32 v93, 24, v110
	v_fmac_f32_e32 v87, v82, v84
	s_delay_alu instid0(VALU_DEP_4) | instskip(NEXT) | instid1(VALU_DEP_2)
	v_cvt_f32_i32_e32 v88, v88
	v_fmac_f32_e32 v42, v78, v87
	v_mad_co_u64_u32 v[91:92], null, v99, v95, v[89:90]
	s_delay_alu instid0(VALU_DEP_3) | instskip(NEXT) | instid1(VALU_DEP_2)
	v_fma_f32 v88, v81, v88, 0
	v_mad_co_u64_u32 v[89:90], null, v98, v93, v[90:91]
	v_cvt_f32_i32_e32 v90, v91
	s_delay_alu instid0(VALU_DEP_3) | instskip(NEXT) | instid1(VALU_DEP_2)
	v_fmac_f32_e32 v88, v82, v85
	v_fma_f32 v81, v81, v90, 0
	s_delay_alu instid0(VALU_DEP_4) | instskip(NEXT) | instid1(VALU_DEP_1)
	v_cvt_f32_i32_e32 v89, v89
	v_dual_fmac_f32 v28, v79, v88 :: v_dual_fmac_f32 v81, v82, v89
	s_delay_alu instid0(VALU_DEP_1)
	v_fmac_f32_e32 v2, v80, v81
	s_cbranch_scc1 .LBB235_19
; %bb.20:                               ;   in Loop: Header=BB235_5 Depth=1
	s_wait_loadcnt 0x0
	s_barrier_signal -1
	s_barrier_wait -1
	global_inv scope:SCOPE_SE
	s_branch .LBB235_4
.LBB235_21:
	s_mul_i32 s0, s7, s4
	s_wait_loadcnt 0x0
	s_wait_alu 0xfffe
	v_cmp_gt_i32_e32 vcc_lo, s0, v5
	s_and_saveexec_b32 s0, vcc_lo
	s_cbranch_execz .LBB235_30
; %bb.22:
	v_mul_lo_u32 v0, v5, s6
	v_add_nc_u32_e32 v1, s18, v6
	s_mov_b32 s0, exec_lo
	s_delay_alu instid0(VALU_DEP_1)
	v_cmpx_gt_u32_e64 s6, v1
	s_cbranch_execz .LBB235_24
; %bb.23:
	v_bfe_u32 v4, v7, 16, 1
	s_delay_alu instid0(VALU_DEP_4) | instskip(SKIP_1) | instid1(VALU_DEP_3)
	v_add_nc_u32_e32 v3, v0, v1
	v_cmp_o_f32_e32 vcc_lo, v7, v7
	v_add3_u32 v5, v7, v4, 0x7fff
	v_mov_b32_e32 v4, 0
	s_delay_alu instid0(VALU_DEP_2) | instskip(NEXT) | instid1(VALU_DEP_2)
	v_lshrrev_b32_e32 v5, 16, v5
	v_lshlrev_b64_e32 v[3:4], 1, v[3:4]
	s_wait_alu 0xfffd
	s_delay_alu instid0(VALU_DEP_2) | instskip(NEXT) | instid1(VALU_DEP_2)
	v_cndmask_b32_e32 v5, 0x7fc0, v5, vcc_lo
	v_add_co_u32 v3, vcc_lo, s8, v3
	s_wait_alu 0xfffd
	s_delay_alu instid0(VALU_DEP_3)
	v_add_co_ci_u32_e64 v4, null, s9, v4, vcc_lo
	global_store_b16 v[3:4], v5, off
.LBB235_24:
	s_wait_alu 0xfffe
	s_or_b32 exec_lo, exec_lo, s0
	v_add_nc_u32_e32 v3, 32, v1
	s_mov_b32 s0, exec_lo
	s_delay_alu instid0(VALU_DEP_1)
	v_cmpx_gt_u32_e64 s6, v3
	s_cbranch_execz .LBB235_26
; %bb.25:
	v_bfe_u32 v4, v42, 16, 1
	v_add_nc_u32_e32 v3, v0, v3
	v_cmp_o_f32_e32 vcc_lo, v42, v42
	s_delay_alu instid0(VALU_DEP_3) | instskip(SKIP_1) | instid1(VALU_DEP_2)
	v_add3_u32 v5, v42, v4, 0x7fff
	v_mov_b32_e32 v4, 0
	v_lshrrev_b32_e32 v5, 16, v5
	s_delay_alu instid0(VALU_DEP_2) | instskip(SKIP_1) | instid1(VALU_DEP_2)
	v_lshlrev_b64_e32 v[3:4], 1, v[3:4]
	s_wait_alu 0xfffd
	v_cndmask_b32_e32 v5, 0x7fc0, v5, vcc_lo
	s_delay_alu instid0(VALU_DEP_2) | instskip(SKIP_1) | instid1(VALU_DEP_3)
	v_add_co_u32 v3, vcc_lo, s8, v3
	s_wait_alu 0xfffd
	v_add_co_ci_u32_e64 v4, null, s9, v4, vcc_lo
	global_store_b16 v[3:4], v5, off
.LBB235_26:
	s_wait_alu 0xfffe
	s_or_b32 exec_lo, exec_lo, s0
	v_add_nc_u32_e32 v3, 64, v1
	s_mov_b32 s0, exec_lo
	s_delay_alu instid0(VALU_DEP_1)
	v_cmpx_gt_u32_e64 s6, v3
	s_cbranch_execz .LBB235_28
; %bb.27:
	v_bfe_u32 v4, v28, 16, 1
	v_add_nc_u32_e32 v3, v0, v3
	v_cmp_o_f32_e32 vcc_lo, v28, v28
	s_delay_alu instid0(VALU_DEP_3) | instskip(SKIP_1) | instid1(VALU_DEP_2)
	v_add3_u32 v5, v28, v4, 0x7fff
	v_mov_b32_e32 v4, 0
	v_lshrrev_b32_e32 v5, 16, v5
	s_delay_alu instid0(VALU_DEP_2) | instskip(SKIP_1) | instid1(VALU_DEP_2)
	v_lshlrev_b64_e32 v[3:4], 1, v[3:4]
	s_wait_alu 0xfffd
	v_cndmask_b32_e32 v5, 0x7fc0, v5, vcc_lo
	s_delay_alu instid0(VALU_DEP_2) | instskip(SKIP_1) | instid1(VALU_DEP_3)
	v_add_co_u32 v3, vcc_lo, s8, v3
	s_wait_alu 0xfffd
	v_add_co_ci_u32_e64 v4, null, s9, v4, vcc_lo
	global_store_b16 v[3:4], v5, off
.LBB235_28:
	s_wait_alu 0xfffe
	s_or_b32 exec_lo, exec_lo, s0
	v_add_nc_u32_e32 v1, 0x60, v1
	s_delay_alu instid0(VALU_DEP_1)
	v_cmp_gt_u32_e32 vcc_lo, s6, v1
	s_and_b32 exec_lo, exec_lo, vcc_lo
	s_cbranch_execz .LBB235_30
; %bb.29:
	v_bfe_u32 v3, v2, 16, 1
	v_dual_mov_b32 v1, 0 :: v_dual_add_nc_u32 v0, v0, v1
	v_cmp_o_f32_e32 vcc_lo, v2, v2
	s_delay_alu instid0(VALU_DEP_3) | instskip(NEXT) | instid1(VALU_DEP_3)
	v_add3_u32 v3, v2, v3, 0x7fff
	v_lshlrev_b64_e32 v[0:1], 1, v[0:1]
	s_delay_alu instid0(VALU_DEP_2) | instskip(SKIP_1) | instid1(VALU_DEP_1)
	v_lshrrev_b32_e32 v3, 16, v3
	s_wait_alu 0xfffd
	v_cndmask_b32_e32 v2, 0x7fc0, v3, vcc_lo
	s_delay_alu instid0(VALU_DEP_3)
	v_add_co_u32 v0, vcc_lo, s8, v0
	s_wait_alu 0xfffd
	v_add_co_ci_u32_e64 v1, null, s9, v1, vcc_lo
	global_store_b16 v[0:1], v2, off
.LBB235_30:
	s_nop 0
	s_sendmsg sendmsg(MSG_DEALLOC_VGPRS)
	s_endpgm
	.section	.rodata,"a",@progbits
	.p2align	6, 0x0
	.amdhsa_kernel _ZL8moe_q6_KIN3c108BFloat16ELb0EEvPKvS3_PT_PKiS7_S7_iiiiiii
		.amdhsa_group_segment_fixed_size 37072
		.amdhsa_private_segment_fixed_size 0
		.amdhsa_kernarg_size 76
		.amdhsa_user_sgpr_count 2
		.amdhsa_user_sgpr_dispatch_ptr 0
		.amdhsa_user_sgpr_queue_ptr 0
		.amdhsa_user_sgpr_kernarg_segment_ptr 1
		.amdhsa_user_sgpr_dispatch_id 0
		.amdhsa_user_sgpr_private_segment_size 0
		.amdhsa_wavefront_size32 1
		.amdhsa_uses_dynamic_stack 0
		.amdhsa_enable_private_segment 0
		.amdhsa_system_sgpr_workgroup_id_x 1
		.amdhsa_system_sgpr_workgroup_id_y 1
		.amdhsa_system_sgpr_workgroup_id_z 0
		.amdhsa_system_sgpr_workgroup_info 0
		.amdhsa_system_vgpr_workitem_id 1
		.amdhsa_next_free_vgpr 217
		.amdhsa_next_free_sgpr 23
		.amdhsa_reserve_vcc 1
		.amdhsa_float_round_mode_32 0
		.amdhsa_float_round_mode_16_64 0
		.amdhsa_float_denorm_mode_32 3
		.amdhsa_float_denorm_mode_16_64 3
		.amdhsa_fp16_overflow 0
		.amdhsa_workgroup_processor_mode 1
		.amdhsa_memory_ordered 1
		.amdhsa_forward_progress 1
		.amdhsa_inst_pref_size 126
		.amdhsa_round_robin_scheduling 0
		.amdhsa_exception_fp_ieee_invalid_op 0
		.amdhsa_exception_fp_denorm_src 0
		.amdhsa_exception_fp_ieee_div_zero 0
		.amdhsa_exception_fp_ieee_overflow 0
		.amdhsa_exception_fp_ieee_underflow 0
		.amdhsa_exception_fp_ieee_inexact 0
		.amdhsa_exception_int_div_zero 0
	.end_amdhsa_kernel
	.section	.text._ZL8moe_q6_KIN3c108BFloat16ELb0EEvPKvS3_PT_PKiS7_S7_iiiiiii,"axG",@progbits,_ZL8moe_q6_KIN3c108BFloat16ELb0EEvPKvS3_PT_PKiS7_S7_iiiiiii,comdat
.Lfunc_end235:
	.size	_ZL8moe_q6_KIN3c108BFloat16ELb0EEvPKvS3_PT_PKiS7_S7_iiiiiii, .Lfunc_end235-_ZL8moe_q6_KIN3c108BFloat16ELb0EEvPKvS3_PT_PKiS7_S7_iiiiiii
                                        ; -- End function
	.set _ZL8moe_q6_KIN3c108BFloat16ELb0EEvPKvS3_PT_PKiS7_S7_iiiiiii.num_vgpr, 177
	.set _ZL8moe_q6_KIN3c108BFloat16ELb0EEvPKvS3_PT_PKiS7_S7_iiiiiii.num_agpr, 0
	.set _ZL8moe_q6_KIN3c108BFloat16ELb0EEvPKvS3_PT_PKiS7_S7_iiiiiii.numbered_sgpr, 23
	.set _ZL8moe_q6_KIN3c108BFloat16ELb0EEvPKvS3_PT_PKiS7_S7_iiiiiii.num_named_barrier, 0
	.set _ZL8moe_q6_KIN3c108BFloat16ELb0EEvPKvS3_PT_PKiS7_S7_iiiiiii.private_seg_size, 0
	.set _ZL8moe_q6_KIN3c108BFloat16ELb0EEvPKvS3_PT_PKiS7_S7_iiiiiii.uses_vcc, 1
	.set _ZL8moe_q6_KIN3c108BFloat16ELb0EEvPKvS3_PT_PKiS7_S7_iiiiiii.uses_flat_scratch, 0
	.set _ZL8moe_q6_KIN3c108BFloat16ELb0EEvPKvS3_PT_PKiS7_S7_iiiiiii.has_dyn_sized_stack, 0
	.set _ZL8moe_q6_KIN3c108BFloat16ELb0EEvPKvS3_PT_PKiS7_S7_iiiiiii.has_recursion, 0
	.set _ZL8moe_q6_KIN3c108BFloat16ELb0EEvPKvS3_PT_PKiS7_S7_iiiiiii.has_indirect_call, 0
	.section	.AMDGPU.csdata,"",@progbits
; Kernel info:
; codeLenInByte = 16100
; TotalNumSgprs: 25
; NumVgprs: 177
; ScratchSize: 0
; MemoryBound: 0
; FloatMode: 240
; IeeeMode: 1
; LDSByteSize: 37072 bytes/workgroup (compile time only)
; SGPRBlocks: 0
; VGPRBlocks: 27
; NumSGPRsForWavesPerEU: 25
; NumVGPRsForWavesPerEU: 217
; Occupancy: 6
; WaveLimiterHint : 1
; COMPUTE_PGM_RSRC2:SCRATCH_EN: 0
; COMPUTE_PGM_RSRC2:USER_SGPR: 2
; COMPUTE_PGM_RSRC2:TRAP_HANDLER: 0
; COMPUTE_PGM_RSRC2:TGID_X_EN: 1
; COMPUTE_PGM_RSRC2:TGID_Y_EN: 1
; COMPUTE_PGM_RSRC2:TGID_Z_EN: 0
; COMPUTE_PGM_RSRC2:TIDIG_COMP_CNT: 1
	.section	.text._ZL8moe_q6_KIN3c108BFloat16ELb1EEvPKvS3_PT_PKiS7_S7_iiiiiii,"axG",@progbits,_ZL8moe_q6_KIN3c108BFloat16ELb1EEvPKvS3_PT_PKiS7_S7_iiiiiii,comdat
	.globl	_ZL8moe_q6_KIN3c108BFloat16ELb1EEvPKvS3_PT_PKiS7_S7_iiiiiii ; -- Begin function _ZL8moe_q6_KIN3c108BFloat16ELb1EEvPKvS3_PT_PKiS7_S7_iiiiiii
	.p2align	8
	.type	_ZL8moe_q6_KIN3c108BFloat16ELb1EEvPKvS3_PT_PKiS7_S7_iiiiiii,@function
_ZL8moe_q6_KIN3c108BFloat16ELb1EEvPKvS3_PT_PKiS7_S7_iiiiiii: ; @_ZL8moe_q6_KIN3c108BFloat16ELb1EEvPKvS3_PT_PKiS7_S7_iiiiiii
; %bb.0:
	s_load_b128 s[4:7], s[0:1], 0x18
	s_mov_b32 s2, ttmp7
	s_mov_b32 s3, 0
	s_delay_alu instid0(SALU_CYCLE_1)
	s_lshl_b64 s[2:3], s[2:3], 2
	s_wait_kmcnt 0x0
	s_add_nc_u64 s[2:3], s[6:7], s[2:3]
	s_load_b32 s14, s[2:3], 0x0
	s_wait_kmcnt 0x0
	s_cmp_gt_u32 s14, 0xff
	s_cbranch_scc1 .LBB236_30
; %bb.1:
	s_load_b64 s[2:3], s[0:1], 0x28
	s_wait_kmcnt 0x0
	s_load_b32 s3, s[2:3], 0x0
	s_lshl_b32 s2, ttmp7, 3
	s_wait_kmcnt 0x0
	s_cmp_gt_u32 s2, s3
	s_cbranch_scc1 .LBB236_30
; %bb.2:
	v_bfe_u32 v19, v0, 10, 10
	v_mov_b32_e32 v16, 0
	s_lshl_b32 s11, ttmp9, 7
	s_delay_alu instid0(VALU_DEP_2) | instskip(NEXT) | instid1(VALU_DEP_2)
	v_add_nc_u32_e32 v15, s2, v19
	v_dual_mov_b32 v24, v16 :: v_dual_and_b32 v23, 0x3ff, v0
	v_mov_b32_e32 v45, v16
	v_mov_b32_e32 v51, v16
	s_delay_alu instid0(VALU_DEP_4) | instskip(NEXT) | instid1(VALU_DEP_1)
	v_lshlrev_b64_e32 v[1:2], 2, v[15:16]
	v_add_co_u32 v1, vcc_lo, s4, v1
	s_delay_alu instid0(VALU_DEP_1)
	v_add_co_ci_u32_e64 v2, null, s5, v2, vcc_lo
	global_load_b32 v22, v[1:2], off
	s_clause 0x2
	s_load_b128 s[4:7], s[0:1], 0x30
	s_load_b64 s[12:13], s[0:1], 0x10
	s_load_b96 s[8:10], s[0:1], 0x40
	s_wait_kmcnt 0x0
	s_cmp_lt_i32 s5, 0x100
	s_cbranch_scc1 .LBB236_21
; %bb.3:
	v_dual_mov_b32 v24, 0 :: v_dual_and_b32 v1, 31, v0
	s_load_b128 s[0:3], s[0:1], 0x0
	s_ashr_i32 s15, s5, 31
	s_mul_i32 s14, s14, s4
	s_delay_alu instid0(VALU_DEP_1)
	v_lshlrev_b32_e32 v3, 1, v1
	v_add_nc_u16 v4, v1, -16
	v_cmp_gt_u32_e32 vcc_lo, 16, v1
	s_lshr_b32 s4, s15, 24
	s_ashr_i32 s16, s8, 31
	v_add_nc_u32_e32 v5, 0xe0, v3
	v_lshrrev_b32_e32 v2, 1, v0
	s_wait_alu 0xfffd
	v_cndmask_b32_e32 v4, v4, v1, vcc_lo
	v_and_b32_e32 v6, 7, v0
	s_wait_alu 0xfffe
	s_add_co_i32 s4, s5, s4
	v_cndmask_b32_e32 v5, v5, v3, vcc_lo
	s_lshr_b32 s16, s16, 27
	s_wait_alu 0xfffe
	s_ashr_i32 s4, s4, 8
	s_add_co_i32 s8, s8, s16
	s_wait_alu 0xfffe
	s_mul_i32 s16, s4, s11
	v_and_b32_e32 v5, 0xfe, v5
	v_and_or_b32 v2, v2, 8, v6
	s_ashr_i32 s15, s14, 31
	s_ashr_i32 s17, s16, 31
	v_lshlrev_b32_e32 v26, 2, v1
	v_sub_nc_u32_e32 v1, v3, v5
	v_add_nc_u32_e32 v5, 8, v19
	s_mul_u64 s[16:17], s[16:17], 0xd2
	s_wait_kmcnt 0x0
	s_add_nc_u64 s[0:1], s[0:1], s[14:15]
	s_not_b32 s18, s11
	s_add_nc_u64 s[14:15], s[0:1], s[16:17]
	s_add_co_i32 s0, s6, s18
	v_lshlrev_b32_e32 v27, 2, v2
	v_and_b32_e32 v2, 15, v0
	v_cmp_lt_u16_e32 vcc_lo, 7, v4
	v_min_i32_e32 v4, s0, v5
	v_add_nc_u32_e32 v5, 16, v19
	v_add_nc_u32_e32 v6, 24, v19
	;; [unrolled: 1-line block ×3, first 2 shown]
	v_min_i32_e32 v3, s0, v19
	v_add_lshl_u32 v17, v1, v2, 2
	v_add_nc_u32_e32 v8, 40, v19
	v_add_nc_u32_e32 v9, 48, v19
	v_min_i32_e32 v5, s0, v5
	v_add_nc_u32_e32 v10, 56, v19
	v_lshlrev_b32_e32 v39, 5, v19
	v_min_i32_e32 v6, s0, v6
	v_add_nc_u32_e32 v11, 64, v19
	v_min_i32_e32 v7, s0, v7
	v_add_nc_u32_e32 v12, 0x48, v19
	v_mad_co_u64_u32 v[1:2], null, 0x104, v3, v[17:18]
	v_min_i32_e32 v8, s0, v8
	v_add_nc_u32_e32 v13, 0x50, v19
	v_mul_lo_u32 v29, v3, s4
	v_mad_co_u64_u32 v[2:3], null, 0x104, v4, v[17:18]
	v_min_i32_e32 v9, s0, v9
	v_mul_lo_u32 v30, v4, s4
	v_mad_co_u64_u32 v[3:4], null, 0x104, v5, v[17:18]
	v_min_i32_e32 v10, s0, v10
	v_add_nc_u32_e32 v16, v39, v23
	v_mul_lo_u32 v31, v5, s4
	v_mad_co_u64_u32 v[4:5], null, 0x104, v6, v[17:18]
	v_min_i32_e32 v11, s0, v11
	v_mul_lo_u32 v32, v6, s4
	v_mad_co_u64_u32 v[5:6], null, 0x104, v7, v[17:18]
	v_min_i32_e32 v12, s0, v12
	;; [unrolled: 3-line block ×3, first 2 shown]
	v_add_nc_u32_e32 v14, 0x58, v19
	v_mul_lo_u32 v34, v8, s4
	v_mad_co_u64_u32 v[7:8], null, 0x104, v9, v[17:18]
	v_mul_lo_u32 v35, v9, s4
	v_mad_co_u64_u32 v[8:9], null, 0x104, v10, v[17:18]
	v_and_b32_e32 v16, 0x7f, v16
	v_mul_lo_u32 v36, v10, s4
	v_mad_co_u64_u32 v[9:10], null, 0x104, v11, v[17:18]
	v_mul_lo_u32 v37, v11, s4
	v_mad_co_u64_u32 v[10:11], null, 0x104, v12, v[17:18]
	v_mul_lo_u32 v38, v12, s4
	v_min_i32_e32 v14, s0, v14
	v_add_nc_u32_e32 v15, 0x60, v19
	v_mad_co_u64_u32 v[11:12], null, 0x104, v13, v[17:18]
	v_add_nc_u32_e32 v18, 0x68, v19
	v_min_i32_e32 v21, s0, v16
	v_bfe_u32 v16, v0, 2, 8
	v_mul_lo_u32 v40, v13, s4
	v_min_i32_e32 v15, s0, v15
	v_mad_co_u64_u32 v[12:13], null, 0x104, v14, v[17:18]
	v_min_i32_e32 v18, s0, v18
	v_add_nc_u32_e32 v20, 0x70, v19
	v_ashrrev_i32_e32 v45, 31, v21
	v_lshl_add_u32 v16, v19, 3, v16
	s_abs_i32 s1, s10
	v_mul_lo_u32 v41, v14, s4
	s_wait_alu 0xfffe
	s_cvt_f32_u32 s6, s1
	v_mad_co_u64_u32 v[13:14], null, 0x104, v15, v[17:18]
	v_mul_lo_u32 v42, v15, s4
	v_mul_lo_u32 v43, v18, s4
	v_min_i32_e32 v20, s0, v20
	v_mad_co_u64_u32 v[14:15], null, 0x104, v18, v[17:18]
	v_add_nc_u32_e32 v18, 0x78, v19
	v_lshrrev_b32_e32 v45, 27, v45
	v_and_b32_e32 v46, 0x7f, v16
	v_rcp_iflag_f32_e32 v49, s6
	v_mul_lo_u32 v44, v20, s4
	v_mad_co_u64_u32 v[15:16], null, 0x104, v20, v[17:18]
	v_min_i32_e32 v16, s0, v18
	v_add_nc_u32_e32 v18, v21, v45
	v_min_i32_e32 v20, s0, v46
	v_xor_b32_e32 v45, 64, v46
	s_sub_co_i32 s6, 0, s1
	v_mul_lo_u32 v46, v16, s4
	v_ashrrev_i32_e32 v48, 5, v18
	v_ashrrev_i32_e32 v47, 31, v20
	v_min_i32_e32 v45, s0, v45
	v_readfirstlane_b32 s0, v49
	v_mad_co_u64_u32 v[17:18], null, 0x104, v16, v[17:18]
	s_delay_alu instid0(VALU_DEP_4)
	v_lshrrev_b32_e32 v16, 29, v47
	v_mul_lo_u32 v47, v21, s4
	v_lshlrev_b32_e32 v48, 2, v48
	v_lshlrev_b32_e32 v21, 2, v21
	s_mul_f32 s0, s0, 0x4f7ffffe
	v_ashrrev_i32_e32 v18, 31, v45
	v_lshlrev_b32_e32 v50, 2, v0
	v_bfe_u32 v25, v0, 5, 5
	v_add3_u32 v48, v48, v21, 0x8e40
	s_wait_loadcnt 0x0
	v_sub_nc_u32_e32 v21, 0, v22
	s_wait_alu 0xfffe
	s_cvt_u32_f32 s0, s0
	v_lshrrev_b32_e32 v18, 29, v18
	v_and_b32_e32 v49, 12, v50
	v_lshlrev_b32_e32 v52, 2, v23
	s_wait_alu 0xfffe
	s_mul_i32 s6, s6, s0
	v_max_i32_e32 v21, v22, v21
	s_wait_alu 0xfffe
	s_mul_hi_u32 s6, s0, s6
	v_add_nc_u32_e32 v18, v45, v18
	s_wait_alu 0xfffe
	s_add_co_i32 s0, s0, s6
	v_lshlrev_b32_e32 v59, 2, v25
	s_wait_alu 0xfffe
	v_mul_hi_u32 v51, v21, s0
	v_lshlrev_b32_e32 v56, 4, v19
	v_ashrrev_i32_e32 v18, 3, v18
	s_wait_alu 0xfffd
	v_cndmask_b32_e64 v28, 0, 2, vcc_lo
	v_add_nc_u32_e32 v63, 0x60, v23
	v_xor_b32_e32 v61, s10, v22
	v_add_nc_u32_e32 v16, v20, v16
	v_lshlrev_b32_e32 v18, 2, v18
	v_mul_lo_u32 v58, v51, s1
	v_lshrrev_b32_e32 v60, 3, v63
	v_ashrrev_i32_e32 v64, 31, v61
	v_ashrrev_i32_e32 v16, 3, v16
	v_add3_u32 v71, v18, v49, 0x8200
	v_lshl_or_b32 v18, v19, 7, v26
	s_ashr_i32 s8, s8, 5
	v_and_b32_e32 v69, 28, v52
	v_sub_nc_u32_e32 v19, v21, v58
	v_add3_u32 v58, v59, v52, 0x8e40
	v_add_nc_u32_e32 v21, 1, v51
	v_add_nc_u32_e32 v55, 0x8a40, v18
	;; [unrolled: 1-line block ×3, first 2 shown]
	v_subrev_nc_u32_e32 v59, s1, v19
	v_cmp_le_u32_e32 vcc_lo, s1, v19
	v_lshlrev_b32_e32 v16, 2, v16
	v_mul_lo_u32 v50, v20, s4
	v_lshrrev_b32_e32 v57, 3, v18
	s_wait_alu 0xfffd
	v_dual_cndmask_b32 v21, v51, v21 :: v_dual_lshlrev_b32 v72, 2, v18
	v_cndmask_b32_e32 v19, v19, v59, vcc_lo
	v_add_nc_u32_e32 v51, 64, v23
	v_and_b32_e32 v18, 60, v57
	v_add3_u32 v16, v16, v49, 0x8200
	v_add_nc_u32_e32 v62, 1, v21
	v_cmp_le_u32_e32 vcc_lo, s1, v19
	v_lshrrev_b32_e32 v59, 3, v51
	v_add3_u32 v61, v52, v18, 0x8e40
	v_and_b32_e32 v18, 60, v60
	s_movk_i32 s1, 0x2080
	s_wait_alu 0xfffd
	v_cndmask_b32_e32 v19, v21, v62, vcc_lo
	v_and_b32_e32 v21, 60, v59
	v_lshlrev_b32_e32 v20, 4, v20
	v_mul_lo_u32 v53, v45, s4
	v_lshlrev_b32_e32 v45, 4, v45
	v_xor_b32_e32 v19, v19, v64
	v_add3_u32 v62, v52, v21, 0x8e40
	v_lshlrev_b32_e32 v21, 2, v63
	v_add3_u32 v63, v52, v18, 0x8e40
	v_lshlrev_b32_e32 v51, 2, v51
	v_sub_nc_u32_e32 v18, v19, v64
	s_wait_alu 0xfffe
	v_mad_u32_u24 v65, 0x104, v23, s1
	s_movk_i32 s1, 0x4100
	s_movk_i32 s6, 0x6180
	v_cmp_gt_u32_e64 s0, 4, v23
	v_mul_lo_u32 v66, v18, s8
	s_wait_alu 0xfffe
	v_mad_u32_u24 v67, 0x104, v23, s1
	v_mad_u32_u24 v68, 0x104, v23, s6
	v_cmp_gt_i32_e64 s1, s7, v18
	v_add_co_u32 v18, s6, s2, v69
	v_add_nc_u32_e32 v54, 0x9050, v52
	v_bfe_u32 v0, v0, 3, 7
	v_mul_u32_u24_e32 v64, 0x104, v23
	s_wait_alu 0xf1ff
	v_add_co_ci_u32_e64 v19, null, s3, 0, s6
	v_ashrrev_i32_e32 v69, 31, v66
	v_add_nc_u32_e32 v70, v16, v20
	v_add_nc_u32_e32 v71, v71, v45
	v_lshlrev_b32_e32 v72, 2, v72
	v_lshlrev_b32_e32 v73, 2, v51
	v_dual_mov_b32 v51, 0 :: v_dual_lshlrev_b32 v74, 2, v21
	v_dual_mov_b32 v45, 0 :: v_dual_mov_b32 v16, 0
	s_mov_b32 s17, 0
	s_and_b32 s6, s0, s1
	s_mov_b32 s16, s17
	s_branch .LBB236_5
.LBB236_4:                              ;   in Loop: Header=BB236_5 Depth=1
	s_add_co_i32 s16, s16, 1
	s_delay_alu instid0(SALU_CYCLE_1)
	s_cmp_eq_u32 s16, s4
	s_cbranch_scc1 .LBB236_21
.LBB236_5:                              ; =>This Loop Header: Depth=1
                                        ;     Child Loop BB236_11 Depth 2
                                        ;     Child Loop BB236_19 Depth 2
	s_mul_u64 s[18:19], s[16:17], 0xd2
	s_wait_alu 0xfffe
	s_add_nc_u64 s[18:19], s[14:15], s[18:19]
	s_wait_alu 0xfffe
	v_mad_co_u64_u32 v[20:21], null, 0xd2, v25, s[18:19]
	s_delay_alu instid0(VALU_DEP_1) | instskip(SKIP_3) | instid1(VALU_DEP_4)
	v_mad_co_i64_i32 v[75:76], null, 0xd2, v29, v[20:21]
	v_mad_co_i64_i32 v[77:78], null, 0xd2, v30, v[20:21]
	;; [unrolled: 1-line block ×4, first 2 shown]
	v_add_co_u32 v81, vcc_lo, v75, v26
	s_wait_alu 0xfffd
	v_add_co_ci_u32_e64 v82, null, 0, v76, vcc_lo
	v_add_co_u32 v75, vcc_lo, v75, v27
	s_wait_alu 0xfffd
	v_add_co_ci_u32_e64 v76, null, 0, v76, vcc_lo
	;; [unrolled: 3-line block ×4, first 2 shown]
	v_add_co_u32 v85, vcc_lo, v79, v26
	v_mad_co_i64_i32 v[94:95], null, 0xd2, v33, v[20:21]
	s_wait_alu 0xfffd
	v_add_co_ci_u32_e64 v86, null, 0, v80, vcc_lo
	v_add_co_u32 v79, vcc_lo, v79, v27
	s_wait_alu 0xfffd
	v_add_co_ci_u32_e64 v80, null, 0, v80, vcc_lo
	v_add_co_u32 v96, vcc_lo, v87, v26
	s_wait_alu 0xfffd
	v_add_co_ci_u32_e64 v97, null, 0, v88, vcc_lo
	v_add_co_u32 v98, vcc_lo, v87, v27
	s_wait_alu 0xfffd
	v_add_co_ci_u32_e64 v99, null, 0, v88, vcc_lo
	v_add_co_u32 v100, vcc_lo, v94, v26
	s_wait_alu 0xfffd
	v_add_co_ci_u32_e64 v101, null, 0, v95, vcc_lo
	s_clause 0x8
	global_load_b32 v92, v[81:82], off
	global_load_b32 v93, v[75:76], off offset:128
	global_load_b32 v90, v[83:84], off
	global_load_b32 v91, v[77:78], off offset:128
	;; [unrolled: 2-line block ×4, first 2 shown]
	global_load_b32 v89, v[100:101], off
	v_mad_co_i64_i32 v[75:76], null, 0xd2, v34, v[20:21]
	v_mad_co_i64_i32 v[79:80], null, 0xd2, v35, v[20:21]
	v_add_co_u32 v77, vcc_lo, v94, v27
	s_wait_alu 0xfffd
	v_add_co_ci_u32_e64 v78, null, 0, v95, vcc_lo
	s_delay_alu instid0(VALU_DEP_4)
	v_add_co_u32 v81, vcc_lo, v75, v26
	s_wait_alu 0xfffd
	v_add_co_ci_u32_e64 v82, null, 0, v76, vcc_lo
	v_add_co_u32 v75, vcc_lo, v75, v27
	s_wait_alu 0xfffd
	v_add_co_ci_u32_e64 v76, null, 0, v76, vcc_lo
	;; [unrolled: 3-line block ×4, first 2 shown]
	s_clause 0x4
	global_load_b32 v114, v[77:78], off offset:128
	global_load_b32 v115, v[81:82], off
	global_load_b32 v116, v[75:76], off offset:128
	global_load_b32 v78, v[83:84], off
	global_load_b32 v117, v[79:80], off offset:128
	v_mad_co_i64_i32 v[75:76], null, 0xd2, v36, v[20:21]
	v_mad_co_i64_i32 v[79:80], null, 0xd2, v37, v[20:21]
	;; [unrolled: 1-line block ×4, first 2 shown]
	s_delay_alu instid0(VALU_DEP_4)
	v_add_co_u32 v100, vcc_lo, v75, v26
	s_wait_alu 0xfffd
	v_add_co_ci_u32_e64 v101, null, 0, v76, vcc_lo
	v_add_co_u32 v75, vcc_lo, v75, v27
	s_wait_alu 0xfffd
	v_add_co_ci_u32_e64 v76, null, 0, v76, vcc_lo
	s_clause 0x1
	global_load_b32 v118, v[100:101], off
	global_load_b32 v119, v[75:76], off offset:128
	v_add_co_u32 v102, vcc_lo, v79, v26
	s_wait_alu 0xfffd
	v_add_co_ci_u32_e64 v103, null, 0, v80, vcc_lo
	v_add_co_u32 v79, vcc_lo, v79, v27
	v_mad_co_i64_i32 v[94:95], null, 0xd2, v41, v[20:21]
	s_wait_alu 0xfffd
	v_add_co_ci_u32_e64 v80, null, 0, v80, vcc_lo
	v_add_co_u32 v104, vcc_lo, v81, v26
	s_wait_alu 0xfffd
	v_add_co_ci_u32_e64 v105, null, 0, v82, vcc_lo
	v_add_co_u32 v81, vcc_lo, v81, v27
	v_mad_co_i64_i32 v[96:97], null, 0xd2, v42, v[20:21]
	s_wait_alu 0xfffd
	v_add_co_ci_u32_e64 v82, null, 0, v82, vcc_lo
	;; [unrolled: 7-line block ×3, first 2 shown]
	v_add_co_u32 v75, vcc_lo, v94, v26
	s_wait_alu 0xfffd
	v_add_co_ci_u32_e64 v76, null, 0, v95, vcc_lo
	v_add_co_u32 v100, vcc_lo, v94, v27
	s_wait_alu 0xfffd
	v_add_co_ci_u32_e64 v101, null, 0, v95, vcc_lo
	;; [unrolled: 3-line block ×6, first 2 shown]
	s_clause 0xb
	global_load_b32 v99, v[102:103], off
	global_load_b32 v102, v[79:80], off offset:128
	global_load_b32 v84, v[104:105], off
	global_load_b32 v94, v[81:82], off offset:128
	;; [unrolled: 2-line block ×6, first 2 shown]
	s_wait_loadcnt 0x1b
	v_and_b32_e32 v95, 0xf0f0f0f, v92
	v_lshrrev_b32_e32 v92, 4, v92
	s_wait_loadcnt 0x1a
	v_ashrrev_i32_e32 v93, v28, v93
	s_wait_loadcnt 0x19
	v_and_b32_e32 v96, 0xf0f0f0f, v90
	v_lshrrev_b32_e32 v90, 4, v90
	s_wait_loadcnt 0x18
	v_ashrrev_i32_e32 v91, v28, v91
	;; [unrolled: 5-line block ×4, first 2 shown]
	s_wait_loadcnt 0x13
	v_and_b32_e32 v100, 0xf0f0f0f, v89
	v_lshrrev_b32_e32 v89, 4, v89
	v_and_b32_e32 v92, 0xf0f0f0f, v92
	v_lshlrev_b32_e32 v108, 4, v93
	v_and_b32_e32 v90, 0xf0f0f0f, v90
	v_lshlrev_b32_e32 v109, 4, v91
	;; [unrolled: 2-line block ×4, first 2 shown]
	v_and_b32_e32 v89, 0xf0f0f0f, v89
	v_and_or_b32 v95, 0x30303030, v108, v95
	v_and_or_b32 v92, 0x30303030, v93, v92
	v_and_or_b32 v93, 0x30303030, v109, v96
	v_and_or_b32 v90, 0x30303030, v91, v90
	v_and_or_b32 v91, 0x30303030, v110, v97
	v_and_or_b32 v87, 0x30303030, v88, v87
	s_wait_loadcnt 0x12
	v_ashrrev_i32_e32 v101, v28, v114
	s_wait_loadcnt 0x11
	v_lshrrev_b32_e32 v104, 4, v115
	s_wait_loadcnt 0x10
	v_ashrrev_i32_e32 v105, v28, v116
	v_and_b32_e32 v103, 0xf0f0f0f, v115
	v_and_or_b32 v88, 0x30303030, v111, v98
	v_lshlrev_b32_e32 v112, 4, v101
	v_and_b32_e32 v104, 0xf0f0f0f, v104
	v_lshlrev_b32_e32 v113, 4, v105
	v_and_or_b32 v85, 0x30303030, v86, v85
	v_and_or_b32 v89, 0x30303030, v101, v89
	;; [unrolled: 1-line block ×3, first 2 shown]
	v_lshrrev_b32_e32 v98, 16, v95
	v_and_b32_e32 v100, 0x3f00, v95
	v_lshlrev_b16 v95, 8, v95
	v_lshrrev_b32_e32 v101, 16, v92
	v_and_or_b32 v96, 0x30303030, v113, v103
	v_and_or_b32 v97, 0x30303030, v105, v104
	v_and_b32_e32 v103, 0x3f00, v92
	v_lshlrev_b16 v92, 8, v92
	v_lshrrev_b32_e32 v104, 16, v93
	v_lshrrev_b32_e32 v108, 16, v90
	v_and_b32_e32 v105, 0x3f00, v93
	v_lshlrev_b16 v93, 8, v93
	v_lshrrev_b32_e32 v110, 16, v91
	v_lshrrev_b32_e32 v112, 16, v87
	s_wait_loadcnt 0xe
	v_ashrrev_i32_e32 v107, v28, v117
	v_and_b32_e32 v109, 0x3f00, v90
	v_lshlrev_b16 v90, 8, v90
	v_lshrrev_b32_e32 v115, 16, v88
	v_lshrrev_b32_e32 v117, 16, v85
	v_and_b32_e32 v111, 0x3f00, v91
	v_lshlrev_b16 v91, 8, v91
	v_lshrrev_b32_e32 v121, 16, v86
	v_lshrrev_b32_e32 v123, 16, v89
	v_add_nc_u16 v95, 0xe000, v95
	v_and_b32_e32 v129, 0x3f00, v98
	v_lshlrev_b16 v98, 8, v98
	v_and_b32_e32 v130, 0x3f00, v101
	v_lshlrev_b16 v101, 8, v101
	v_add_nc_u16 v92, 0xe000, v92
	v_and_b32_e32 v131, 0x3f00, v104
	v_lshlrev_b16 v104, 8, v104
	v_and_b32_e32 v132, 0x3f00, v108
	v_lshlrev_b16 v108, 8, v108
	v_and_b32_e32 v113, 0x3f00, v87
	v_lshlrev_b16 v87, 8, v87
	v_add_nc_u16 v93, 0xe000, v93
	v_and_b32_e32 v133, 0x3f00, v110
	v_lshlrev_b16 v110, 8, v110
	v_and_b32_e32 v134, 0x3f00, v112
	v_lshlrev_b16 v112, 8, v112
	v_and_b32_e32 v116, 0x3f00, v88
	v_lshlrev_b16 v88, 8, v88
	v_and_b32_e32 v120, 0x3f00, v85
	v_lshlrev_b16 v85, 8, v85
	v_add_nc_u16 v90, 0xe000, v90
	v_and_b32_e32 v135, 0x3f00, v115
	v_lshlrev_b16 v115, 8, v115
	;; [unrolled: 9-line block ×3, first 2 shown]
	v_and_b32_e32 v138, 0x3f00, v123
	v_lshlrev_b16 v123, 8, v123
	v_lshrrev_b16 v95, 8, v95
	v_add_nc_u16 v98, 0xe000, v98
	v_add_nc_u16 v101, 0xe000, v101
	v_lshrrev_b16 v92, 8, v92
	v_add_nc_u16 v104, 0xe000, v104
	v_add_nc_u16 v108, 0xe000, v108
	v_add_nc_u16 v87, 0xe000, v87
	v_lshrrev_b16 v93, 8, v93
	v_add_nc_u16 v110, 0xe000, v110
	v_add_nc_u16 v112, 0xe000, v112
	v_add_nc_u16 v88, 0xe000, v88
	v_add_nc_u16 v85, 0xe000, v85
	v_lshrrev_b16 v90, 8, v90
	v_add_nc_u16 v115, 0xe000, v115
	;; [unrolled: 5-line block ×3, first 2 shown]
	v_add_nc_u16 v123, 0xe000, v123
	v_or_b32_e32 v95, v100, v95
	v_lshrrev_b16 v98, 8, v98
	v_lshrrev_b16 v100, 8, v101
	v_or_b32_e32 v92, v103, v92
	v_lshrrev_b16 v101, 8, v104
	v_lshrrev_b16 v103, 8, v108
	v_lshrrev_b16 v87, 8, v87
	v_or_b32_e32 v93, v105, v93
	v_lshrrev_b16 v104, 8, v110
	v_lshrrev_b16 v105, 8, v112
	v_lshrrev_b16 v88, 8, v88
	v_lshrrev_b16 v85, 8, v85
	v_or_b32_e32 v90, v109, v90
	v_lshrrev_b16 v108, 8, v115
	;; [unrolled: 5-line block ×3, first 2 shown]
	v_lshrrev_b16 v111, 8, v123
	v_or_b32_e32 v98, v129, v98
	v_or_b32_e32 v100, v130, v100
	v_or_b32_e32 v101, v131, v101
	v_or_b32_e32 v103, v132, v103
	v_or_b32_e32 v87, v113, v87
	v_or_b32_e32 v104, v133, v104
	v_or_b32_e32 v105, v134, v105
	v_or_b32_e32 v88, v116, v88
	v_or_b32_e32 v85, v120, v85
	v_or_b32_e32 v108, v135, v108
	v_or_b32_e32 v109, v136, v109
	v_lshrrev_b32_e32 v127, 16, v97
	v_or_b32_e32 v86, v122, v86
	v_or_b32_e32 v89, v124, v89
	v_add_nc_u16 v95, 0xe000, v95
	v_add_nc_u16 v92, 0xe000, v92
	v_or_b32_e32 v110, v137, v110
	v_or_b32_e32 v111, v138, v111
	v_add_nc_u16 v98, 0xe000, v98
	v_add_nc_u16 v100, 0xe000, v100
	;; [unrolled: 1-line block ×14, first 2 shown]
	v_and_b32_e32 v140, 0x3f00, v127
	v_lshlrev_b16 v127, 8, v127
	v_add_nc_u16 v86, 0xe000, v86
	v_add_nc_u16 v89, 0xe000, v89
	v_and_b32_e32 v95, 0xffff, v95
	v_and_b32_e32 v92, 0xffff, v92
	v_add_nc_u16 v110, 0xe000, v110
	v_add_nc_u16 v111, 0xe000, v111
	v_lshlrev_b32_e32 v98, 16, v98
	v_lshlrev_b32_e32 v100, 16, v100
	v_and_b32_e32 v93, 0xffff, v93
	v_and_b32_e32 v90, 0xffff, v90
	v_lshlrev_b32_e32 v101, 16, v101
	v_lshlrev_b32_e32 v103, 16, v103
	v_and_b32_e32 v91, 0xffff, v91
	v_and_b32_e32 v87, 0xffff, v87
	v_lshlrev_b32_e32 v104, 16, v104
	v_lshlrev_b32_e32 v105, 16, v105
	v_and_b32_e32 v128, 0x3f00, v97
	v_lshlrev_b16 v97, 8, v97
	v_and_b32_e32 v88, 0xffff, v88
	v_and_b32_e32 v85, 0xffff, v85
	v_lshlrev_b32_e32 v108, 16, v108
	v_lshlrev_b32_e32 v109, 16, v109
	v_add_nc_u16 v127, 0xe000, v127
	v_and_b32_e32 v86, 0xffff, v86
	v_and_b32_e32 v89, 0xffff, v89
	v_lshlrev_b32_e32 v110, 16, v110
	v_lshlrev_b32_e32 v111, 16, v111
	v_or_b32_e32 v95, v95, v98
	v_or_b32_e32 v92, v92, v100
	;; [unrolled: 1-line block ×6, first 2 shown]
	v_add_nc_u16 v97, 0xe000, v97
	v_or_b32_e32 v88, v88, v108
	v_or_b32_e32 v85, v85, v109
	;; [unrolled: 1-line block ×4, first 2 shown]
	ds_store_2addr_b32 v1, v95, v92 offset1:16
	ds_store_2addr_b32 v2, v93, v90 offset1:16
	;; [unrolled: 1-line block ×4, first 2 shown]
	v_lshrrev_b16 v85, 8, v127
	v_lshrrev_b32_e32 v125, 16, v96
	v_lshrrev_b16 v97, 8, v97
	ds_store_2addr_b32 v5, v86, v89 offset1:16
	v_and_b32_e32 v106, 0xf0f0f0f, v78
	v_or_b32_e32 v88, v140, v85
	v_mad_co_i64_i32 v[85:86], null, 0xd2, v44, v[20:21]
	v_lshlrev_b32_e32 v114, 4, v107
	v_and_b32_e32 v126, 0x3f00, v96
	v_lshlrev_b16 v96, 8, v96
	v_and_b32_e32 v139, 0x3f00, v125
	v_lshlrev_b16 v125, 8, v125
	v_or_b32_e32 v87, v128, v97
	v_and_or_b32 v90, 0x30303030, v114, v106
	v_add_nc_u16 v96, 0xe000, v96
	v_add_nc_u16 v93, 0xe000, v88
	;; [unrolled: 1-line block ×4, first 2 shown]
	v_add_co_u32 v87, vcc_lo, v85, v26
	s_wait_alu 0xfffd
	v_add_co_ci_u32_e64 v88, null, 0, v86, vcc_lo
	v_add_co_u32 v85, vcc_lo, v85, v27
	s_wait_alu 0xfffd
	v_add_co_ci_u32_e64 v86, null, 0, v86, vcc_lo
	v_lshrrev_b16 v96, 8, v96
	v_lshrrev_b16 v112, 8, v125
	v_lshrrev_b32_e32 v78, 4, v78
	v_lshlrev_b16 v91, 8, v90
	s_clause 0x1
	global_load_b32 v97, v[87:88], off
	global_load_b32 v98, v[85:86], off offset:128
	v_or_b32_e32 v96, v126, v96
	v_or_b32_e32 v112, v139, v112
	v_and_b32_e32 v78, 0xf0f0f0f, v78
	v_add_nc_u16 v91, 0xe000, v91
	v_lshrrev_b32_e32 v95, 16, v90
	v_add_nc_u16 v96, 0xe000, v96
	v_add_nc_u16 v112, 0xe000, v112
	v_and_b32_e32 v90, 0x3f00, v90
	v_lshrrev_b16 v91, 8, v91
	v_and_or_b32 v78, 0x30303030, v107, v78
	v_and_b32_e32 v96, 0xffff, v96
	v_lshlrev_b32_e32 v112, 16, v112
	v_and_b32_e32 v85, 0xffff, v92
	v_lshlrev_b32_e32 v86, 16, v93
	v_or_b32_e32 v88, v90, v91
	v_lshlrev_b16 v90, 8, v78
	v_lshrrev_b32_e32 v92, 16, v78
	v_or_b32_e32 v89, v96, v112
	v_or_b32_e32 v85, v85, v86
	v_lshlrev_b16 v96, 8, v95
	v_add_nc_u16 v86, 0xe000, v90
	v_lshlrev_b16 v90, 8, v92
	v_and_b32_e32 v78, 0x3f00, v78
	ds_store_2addr_b32 v6, v89, v85 offset1:16
	v_mad_co_i64_i32 v[20:21], null, 0xd2, v46, v[20:21]
	v_lshrrev_b16 v86, 8, v86
	v_add_nc_u16 v85, 0xe000, v90
	v_add_nc_u16 v87, 0xe000, v96
	v_and_b32_e32 v91, 0x3f00, v95
	s_wait_loadcnt 0xe
	v_ashrrev_i32_e32 v89, v28, v119
	v_or_b32_e32 v78, v78, v86
	v_and_b32_e32 v86, 0x3f00, v92
	v_lshrrev_b16 v85, 8, v85
	v_lshrrev_b16 v87, 8, v87
	v_lshlrev_b32_e32 v92, 4, v89
	v_lshrrev_b32_e32 v93, 4, v118
	v_add_nc_u16 v78, 0xe000, v78
	v_or_b32_e32 v90, v86, v85
	v_add_co_u32 v85, vcc_lo, v20, v26
	s_wait_alu 0xfffd
	v_add_co_ci_u32_e64 v86, null, 0, v21, vcc_lo
	v_add_co_u32 v20, vcc_lo, v20, v27
	v_or_b32_e32 v87, v91, v87
	v_and_b32_e32 v91, 0xf0f0f0f, v118
	s_wait_alu 0xfffd
	v_add_co_ci_u32_e64 v21, null, 0, v21, vcc_lo
	v_add_nc_u16 v90, 0xe000, v90
	v_add_nc_u16 v88, 0xe000, v88
	v_and_or_b32 v91, 0x30303030, v92, v91
	s_clause 0x1
	global_load_b32 v92, v[85:86], off
	global_load_b32 v95, v[20:21], off offset:128
	v_and_b32_e32 v20, 0xf0f0f0f, v93
	v_add_nc_u16 v87, 0xe000, v87
	v_and_b32_e32 v21, 0xffff, v78
	v_lshlrev_b32_e32 v78, 16, v90
	v_lshrrev_b32_e32 v85, 16, v91
	v_and_or_b32 v20, 0x30303030, v89, v20
	v_and_b32_e32 v88, 0xffff, v88
	v_lshlrev_b32_e32 v87, 16, v87
	v_or_b32_e32 v21, v21, v78
	v_lshlrev_b16 v78, 8, v85
	v_lshrrev_b32_e32 v90, 16, v20
	v_lshlrev_b16 v86, 8, v91
	v_or_b32_e32 v87, v88, v87
	v_lshlrev_b16 v88, 8, v20
	v_and_b32_e32 v89, 0x3f00, v91
	v_add_nc_u16 v78, 0xe000, v78
	v_lshlrev_b16 v91, 8, v90
	v_add_nc_u16 v86, 0xe000, v86
	v_add_nc_u16 v88, 0xe000, v88
	v_and_b32_e32 v85, 0x3f00, v85
	v_lshrrev_b16 v78, 8, v78
	ds_store_2addr_b32 v7, v87, v21 offset1:16
	v_add_nc_u16 v21, 0xe000, v91
	v_lshrrev_b16 v86, 8, v86
	v_and_b32_e32 v20, 0x3f00, v20
	v_lshrrev_b16 v88, 8, v88
	v_or_b32_e32 v78, v85, v78
	v_and_b32_e32 v85, 0x3f00, v90
	v_lshrrev_b16 v21, 8, v21
	v_or_b32_e32 v86, v89, v86
	v_or_b32_e32 v20, v20, v88
	s_wait_loadcnt 0xe
	v_ashrrev_i32_e32 v89, v28, v102
	v_add_nc_u16 v78, 0xe000, v78
	v_or_b32_e32 v21, v85, v21
	v_add_nc_u16 v86, 0xe000, v86
	v_add_nc_u16 v20, 0xe000, v20
	v_and_b32_e32 v85, 0xf0f0f0f, v99
	v_lshlrev_b32_e32 v87, 4, v89
	v_add_nc_u16 v88, 0xe000, v21
	v_and_b32_e32 v90, 0xffff, v86
	v_and_b32_e32 v91, 0xffff, v20
	v_mad_co_i64_i32 v[20:21], null, 0xd2, v47, s[18:19]
	v_and_or_b32 v93, 0x30303030, v87, v85
	v_mad_co_i64_i32 v[85:86], null, 0xd2, v50, s[18:19]
	v_lshlrev_b32_e32 v96, 16, v88
	v_mad_co_i64_i32 v[87:88], null, 0xd2, v53, s[18:19]
	global_load_u16 v101, v[20:21], off offset:208
	v_lshrrev_b32_e32 v99, 4, v99
	v_lshlrev_b16 v100, 8, v93
	v_add_co_u32 v20, vcc_lo, v85, v49
	s_wait_alu 0xfffd
	v_add_co_ci_u32_e64 v21, null, 0, v86, vcc_lo
	v_add_co_u32 v85, vcc_lo, v87, v49
	s_wait_alu 0xfffd
	v_add_co_ci_u32_e64 v86, null, 0, v88, vcc_lo
	s_clause 0x1
	global_load_b32 v20, v[20:21], off offset:192
	global_load_b32 v21, v[85:86], off offset:192
	v_and_b32_e32 v87, 0xf0f0f0f, v99
	v_lshlrev_b32_e32 v78, 16, v78
	v_add_nc_u16 v99, 0xe000, v100
	v_lshrrev_b32_e32 v88, 16, v93
	v_and_b32_e32 v85, 0x3f00, v93
	v_and_or_b32 v86, 0x30303030, v89, v87
	v_or_b32_e32 v78, v90, v78
	v_lshrrev_b16 v87, 8, v99
	v_or_b32_e32 v89, v91, v96
	v_lshlrev_b16 v90, 8, v88
	v_lshrrev_b32_e32 v91, 16, v86
	v_and_b32_e32 v88, 0x3f00, v88
	v_or_b32_e32 v85, v85, v87
	v_lshlrev_b16 v87, 8, v86
	ds_store_2addr_b32 v8, v78, v89 offset1:16
	v_lshlrev_b16 v89, 8, v91
	v_add_nc_u16 v78, 0xe000, v90
	v_and_b32_e32 v86, 0x3f00, v86
	v_add_nc_u16 v87, 0xe000, v87
	v_and_b32_e32 v90, 0x3f00, v91
	v_add_nc_u16 v89, 0xe000, v89
	v_lshrrev_b16 v78, 8, v78
	s_wait_loadcnt 0xf
	v_ashrrev_i32_e32 v91, v28, v94
	v_lshrrev_b16 v87, 8, v87
	v_add_nc_u16 v85, 0xe000, v85
	v_lshrrev_b16 v89, 8, v89
	v_or_b32_e32 v78, v88, v78
	v_lshlrev_b32_e32 v88, 4, v91
	v_or_b32_e32 v86, v86, v87
	v_and_b32_e32 v87, 0xf0f0f0f, v84
	v_or_b32_e32 v89, v90, v89
	v_add_nc_u16 v78, 0xe000, v78
	v_lshrrev_b32_e32 v84, 4, v84
	v_add_nc_u16 v86, 0xe000, v86
	v_and_or_b32 v87, 0x30303030, v88, v87
	v_add_nc_u16 v88, 0xe000, v89
	v_and_b32_e32 v85, 0xffff, v85
	v_lshlrev_b32_e32 v78, 16, v78
	v_and_b32_e32 v86, 0xffff, v86
	v_lshlrev_b16 v89, 8, v87
	v_lshlrev_b32_e32 v88, 16, v88
	v_and_b32_e32 v84, 0xf0f0f0f, v84
	v_or_b32_e32 v78, v85, v78
	v_lshrrev_b32_e32 v85, 16, v87
	v_add_nc_u16 v89, 0xe000, v89
	v_or_b32_e32 v86, v86, v88
	v_and_or_b32 v84, 0x30303030, v91, v84
	v_and_b32_e32 v87, 0x3f00, v87
	v_lshlrev_b16 v88, 8, v85
	v_lshrrev_b16 v89, 8, v89
	ds_store_2addr_b32 v9, v78, v86 offset1:16
	v_lshrrev_b32_e32 v78, 16, v84
	v_lshlrev_b16 v86, 8, v84
	v_add_nc_u16 v88, 0xe000, v88
	v_or_b32_e32 v87, v87, v89
	v_and_b32_e32 v85, 0x3f00, v85
	v_lshlrev_b16 v89, 8, v78
	v_add_nc_u16 v86, 0xe000, v86
	v_lshrrev_b16 v88, 8, v88
	v_and_b32_e32 v84, 0x3f00, v84
	s_wait_loadcnt 0xd
	v_ashrrev_i32_e32 v83, v28, v83
	v_add_nc_u16 v89, 0xe000, v89
	v_lshrrev_b16 v86, 8, v86
	v_or_b32_e32 v85, v85, v88
	v_and_b32_e32 v78, 0x3f00, v78
	v_add_nc_u16 v87, 0xe000, v87
	v_lshrrev_b16 v88, 8, v89
	v_or_b32_e32 v84, v84, v86
	v_and_b32_e32 v86, 0xf0f0f0f, v82
	v_lshlrev_b32_e32 v89, 4, v83
	v_add_nc_u16 v85, 0xe000, v85
	v_or_b32_e32 v78, v78, v88
	v_lshrrev_b32_e32 v82, 4, v82
	v_and_b32_e32 v87, 0xffff, v87
	v_and_or_b32 v86, 0x30303030, v89, v86
	v_add_nc_u16 v84, 0xe000, v84
	v_lshlrev_b32_e32 v85, 16, v85
	v_add_nc_u16 v78, 0xe000, v78
	v_and_b32_e32 v82, 0xf0f0f0f, v82
	v_lshrrev_b32_e32 v88, 16, v86
	v_lshlrev_b16 v89, 8, v86
	v_and_b32_e32 v84, 0xffff, v84
	v_lshlrev_b32_e32 v78, 16, v78
	v_or_b32_e32 v85, v87, v85
	v_lshlrev_b16 v87, 8, v88
	v_add_nc_u16 v89, 0xe000, v89
	v_and_or_b32 v82, 0x30303030, v83, v82
	v_or_b32_e32 v78, v84, v78
	v_and_b32_e32 v83, 0x3f00, v86
	v_add_nc_u16 v84, 0xe000, v87
	v_lshrrev_b16 v86, 8, v89
	v_and_b32_e32 v87, 0x3f00, v88
	v_lshrrev_b32_e32 v88, 16, v82
	v_lshlrev_b16 v89, 8, v82
	v_lshrrev_b16 v84, 8, v84
	ds_store_2addr_b32 v10, v85, v78 offset1:16
	v_or_b32_e32 v78, v83, v86
	v_lshlrev_b16 v83, 8, v88
	v_add_nc_u16 v85, 0xe000, v89
	s_wait_loadcnt 0xb
	v_ashrrev_i32_e32 v81, v28, v81
	v_or_b32_e32 v84, v87, v84
	v_and_b32_e32 v82, 0x3f00, v82
	v_add_nc_u16 v83, 0xe000, v83
	v_lshrrev_b16 v85, 8, v85
	v_and_b32_e32 v86, 0x3f00, v88
	v_and_b32_e32 v87, 0xf0f0f0f, v80
	v_lshlrev_b32_e32 v88, 4, v81
	v_lshrrev_b16 v83, 8, v83
	v_or_b32_e32 v82, v82, v85
	v_lshrrev_b32_e32 v80, 4, v80
	v_add_nc_u16 v78, 0xe000, v78
	v_and_or_b32 v85, 0x30303030, v88, v87
	v_or_b32_e32 v83, v86, v83
	v_add_nc_u16 v84, 0xe000, v84
	v_add_nc_u16 v82, 0xe000, v82
	v_and_b32_e32 v80, 0xf0f0f0f, v80
	v_lshlrev_b16 v86, 8, v85
	v_add_nc_u16 v83, 0xe000, v83
	v_and_b32_e32 v78, 0xffff, v78
	v_lshlrev_b32_e32 v84, 16, v84
	v_and_b32_e32 v82, 0xffff, v82
	v_add_nc_u16 v86, 0xe000, v86
	v_lshrrev_b32_e32 v87, 16, v85
	v_lshlrev_b32_e32 v83, 16, v83
	v_and_b32_e32 v85, 0x3f00, v85
	v_and_or_b32 v80, 0x30303030, v81, v80
	v_lshrrev_b16 v86, 8, v86
	v_lshlrev_b16 v88, 8, v87
	v_or_b32_e32 v78, v78, v84
	v_or_b32_e32 v81, v82, v83
	v_and_b32_e32 v84, 0x3f00, v87
	v_or_b32_e32 v83, v85, v86
	v_lshrrev_b32_e32 v85, 16, v80
	v_add_nc_u16 v82, 0xe000, v88
	v_lshlrev_b16 v86, 8, v80
	ds_store_2addr_b32 v11, v78, v81 offset1:16
	v_add_nc_u16 v78, 0xe000, v83
	v_lshlrev_b16 v81, 8, v85
	v_lshrrev_b16 v82, 8, v82
	v_add_nc_u16 v83, 0xe000, v86
	s_wait_loadcnt 0x9
	v_ashrrev_i32_e32 v79, v28, v79
	v_and_b32_e32 v80, 0x3f00, v80
	v_add_nc_u16 v81, 0xe000, v81
	v_or_b32_e32 v82, v84, v82
	v_lshrrev_b16 v83, 8, v83
	v_and_b32_e32 v84, 0x3f00, v85
	v_and_b32_e32 v85, 0xf0f0f0f, v77
	v_lshlrev_b32_e32 v86, 4, v79
	v_lshrrev_b16 v81, 8, v81
	v_or_b32_e32 v80, v80, v83
	v_lshrrev_b32_e32 v77, 4, v77
	v_add_nc_u16 v82, 0xe000, v82
	v_and_or_b32 v83, 0x30303030, v86, v85
	v_or_b32_e32 v81, v84, v81
	v_add_nc_u16 v80, 0xe000, v80
	v_and_b32_e32 v77, 0xf0f0f0f, v77
	v_and_b32_e32 v78, 0xffff, v78
	v_lshlrev_b16 v84, 8, v83
	v_add_nc_u16 v81, 0xe000, v81
	v_lshrrev_b32_e32 v85, 16, v83
	v_lshlrev_b32_e32 v82, 16, v82
	v_and_b32_e32 v80, 0xffff, v80
	v_add_nc_u16 v84, 0xe000, v84
	v_lshlrev_b32_e32 v81, 16, v81
	v_lshlrev_b16 v86, 8, v85
	v_and_or_b32 v77, 0x30303030, v79, v77
	v_and_b32_e32 v83, 0x3f00, v83
	v_lshrrev_b16 v79, 8, v84
	v_or_b32_e32 v78, v78, v82
	v_add_nc_u16 v82, 0xe000, v86
	v_or_b32_e32 v80, v80, v81
	v_lshrrev_b32_e32 v81, 16, v77
	v_or_b32_e32 v79, v83, v79
	v_and_b32_e32 v83, 0x3f00, v85
	v_lshrrev_b16 v82, 8, v82
	v_lshlrev_b16 v84, 8, v77
	v_lshlrev_b16 v85, 8, v81
	s_wait_loadcnt 0x7
	v_ashrrev_i32_e32 v76, v28, v76
	v_and_b32_e32 v77, 0x3f00, v77
	v_or_b32_e32 v82, v83, v82
	v_add_nc_u16 v83, 0xe000, v84
	v_add_nc_u16 v84, 0xe000, v85
	v_and_b32_e32 v85, 0xf0f0f0f, v75
	v_lshlrev_b32_e32 v86, 4, v76
	v_add_nc_u16 v79, 0xe000, v79
	v_lshrrev_b16 v83, 8, v83
	v_and_b32_e32 v81, 0x3f00, v81
	v_lshrrev_b16 v84, 8, v84
	v_and_or_b32 v85, 0x30303030, v86, v85
	v_add_nc_u16 v82, 0xe000, v82
	v_or_b32_e32 v77, v77, v83
	v_and_b32_e32 v79, 0xffff, v79
	v_or_b32_e32 v81, v81, v84
	v_lshrrev_b32_e32 v83, 16, v85
	v_lshlrev_b32_e32 v82, 16, v82
	v_lshlrev_b16 v84, 8, v85
	v_add_nc_u16 v77, 0xe000, v77
	v_add_nc_u16 v81, 0xe000, v81
	v_lshlrev_b16 v86, 8, v83
	v_or_b32_e32 v79, v79, v82
	v_add_nc_u16 v82, 0xe000, v84
	v_lshrrev_b32_e32 v75, 4, v75
	v_and_b32_e32 v77, 0xffff, v77
	v_add_nc_u16 v84, 0xe000, v86
	v_lshlrev_b32_e32 v81, 16, v81
	v_and_b32_e32 v85, 0x3f00, v85
	v_lshrrev_b16 v82, 8, v82
	v_and_b32_e32 v83, 0x3f00, v83
	v_lshrrev_b16 v84, 8, v84
	v_and_b32_e32 v75, 0xf0f0f0f, v75
	v_or_b32_e32 v77, v77, v81
	ds_store_2addr_b32 v12, v78, v80 offset1:16
	v_or_b32_e32 v78, v85, v82
	v_or_b32_e32 v80, v83, v84
	v_and_or_b32 v75, 0x30303030, v76, v75
	s_wait_loadcnt 0x5
	v_ashrrev_i32_e32 v76, v28, v98
	ds_store_2addr_b32 v13, v79, v77 offset1:16
	v_add_nc_u16 v77, 0xe000, v78
	v_add_nc_u16 v78, 0xe000, v80
	v_lshlrev_b16 v79, 8, v75
	v_and_b32_e32 v80, 0xf0f0f0f, v97
	v_lshlrev_b32_e32 v81, 4, v76
	v_and_b32_e32 v77, 0xffff, v77
	v_lshrrev_b32_e32 v82, 16, v75
	v_add_nc_u16 v79, 0xe000, v79
	v_lshlrev_b32_e32 v78, 16, v78
	v_and_or_b32 v80, 0x30303030, v81, v80
	v_and_b32_e32 v75, 0x3f00, v75
	v_lshlrev_b16 v81, 8, v82
	v_lshrrev_b16 v79, 8, v79
	v_or_b32_e32 v77, v77, v78
	v_lshlrev_b16 v78, 8, v80
	v_lshrrev_b32_e32 v83, 4, v97
	v_add_nc_u16 v81, 0xe000, v81
	v_or_b32_e32 v75, v75, v79
	v_and_b32_e32 v79, 0x3f00, v82
	v_add_nc_u16 v78, 0xe000, v78
	v_and_b32_e32 v82, 0xf0f0f0f, v83
	v_lshrrev_b32_e32 v83, 16, v80
	v_lshrrev_b16 v81, 8, v81
	v_and_b32_e32 v80, 0x3f00, v80
	v_lshrrev_b16 v78, 8, v78
	v_and_or_b32 v76, 0x30303030, v76, v82
	v_lshlrev_b16 v82, 8, v83
	v_or_b32_e32 v79, v79, v81
	v_add_nc_u16 v75, 0xe000, v75
	v_or_b32_e32 v78, v80, v78
	v_lshlrev_b16 v80, 8, v76
	v_add_nc_u16 v81, 0xe000, v82
	v_and_b32_e32 v82, 0x3f00, v83
	v_and_b32_e32 v83, 0x3f00, v76
	v_lshrrev_b32_e32 v76, 16, v76
	v_add_nc_u16 v80, 0xe000, v80
	v_lshrrev_b16 v81, 8, v81
	v_add_nc_u16 v79, 0xe000, v79
	s_wait_loadcnt 0x4
	v_lshrrev_b32_e32 v84, 4, v92
	v_lshlrev_b16 v86, 8, v76
	v_lshrrev_b16 v80, 8, v80
	v_or_b32_e32 v81, v82, v81
	s_wait_loadcnt 0x3
	v_ashrrev_i32_e32 v82, v28, v95
	v_and_b32_e32 v84, 0xf0f0f0f, v84
	v_and_b32_e32 v76, 0x3f00, v76
	v_or_b32_e32 v80, v83, v80
	v_and_b32_e32 v83, 0xf0f0f0f, v92
	v_lshlrev_b32_e32 v85, 4, v82
	v_and_or_b32 v82, 0x30303030, v82, v84
	v_and_b32_e32 v75, 0xffff, v75
	v_add_nc_u16 v78, 0xe000, v78
	v_lshlrev_b32_e32 v79, 16, v79
	v_and_or_b32 v83, 0x30303030, v85, v83
	v_lshrrev_b32_e32 v87, 16, v82
	v_add_nc_u16 v85, 0xe000, v86
	v_lshlrev_b16 v89, 8, v82
	v_and_b32_e32 v82, 0x3f00, v82
	v_lshrrev_b32_e32 v84, 16, v83
	v_lshlrev_b16 v86, 8, v83
	v_lshlrev_b16 v90, 8, v87
	v_add_nc_u16 v89, 0xe000, v89
	v_lshrrev_b16 v85, 8, v85
	v_lshlrev_b16 v88, 8, v84
	v_add_nc_u16 v86, 0xe000, v86
	v_add_nc_u16 v90, 0xe000, v90
	v_and_b32_e32 v83, 0x3f00, v83
	v_and_b32_e32 v84, 0x3f00, v84
	v_add_nc_u16 v88, 0xe000, v88
	v_lshrrev_b16 v86, 8, v86
	v_lshrrev_b16 v89, 8, v89
	v_and_b32_e32 v87, 0x3f00, v87
	v_lshrrev_b16 v90, 8, v90
	v_lshrrev_b16 v88, 8, v88
	v_or_b32_e32 v76, v76, v85
	v_or_b32_e32 v83, v83, v86
	;; [unrolled: 1-line block ×5, first 2 shown]
	v_add_nc_u16 v81, 0xe000, v81
	v_add_nc_u16 v80, 0xe000, v80
	;; [unrolled: 1-line block ×7, first 2 shown]
	v_and_b32_e32 v78, 0xffff, v78
	v_lshlrev_b32_e32 v81, 16, v81
	v_and_b32_e32 v80, 0xffff, v80
	v_lshlrev_b32_e32 v76, 16, v76
	;; [unrolled: 2-line block ×4, first 2 shown]
	v_or_b32_e32 v75, v75, v79
	v_or_b32_e32 v78, v78, v81
	;; [unrolled: 1-line block ×5, first 2 shown]
	ds_store_2addr_b32 v14, v77, v75 offset1:16
	s_wait_loadcnt 0x2
	v_cvt_f32_f16_e32 v75, v101
	s_lshl_b32 s18, s16, 8
	ds_store_2addr_b32 v15, v78, v76 offset1:16
	s_wait_alu 0xfffe
	s_cmp_lt_i32 s18, s5
	ds_store_2addr_b32 v17, v79, v80 offset1:16
	ds_store_b32 v48, v75
	s_wait_loadcnt 0x1
	ds_store_b32 v70, v20
	s_wait_loadcnt 0x0
	ds_store_b32 v71, v21
	s_cbranch_scc0 .LBB236_4
; %bb.6:                                ;   in Loop: Header=BB236_5 Depth=1
	s_lshl_b32 s19, s16, 3
	s_wait_alu 0xfffe
	v_add_nc_u32_e32 v20, s19, v0
	s_delay_alu instid0(VALU_DEP_1)
	v_cmp_gt_i32_e32 vcc_lo, s8, v20
	s_and_b32 s21, s1, vcc_lo
	s_wait_alu 0xfffe
	s_and_saveexec_b32 s20, s21
	s_cbranch_execz .LBB236_8
; %bb.7:                                ;   in Loop: Header=BB236_5 Depth=1
	v_add_nc_u32_e32 v20, v66, v20
	s_delay_alu instid0(VALU_DEP_1)
	v_mad_co_i64_i32 v[20:21], null, v20, 36, v[18:19]
	global_load_b32 v20, v[20:21], off offset:4
	s_wait_loadcnt 0x0
	ds_store_b32 v55, v20
.LBB236_8:                              ;   in Loop: Header=BB236_5 Depth=1
	s_wait_alu 0xfffe
	s_or_b32 exec_lo, exec_lo, s20
	v_add_nc_u32_e32 v78, s19, v23
	s_delay_alu instid0(VALU_DEP_1)
	v_cmp_gt_i32_e32 vcc_lo, s8, v78
	s_and_b32 s21, s6, vcc_lo
	s_wait_alu 0xfffe
	s_and_saveexec_b32 s20, s21
	s_cbranch_execz .LBB236_10
; %bb.9:                                ;   in Loop: Header=BB236_5 Depth=1
	v_add_nc_u32_e32 v20, v66, v78
	s_delay_alu instid0(VALU_DEP_1)
	v_mad_co_i64_i32 v[20:21], null, v20, 36, s[2:3]
	global_load_b32 v20, v[20:21], off
	v_add_nc_u32_e32 v21, v54, v56
	s_wait_loadcnt 0x0
	v_cvt_f32_f16_e32 v20, v20
	ds_store_b32 v21, v20
.LBB236_10:                             ;   in Loop: Header=BB236_5 Depth=1
	s_wait_alu 0xfffe
	s_or_b32 exec_lo, exec_lo, s20
	s_wait_dscnt 0x0
	s_barrier_signal -1
	s_barrier_wait -1
	global_inv scope:SCOPE_SE
	ds_load_b32 v79, v58
	ds_load_b32 v80, v61 offset:128
	ds_load_b32 v81, v62 offset:256
	;; [unrolled: 1-line block ×3, first 2 shown]
	s_mov_b32 s21, 0
	s_mov_b32 s20, -1
.LBB236_11:                             ;   Parent Loop BB236_5 Depth=1
                                        ; =>  This Inner Loop Header: Depth=2
	s_wait_alu 0xfffe
	s_lshl_b32 s22, s21, 3
	v_lshlrev_b32_e32 v20, 2, v57
	s_wait_alu 0xfffe
	v_add_nc_u32_e32 v77, s22, v68
	v_lshl_or_b32 v83, s21, 1, v39
	s_lshr_b32 s21, s21, 1
	v_add_nc_u32_e32 v108, s22, v64
	s_wait_alu 0xfffe
	s_add_co_i32 s21, s21, 0x8200
	ds_load_b128 v[84:87], v77 offset:34
	ds_load_b64 v[92:93], v77 offset:50
	s_wait_alu 0xfffe
	v_add3_u32 v21, s21, v20, v72
	v_lshlrev_b32_e32 v121, 2, v83
	v_add_nc_u32_e32 v124, s22, v65
	v_add_nc_u32_e32 v125, s22, v67
	v_lshrrev_b32_e32 v83, 1, v83
	s_and_b32 vcc_lo, exec_lo, s20
	s_mov_b32 s20, 0
	s_wait_dscnt 0x1
	v_ashrrev_i32_e32 v109, 24, v87
	v_bfe_i32 v110, v87, 16, 8
	v_ashrrev_i32_e32 v111, 24, v85
	v_bfe_i32 v112, v85, 0, 8
	v_bfe_i32 v113, v86, 8, 8
	v_bfe_i32 v114, v86, 0, 8
	v_bfe_i32 v115, v85, 16, 8
	v_bfe_i32 v116, v85, 8, 8
	v_perm_b32 v117, v87, v84, 0xc0c0402
	v_perm_b32 v118, v86, v84, 0xc0c0600
	;; [unrolled: 1-line block ×4, first 2 shown]
	ds_load_2addr_b32 v[75:76], v108 offset0:12 offset1:13
	ds_load_b32 v122, v21
	ds_load_2addr_b32 v[94:95], v108 offset0:14 offset1:15
	ds_load_b128 v[84:87], v121 offset:35440
	ds_load_b128 v[88:91], v121 offset:35424
	s_wait_dscnt 0x1
	v_perm_b32 v21, v75, v86, 0x6040501
	v_perm_b32 v96, v84, v94, 0x6040501
	;; [unrolled: 1-line block ×3, first 2 shown]
	v_bfe_i32 v130, v85, 16, 8
	v_ashrrev_i32_e32 v134, 24, v85
	v_bfe_i32 v135, v84, 8, 8
	v_dot4_i32_iu8 v21, v96, v21, 0 neg_lo:[1,1,0]
	v_perm_b32 v96, v76, v84, 0x6040503
	v_perm_b32 v76, v94, v76, 0x7060403
	v_bfe_i32 v136, v84, 0, 8
	v_perm_b32 v137, v87, v84, 0xc0c0503
	v_perm_b32 v138, v87, v85, 0xc0c0701
	v_dot4_i32_iu8 v75, v96, v75, v21 neg_lo:[1,1,0]
	v_lshlrev_b32_e32 v21, 2, v59
	v_perm_b32 v139, v87, v85, 0xc0c0600
	v_perm_b32 v140, v87, v84, 0xc0c0402
	v_bfe_i32 v129, v86, 8, 8
	v_ashrrev_i32_e32 v131, 24, v86
	v_add3_u32 v96, s21, v21, v73
	v_bfe_i32 v132, v86, 16, 8
	v_bfe_i32 v133, v86, 0, 8
	s_wait_dscnt 0x0
	v_bfe_i32 v144, v90, 8, 8
	v_bfe_i32 v145, v89, 16, 8
	ds_load_b32 v123, v96
	ds_load_2addr_b32 v[96:97], v124 offset0:12 offset1:13
	ds_load_2addr_b32 v[98:99], v124 offset0:14 offset1:15
	;; [unrolled: 1-line block ×3, first 2 shown]
	v_ashrrev_i32_e32 v146, 24, v90
	v_bfe_i32 v147, v90, 16, 8
	v_bfe_i32 v148, v90, 0, 8
	v_ashrrev_i32_e32 v149, 24, v89
	v_bfe_i32 v150, v88, 8, 8
	v_bfe_i32 v151, v88, 0, 8
	v_perm_b32 v152, v91, v89, 0xc0c0600
	v_perm_b32 v153, v91, v88, 0xc0c0402
	;; [unrolled: 1-line block ×4, first 2 shown]
	s_wait_dscnt 0x2
	v_perm_b32 v102, v96, v86, 0x6040501
	s_wait_dscnt 0x1
	v_perm_b32 v103, v84, v98, 0x6040501
	v_perm_b32 v96, v85, v96, 0x6040503
	;; [unrolled: 1-line block ×3, first 2 shown]
	s_delay_alu instid0(VALU_DEP_3) | instskip(SKIP_2) | instid1(VALU_DEP_2)
	v_dot4_i32_iu8 v102, v103, v102, 0 neg_lo:[1,1,0]
	v_perm_b32 v103, v97, v84, 0x6040503
	v_perm_b32 v97, v86, v85, 0x7060403
	v_dot4_i32_iu8 v96, v103, v96, v102 neg_lo:[1,1,0]
	ds_load_2addr_b32 v[102:103], v125 offset0:12 offset1:13
	ds_load_2addr_b32 v[104:105], v125 offset0:14 offset1:15
	;; [unrolled: 1-line block ×3, first 2 shown]
	v_dot4_i32_iu8 v75, v97, v76, v75 neg_lo:[1,1,0]
	v_dot4_i32_iu8 v76, v97, v94, v96 neg_lo:[1,1,0]
	s_wait_dscnt 0x2
	v_perm_b32 v126, v102, v86, 0x6040501
	s_wait_dscnt 0x1
	v_perm_b32 v127, v84, v104, 0x6040501
	v_perm_b32 v102, v85, v102, 0x6040503
	s_delay_alu instid0(VALU_DEP_2) | instskip(SKIP_2) | instid1(VALU_DEP_2)
	v_dot4_i32_iu8 v126, v127, v126, 0 neg_lo:[1,1,0]
	v_perm_b32 v127, v103, v84, 0x6040503
	v_perm_b32 v103, v104, v103, 0x7060403
	v_dot4_i32_iu8 v102, v127, v102, v126 neg_lo:[1,1,0]
	v_dot4_i32_iu8 v126, v87, v95, v75 neg_lo:[1,1,0]
	;; [unrolled: 1-line block ×3, first 2 shown]
	v_perm_b32 v99, v88, v100, 0x6040501
	s_delay_alu instid0(VALU_DEP_4) | instskip(SKIP_2) | instid1(VALU_DEP_2)
	v_dot4_i32_iu8 v94, v97, v103, v102 neg_lo:[1,1,0]
	s_wait_dscnt 0x0
	v_perm_b32 v103, v88, v106, 0x6040501
	v_dot4_i32_iu8 v128, v87, v105, v94 neg_lo:[1,1,0]
	ds_load_2addr_b32 v[75:76], v108 offset0:8 offset1:9
	ds_load_2addr_b32 v[84:85], v108 offset0:10 offset1:11
	;; [unrolled: 1-line block ×3, first 2 shown]
	s_wait_dscnt 0x2
	v_perm_b32 v86, v75, v90, 0x6040501
	s_wait_dscnt 0x1
	v_perm_b32 v87, v88, v84, 0x6040501
	v_perm_b32 v75, v89, v75, 0x6040503
	s_delay_alu instid0(VALU_DEP_2) | instskip(SKIP_2) | instid1(VALU_DEP_2)
	v_dot4_i32_iu8 v86, v87, v86, 0 neg_lo:[1,1,0]
	v_perm_b32 v87, v76, v88, 0x6040503
	v_perm_b32 v76, v84, v76, 0x7060403
	v_dot4_i32_iu8 v75, v87, v75, v86 neg_lo:[1,1,0]
	ds_load_2addr_b32 v[86:87], v124 offset0:8 offset1:9
	ds_load_2addr_b32 v[96:97], v124 offset0:6 offset1:7
	s_wait_dscnt 0x1
	v_perm_b32 v98, v86, v90, 0x6040501
	v_perm_b32 v86, v89, v86, 0x6040503
	s_delay_alu instid0(VALU_DEP_2) | instskip(SKIP_2) | instid1(VALU_DEP_2)
	v_dot4_i32_iu8 v98, v99, v98, 0 neg_lo:[1,1,0]
	v_perm_b32 v99, v87, v88, 0x6040503
	v_perm_b32 v87, v100, v87, 0x7060403
	v_dot4_i32_iu8 v86, v99, v86, v98 neg_lo:[1,1,0]
	ds_load_2addr_b32 v[98:99], v125 offset0:8 offset1:9
	s_wait_dscnt 0x0
	v_perm_b32 v102, v98, v90, 0x6040501
	v_perm_b32 v98, v89, v98, 0x6040503
	;; [unrolled: 1-line block ×3, first 2 shown]
	s_delay_alu instid0(VALU_DEP_3) | instskip(SKIP_2) | instid1(VALU_DEP_2)
	v_dot4_i32_iu8 v102, v103, v102, 0 neg_lo:[1,1,0]
	v_perm_b32 v103, v99, v88, 0x6040503
	v_perm_b32 v99, v90, v89, 0x7060403
	v_dot4_i32_iu8 v98, v103, v98, v102 neg_lo:[1,1,0]
	s_delay_alu instid0(VALU_DEP_2) | instskip(SKIP_1) | instid1(VALU_DEP_3)
	v_dot4_i32_iu8 v75, v99, v76, v75 neg_lo:[1,1,0]
	v_dot4_i32_iu8 v76, v99, v87, v86 neg_lo:[1,1,0]
	;; [unrolled: 1-line block ×3, first 2 shown]
	s_delay_alu instid0(VALU_DEP_3) | instskip(NEXT) | instid1(VALU_DEP_3)
	v_dot4_i32_iu8 v141, v91, v85, v75 neg_lo:[1,1,0]
	v_dot4_i32_iu8 v142, v91, v101, v76 neg_lo:[1,1,0]
	ds_load_2addr_b32 v[75:76], v108 offset0:4 offset1:5
	v_dot4_i32_iu8 v143, v91, v107, v84 neg_lo:[1,1,0]
	ds_load_b128 v[84:87], v121 offset:35408
	ds_load_b128 v[88:91], v121 offset:35392
	s_wait_dscnt 0x2
	v_perm_b32 v98, v75, v94, 0x6050401
	s_wait_dscnt 0x1
	v_perm_b32 v121, v84, v86, 0x6050401
	v_perm_b32 v99, v76, v84, 0x6040503
	v_perm_b32 v75, v85, v75, 0x6040503
	v_perm_b32 v76, v94, v76, 0x7060403
	v_bfe_i32 v166, v84, 8, 8
	v_dot4_i32_iu8 v98, v98, v121, 0 neg_lo:[1,1,0]
	v_bfe_i32 v167, v84, 0, 8
	v_bfe_i32 v157, v87, 16, 8
	v_ashrrev_i32_e32 v158, 24, v87
	v_ashrrev_i32_e32 v159, 24, v85
	v_dot4_i32_iu8 v75, v75, v99, v98 neg_lo:[1,1,0]
	ds_load_2addr_b32 v[98:99], v124 offset0:4 offset1:5
	ds_load_2addr_b32 v[100:101], v124 offset0:2 offset1:3
	v_bfe_i32 v160, v85, 0, 8
	v_bfe_i32 v161, v85, 16, 8
	;; [unrolled: 1-line block ×4, first 2 shown]
	v_ashrrev_i32_e32 v164, 24, v86
	v_bfe_i32 v165, v86, 16, 8
	s_wait_dscnt 0x2
	v_bfe_i32 v169, v89, 0, 8
	v_bfe_i32 v170, v89, 16, 8
	v_ashrrev_i32_e32 v173, 24, v90
	v_bfe_i32 v174, v90, 16, 8
	v_bfe_i32 v175, v88, 8, 8
	;; [unrolled: 1-line block ×5, first 2 shown]
	s_wait_dscnt 0x1
	v_perm_b32 v102, v98, v96, 0x6050401
	v_perm_b32 v103, v99, v84, 0x6040503
	;; [unrolled: 1-line block ×5, first 2 shown]
	v_dot4_i32_iu8 v102, v102, v121, 0 neg_lo:[1,1,0]
	s_delay_alu instid0(VALU_DEP_2) | instskip(NEXT) | instid1(VALU_DEP_2)
	v_dot4_i32_iu8 v75, v99, v76, v75 neg_lo:[1,1,0]
	v_dot4_i32_iu8 v98, v98, v103, v102 neg_lo:[1,1,0]
	ds_load_2addr_b32 v[102:103], v125 offset0:6 offset1:7
	ds_load_2addr_b32 v[104:105], v125 offset0:4 offset1:5
	ds_load_2addr_b32 v[106:107], v125 offset0:2 offset1:3
	v_dot4_i32_iu8 v76, v99, v94, v98 neg_lo:[1,1,0]
	v_dot4_i32_iu8 v98, v95, v87, v75 neg_lo:[1,1,0]
	v_lshlrev_b32_e32 v75, 2, v0
	s_wait_dscnt 0x1
	v_perm_b32 v156, v104, v102, 0x6050401
	v_perm_b32 v104, v85, v104, 0x6040503
	;; [unrolled: 1-line block ×3, first 2 shown]
	s_delay_alu instid0(VALU_DEP_3) | instskip(SKIP_2) | instid1(VALU_DEP_2)
	v_dot4_i32_iu8 v121, v156, v121, 0 neg_lo:[1,1,0]
	v_perm_b32 v156, v105, v84, 0x6040503
	v_bfe_i32 v105, v84, 16, 8
	v_dot4_i32_iu8 v104, v104, v156, v121 neg_lo:[1,1,0]
	v_ashrrev_i32_e32 v121, 24, v84
	v_bfe_i32 v156, v86, 0, 8
	s_delay_alu instid0(VALU_DEP_3) | instskip(SKIP_3) | instid1(VALU_DEP_4)
	v_dot4_i32_iu8 v94, v99, v96, v104 neg_lo:[1,1,0]
	v_dot4_i32_iu8 v99, v97, v87, v76 neg_lo:[1,1,0]
	v_lshlrev_b32_e32 v76, 2, v52
	v_bfe_i32 v104, v86, 8, 8
	v_dot4_i32_iu8 v102, v103, v87, v94 neg_lo:[1,1,0]
	v_lshrrev_b16 v103, 8, v85
	s_delay_alu instid0(VALU_DEP_4)
	v_add3_u32 v84, s21, v75, v76
	ds_load_b32 v168, v84
	ds_load_2addr_b32 v[84:85], v108 offset0:2 offset1:3
	ds_load_2addr_b32 v[86:87], v108 offset1:1
	v_perm_b32 v108, v88, v90, 0x6050401
	v_bfe_i32 v103, v103, 0, 8
	s_wait_dscnt 0x0
	v_perm_b32 v94, v86, v84, 0x6050401
	v_perm_b32 v95, v87, v88, 0x6040503
	;; [unrolled: 1-line block ×4, first 2 shown]
	s_delay_alu instid0(VALU_DEP_4) | instskip(NEXT) | instid1(VALU_DEP_1)
	v_dot4_i32_iu8 v94, v94, v108, 0 neg_lo:[1,1,0]
	v_dot4_i32_iu8 v86, v86, v95, v94 neg_lo:[1,1,0]
	ds_load_2addr_b32 v[94:95], v124 offset1:1
	s_wait_dscnt 0x0
	v_perm_b32 v96, v94, v100, 0x6050401
	v_perm_b32 v97, v95, v88, 0x6040503
	;; [unrolled: 1-line block ×4, first 2 shown]
	v_bfe_i32 v100, v90, 8, 8
	v_dot4_i32_iu8 v96, v96, v108, 0 neg_lo:[1,1,0]
	s_delay_alu instid0(VALU_DEP_1)
	v_dot4_i32_iu8 v94, v94, v97, v96 neg_lo:[1,1,0]
	ds_load_2addr_b32 v[96:97], v125 offset1:1
	v_ashrrev_i32_e32 v125, 24, v89
	s_wait_dscnt 0x0
	v_perm_b32 v124, v96, v106, 0x6050401
	v_perm_b32 v95, v106, v97, 0x7060403
	;; [unrolled: 1-line block ×3, first 2 shown]
	v_ashrrev_i32_e32 v106, 24, v88
	s_delay_alu instid0(VALU_DEP_4) | instskip(SKIP_2) | instid1(VALU_DEP_2)
	v_dot4_i32_iu8 v108, v124, v108, 0 neg_lo:[1,1,0]
	v_perm_b32 v124, v97, v88, 0x6040503
	v_perm_b32 v97, v90, v89, 0x7060403
	v_dot4_i32_iu8 v96, v96, v124, v108 neg_lo:[1,1,0]
	s_delay_alu instid0(VALU_DEP_2)
	v_dot4_i32_iu8 v84, v97, v84, v86 neg_lo:[1,1,0]
	v_dot4_i32_iu8 v86, v97, v87, v94 neg_lo:[1,1,0]
	v_bfe_i32 v108, v91, 16, 8
	v_ashrrev_i32_e32 v124, 24, v91
	v_dot4_i32_iu8 v87, v97, v95, v96 neg_lo:[1,1,0]
	v_dot4_i32_iu8 v94, v85, v91, v84 neg_lo:[1,1,0]
	v_bfe_i32 v84, v93, 16, 8
	v_dot4_i32_iu8 v95, v101, v91, v86 neg_lo:[1,1,0]
	v_lshrrev_b16 v97, 8, v89
	v_dot4_i32_iu8 v96, v107, v91, v87 neg_lo:[1,1,0]
	v_bfe_i32 v101, v88, 16, 8
	v_mul_i32_i24_e32 v84, v84, v133
	ds_load_b32 v133, v77 offset:60
	ds_load_u16 v177, v77 offset:58
	v_bfe_i32 v107, v90, 0, 8
	v_bfe_i32 v97, v97, 0, 8
	s_wait_dscnt 0x1
	v_perm_b32 v85, v133, v92, 0xc0c0501
	s_delay_alu instid0(VALU_DEP_1) | instskip(SKIP_3) | instid1(VALU_DEP_2)
	v_dot4_i32_iu8 v137, v85, v137, v84 neg_lo:[1,1,0]
	s_wait_dscnt 0x0
	v_bfe_i32 v84, v177, 0, 8
	v_perm_b32 v85, v133, v92, 0xc0c0602
	v_mul_i32_i24_e32 v84, v84, v132
	s_delay_alu instid0(VALU_DEP_1) | instskip(SKIP_3) | instid1(VALU_DEP_3)
	v_dot4_i32_iu8 v132, v85, v139, v84 neg_lo:[1,1,0]
	v_bfe_i32 v84, v93, 8, 8
	v_perm_b32 v85, v133, v92, 0xc0c0400
	v_perm_b32 v92, v133, v92, 0xc0c0703
	v_mul_i32_i24_e32 v84, v84, v134
	s_delay_alu instid0(VALU_DEP_1) | instskip(SKIP_2) | instid1(VALU_DEP_1)
	v_dot4_i32_iu8 v134, v85, v140, v84 neg_lo:[1,1,0]
	v_mul_i32_i24_e32 v84, v110, v136
	v_ashrrev_i32_e32 v85, 24, v93
	v_mad_i32_i24 v110, v85, v129, v84
	v_mul_i32_i24_e32 v84, v114, v147
	s_delay_alu instid0(VALU_DEP_1) | instskip(SKIP_1) | instid1(VALU_DEP_1)
	v_dot4_i32_iu8 v114, v117, v152, v84 neg_lo:[1,1,0]
	v_mul_i32_i24_e32 v84, v116, v149
	v_dot4_i32_iu8 v116, v118, v153, v84 neg_lo:[1,1,0]
	v_mul_i32_i24_e32 v84, v113, v146
	s_delay_alu instid0(VALU_DEP_1) | instskip(SKIP_1) | instid1(VALU_DEP_1)
	v_dot4_i32_iu8 v113, v119, v154, v84 neg_lo:[1,1,0]
	v_mul_i32_i24_e32 v84, v115, v148
	v_dot4_i32_iu8 v115, v120, v155, v84 neg_lo:[1,1,0]
	ds_load_u16 v117, v77 offset:32
	ds_load_2addr_b32 v[84:85], v77 offset0:6 offset1:7
	s_wait_dscnt 0x1
	v_bfe_i32 v86, v117, 0, 8
	s_delay_alu instid0(VALU_DEP_1) | instskip(NEXT) | instid1(VALU_DEP_1)
	v_mul_i32_i24_e32 v86, v86, v151
	v_mad_i32_i24 v111, v111, v144, v86
	s_wait_dscnt 0x0
	v_bfe_i32 v86, v85, 0, 8
	s_delay_alu instid0(VALU_DEP_1) | instskip(SKIP_4) | instid1(VALU_DEP_1)
	v_mul_i32_i24_e32 v90, v86, v163
	ds_load_2addr_b32 v[86:87], v77 offset0:4 offset1:5
	ds_load_2addr_b32 v[88:89], v77 offset0:2 offset1:3
	s_wait_dscnt 0x1
	v_bfe_i32 v91, v87, 16, 8
	v_mad_i32_i24 v118, v91, v161, v90
	v_bfe_i32 v90, v84, 16, 8
	v_bfe_i32 v91, v87, 0, 8
	s_delay_alu instid0(VALU_DEP_2) | instskip(NEXT) | instid1(VALU_DEP_1)
	v_mul_i32_i24_e32 v90, v90, v165
	v_mad_i32_i24 v119, v91, v160, v90
	v_bfe_i32 v90, v85, 8, 8
	v_ashrrev_i32_e32 v91, 24, v87
	v_lshrrev_b16 v87, 8, v87
	s_delay_alu instid0(VALU_DEP_3) | instskip(NEXT) | instid1(VALU_DEP_2)
	v_mul_i32_i24_e32 v90, v90, v162
	v_bfe_i32 v87, v87, 0, 8
	s_delay_alu instid0(VALU_DEP_2) | instskip(SKIP_2) | instid1(VALU_DEP_4)
	v_mad_i32_i24 v120, v91, v159, v90
	v_bfe_i32 v90, v86, 8, 8
	v_bfe_i32 v91, v84, 8, 8
	v_mul_i32_i24_e32 v87, v87, v103
	v_ashrrev_i32_e32 v103, 24, v86
	s_delay_alu instid0(VALU_DEP_4) | instskip(NEXT) | instid1(VALU_DEP_2)
	v_mul_i32_i24_e32 v90, v90, v166
	v_mul_i32_i24_e32 v103, v103, v121
	s_delay_alu instid0(VALU_DEP_2) | instskip(SKIP_4) | instid1(VALU_DEP_4)
	v_mad_i32_i24 v104, v91, v104, v90
	v_bfe_i32 v90, v85, 16, 8
	v_bfe_i32 v91, v84, 0, 8
	v_ashrrev_i32_e32 v84, 24, v84
	v_ashrrev_i32_e32 v85, 24, v85
	v_mul_i32_i24_e32 v90, v90, v157
	s_delay_alu instid0(VALU_DEP_3) | instskip(NEXT) | instid1(VALU_DEP_3)
	v_mul_i32_i24_e32 v84, v84, v164
	v_mul_i32_i24_e32 v85, v85, v158
	s_delay_alu instid0(VALU_DEP_3)
	v_mad_i32_i24 v129, v91, v156, v90
	ds_load_2addr_b32 v[90:91], v77 offset1:1
	s_wait_dscnt 0x1
	v_bfe_i32 v77, v89, 0, 8
	v_add3_u32 v84, v87, v84, v120
	v_bfe_i32 v87, v86, 16, 8
	v_bfe_i32 v86, v86, 0, 8
	s_delay_alu instid0(VALU_DEP_4) | instskip(NEXT) | instid1(VALU_DEP_4)
	v_mul_i32_i24_e32 v136, v77, v172
	v_add3_u32 v84, v119, v118, v84
	s_delay_alu instid0(VALU_DEP_4) | instskip(NEXT) | instid1(VALU_DEP_4)
	v_mul_i32_i24_e32 v87, v87, v105
	v_mul_i32_i24_e32 v86, v86, v167
	v_lshlrev_b32_e32 v77, 2, v60
	s_delay_alu instid0(VALU_DEP_3) | instskip(NEXT) | instid1(VALU_DEP_3)
	v_add3_u32 v87, v87, v103, v129
	v_add3_u32 v84, v84, v86, v104
	v_add_nc_u32_e32 v103, v116, v114
	s_delay_alu instid0(VALU_DEP_4)
	v_add3_u32 v139, s21, v77, v74
	s_mov_b32 s21, 8
	s_wait_dscnt 0x0
	v_bfe_i32 v140, v91, 16, 8
	v_bfe_i32 v144, v91, 0, 8
	v_ashrrev_i32_e32 v146, 24, v91
	v_lshrrev_b16 v91, 8, v91
	v_bfe_i32 v86, v90, 0, 8
	v_mad_i32_i24 v136, v140, v170, v136
	v_bfe_i32 v140, v88, 16, 8
	ds_load_b32 v139, v139
	v_bfe_i32 v91, v91, 0, 8
	v_mul_i32_i24_e32 v86, v86, v176
	v_mul_i32_i24_e32 v140, v140, v174
	s_delay_alu instid0(VALU_DEP_3) | instskip(SKIP_1) | instid1(VALU_DEP_3)
	v_mul_i32_i24_e32 v91, v91, v97
	v_ashrrev_i32_e32 v97, 24, v90
	v_mad_i32_i24 v140, v144, v169, v140
	v_bfe_i32 v144, v89, 8, 8
	s_delay_alu instid0(VALU_DEP_3) | instskip(NEXT) | instid1(VALU_DEP_2)
	v_mul_i32_i24_e32 v97, v97, v106
	v_mul_i32_i24_e32 v144, v144, v171
	s_delay_alu instid0(VALU_DEP_1) | instskip(SKIP_2) | instid1(VALU_DEP_2)
	v_mad_i32_i24 v125, v146, v125, v144
	v_bfe_i32 v144, v90, 8, 8
	v_bfe_i32 v146, v88, 8, 8
	v_mul_i32_i24_e32 v144, v144, v175
	s_delay_alu instid0(VALU_DEP_1) | instskip(SKIP_1) | instid1(VALU_DEP_1)
	v_mad_i32_i24 v100, v146, v100, v144
	v_bfe_i32 v144, v89, 16, 8
	v_mul_i32_i24_e32 v108, v144, v108
	v_bfe_i32 v144, v88, 0, 8
	v_ashrrev_i32_e32 v88, 24, v88
	s_delay_alu instid0(VALU_DEP_2) | instskip(NEXT) | instid1(VALU_DEP_2)
	v_mad_i32_i24 v107, v144, v107, v108
	v_mul_i32_i24_e32 v88, v88, v173
	v_lshrrev_b16 v108, 8, v177
	s_delay_alu instid0(VALU_DEP_2) | instskip(SKIP_1) | instid1(VALU_DEP_3)
	v_add3_u32 v88, v91, v88, v125
	v_bfe_i32 v91, v90, 16, 8
	v_bfe_i32 v108, v108, 0, 8
	;; [unrolled: 1-line block ×3, first 2 shown]
	s_delay_alu instid0(VALU_DEP_4) | instskip(NEXT) | instid1(VALU_DEP_4)
	v_add3_u32 v88, v140, v136, v88
	v_mul_i32_i24_e32 v91, v91, v101
	s_delay_alu instid0(VALU_DEP_4) | instskip(SKIP_1) | instid1(VALU_DEP_4)
	v_mul_i32_i24_e32 v108, v108, v131
	v_add_nc_u32_e32 v101, v115, v113
	v_add3_u32 v86, v88, v86, v100
	s_delay_alu instid0(VALU_DEP_4) | instskip(SKIP_3) | instid1(VALU_DEP_3)
	v_add3_u32 v91, v91, v97, v107
	v_lshrrev_b16 v97, 8, v117
	v_dot4_i32_iu8 v92, v92, v138, v108 neg_lo:[1,1,0]
	v_bfe_i32 v88, v93, 0, 8
	v_bfe_i32 v97, v97, 0, 8
	s_delay_alu instid0(VALU_DEP_3) | instskip(NEXT) | instid1(VALU_DEP_3)
	v_add_nc_u32_e32 v92, v137, v92
	v_mul_i32_i24_e32 v88, v88, v130
	s_delay_alu instid0(VALU_DEP_3) | instskip(NEXT) | instid1(VALU_DEP_1)
	v_mul_i32_i24_e32 v97, v97, v150
	v_add3_u32 v97, v103, v101, v97
	v_mul_i32_i24_e32 v101, v109, v135
	v_add_nc_u32_e32 v103, v134, v132
	s_delay_alu instid0(VALU_DEP_1) | instskip(SKIP_1) | instid1(VALU_DEP_2)
	v_add3_u32 v92, v103, v92, v101
	v_mul_i32_i24_e32 v101, v112, v145
	v_add3_u32 v93, v92, v110, v88
	v_add3_u32 v92, v84, v87, v85
	v_ashrrev_i32_e32 v84, 24, v89
	v_bfe_i32 v85, v168, 16, 8
	v_ashrrev_i32_e32 v87, 24, v122
	v_ashrrev_i32_e32 v88, 24, v123
	v_bfe_i32 v89, v168, 0, 8
	v_mul_i32_i24_e32 v84, v84, v124
	v_mul_lo_u32 v85, v141, v85
	v_add3_u32 v97, v97, v111, v101
	s_delay_alu instid0(VALU_DEP_3)
	v_add3_u32 v100, v86, v91, v84
	v_ashrrev_i32_e32 v86, 24, v168
	v_bfe_i32 v91, v123, 0, 8
	ds_load_b64 v[83:84], v83 offset:36944
	v_mad_co_u64_u32 v[85:86], null, v126, v86, v[85:86]
	v_bfe_i32 v86, v122, 16, 8
	s_delay_alu instid0(VALU_DEP_1) | instskip(NEXT) | instid1(VALU_DEP_3)
	v_mul_lo_u32 v86, v142, v86
	v_cvt_f32_i32_e32 v85, v85
	s_delay_alu instid0(VALU_DEP_2) | instskip(SKIP_1) | instid1(VALU_DEP_1)
	v_mad_co_u64_u32 v[86:87], null, v127, v87, v[86:87]
	v_bfe_i32 v87, v123, 16, 8
	v_mul_lo_u32 v87, v143, v87
	s_delay_alu instid0(VALU_DEP_3) | instskip(NEXT) | instid1(VALU_DEP_2)
	v_cvt_f32_i32_e32 v86, v86
	v_mad_co_u64_u32 v[87:88], null, v128, v88, v[87:88]
	v_bfe_i32 v88, v168, 8, 8
	s_delay_alu instid0(VALU_DEP_1) | instskip(NEXT) | instid1(VALU_DEP_3)
	v_mul_lo_u32 v88, v98, v88
	v_cvt_f32_i32_e32 v87, v87
	s_delay_alu instid0(VALU_DEP_2) | instskip(SKIP_3) | instid1(VALU_DEP_2)
	v_mad_co_u64_u32 v[88:89], null, v94, v89, v[88:89]
	v_bfe_i32 v89, v122, 8, 8
	s_wait_dscnt 0x1
	v_ashrrev_i32_e32 v94, 24, v139
	v_mul_lo_u32 v89, v99, v89
	s_delay_alu instid0(VALU_DEP_4) | instskip(SKIP_1) | instid1(VALU_DEP_1)
	v_cvt_f32_i32_e32 v88, v88
	s_wait_dscnt 0x0
	v_fma_f32 v88, v83, v88, 0
	s_delay_alu instid0(VALU_DEP_3) | instskip(SKIP_1) | instid1(VALU_DEP_3)
	v_mad_co_u64_u32 v[89:90], null, v95, v90, v[89:90]
	v_bfe_i32 v90, v123, 8, 8
	v_fmac_f32_e32 v88, v84, v85
	s_delay_alu instid0(VALU_DEP_2) | instskip(NEXT) | instid1(VALU_DEP_4)
	v_mul_lo_u32 v90, v102, v90
	v_cvt_f32_i32_e32 v89, v89
	s_delay_alu instid0(VALU_DEP_3) | instskip(NEXT) | instid1(VALU_DEP_2)
	v_fmac_f32_e32 v24, v79, v88
	v_fma_f32 v89, v83, v89, 0
	s_delay_alu instid0(VALU_DEP_4) | instskip(SKIP_1) | instid1(VALU_DEP_3)
	v_mad_co_u64_u32 v[90:91], null, v96, v91, v[90:91]
	v_bfe_i32 v91, v139, 8, 8
	v_fmac_f32_e32 v89, v84, v86
	s_delay_alu instid0(VALU_DEP_2) | instskip(SKIP_2) | instid1(VALU_DEP_4)
	v_mul_lo_u32 v91, v92, v91
	v_bfe_i32 v92, v139, 0, 8
	v_cvt_f32_i32_e32 v90, v90
	v_fmac_f32_e32 v51, v80, v89
	s_delay_alu instid0(VALU_DEP_2) | instskip(NEXT) | instid1(VALU_DEP_4)
	v_fma_f32 v90, v83, v90, 0
	v_mad_co_u64_u32 v[91:92], null, v100, v92, v[91:92]
	v_bfe_i32 v92, v139, 16, 8
	s_delay_alu instid0(VALU_DEP_3) | instskip(NEXT) | instid1(VALU_DEP_2)
	v_fmac_f32_e32 v90, v84, v87
	v_mul_lo_u32 v92, v97, v92
	s_delay_alu instid0(VALU_DEP_4) | instskip(NEXT) | instid1(VALU_DEP_3)
	v_cvt_f32_i32_e32 v91, v91
	v_fmac_f32_e32 v45, v81, v90
	s_delay_alu instid0(VALU_DEP_2) | instskip(NEXT) | instid1(VALU_DEP_4)
	v_fma_f32 v83, v83, v91, 0
	v_mad_co_u64_u32 v[92:93], null, v93, v94, v[92:93]
	s_delay_alu instid0(VALU_DEP_1) | instskip(NEXT) | instid1(VALU_DEP_1)
	v_cvt_f32_i32_e32 v92, v92
	v_fmac_f32_e32 v83, v84, v92
	s_delay_alu instid0(VALU_DEP_1)
	v_fmac_f32_e32 v16, v82, v83
	s_wait_alu 0xfffe
	s_cbranch_vccnz .LBB236_11
; %bb.12:                               ;   in Loop: Header=BB236_5 Depth=1
	s_bitset1_b32 s18, 7
	s_wait_loadcnt 0x0
	s_wait_alu 0xfffe
	s_cmp_ge_i32 s18, s5
	s_barrier_signal -1
	s_barrier_wait -1
	global_inv scope:SCOPE_SE
	s_cbranch_scc1 .LBB236_4
; %bb.13:                               ;   in Loop: Header=BB236_5 Depth=1
	v_add_nc_u32_e32 v79, s19, v57
	s_delay_alu instid0(VALU_DEP_1)
	v_cmp_gt_i32_e32 vcc_lo, s8, v79
	s_and_b32 s19, s1, vcc_lo
	s_wait_alu 0xfffe
	s_and_saveexec_b32 s18, s19
	s_cbranch_execz .LBB236_15
; %bb.14:                               ;   in Loop: Header=BB236_5 Depth=1
	v_add_nc_u32_e32 v79, v66, v79
	s_delay_alu instid0(VALU_DEP_1)
	v_mad_co_i64_i32 v[79:80], null, v79, 36, v[18:19]
	global_load_b32 v79, v[79:80], off offset:4
	s_wait_loadcnt 0x0
	ds_store_b32 v55, v79
.LBB236_15:                             ;   in Loop: Header=BB236_5 Depth=1
	s_wait_alu 0xfffe
	s_or_b32 exec_lo, exec_lo, s18
	s_and_saveexec_b32 s18, s0
	s_cbranch_execz .LBB236_18
; %bb.16:                               ;   in Loop: Header=BB236_5 Depth=1
	v_or_b32_e32 v79, 4, v78
	s_delay_alu instid0(VALU_DEP_1)
	v_cmp_gt_i32_e32 vcc_lo, s8, v79
	s_and_b32 s19, s1, vcc_lo
	s_wait_alu 0xfffe
	s_and_b32 exec_lo, exec_lo, s19
	s_cbranch_execz .LBB236_18
; %bb.17:                               ;   in Loop: Header=BB236_5 Depth=1
	v_ashrrev_i32_e32 v79, 31, v78
	v_add_co_u32 v78, vcc_lo, v66, v78
	s_wait_alu 0xfffd
	s_delay_alu instid0(VALU_DEP_2) | instskip(NEXT) | instid1(VALU_DEP_2)
	v_add_co_ci_u32_e64 v80, null, v69, v79, vcc_lo
	v_mad_co_u64_u32 v[78:79], null, v78, 36, s[2:3]
	s_delay_alu instid0(VALU_DEP_1)
	v_mad_i32_i24 v79, v80, 36, v79
	global_load_b32 v78, v[78:79], off offset:144
	v_add_nc_u32_e32 v79, v54, v56
	s_wait_loadcnt 0x0
	v_cvt_f32_f16_e32 v78, v78
	ds_store_b32 v79, v78
.LBB236_18:                             ;   in Loop: Header=BB236_5 Depth=1
	s_wait_alu 0xfffe
	s_or_b32 exec_lo, exec_lo, s18
	s_wait_loadcnt_dscnt 0x0
	s_barrier_signal -1
	s_barrier_wait -1
	global_inv scope:SCOPE_SE
	ds_load_b32 v78, v58
	ds_load_b32 v79, v61 offset:128
	ds_load_b32 v80, v62 offset:256
	ds_load_b32 v81, v63 offset:384
	s_mov_b32 s18, 16
.LBB236_19:                             ;   Parent Loop BB236_5 Depth=1
                                        ; =>  This Inner Loop Header: Depth=2
	s_wait_alu 0xfffe
	s_lshl_b32 s19, s18, 3
	s_lshl_b32 s20, s18, 1
	s_wait_alu 0xfffe
	v_add_nc_u32_e32 v108, s19, v68
	s_lshr_b32 s21, s18, 1
	v_and_or_b32 v109, s20, 16, v39
	s_wait_alu 0xfffe
	s_add_co_i32 s20, s21, 0x8200
	v_add_nc_u32_e32 v110, s19, v64
	ds_load_b128 v[82:85], v108 offset:34
	ds_load_b64 v[90:91], v108 offset:50
	s_wait_alu 0xfffe
	v_add3_u32 v86, s20, v20, v72
	v_lshlrev_b32_e32 v111, 2, v109
	v_add_nc_u32_e32 v126, s19, v65
	v_add_nc_u32_e32 v127, s19, v67
	s_add_co_i32 s19, s18, 8
	s_cmp_lt_u32 s18, 24
	s_wait_alu 0xfffe
	s_mov_b32 s18, s19
	s_wait_dscnt 0x1
	v_ashrrev_i32_e32 v112, 24, v85
	v_bfe_i32 v113, v85, 16, 8
	v_ashrrev_i32_e32 v114, 24, v83
	v_bfe_i32 v115, v83, 0, 8
	v_bfe_i32 v116, v84, 8, 8
	;; [unrolled: 1-line block ×5, first 2 shown]
	v_perm_b32 v120, v85, v82, 0xc0c0402
	v_perm_b32 v121, v84, v82, 0xc0c0600
	;; [unrolled: 1-line block ×4, first 2 shown]
	ds_load_2addr_b32 v[92:93], v110 offset0:12 offset1:13
	ds_load_b32 v124, v86
	ds_load_2addr_b32 v[94:95], v110 offset0:14 offset1:15
	ds_load_b128 v[82:85], v111 offset:35440
	ds_load_b128 v[86:89], v111 offset:35424
	s_wait_dscnt 0x1
	v_perm_b32 v96, v92, v84, 0x6040501
	v_perm_b32 v97, v82, v94, 0x6040501
	v_perm_b32 v92, v83, v92, 0x6040503
	v_bfe_i32 v131, v84, 8, 8
	v_bfe_i32 v132, v83, 16, 8
	v_ashrrev_i32_e32 v133, 24, v84
	v_dot4_i32_iu8 v96, v97, v96, 0 neg_lo:[1,1,0]
	v_perm_b32 v97, v93, v82, 0x6040503
	v_perm_b32 v93, v94, v93, 0x7060403
	v_bfe_i32 v134, v84, 16, 8
	v_bfe_i32 v135, v84, 0, 8
	v_ashrrev_i32_e32 v136, 24, v83
	v_dot4_i32_iu8 v92, v97, v92, v96 neg_lo:[1,1,0]
	v_add3_u32 v96, s20, v21, v73
	v_bfe_i32 v137, v82, 8, 8
	v_bfe_i32 v138, v82, 0, 8
	v_perm_b32 v139, v85, v83, 0xc0c0600
	v_perm_b32 v140, v85, v82, 0xc0c0402
	ds_load_b32 v125, v96
	ds_load_2addr_b32 v[96:97], v126 offset0:12 offset1:13
	ds_load_2addr_b32 v[98:99], v126 offset0:14 offset1:15
	;; [unrolled: 1-line block ×3, first 2 shown]
	v_perm_b32 v141, v85, v83, 0xc0c0701
	v_perm_b32 v142, v85, v82, 0xc0c0503
	s_wait_dscnt 0x4
	v_bfe_i32 v146, v88, 8, 8
	v_bfe_i32 v147, v87, 16, 8
	v_ashrrev_i32_e32 v148, 24, v88
	v_bfe_i32 v149, v88, 16, 8
	v_bfe_i32 v150, v88, 0, 8
	v_ashrrev_i32_e32 v151, 24, v87
	v_bfe_i32 v152, v86, 8, 8
	v_bfe_i32 v153, v86, 0, 8
	v_perm_b32 v154, v89, v87, 0xc0c0600
	v_perm_b32 v155, v89, v86, 0xc0c0402
	;; [unrolled: 1-line block ×4, first 2 shown]
	s_wait_dscnt 0x2
	v_perm_b32 v102, v96, v84, 0x6040501
	s_wait_dscnt 0x1
	v_perm_b32 v103, v82, v98, 0x6040501
	v_perm_b32 v96, v83, v96, 0x6040503
	;; [unrolled: 1-line block ×3, first 2 shown]
	s_delay_alu instid0(VALU_DEP_3) | instskip(SKIP_2) | instid1(VALU_DEP_2)
	v_dot4_i32_iu8 v102, v103, v102, 0 neg_lo:[1,1,0]
	v_perm_b32 v103, v97, v82, 0x6040503
	v_perm_b32 v97, v84, v83, 0x7060403
	v_dot4_i32_iu8 v96, v103, v96, v102 neg_lo:[1,1,0]
	ds_load_2addr_b32 v[102:103], v127 offset0:12 offset1:13
	ds_load_2addr_b32 v[104:105], v127 offset0:14 offset1:15
	;; [unrolled: 1-line block ×3, first 2 shown]
	v_dot4_i32_iu8 v92, v97, v93, v92 neg_lo:[1,1,0]
	v_dot4_i32_iu8 v93, v97, v94, v96 neg_lo:[1,1,0]
	s_wait_dscnt 0x2
	v_perm_b32 v128, v102, v84, 0x6040501
	s_wait_dscnt 0x1
	v_perm_b32 v129, v82, v104, 0x6040501
	v_perm_b32 v102, v83, v102, 0x6040503
	s_delay_alu instid0(VALU_DEP_2) | instskip(SKIP_2) | instid1(VALU_DEP_2)
	v_dot4_i32_iu8 v128, v129, v128, 0 neg_lo:[1,1,0]
	v_perm_b32 v129, v103, v82, 0x6040503
	v_perm_b32 v103, v104, v103, 0x7060403
	v_dot4_i32_iu8 v102, v129, v102, v128 neg_lo:[1,1,0]
	v_dot4_i32_iu8 v128, v85, v95, v92 neg_lo:[1,1,0]
	;; [unrolled: 1-line block ×3, first 2 shown]
	v_perm_b32 v99, v86, v100, 0x6040501
	s_delay_alu instid0(VALU_DEP_4) | instskip(SKIP_2) | instid1(VALU_DEP_2)
	v_dot4_i32_iu8 v94, v97, v103, v102 neg_lo:[1,1,0]
	s_wait_dscnt 0x0
	v_perm_b32 v103, v86, v106, 0x6040501
	v_dot4_i32_iu8 v130, v85, v105, v94 neg_lo:[1,1,0]
	ds_load_2addr_b32 v[82:83], v110 offset0:8 offset1:9
	ds_load_2addr_b32 v[84:85], v110 offset0:10 offset1:11
	;; [unrolled: 1-line block ×3, first 2 shown]
	s_wait_dscnt 0x2
	v_perm_b32 v94, v82, v88, 0x6040501
	s_wait_dscnt 0x1
	v_perm_b32 v95, v86, v84, 0x6040501
	v_perm_b32 v82, v87, v82, 0x6040503
	s_delay_alu instid0(VALU_DEP_2) | instskip(SKIP_2) | instid1(VALU_DEP_2)
	v_dot4_i32_iu8 v94, v95, v94, 0 neg_lo:[1,1,0]
	v_perm_b32 v95, v83, v86, 0x6040503
	v_perm_b32 v83, v84, v83, 0x7060403
	v_dot4_i32_iu8 v82, v95, v82, v94 neg_lo:[1,1,0]
	ds_load_2addr_b32 v[94:95], v126 offset0:8 offset1:9
	ds_load_2addr_b32 v[96:97], v126 offset0:6 offset1:7
	s_wait_dscnt 0x1
	v_perm_b32 v98, v94, v88, 0x6040501
	v_perm_b32 v94, v87, v94, 0x6040503
	s_delay_alu instid0(VALU_DEP_2) | instskip(SKIP_2) | instid1(VALU_DEP_2)
	v_dot4_i32_iu8 v98, v99, v98, 0 neg_lo:[1,1,0]
	v_perm_b32 v99, v95, v86, 0x6040503
	v_perm_b32 v95, v100, v95, 0x7060403
	v_dot4_i32_iu8 v94, v99, v94, v98 neg_lo:[1,1,0]
	ds_load_2addr_b32 v[98:99], v127 offset0:8 offset1:9
	s_wait_dscnt 0x0
	v_perm_b32 v102, v98, v88, 0x6040501
	v_perm_b32 v98, v87, v98, 0x6040503
	v_perm_b32 v84, v106, v99, 0x7060403
	s_delay_alu instid0(VALU_DEP_3) | instskip(SKIP_2) | instid1(VALU_DEP_2)
	v_dot4_i32_iu8 v102, v103, v102, 0 neg_lo:[1,1,0]
	v_perm_b32 v103, v99, v86, 0x6040503
	v_perm_b32 v99, v88, v87, 0x7060403
	v_dot4_i32_iu8 v98, v103, v98, v102 neg_lo:[1,1,0]
	s_delay_alu instid0(VALU_DEP_2)
	v_dot4_i32_iu8 v82, v99, v83, v82 neg_lo:[1,1,0]
	v_dot4_i32_iu8 v83, v99, v95, v94 neg_lo:[1,1,0]
	ds_load_2addr_b32 v[94:95], v110 offset0:4 offset1:5
	v_dot4_i32_iu8 v84, v99, v84, v98 neg_lo:[1,1,0]
	v_dot4_i32_iu8 v143, v89, v85, v82 neg_lo:[1,1,0]
	;; [unrolled: 1-line block ×3, first 2 shown]
	s_delay_alu instid0(VALU_DEP_3)
	v_dot4_i32_iu8 v145, v89, v107, v84 neg_lo:[1,1,0]
	ds_load_b128 v[82:85], v111 offset:35408
	ds_load_b128 v[86:89], v111 offset:35392
	s_wait_dscnt 0x2
	v_perm_b32 v98, v94, v92, 0x6050401
	v_perm_b32 v92, v92, v95, 0x7060403
	s_wait_dscnt 0x1
	v_perm_b32 v111, v82, v84, 0x6050401
	v_perm_b32 v99, v95, v82, 0x6040503
	v_perm_b32 v94, v83, v94, 0x6040503
	v_bfe_i32 v166, v82, 8, 8
	v_bfe_i32 v167, v82, 0, 8
	v_dot4_i32_iu8 v98, v98, v111, 0 neg_lo:[1,1,0]
	v_ashrrev_i32_e32 v159, 24, v83
	v_bfe_i32 v160, v83, 0, 8
	v_bfe_i32 v161, v83, 16, 8
	;; [unrolled: 1-line block ×3, first 2 shown]
	v_dot4_i32_iu8 v94, v94, v99, v98 neg_lo:[1,1,0]
	ds_load_2addr_b32 v[98:99], v126 offset0:4 offset1:5
	ds_load_2addr_b32 v[100:101], v126 offset0:2 offset1:3
	v_bfe_i32 v163, v85, 0, 8
	v_ashrrev_i32_e32 v164, 24, v84
	v_bfe_i32 v165, v84, 16, 8
	s_wait_dscnt 0x2
	v_bfe_i32 v169, v87, 0, 8
	v_bfe_i32 v170, v87, 16, 8
	v_ashrrev_i32_e32 v173, 24, v88
	v_bfe_i32 v174, v88, 16, 8
	v_bfe_i32 v175, v86, 8, 8
	;; [unrolled: 1-line block ×5, first 2 shown]
	s_wait_dscnt 0x1
	v_perm_b32 v102, v98, v96, 0x6050401
	v_perm_b32 v103, v99, v82, 0x6040503
	;; [unrolled: 1-line block ×5, first 2 shown]
	v_dot4_i32_iu8 v102, v102, v111, 0 neg_lo:[1,1,0]
	s_delay_alu instid0(VALU_DEP_2) | instskip(NEXT) | instid1(VALU_DEP_2)
	v_dot4_i32_iu8 v92, v99, v92, v94 neg_lo:[1,1,0]
	v_dot4_i32_iu8 v98, v98, v103, v102 neg_lo:[1,1,0]
	ds_load_2addr_b32 v[102:103], v127 offset0:6 offset1:7
	ds_load_2addr_b32 v[104:105], v127 offset0:4 offset1:5
	;; [unrolled: 1-line block ×3, first 2 shown]
	v_dot4_i32_iu8 v94, v99, v95, v98 neg_lo:[1,1,0]
	s_delay_alu instid0(VALU_DEP_1)
	v_dot4_i32_iu8 v97, v97, v85, v94 neg_lo:[1,1,0]
	s_wait_dscnt 0x1
	v_perm_b32 v158, v104, v102, 0x6050401
	v_perm_b32 v104, v83, v104, 0x6040503
	;; [unrolled: 1-line block ×3, first 2 shown]
	v_bfe_i32 v102, v84, 8, 8
	s_delay_alu instid0(VALU_DEP_4) | instskip(SKIP_2) | instid1(VALU_DEP_2)
	v_dot4_i32_iu8 v111, v158, v111, 0 neg_lo:[1,1,0]
	v_perm_b32 v158, v105, v82, 0x6040503
	v_bfe_i32 v105, v84, 0, 8
	v_dot4_i32_iu8 v104, v104, v158, v111 neg_lo:[1,1,0]
	v_bfe_i32 v111, v85, 16, 8
	v_ashrrev_i32_e32 v158, 24, v85
	s_delay_alu instid0(VALU_DEP_3) | instskip(SKIP_3) | instid1(VALU_DEP_4)
	v_dot4_i32_iu8 v95, v99, v96, v104 neg_lo:[1,1,0]
	v_ashrrev_i32_e32 v104, 24, v82
	v_dot4_i32_iu8 v96, v93, v85, v92 neg_lo:[1,1,0]
	v_lshrrev_b16 v99, 8, v83
	v_dot4_i32_iu8 v98, v103, v85, v95 neg_lo:[1,1,0]
	v_bfe_i32 v103, v82, 16, 8
	v_add3_u32 v82, s20, v75, v76
	ds_load_b32 v168, v82
	ds_load_2addr_b32 v[82:83], v110 offset0:2 offset1:3
	ds_load_2addr_b32 v[84:85], v110 offset1:1
	v_perm_b32 v110, v86, v88, 0x6050401
	v_bfe_i32 v99, v99, 0, 8
	s_wait_dscnt 0x0
	v_perm_b32 v92, v84, v82, 0x6050401
	v_perm_b32 v93, v85, v86, 0x6040503
	;; [unrolled: 1-line block ×4, first 2 shown]
	s_delay_alu instid0(VALU_DEP_4) | instskip(NEXT) | instid1(VALU_DEP_1)
	v_dot4_i32_iu8 v92, v92, v110, 0 neg_lo:[1,1,0]
	v_dot4_i32_iu8 v84, v84, v93, v92 neg_lo:[1,1,0]
	ds_load_2addr_b32 v[92:93], v126 offset1:1
	s_wait_dscnt 0x0
	v_perm_b32 v94, v92, v100, 0x6050401
	v_perm_b32 v95, v93, v86, 0x6040503
	;; [unrolled: 1-line block ×4, first 2 shown]
	v_bfe_i32 v100, v88, 8, 8
	v_dot4_i32_iu8 v94, v94, v110, 0 neg_lo:[1,1,0]
	s_delay_alu instid0(VALU_DEP_1)
	v_dot4_i32_iu8 v92, v92, v95, v94 neg_lo:[1,1,0]
	ds_load_2addr_b32 v[94:95], v127 offset1:1
	v_ashrrev_i32_e32 v127, 24, v87
	s_wait_dscnt 0x0
	v_perm_b32 v126, v94, v106, 0x6050401
	v_perm_b32 v93, v106, v95, 0x7060403
	;; [unrolled: 1-line block ×3, first 2 shown]
	v_ashrrev_i32_e32 v106, 24, v86
	s_delay_alu instid0(VALU_DEP_4) | instskip(SKIP_2) | instid1(VALU_DEP_2)
	v_dot4_i32_iu8 v110, v126, v110, 0 neg_lo:[1,1,0]
	v_perm_b32 v126, v95, v86, 0x6040503
	v_perm_b32 v95, v88, v87, 0x7060403
	v_dot4_i32_iu8 v94, v94, v126, v110 neg_lo:[1,1,0]
	s_delay_alu instid0(VALU_DEP_2)
	v_dot4_i32_iu8 v82, v95, v82, v84 neg_lo:[1,1,0]
	v_dot4_i32_iu8 v84, v95, v85, v92 neg_lo:[1,1,0]
	v_bfe_i32 v110, v89, 16, 8
	v_ashrrev_i32_e32 v126, 24, v89
	v_dot4_i32_iu8 v85, v95, v93, v94 neg_lo:[1,1,0]
	v_dot4_i32_iu8 v92, v83, v89, v82 neg_lo:[1,1,0]
	ds_load_u16 v82, v108 offset:58
	ds_load_b32 v83, v108 offset:60
	v_dot4_i32_iu8 v93, v101, v89, v84 neg_lo:[1,1,0]
	v_lshrrev_b16 v95, 8, v87
	v_dot4_i32_iu8 v94, v107, v89, v85 neg_lo:[1,1,0]
	v_bfe_i32 v101, v86, 16, 8
	v_bfe_i32 v107, v88, 0, 8
	s_delay_alu instid0(VALU_DEP_4)
	v_bfe_i32 v95, v95, 0, 8
	s_wait_dscnt 0x1
	v_bfe_i32 v84, v82, 0, 8
	s_wait_dscnt 0x0
	v_perm_b32 v85, v83, v90, 0xc0c0602
	v_lshrrev_b16 v82, 8, v82
	s_delay_alu instid0(VALU_DEP_3) | instskip(NEXT) | instid1(VALU_DEP_2)
	v_mul_i32_i24_e32 v84, v84, v134
	v_bfe_i32 v82, v82, 0, 8
	s_delay_alu instid0(VALU_DEP_2) | instskip(SKIP_2) | instid1(VALU_DEP_4)
	v_dot4_i32_iu8 v134, v85, v139, v84 neg_lo:[1,1,0]
	v_bfe_i32 v84, v91, 8, 8
	v_perm_b32 v85, v83, v90, 0xc0c0400
	v_mul_i32_i24_e32 v82, v82, v133
	s_delay_alu instid0(VALU_DEP_3) | instskip(NEXT) | instid1(VALU_DEP_1)
	v_mul_i32_i24_e32 v84, v84, v136
	v_dot4_i32_iu8 v136, v85, v140, v84 neg_lo:[1,1,0]
	v_perm_b32 v84, v83, v90, 0xc0c0703
	v_perm_b32 v83, v83, v90, 0xc0c0501
	s_delay_alu instid0(VALU_DEP_2) | instskip(SKIP_1) | instid1(VALU_DEP_1)
	v_dot4_i32_iu8 v133, v84, v141, v82 neg_lo:[1,1,0]
	v_bfe_i32 v82, v91, 16, 8
	v_mul_i32_i24_e32 v82, v82, v135
	s_delay_alu instid0(VALU_DEP_1) | instskip(SKIP_3) | instid1(VALU_DEP_4)
	v_dot4_i32_iu8 v90, v83, v142, v82 neg_lo:[1,1,0]
	v_mul_i32_i24_e32 v82, v113, v138
	v_ashrrev_i32_e32 v83, 24, v91
	v_bfe_i32 v91, v91, 0, 8
	v_add_nc_u32_e32 v90, v90, v133
	s_delay_alu instid0(VALU_DEP_3) | instskip(SKIP_1) | instid1(VALU_DEP_4)
	v_mad_i32_i24 v113, v83, v131, v82
	v_mul_i32_i24_e32 v82, v117, v149
	v_mul_i32_i24_e32 v91, v91, v132
	s_delay_alu instid0(VALU_DEP_2) | instskip(SKIP_1) | instid1(VALU_DEP_1)
	v_dot4_i32_iu8 v117, v120, v154, v82 neg_lo:[1,1,0]
	v_mul_i32_i24_e32 v82, v119, v151
	v_dot4_i32_iu8 v119, v121, v155, v82 neg_lo:[1,1,0]
	v_mul_i32_i24_e32 v82, v116, v148
	s_delay_alu instid0(VALU_DEP_1) | instskip(SKIP_1) | instid1(VALU_DEP_1)
	v_dot4_i32_iu8 v116, v122, v156, v82 neg_lo:[1,1,0]
	v_mul_i32_i24_e32 v82, v118, v150
	v_dot4_i32_iu8 v118, v123, v157, v82 neg_lo:[1,1,0]
	ds_load_u16 v120, v108 offset:32
	ds_load_2addr_b32 v[82:83], v108 offset0:6 offset1:7
	s_wait_dscnt 0x1
	v_bfe_i32 v84, v120, 0, 8
	s_delay_alu instid0(VALU_DEP_1) | instskip(NEXT) | instid1(VALU_DEP_1)
	v_mul_i32_i24_e32 v84, v84, v153
	v_mad_i32_i24 v114, v114, v146, v84
	s_wait_dscnt 0x0
	v_bfe_i32 v84, v83, 0, 8
	s_delay_alu instid0(VALU_DEP_1) | instskip(SKIP_4) | instid1(VALU_DEP_1)
	v_mul_i32_i24_e32 v88, v84, v163
	ds_load_2addr_b32 v[84:85], v108 offset0:4 offset1:5
	ds_load_2addr_b32 v[86:87], v108 offset0:2 offset1:3
	s_wait_dscnt 0x1
	v_bfe_i32 v89, v85, 16, 8
	v_mad_i32_i24 v121, v89, v161, v88
	v_bfe_i32 v88, v82, 16, 8
	v_bfe_i32 v89, v85, 0, 8
	s_delay_alu instid0(VALU_DEP_2) | instskip(NEXT) | instid1(VALU_DEP_1)
	v_mul_i32_i24_e32 v88, v88, v165
	v_mad_i32_i24 v122, v89, v160, v88
	v_bfe_i32 v88, v83, 8, 8
	v_ashrrev_i32_e32 v89, 24, v85
	v_lshrrev_b16 v85, 8, v85
	s_delay_alu instid0(VALU_DEP_3) | instskip(NEXT) | instid1(VALU_DEP_2)
	v_mul_i32_i24_e32 v88, v88, v162
	v_bfe_i32 v85, v85, 0, 8
	s_delay_alu instid0(VALU_DEP_2) | instskip(SKIP_2) | instid1(VALU_DEP_4)
	v_mad_i32_i24 v123, v89, v159, v88
	v_bfe_i32 v88, v84, 8, 8
	v_bfe_i32 v89, v82, 8, 8
	v_mul_i32_i24_e32 v85, v85, v99
	v_ashrrev_i32_e32 v99, 24, v84
	s_delay_alu instid0(VALU_DEP_4) | instskip(NEXT) | instid1(VALU_DEP_2)
	v_mul_i32_i24_e32 v88, v88, v166
	v_mul_i32_i24_e32 v99, v99, v104
	s_delay_alu instid0(VALU_DEP_2) | instskip(SKIP_4) | instid1(VALU_DEP_4)
	v_mad_i32_i24 v102, v89, v102, v88
	v_bfe_i32 v88, v83, 16, 8
	v_bfe_i32 v89, v82, 0, 8
	v_ashrrev_i32_e32 v82, 24, v82
	v_ashrrev_i32_e32 v83, 24, v83
	v_mul_i32_i24_e32 v88, v88, v111
	v_add3_u32 v111, s20, v77, v74
	s_delay_alu instid0(VALU_DEP_4) | instskip(NEXT) | instid1(VALU_DEP_4)
	v_mul_i32_i24_e32 v82, v82, v164
	v_mul_i32_i24_e32 v83, v83, v158
	s_delay_alu instid0(VALU_DEP_4)
	v_mad_i32_i24 v105, v89, v105, v88
	ds_load_2addr_b32 v[88:89], v108 offset1:1
	s_wait_dscnt 0x1
	v_bfe_i32 v108, v87, 0, 8
	v_add3_u32 v82, v85, v82, v123
	v_bfe_i32 v85, v84, 16, 8
	v_bfe_i32 v84, v84, 0, 8
	ds_load_b32 v111, v111
	v_mul_i32_i24_e32 v108, v108, v172
	v_add3_u32 v82, v122, v121, v82
	v_mul_i32_i24_e32 v85, v85, v103
	v_mul_i32_i24_e32 v84, v84, v167
	s_delay_alu instid0(VALU_DEP_2) | instskip(SKIP_1) | instid1(VALU_DEP_3)
	v_add3_u32 v85, v85, v99, v105
	v_add_nc_u32_e32 v99, v136, v134
	v_add3_u32 v82, v82, v84, v102
	s_wait_dscnt 0x1
	v_bfe_i32 v131, v89, 16, 8
	v_bfe_i32 v135, v89, 0, 8
	v_ashrrev_i32_e32 v138, 24, v89
	v_lshrrev_b16 v89, 8, v89
	v_bfe_i32 v84, v88, 0, 8
	v_mad_i32_i24 v108, v131, v170, v108
	v_bfe_i32 v131, v86, 16, 8
	s_delay_alu instid0(VALU_DEP_4) | instskip(NEXT) | instid1(VALU_DEP_4)
	v_bfe_i32 v89, v89, 0, 8
	v_mul_i32_i24_e32 v84, v84, v176
	s_delay_alu instid0(VALU_DEP_3) | instskip(NEXT) | instid1(VALU_DEP_3)
	v_mul_i32_i24_e32 v131, v131, v174
	v_mul_i32_i24_e32 v89, v89, v95
	v_ashrrev_i32_e32 v95, 24, v88
	s_delay_alu instid0(VALU_DEP_3) | instskip(SKIP_1) | instid1(VALU_DEP_3)
	v_mad_i32_i24 v131, v135, v169, v131
	v_bfe_i32 v135, v87, 8, 8
	v_mul_i32_i24_e32 v95, v95, v106
	s_delay_alu instid0(VALU_DEP_2) | instskip(NEXT) | instid1(VALU_DEP_1)
	v_mul_i32_i24_e32 v135, v135, v171
	v_mad_i32_i24 v127, v138, v127, v135
	v_bfe_i32 v135, v88, 8, 8
	v_bfe_i32 v138, v86, 8, 8
	s_delay_alu instid0(VALU_DEP_2) | instskip(NEXT) | instid1(VALU_DEP_1)
	v_mul_i32_i24_e32 v135, v135, v175
	v_mad_i32_i24 v100, v138, v100, v135
	v_bfe_i32 v135, v87, 16, 8
	s_delay_alu instid0(VALU_DEP_1) | instskip(SKIP_2) | instid1(VALU_DEP_2)
	v_mul_i32_i24_e32 v110, v135, v110
	v_bfe_i32 v135, v86, 0, 8
	v_ashrrev_i32_e32 v86, 24, v86
	v_mad_i32_i24 v107, v135, v107, v110
	s_delay_alu instid0(VALU_DEP_2) | instskip(NEXT) | instid1(VALU_DEP_1)
	v_mul_i32_i24_e32 v86, v86, v173
	v_add3_u32 v86, v89, v86, v127
	v_bfe_i32 v89, v88, 16, 8
	v_bfe_i32 v88, v168, 0, 8
	s_delay_alu instid0(VALU_DEP_3) | instskip(NEXT) | instid1(VALU_DEP_3)
	v_add3_u32 v86, v131, v108, v86
	v_mul_i32_i24_e32 v89, v89, v101
	v_add_nc_u32_e32 v101, v119, v117
	s_delay_alu instid0(VALU_DEP_3) | instskip(NEXT) | instid1(VALU_DEP_3)
	v_add3_u32 v84, v86, v84, v100
	v_add3_u32 v89, v89, v95, v107
	v_mul_i32_i24_e32 v95, v112, v137
	v_ashrrev_i32_e32 v86, 24, v124
	s_delay_alu instid0(VALU_DEP_2) | instskip(SKIP_2) | instid1(VALU_DEP_2)
	v_add3_u32 v90, v99, v90, v95
	v_lshrrev_b16 v95, 8, v120
	v_add_nc_u32_e32 v99, v118, v116
	v_bfe_i32 v95, v95, 0, 8
	s_delay_alu instid0(VALU_DEP_1) | instskip(NEXT) | instid1(VALU_DEP_1)
	v_mul_i32_i24_e32 v95, v95, v152
	v_add3_u32 v95, v101, v99, v95
	v_add3_u32 v99, v90, v113, v91
	v_mul_i32_i24_e32 v90, v115, v147
	s_delay_alu instid0(VALU_DEP_1)
	v_add3_u32 v91, v95, v114, v90
	v_add3_u32 v95, v82, v85, v83
	v_ashrrev_i32_e32 v82, 24, v87
	v_ashrrev_i32_e32 v85, 24, v168
	;; [unrolled: 1-line block ×3, first 2 shown]
	v_bfe_i32 v90, v125, 0, 8
	s_delay_alu instid0(VALU_DEP_4) | instskip(NEXT) | instid1(VALU_DEP_1)
	v_mul_i32_i24_e32 v82, v82, v126
	v_add3_u32 v100, v84, v89, v82
	v_bfe_i32 v84, v168, 16, 8
	v_bfe_i32 v89, v124, 0, 8
	v_lshrrev_b32_e32 v82, 1, v109
	s_delay_alu instid0(VALU_DEP_3) | instskip(SKIP_3) | instid1(VALU_DEP_1)
	v_mul_lo_u32 v84, v143, v84
	ds_load_b64 v[82:83], v82 offset:36944
	v_mad_co_u64_u32 v[84:85], null, v128, v85, v[84:85]
	v_bfe_i32 v85, v124, 16, 8
	v_mul_lo_u32 v85, v144, v85
	s_delay_alu instid0(VALU_DEP_3) | instskip(NEXT) | instid1(VALU_DEP_2)
	v_cvt_f32_i32_e32 v84, v84
	v_mad_co_u64_u32 v[85:86], null, v129, v86, v[85:86]
	v_bfe_i32 v86, v125, 16, 8
	s_delay_alu instid0(VALU_DEP_1) | instskip(NEXT) | instid1(VALU_DEP_3)
	v_mul_lo_u32 v86, v145, v86
	v_cvt_f32_i32_e32 v85, v85
	s_delay_alu instid0(VALU_DEP_2) | instskip(SKIP_1) | instid1(VALU_DEP_1)
	v_mad_co_u64_u32 v[86:87], null, v130, v87, v[86:87]
	v_bfe_i32 v87, v168, 8, 8
	v_mul_lo_u32 v87, v96, v87
	s_wait_dscnt 0x1
	v_bfe_i32 v96, v111, 0, 8
	s_delay_alu instid0(VALU_DEP_4) | instskip(NEXT) | instid1(VALU_DEP_3)
	v_cvt_f32_i32_e32 v86, v86
	v_mad_co_u64_u32 v[87:88], null, v92, v88, v[87:88]
	v_bfe_i32 v88, v124, 8, 8
	v_bfe_i32 v92, v111, 8, 8
	s_delay_alu instid0(VALU_DEP_2) | instskip(NEXT) | instid1(VALU_DEP_4)
	v_mul_lo_u32 v88, v97, v88
	v_cvt_f32_i32_e32 v87, v87
	s_wait_dscnt 0x0
	s_delay_alu instid0(VALU_DEP_1) | instskip(NEXT) | instid1(VALU_DEP_3)
	v_fma_f32 v87, v82, v87, 0
	v_mad_co_u64_u32 v[88:89], null, v93, v89, v[88:89]
	v_bfe_i32 v89, v125, 8, 8
	v_bfe_i32 v93, v111, 16, 8
	s_delay_alu instid0(VALU_DEP_4) | instskip(NEXT) | instid1(VALU_DEP_3)
	v_fmac_f32_e32 v87, v83, v84
	v_mul_lo_u32 v89, v98, v89
	s_delay_alu instid0(VALU_DEP_3) | instskip(SKIP_1) | instid1(VALU_DEP_4)
	v_mul_lo_u32 v91, v91, v93
	v_cvt_f32_i32_e32 v88, v88
	v_fmac_f32_e32 v24, v78, v87
	s_delay_alu instid0(VALU_DEP_2) | instskip(SKIP_3) | instid1(VALU_DEP_4)
	v_fma_f32 v88, v82, v88, 0
	v_mad_co_u64_u32 v[89:90], null, v94, v90, v[89:90]
	v_mul_lo_u32 v90, v95, v92
	v_ashrrev_i32_e32 v94, 24, v111
	v_fmac_f32_e32 v88, v83, v85
	s_delay_alu instid0(VALU_DEP_4) | instskip(NEXT) | instid1(VALU_DEP_2)
	v_cvt_f32_i32_e32 v89, v89
	v_fmac_f32_e32 v51, v79, v88
	v_mad_co_u64_u32 v[92:93], null, v100, v96, v[90:91]
	s_delay_alu instid0(VALU_DEP_3) | instskip(NEXT) | instid1(VALU_DEP_2)
	v_fma_f32 v89, v82, v89, 0
	v_mad_co_u64_u32 v[90:91], null, v99, v94, v[91:92]
	v_cvt_f32_i32_e32 v91, v92
	s_delay_alu instid0(VALU_DEP_3) | instskip(NEXT) | instid1(VALU_DEP_2)
	v_fmac_f32_e32 v89, v83, v86
	v_fma_f32 v82, v82, v91, 0
	s_delay_alu instid0(VALU_DEP_4) | instskip(NEXT) | instid1(VALU_DEP_1)
	v_cvt_f32_i32_e32 v90, v90
	v_dual_fmac_f32 v45, v80, v89 :: v_dual_fmac_f32 v82, v83, v90
	s_delay_alu instid0(VALU_DEP_1)
	v_fmac_f32_e32 v16, v81, v82
	s_cbranch_scc1 .LBB236_19
; %bb.20:                               ;   in Loop: Header=BB236_5 Depth=1
	s_wait_loadcnt 0x0
	s_barrier_signal -1
	s_barrier_wait -1
	global_inv scope:SCOPE_SE
	s_branch .LBB236_4
.LBB236_21:
	s_mul_i32 s0, s10, s7
	s_wait_loadcnt 0x0
	s_wait_alu 0xfffe
	v_cmp_gt_i32_e32 vcc_lo, s0, v22
	s_and_saveexec_b32 s0, vcc_lo
	s_cbranch_execz .LBB236_30
; %bb.22:
	v_mul_lo_u32 v0, v22, s9
	v_add_nc_u32_e32 v1, s11, v23
	s_mov_b32 s0, exec_lo
	s_delay_alu instid0(VALU_DEP_1)
	v_cmpx_gt_u32_e64 s9, v1
	s_cbranch_execz .LBB236_24
; %bb.23:
	v_bfe_u32 v3, v24, 16, 1
	s_delay_alu instid0(VALU_DEP_4) | instskip(SKIP_1) | instid1(VALU_DEP_3)
	v_add_nc_u32_e32 v2, v0, v1
	v_cmp_o_f32_e32 vcc_lo, v24, v24
	v_add3_u32 v4, v24, v3, 0x7fff
	v_mov_b32_e32 v3, 0
	s_delay_alu instid0(VALU_DEP_2) | instskip(NEXT) | instid1(VALU_DEP_2)
	v_lshrrev_b32_e32 v4, 16, v4
	v_lshlrev_b64_e32 v[2:3], 1, v[2:3]
	s_wait_alu 0xfffd
	s_delay_alu instid0(VALU_DEP_2) | instskip(NEXT) | instid1(VALU_DEP_2)
	v_cndmask_b32_e32 v4, 0x7fc0, v4, vcc_lo
	v_add_co_u32 v2, vcc_lo, s12, v2
	s_wait_alu 0xfffd
	s_delay_alu instid0(VALU_DEP_3)
	v_add_co_ci_u32_e64 v3, null, s13, v3, vcc_lo
	global_store_b16 v[2:3], v4, off
.LBB236_24:
	s_wait_alu 0xfffe
	s_or_b32 exec_lo, exec_lo, s0
	v_add_nc_u32_e32 v2, 32, v1
	s_mov_b32 s0, exec_lo
	s_delay_alu instid0(VALU_DEP_1)
	v_cmpx_gt_u32_e64 s9, v2
	s_cbranch_execz .LBB236_26
; %bb.25:
	v_bfe_u32 v3, v51, 16, 1
	v_add_nc_u32_e32 v2, v0, v2
	v_cmp_o_f32_e32 vcc_lo, v51, v51
	s_delay_alu instid0(VALU_DEP_3) | instskip(SKIP_1) | instid1(VALU_DEP_2)
	v_add3_u32 v4, v51, v3, 0x7fff
	v_mov_b32_e32 v3, 0
	v_lshrrev_b32_e32 v4, 16, v4
	s_delay_alu instid0(VALU_DEP_2) | instskip(SKIP_1) | instid1(VALU_DEP_2)
	v_lshlrev_b64_e32 v[2:3], 1, v[2:3]
	s_wait_alu 0xfffd
	v_cndmask_b32_e32 v4, 0x7fc0, v4, vcc_lo
	s_delay_alu instid0(VALU_DEP_2) | instskip(SKIP_1) | instid1(VALU_DEP_3)
	v_add_co_u32 v2, vcc_lo, s12, v2
	s_wait_alu 0xfffd
	v_add_co_ci_u32_e64 v3, null, s13, v3, vcc_lo
	global_store_b16 v[2:3], v4, off
.LBB236_26:
	s_wait_alu 0xfffe
	s_or_b32 exec_lo, exec_lo, s0
	v_add_nc_u32_e32 v2, 64, v1
	s_mov_b32 s0, exec_lo
	s_delay_alu instid0(VALU_DEP_1)
	v_cmpx_gt_u32_e64 s9, v2
	s_cbranch_execz .LBB236_28
; %bb.27:
	v_bfe_u32 v3, v45, 16, 1
	v_add_nc_u32_e32 v2, v0, v2
	v_cmp_o_f32_e32 vcc_lo, v45, v45
	s_delay_alu instid0(VALU_DEP_3) | instskip(SKIP_1) | instid1(VALU_DEP_2)
	v_add3_u32 v4, v45, v3, 0x7fff
	v_mov_b32_e32 v3, 0
	v_lshrrev_b32_e32 v4, 16, v4
	s_delay_alu instid0(VALU_DEP_2) | instskip(SKIP_1) | instid1(VALU_DEP_2)
	v_lshlrev_b64_e32 v[2:3], 1, v[2:3]
	s_wait_alu 0xfffd
	v_cndmask_b32_e32 v4, 0x7fc0, v4, vcc_lo
	s_delay_alu instid0(VALU_DEP_2) | instskip(SKIP_1) | instid1(VALU_DEP_3)
	v_add_co_u32 v2, vcc_lo, s12, v2
	s_wait_alu 0xfffd
	v_add_co_ci_u32_e64 v3, null, s13, v3, vcc_lo
	global_store_b16 v[2:3], v4, off
.LBB236_28:
	s_wait_alu 0xfffe
	s_or_b32 exec_lo, exec_lo, s0
	v_add_nc_u32_e32 v1, 0x60, v1
	s_delay_alu instid0(VALU_DEP_1)
	v_cmp_gt_u32_e32 vcc_lo, s9, v1
	s_and_b32 exec_lo, exec_lo, vcc_lo
	s_cbranch_execz .LBB236_30
; %bb.29:
	v_bfe_u32 v2, v16, 16, 1
	v_dual_mov_b32 v1, 0 :: v_dual_add_nc_u32 v0, v0, v1
	v_cmp_o_f32_e32 vcc_lo, v16, v16
	s_delay_alu instid0(VALU_DEP_3) | instskip(NEXT) | instid1(VALU_DEP_3)
	v_add3_u32 v2, v16, v2, 0x7fff
	v_lshlrev_b64_e32 v[0:1], 1, v[0:1]
	s_delay_alu instid0(VALU_DEP_2) | instskip(SKIP_1) | instid1(VALU_DEP_1)
	v_lshrrev_b32_e32 v2, 16, v2
	s_wait_alu 0xfffd
	v_cndmask_b32_e32 v2, 0x7fc0, v2, vcc_lo
	s_delay_alu instid0(VALU_DEP_3)
	v_add_co_u32 v0, vcc_lo, s12, v0
	s_wait_alu 0xfffd
	v_add_co_ci_u32_e64 v1, null, s13, v1, vcc_lo
	global_store_b16 v[0:1], v2, off
.LBB236_30:
	s_nop 0
	s_sendmsg sendmsg(MSG_DEALLOC_VGPRS)
	s_endpgm
	.section	.rodata,"a",@progbits
	.p2align	6, 0x0
	.amdhsa_kernel _ZL8moe_q6_KIN3c108BFloat16ELb1EEvPKvS3_PT_PKiS7_S7_iiiiiii
		.amdhsa_group_segment_fixed_size 37072
		.amdhsa_private_segment_fixed_size 0
		.amdhsa_kernarg_size 76
		.amdhsa_user_sgpr_count 2
		.amdhsa_user_sgpr_dispatch_ptr 0
		.amdhsa_user_sgpr_queue_ptr 0
		.amdhsa_user_sgpr_kernarg_segment_ptr 1
		.amdhsa_user_sgpr_dispatch_id 0
		.amdhsa_user_sgpr_private_segment_size 0
		.amdhsa_wavefront_size32 1
		.amdhsa_uses_dynamic_stack 0
		.amdhsa_enable_private_segment 0
		.amdhsa_system_sgpr_workgroup_id_x 1
		.amdhsa_system_sgpr_workgroup_id_y 1
		.amdhsa_system_sgpr_workgroup_id_z 0
		.amdhsa_system_sgpr_workgroup_info 0
		.amdhsa_system_vgpr_workitem_id 1
		.amdhsa_next_free_vgpr 217
		.amdhsa_next_free_sgpr 23
		.amdhsa_reserve_vcc 1
		.amdhsa_float_round_mode_32 0
		.amdhsa_float_round_mode_16_64 0
		.amdhsa_float_denorm_mode_32 3
		.amdhsa_float_denorm_mode_16_64 3
		.amdhsa_fp16_overflow 0
		.amdhsa_workgroup_processor_mode 1
		.amdhsa_memory_ordered 1
		.amdhsa_forward_progress 1
		.amdhsa_inst_pref_size 129
		.amdhsa_round_robin_scheduling 0
		.amdhsa_exception_fp_ieee_invalid_op 0
		.amdhsa_exception_fp_denorm_src 0
		.amdhsa_exception_fp_ieee_div_zero 0
		.amdhsa_exception_fp_ieee_overflow 0
		.amdhsa_exception_fp_ieee_underflow 0
		.amdhsa_exception_fp_ieee_inexact 0
		.amdhsa_exception_int_div_zero 0
	.end_amdhsa_kernel
	.section	.text._ZL8moe_q6_KIN3c108BFloat16ELb1EEvPKvS3_PT_PKiS7_S7_iiiiiii,"axG",@progbits,_ZL8moe_q6_KIN3c108BFloat16ELb1EEvPKvS3_PT_PKiS7_S7_iiiiiii,comdat
.Lfunc_end236:
	.size	_ZL8moe_q6_KIN3c108BFloat16ELb1EEvPKvS3_PT_PKiS7_S7_iiiiiii, .Lfunc_end236-_ZL8moe_q6_KIN3c108BFloat16ELb1EEvPKvS3_PT_PKiS7_S7_iiiiiii
                                        ; -- End function
	.set _ZL8moe_q6_KIN3c108BFloat16ELb1EEvPKvS3_PT_PKiS7_S7_iiiiiii.num_vgpr, 178
	.set _ZL8moe_q6_KIN3c108BFloat16ELb1EEvPKvS3_PT_PKiS7_S7_iiiiiii.num_agpr, 0
	.set _ZL8moe_q6_KIN3c108BFloat16ELb1EEvPKvS3_PT_PKiS7_S7_iiiiiii.numbered_sgpr, 23
	.set _ZL8moe_q6_KIN3c108BFloat16ELb1EEvPKvS3_PT_PKiS7_S7_iiiiiii.num_named_barrier, 0
	.set _ZL8moe_q6_KIN3c108BFloat16ELb1EEvPKvS3_PT_PKiS7_S7_iiiiiii.private_seg_size, 0
	.set _ZL8moe_q6_KIN3c108BFloat16ELb1EEvPKvS3_PT_PKiS7_S7_iiiiiii.uses_vcc, 1
	.set _ZL8moe_q6_KIN3c108BFloat16ELb1EEvPKvS3_PT_PKiS7_S7_iiiiiii.uses_flat_scratch, 0
	.set _ZL8moe_q6_KIN3c108BFloat16ELb1EEvPKvS3_PT_PKiS7_S7_iiiiiii.has_dyn_sized_stack, 0
	.set _ZL8moe_q6_KIN3c108BFloat16ELb1EEvPKvS3_PT_PKiS7_S7_iiiiiii.has_recursion, 0
	.set _ZL8moe_q6_KIN3c108BFloat16ELb1EEvPKvS3_PT_PKiS7_S7_iiiiiii.has_indirect_call, 0
	.section	.AMDGPU.csdata,"",@progbits
; Kernel info:
; codeLenInByte = 16420
; TotalNumSgprs: 25
; NumVgprs: 178
; ScratchSize: 0
; MemoryBound: 0
; FloatMode: 240
; IeeeMode: 1
; LDSByteSize: 37072 bytes/workgroup (compile time only)
; SGPRBlocks: 0
; VGPRBlocks: 27
; NumSGPRsForWavesPerEU: 25
; NumVGPRsForWavesPerEU: 217
; Occupancy: 6
; WaveLimiterHint : 1
; COMPUTE_PGM_RSRC2:SCRATCH_EN: 0
; COMPUTE_PGM_RSRC2:USER_SGPR: 2
; COMPUTE_PGM_RSRC2:TRAP_HANDLER: 0
; COMPUTE_PGM_RSRC2:TGID_X_EN: 1
; COMPUTE_PGM_RSRC2:TGID_Y_EN: 1
; COMPUTE_PGM_RSRC2:TGID_Z_EN: 0
; COMPUTE_PGM_RSRC2:TIDIG_COMP_CNT: 1
	.section	.text._ZL9moe_vec_qIfLi32ELi4E10block_q4_0Li2EXadL_ZL17vec_dot_q4_0_q8_1PKvPK10block_q8_1RKiEEEvS2_S2_PT_PS6_iiii,"axG",@progbits,_ZL9moe_vec_qIfLi32ELi4E10block_q4_0Li2EXadL_ZL17vec_dot_q4_0_q8_1PKvPK10block_q8_1RKiEEEvS2_S2_PT_PS6_iiii,comdat
	.globl	_ZL9moe_vec_qIfLi32ELi4E10block_q4_0Li2EXadL_ZL17vec_dot_q4_0_q8_1PKvPK10block_q8_1RKiEEEvS2_S2_PT_PS6_iiii ; -- Begin function _ZL9moe_vec_qIfLi32ELi4E10block_q4_0Li2EXadL_ZL17vec_dot_q4_0_q8_1PKvPK10block_q8_1RKiEEEvS2_S2_PT_PS6_iiii
	.p2align	8
	.type	_ZL9moe_vec_qIfLi32ELi4E10block_q4_0Li2EXadL_ZL17vec_dot_q4_0_q8_1PKvPK10block_q8_1RKiEEEvS2_S2_PT_PS6_iiii,@function
_ZL9moe_vec_qIfLi32ELi4E10block_q4_0Li2EXadL_ZL17vec_dot_q4_0_q8_1PKvPK10block_q8_1RKiEEEvS2_S2_PT_PS6_iiii: ; @_ZL9moe_vec_qIfLi32ELi4E10block_q4_0Li2EXadL_ZL17vec_dot_q4_0_q8_1PKvPK10block_q8_1RKiEEEvS2_S2_PT_PS6_iiii
; %bb.0:
	s_clause 0x1
	s_load_u16 s2, s[0:1], 0x3e
	s_load_b128 s[4:7], s[0:1], 0x20
	v_bfe_u32 v1, v0, 10, 10
	s_wait_kmcnt 0x0
	s_delay_alu instid0(VALU_DEP_1)
	v_mad_co_u64_u32 v[1:2], null, ttmp9, s2, v[1:2]
	s_mov_b32 s2, exec_lo
	v_cmpx_gt_u32_e64 s6, v1
	s_cbranch_execz .LBB237_7
; %bb.1:
	s_load_b64 s[2:3], s[0:1], 0x10
	s_cvt_f32_u32 s8, s4
	v_bfe_u32 v2, v0, 1, 9
	v_and_b32_e32 v0, 0x3ff, v0
	s_mov_b32 s11, exec_lo
	v_rcp_iflag_f32_e32 v3, s8
	s_ashr_i32 s8, s5, 31
	s_wait_alu 0xfffe
	s_lshr_b32 s8, s8, 27
	s_wait_alu 0xfffe
	s_add_co_i32 s5, s5, s8
	s_lshr_b32 s8, ttmp7, 16
	s_ashr_i32 s10, s5, 5
	s_delay_alu instid0(TRANS32_DEP_1)
	v_readfirstlane_b32 s5, v3
	v_mov_b32_e32 v3, 0
	v_cmpx_gt_u32_e64 s10, v2
	s_cbranch_execz .LBB237_5
; %bb.2:
	s_load_b64 s[12:13], s[0:1], 0x18
	s_mul_f32 s5, s5, 0x4f7ffffe
	s_sub_co_i32 s14, 0, s4
	s_lshl_b32 s15, s8, 2
	s_mov_b32 s9, 0
	s_cvt_u32_f32 s5, s5
	v_lshlrev_b32_e32 v5, 3, v0
	v_mul_lo_u32 v4, v1, s10
	v_mov_b32_e32 v3, 0
	s_mul_i32 s14, s14, s5
	s_delay_alu instid0(SALU_CYCLE_1)
	s_mul_hi_u32 s14, s5, s14
	v_and_b32_e32 v5, 8, v5
	s_wait_kmcnt 0x0
	s_load_b32 s18, s[12:13], s15 offset:0x0
	s_mov_b32 s13, s9
	s_add_co_i32 s12, s5, s14
	s_delay_alu instid0(SALU_CYCLE_1)
	s_mul_u64 s[16:17], s[8:9], s[12:13]
	s_load_b128 s[12:15], s[0:1], 0x0
	s_mul_i32 s1, s17, s4
	s_add_co_i32 s5, s17, 1
	s_wait_alu 0xfffe
	s_sub_co_i32 s1, s8, s1
	s_mul_i32 s0, s10, s6
	s_wait_alu 0xfffe
	s_sub_co_i32 s16, s1, s4
	s_cmp_ge_u32 s1, s4
	s_cselect_b32 s5, s5, s17
	s_cselect_b32 s1, s16, s1
	s_add_co_i32 s16, s5, 1
	s_wait_alu 0xfffe
	s_cmp_ge_u32 s1, s4
	s_cselect_b32 s4, s16, s5
	s_mov_b32 s5, s9
	s_wait_kmcnt 0x0
	s_mul_i32 s0, s0, s18
	s_mul_i32 s4, s4, s7
	s_wait_alu 0xfffe
	s_ashr_i32 s1, s0, 31
	s_lshl_b64 s[4:5], s[4:5], 2
	s_wait_alu 0xfffe
	s_mul_u64 s[0:1], s[0:1], 18
	s_add_nc_u64 s[4:5], s[14:15], s[4:5]
	s_wait_alu 0xfffe
	s_add_nc_u64 s[0:1], s[12:13], s[0:1]
.LBB237_3:                              ; =>This Inner Loop Header: Depth=1
	v_add_nc_u32_e32 v8, v4, v2
	v_mad_co_i64_i32 v[6:7], null, v2, 36, s[4:5]
	v_add_nc_u32_e32 v2, 16, v2
	s_wait_alu 0xfffe
	s_delay_alu instid0(VALU_DEP_3) | instskip(NEXT) | instid1(VALU_DEP_3)
	v_mad_co_i64_i32 v[8:9], null, v8, 18, s[0:1]
	v_add_co_u32 v10, vcc_lo, v6, v5
	s_wait_alu 0xfffd
	s_delay_alu instid0(VALU_DEP_4) | instskip(NEXT) | instid1(VALU_DEP_3)
	v_add_co_ci_u32_e64 v11, null, 0, v7, vcc_lo
	v_add_co_u32 v12, vcc_lo, v8, v5
	s_wait_alu 0xfffd
	s_delay_alu instid0(VALU_DEP_4)
	v_add_co_ci_u32_e64 v13, null, 0, v9, vcc_lo
	v_cmp_le_u32_e32 vcc_lo, s10, v2
	global_load_b64 v[14:15], v[10:11], off offset:4
	global_load_b64 v[12:13], v[12:13], off offset:2
	s_clause 0x1
	global_load_b64 v[10:11], v[10:11], off offset:20
	global_load_b32 v6, v[6:7], off
	global_load_u16 v7, v[8:9], off
	s_or_b32 s9, vcc_lo, s9
	s_wait_loadcnt 0x4
	v_lshrrev_b16 v8, 8, v14
	s_wait_loadcnt 0x3
	v_lshrrev_b32_e32 v28, 4, v12
	s_wait_loadcnt 0x2
	v_lshrrev_b16 v9, 8, v10
	v_ashrrev_i32_e32 v18, 24, v10
	v_bfe_i32 v19, v10, 16, 8
	v_bfe_i32 v10, v10, 0, 8
	v_ashrrev_i32_e32 v23, 24, v11
	v_bfe_i32 v24, v11, 16, 8
	v_bfe_i32 v25, v11, 8, 8
	;; [unrolled: 1-line block ×3, first 2 shown]
	v_bfe_u32 v26, v12, 24, 4
	v_and_b32_e32 v27, 0xf0f0f0f, v12
	v_lshrrev_b32_e32 v29, 28, v12
	v_bfe_u32 v30, v12, 16, 4
	v_and_b32_e32 v31, 15, v12
	v_bfe_u32 v32, v12, 20, 4
	v_bfe_u32 v12, v12, 4, 4
	;; [unrolled: 1-line block ×3, first 2 shown]
	v_and_b32_e32 v34, 0xf0f0f0f, v13
	v_lshrrev_b32_e32 v35, 4, v13
	v_lshrrev_b32_e32 v36, 28, v13
	v_bfe_u32 v37, v13, 16, 4
	v_and_b32_e32 v38, 15, v13
	v_bfe_u32 v39, v13, 20, 4
	v_bfe_u32 v13, v13, 4, 4
	v_lshrrev_b16 v28, 8, v28
	v_lshrrev_b16 v27, 8, v27
	v_mul_i32_i24_e32 v10, v12, v10
	v_mul_i32_i24_e32 v12, v32, v19
	v_mul_i32_i24_e32 v18, v29, v18
	v_lshrrev_b16 v19, 8, v34
	v_lshrrev_b16 v29, 8, v35
	v_mul_i32_i24_e32 v11, v11, v13
	v_mul_i32_i24_e32 v13, v24, v39
	v_and_b32_e32 v24, 15, v28
	v_bfe_i32 v16, v14, 16, 8
	v_bfe_i32 v17, v14, 0, 8
	v_ashrrev_i32_e32 v14, 24, v14
	v_ashrrev_i32_e32 v20, 24, v15
	v_bfe_i32 v22, v15, 8, 8
	v_bfe_i32 v8, v8, 0, 8
	;; [unrolled: 1-line block ×3, first 2 shown]
	v_and_b32_e32 v27, 0xffff, v27
	v_and_b32_e32 v19, 0xffff, v19
	;; [unrolled: 1-line block ×4, first 2 shown]
	v_bfe_i32 v21, v15, 16, 8
	v_bfe_i32 v15, v15, 0, 8
	v_mul_i32_i24_e32 v20, v20, v33
	v_mul_i32_i24_e32 v23, v23, v36
	v_mad_i32_i24 v14, v26, v14, v18
	v_mul_i32_i24_e32 v8, v27, v8
	v_mul_i32_i24_e32 v18, v22, v19
	v_and_b32_e32 v19, 0xffff, v28
	v_mul_i32_i24_e32 v9, v24, v9
	v_mul_i32_i24_e32 v15, v15, v38
	;; [unrolled: 1-line block ×3, first 2 shown]
	v_mad_i32_i24 v10, v31, v17, v10
	v_mad_i32_i24 v12, v30, v16, v12
	v_add3_u32 v14, v14, v20, v23
	v_mul_i32_i24_e32 v16, v25, v19
	v_add3_u32 v8, v8, v9, v18
	s_wait_loadcnt 0x1
	v_lshrrev_b32_e32 v9, 16, v6
	v_add3_u32 v12, v12, v21, v13
	v_add3_u32 v10, v10, v15, v11
	;; [unrolled: 1-line block ×3, first 2 shown]
	s_delay_alu instid0(VALU_DEP_4) | instskip(NEXT) | instid1(VALU_DEP_2)
	v_cvt_f32_f16_e32 v9, v9
	v_add3_u32 v8, v10, v12, v8
	s_delay_alu instid0(VALU_DEP_2) | instskip(NEXT) | instid1(VALU_DEP_2)
	v_mul_f32_e32 v9, -4.0, v9
	v_cvt_f32_i32_e32 v8, v8
	s_delay_alu instid0(VALU_DEP_1) | instskip(SKIP_1) | instid1(VALU_DEP_1)
	v_fma_mix_f32 v6, v6, v8, v9 op_sel_hi:[1,0,0]
	s_wait_loadcnt 0x0
	v_fma_mix_f32 v3, v6, v7, v3 op_sel_hi:[0,1,0]
	s_wait_alu 0xfffe
	s_and_not1_b32 exec_lo, exec_lo, s9
	s_cbranch_execnz .LBB237_3
; %bb.4:
	s_or_b32 exec_lo, exec_lo, s9
.LBB237_5:
	s_delay_alu instid0(SALU_CYCLE_1) | instskip(SKIP_1) | instid1(VALU_DEP_1)
	s_or_b32 exec_lo, exec_lo, s11
	v_mbcnt_lo_u32_b32 v2, -1, 0
	v_xor_b32_e32 v4, 16, v2
	v_xor_b32_e32 v5, 8, v2
	s_delay_alu instid0(VALU_DEP_2) | instskip(SKIP_2) | instid1(VALU_DEP_3)
	v_cmp_gt_i32_e32 vcc_lo, 32, v4
	s_wait_alu 0xfffd
	v_cndmask_b32_e32 v4, v2, v4, vcc_lo
	v_cmp_gt_i32_e32 vcc_lo, 32, v5
	s_wait_alu 0xfffd
	v_cndmask_b32_e32 v5, v2, v5, vcc_lo
	s_delay_alu instid0(VALU_DEP_1)
	v_lshlrev_b32_e32 v5, 2, v5
	v_lshlrev_b32_e32 v4, 2, v4
	ds_bpermute_b32 v4, v4, v3
	s_wait_dscnt 0x0
	v_add_f32_e32 v3, v3, v4
	ds_bpermute_b32 v4, v5, v3
	v_xor_b32_e32 v5, 4, v2
	s_delay_alu instid0(VALU_DEP_1) | instskip(SKIP_2) | instid1(VALU_DEP_1)
	v_cmp_gt_i32_e32 vcc_lo, 32, v5
	s_wait_alu 0xfffd
	v_cndmask_b32_e32 v5, v2, v5, vcc_lo
	v_lshlrev_b32_e32 v5, 2, v5
	s_wait_dscnt 0x0
	v_add_f32_e32 v3, v3, v4
	ds_bpermute_b32 v4, v5, v3
	v_xor_b32_e32 v5, 2, v2
	s_delay_alu instid0(VALU_DEP_1) | instskip(SKIP_2) | instid1(VALU_DEP_1)
	v_cmp_gt_i32_e32 vcc_lo, 32, v5
	s_wait_alu 0xfffd
	v_cndmask_b32_e32 v5, v2, v5, vcc_lo
	v_lshlrev_b32_e32 v5, 2, v5
	s_wait_dscnt 0x0
	v_add_f32_e32 v3, v3, v4
	ds_bpermute_b32 v4, v5, v3
	v_xor_b32_e32 v5, 1, v2
	s_delay_alu instid0(VALU_DEP_1) | instskip(SKIP_4) | instid1(VALU_DEP_2)
	v_cmp_gt_i32_e32 vcc_lo, 32, v5
	s_wait_alu 0xfffd
	v_cndmask_b32_e32 v5, v2, v5, vcc_lo
	v_cmp_eq_u32_e32 vcc_lo, 0, v0
	s_wait_dscnt 0x0
	v_dual_add_f32 v2, v3, v4 :: v_dual_lshlrev_b32 v3, 2, v5
	ds_bpermute_b32 v3, v3, v2
	s_and_b32 exec_lo, exec_lo, vcc_lo
	s_cbranch_execz .LBB237_7
; %bb.6:
	s_wait_alu 0xfffe
	v_mad_co_u64_u32 v[0:1], null, s6, s8, v[1:2]
	s_wait_dscnt 0x0
	v_dual_mov_b32 v1, 0 :: v_dual_add_f32 v2, v2, v3
	s_delay_alu instid0(VALU_DEP_1) | instskip(SKIP_1) | instid1(VALU_DEP_1)
	v_lshlrev_b64_e32 v[0:1], 2, v[0:1]
	s_wait_kmcnt 0x0
	v_add_co_u32 v0, vcc_lo, s2, v0
	s_wait_alu 0xfffd
	s_delay_alu instid0(VALU_DEP_2)
	v_add_co_ci_u32_e64 v1, null, s3, v1, vcc_lo
	global_store_b32 v[0:1], v2, off
.LBB237_7:
	s_endpgm
	.section	.rodata,"a",@progbits
	.p2align	6, 0x0
	.amdhsa_kernel _ZL9moe_vec_qIfLi32ELi4E10block_q4_0Li2EXadL_ZL17vec_dot_q4_0_q8_1PKvPK10block_q8_1RKiEEEvS2_S2_PT_PS6_iiii
		.amdhsa_group_segment_fixed_size 0
		.amdhsa_private_segment_fixed_size 0
		.amdhsa_kernarg_size 304
		.amdhsa_user_sgpr_count 2
		.amdhsa_user_sgpr_dispatch_ptr 0
		.amdhsa_user_sgpr_queue_ptr 0
		.amdhsa_user_sgpr_kernarg_segment_ptr 1
		.amdhsa_user_sgpr_dispatch_id 0
		.amdhsa_user_sgpr_private_segment_size 0
		.amdhsa_wavefront_size32 1
		.amdhsa_uses_dynamic_stack 0
		.amdhsa_enable_private_segment 0
		.amdhsa_system_sgpr_workgroup_id_x 1
		.amdhsa_system_sgpr_workgroup_id_y 0
		.amdhsa_system_sgpr_workgroup_id_z 1
		.amdhsa_system_sgpr_workgroup_info 0
		.amdhsa_system_vgpr_workitem_id 1
		.amdhsa_next_free_vgpr 40
		.amdhsa_next_free_sgpr 19
		.amdhsa_reserve_vcc 1
		.amdhsa_float_round_mode_32 0
		.amdhsa_float_round_mode_16_64 0
		.amdhsa_float_denorm_mode_32 3
		.amdhsa_float_denorm_mode_16_64 3
		.amdhsa_fp16_overflow 0
		.amdhsa_workgroup_processor_mode 1
		.amdhsa_memory_ordered 1
		.amdhsa_forward_progress 1
		.amdhsa_inst_pref_size 11
		.amdhsa_round_robin_scheduling 0
		.amdhsa_exception_fp_ieee_invalid_op 0
		.amdhsa_exception_fp_denorm_src 0
		.amdhsa_exception_fp_ieee_div_zero 0
		.amdhsa_exception_fp_ieee_overflow 0
		.amdhsa_exception_fp_ieee_underflow 0
		.amdhsa_exception_fp_ieee_inexact 0
		.amdhsa_exception_int_div_zero 0
	.end_amdhsa_kernel
	.section	.text._ZL9moe_vec_qIfLi32ELi4E10block_q4_0Li2EXadL_ZL17vec_dot_q4_0_q8_1PKvPK10block_q8_1RKiEEEvS2_S2_PT_PS6_iiii,"axG",@progbits,_ZL9moe_vec_qIfLi32ELi4E10block_q4_0Li2EXadL_ZL17vec_dot_q4_0_q8_1PKvPK10block_q8_1RKiEEEvS2_S2_PT_PS6_iiii,comdat
.Lfunc_end237:
	.size	_ZL9moe_vec_qIfLi32ELi4E10block_q4_0Li2EXadL_ZL17vec_dot_q4_0_q8_1PKvPK10block_q8_1RKiEEEvS2_S2_PT_PS6_iiii, .Lfunc_end237-_ZL9moe_vec_qIfLi32ELi4E10block_q4_0Li2EXadL_ZL17vec_dot_q4_0_q8_1PKvPK10block_q8_1RKiEEEvS2_S2_PT_PS6_iiii
                                        ; -- End function
	.set _ZL9moe_vec_qIfLi32ELi4E10block_q4_0Li2EXadL_ZL17vec_dot_q4_0_q8_1PKvPK10block_q8_1RKiEEEvS2_S2_PT_PS6_iiii.num_vgpr, 40
	.set _ZL9moe_vec_qIfLi32ELi4E10block_q4_0Li2EXadL_ZL17vec_dot_q4_0_q8_1PKvPK10block_q8_1RKiEEEvS2_S2_PT_PS6_iiii.num_agpr, 0
	.set _ZL9moe_vec_qIfLi32ELi4E10block_q4_0Li2EXadL_ZL17vec_dot_q4_0_q8_1PKvPK10block_q8_1RKiEEEvS2_S2_PT_PS6_iiii.numbered_sgpr, 19
	.set _ZL9moe_vec_qIfLi32ELi4E10block_q4_0Li2EXadL_ZL17vec_dot_q4_0_q8_1PKvPK10block_q8_1RKiEEEvS2_S2_PT_PS6_iiii.num_named_barrier, 0
	.set _ZL9moe_vec_qIfLi32ELi4E10block_q4_0Li2EXadL_ZL17vec_dot_q4_0_q8_1PKvPK10block_q8_1RKiEEEvS2_S2_PT_PS6_iiii.private_seg_size, 0
	.set _ZL9moe_vec_qIfLi32ELi4E10block_q4_0Li2EXadL_ZL17vec_dot_q4_0_q8_1PKvPK10block_q8_1RKiEEEvS2_S2_PT_PS6_iiii.uses_vcc, 1
	.set _ZL9moe_vec_qIfLi32ELi4E10block_q4_0Li2EXadL_ZL17vec_dot_q4_0_q8_1PKvPK10block_q8_1RKiEEEvS2_S2_PT_PS6_iiii.uses_flat_scratch, 0
	.set _ZL9moe_vec_qIfLi32ELi4E10block_q4_0Li2EXadL_ZL17vec_dot_q4_0_q8_1PKvPK10block_q8_1RKiEEEvS2_S2_PT_PS6_iiii.has_dyn_sized_stack, 0
	.set _ZL9moe_vec_qIfLi32ELi4E10block_q4_0Li2EXadL_ZL17vec_dot_q4_0_q8_1PKvPK10block_q8_1RKiEEEvS2_S2_PT_PS6_iiii.has_recursion, 0
	.set _ZL9moe_vec_qIfLi32ELi4E10block_q4_0Li2EXadL_ZL17vec_dot_q4_0_q8_1PKvPK10block_q8_1RKiEEEvS2_S2_PT_PS6_iiii.has_indirect_call, 0
	.section	.AMDGPU.csdata,"",@progbits
; Kernel info:
; codeLenInByte = 1308
; TotalNumSgprs: 21
; NumVgprs: 40
; ScratchSize: 0
; MemoryBound: 0
; FloatMode: 240
; IeeeMode: 1
; LDSByteSize: 0 bytes/workgroup (compile time only)
; SGPRBlocks: 0
; VGPRBlocks: 4
; NumSGPRsForWavesPerEU: 21
; NumVGPRsForWavesPerEU: 40
; Occupancy: 16
; WaveLimiterHint : 1
; COMPUTE_PGM_RSRC2:SCRATCH_EN: 0
; COMPUTE_PGM_RSRC2:USER_SGPR: 2
; COMPUTE_PGM_RSRC2:TRAP_HANDLER: 0
; COMPUTE_PGM_RSRC2:TGID_X_EN: 1
; COMPUTE_PGM_RSRC2:TGID_Y_EN: 0
; COMPUTE_PGM_RSRC2:TGID_Z_EN: 1
; COMPUTE_PGM_RSRC2:TIDIG_COMP_CNT: 1
	.section	.text._ZL9moe_vec_qIfLi32ELi4E10block_q4_1Li2EXadL_ZL17vec_dot_q4_1_q8_1PKvPK10block_q8_1RKiEEEvS2_S2_PT_PS6_iiii,"axG",@progbits,_ZL9moe_vec_qIfLi32ELi4E10block_q4_1Li2EXadL_ZL17vec_dot_q4_1_q8_1PKvPK10block_q8_1RKiEEEvS2_S2_PT_PS6_iiii,comdat
	.globl	_ZL9moe_vec_qIfLi32ELi4E10block_q4_1Li2EXadL_ZL17vec_dot_q4_1_q8_1PKvPK10block_q8_1RKiEEEvS2_S2_PT_PS6_iiii ; -- Begin function _ZL9moe_vec_qIfLi32ELi4E10block_q4_1Li2EXadL_ZL17vec_dot_q4_1_q8_1PKvPK10block_q8_1RKiEEEvS2_S2_PT_PS6_iiii
	.p2align	8
	.type	_ZL9moe_vec_qIfLi32ELi4E10block_q4_1Li2EXadL_ZL17vec_dot_q4_1_q8_1PKvPK10block_q8_1RKiEEEvS2_S2_PT_PS6_iiii,@function
_ZL9moe_vec_qIfLi32ELi4E10block_q4_1Li2EXadL_ZL17vec_dot_q4_1_q8_1PKvPK10block_q8_1RKiEEEvS2_S2_PT_PS6_iiii: ; @_ZL9moe_vec_qIfLi32ELi4E10block_q4_1Li2EXadL_ZL17vec_dot_q4_1_q8_1PKvPK10block_q8_1RKiEEEvS2_S2_PT_PS6_iiii
; %bb.0:
	s_clause 0x1
	s_load_u16 s2, s[0:1], 0x3e
	s_load_b128 s[4:7], s[0:1], 0x20
	v_bfe_u32 v1, v0, 10, 10
	s_wait_kmcnt 0x0
	s_delay_alu instid0(VALU_DEP_1)
	v_mad_co_u64_u32 v[1:2], null, ttmp9, s2, v[1:2]
	s_mov_b32 s2, exec_lo
	v_cmpx_gt_u32_e64 s6, v1
	s_cbranch_execz .LBB238_7
; %bb.1:
	s_load_b64 s[2:3], s[0:1], 0x10
	s_cvt_f32_u32 s8, s4
	v_bfe_u32 v2, v0, 1, 9
	v_and_b32_e32 v0, 0x3ff, v0
	s_mov_b32 s11, exec_lo
	v_rcp_iflag_f32_e32 v3, s8
	s_ashr_i32 s8, s5, 31
	s_wait_alu 0xfffe
	s_lshr_b32 s8, s8, 27
	s_wait_alu 0xfffe
	s_add_co_i32 s5, s5, s8
	s_lshr_b32 s8, ttmp7, 16
	s_ashr_i32 s10, s5, 5
	s_delay_alu instid0(TRANS32_DEP_1)
	v_readfirstlane_b32 s5, v3
	v_mov_b32_e32 v3, 0
	v_cmpx_gt_u32_e64 s10, v2
	s_cbranch_execz .LBB238_5
; %bb.2:
	s_load_b64 s[12:13], s[0:1], 0x18
	s_mul_f32 s5, s5, 0x4f7ffffe
	s_sub_co_i32 s14, 0, s4
	s_lshl_b32 s15, s8, 2
	s_mov_b32 s9, 0
	s_cvt_u32_f32 s5, s5
	v_lshlrev_b32_e32 v5, 3, v0
	v_mul_lo_u32 v4, v1, s10
	v_mov_b32_e32 v3, 0
	s_mul_i32 s14, s14, s5
	s_delay_alu instid0(SALU_CYCLE_1)
	s_mul_hi_u32 s14, s5, s14
	v_and_b32_e32 v5, 8, v5
	s_wait_kmcnt 0x0
	s_load_b32 s18, s[12:13], s15 offset:0x0
	s_mov_b32 s13, s9
	s_add_co_i32 s12, s5, s14
	s_delay_alu instid0(SALU_CYCLE_1)
	s_mul_u64 s[16:17], s[8:9], s[12:13]
	s_load_b128 s[12:15], s[0:1], 0x0
	s_mul_i32 s1, s17, s4
	s_add_co_i32 s5, s17, 1
	s_wait_alu 0xfffe
	s_sub_co_i32 s1, s8, s1
	s_mul_i32 s0, s10, s6
	s_wait_alu 0xfffe
	s_sub_co_i32 s16, s1, s4
	s_cmp_ge_u32 s1, s4
	s_cselect_b32 s5, s5, s17
	s_cselect_b32 s1, s16, s1
	s_add_co_i32 s16, s5, 1
	s_wait_alu 0xfffe
	s_cmp_ge_u32 s1, s4
	s_cselect_b32 s4, s16, s5
	s_mov_b32 s5, s9
	s_wait_kmcnt 0x0
	s_mul_i32 s0, s0, s18
	s_mul_i32 s4, s4, s7
	s_wait_alu 0xfffe
	s_ashr_i32 s1, s0, 31
	s_lshl_b64 s[4:5], s[4:5], 2
	s_wait_alu 0xfffe
	s_mul_u64 s[0:1], s[0:1], 20
	s_add_nc_u64 s[4:5], s[14:15], s[4:5]
	s_wait_alu 0xfffe
	s_add_nc_u64 s[0:1], s[12:13], s[0:1]
.LBB238_3:                              ; =>This Inner Loop Header: Depth=1
	v_add_nc_u32_e32 v8, v4, v2
	v_mad_co_i64_i32 v[6:7], null, v2, 36, s[4:5]
	v_add_nc_u32_e32 v2, 16, v2
	s_wait_alu 0xfffe
	s_delay_alu instid0(VALU_DEP_3) | instskip(NEXT) | instid1(VALU_DEP_3)
	v_mad_co_i64_i32 v[8:9], null, v8, 20, s[0:1]
	v_add_co_u32 v10, vcc_lo, v6, v5
	s_wait_alu 0xfffd
	s_delay_alu instid0(VALU_DEP_4) | instskip(NEXT) | instid1(VALU_DEP_3)
	v_add_co_ci_u32_e64 v11, null, 0, v7, vcc_lo
	v_add_co_u32 v12, vcc_lo, v8, v5
	s_wait_alu 0xfffd
	s_delay_alu instid0(VALU_DEP_4)
	v_add_co_ci_u32_e64 v13, null, 0, v9, vcc_lo
	s_clause 0x2
	global_load_b32 v14, v[6:7], off
	global_load_b64 v[6:7], v[10:11], off offset:4
	global_load_b64 v[10:11], v[10:11], off offset:20
	v_cmp_le_u32_e32 vcc_lo, s10, v2
	s_clause 0x1
	global_load_b64 v[12:13], v[12:13], off offset:4
	global_load_b32 v8, v[8:9], off
	s_or_b32 s9, vcc_lo, s9
	s_wait_loadcnt 0x3
	v_lshrrev_b16 v9, 8, v6
	s_wait_loadcnt 0x2
	v_lshrrev_b16 v15, 8, v10
	v_ashrrev_i32_e32 v18, 24, v10
	s_wait_loadcnt 0x1
	v_lshrrev_b32_e32 v27, 4, v12
	v_bfe_i32 v19, v10, 16, 8
	v_bfe_i32 v10, v10, 0, 8
	v_ashrrev_i32_e32 v23, 24, v11
	v_bfe_i32 v24, v11, 16, 8
	v_bfe_i32 v25, v11, 8, 8
	;; [unrolled: 1-line block ×3, first 2 shown]
	s_wait_loadcnt 0x0
	v_pk_mul_f16 v8, v8, v14
	v_bfe_u32 v14, v12, 24, 4
	v_and_b32_e32 v26, 0xf0f0f0f, v12
	v_lshrrev_b32_e32 v28, 28, v12
	v_bfe_u32 v29, v12, 16, 4
	v_and_b32_e32 v30, 15, v12
	v_bfe_u32 v31, v12, 20, 4
	v_bfe_u32 v12, v12, 4, 4
	;; [unrolled: 1-line block ×3, first 2 shown]
	v_and_b32_e32 v33, 0xf0f0f0f, v13
	v_lshrrev_b32_e32 v34, 4, v13
	v_lshrrev_b32_e32 v35, 28, v13
	v_bfe_u32 v36, v13, 16, 4
	v_and_b32_e32 v37, 15, v13
	v_bfe_u32 v38, v13, 20, 4
	v_bfe_u32 v13, v13, 4, 4
	v_lshrrev_b16 v27, 8, v27
	v_lshrrev_b16 v26, 8, v26
	v_mul_i32_i24_e32 v10, v12, v10
	v_mul_i32_i24_e32 v12, v31, v19
	;; [unrolled: 1-line block ×3, first 2 shown]
	v_lshrrev_b16 v19, 8, v33
	v_lshrrev_b16 v28, 8, v34
	v_mul_i32_i24_e32 v11, v11, v13
	v_mul_i32_i24_e32 v13, v24, v38
	v_and_b32_e32 v24, 15, v27
	v_bfe_i32 v16, v6, 16, 8
	v_bfe_i32 v17, v6, 0, 8
	v_ashrrev_i32_e32 v6, 24, v6
	v_ashrrev_i32_e32 v20, 24, v7
	v_bfe_i32 v22, v7, 8, 8
	v_bfe_i32 v9, v9, 0, 8
	;; [unrolled: 1-line block ×3, first 2 shown]
	v_and_b32_e32 v26, 0xffff, v26
	v_and_b32_e32 v19, 0xffff, v19
	;; [unrolled: 1-line block ×4, first 2 shown]
	v_bfe_i32 v21, v7, 16, 8
	v_bfe_i32 v7, v7, 0, 8
	v_mul_i32_i24_e32 v20, v20, v32
	v_mul_i32_i24_e32 v23, v23, v35
	v_mad_i32_i24 v6, v14, v6, v18
	v_mul_i32_i24_e32 v9, v26, v9
	v_mul_i32_i24_e32 v14, v22, v19
	v_and_b32_e32 v18, 0xffff, v27
	v_mul_i32_i24_e32 v15, v24, v15
	v_mul_i32_i24_e32 v7, v7, v37
	;; [unrolled: 1-line block ×3, first 2 shown]
	v_mad_i32_i24 v10, v30, v17, v10
	v_mad_i32_i24 v12, v29, v16, v12
	v_add3_u32 v6, v6, v20, v23
	v_mul_i32_i24_e32 v16, v25, v18
	v_add3_u32 v9, v9, v15, v14
	v_lshrrev_b32_e32 v14, 16, v8
	v_add3_u32 v12, v12, v21, v13
	v_add3_u32 v7, v10, v7, v11
	s_delay_alu instid0(VALU_DEP_4) | instskip(NEXT) | instid1(VALU_DEP_4)
	v_add3_u32 v6, v9, v16, v6
	v_cvt_f32_f16_e32 v9, v14
	s_delay_alu instid0(VALU_DEP_2) | instskip(NEXT) | instid1(VALU_DEP_2)
	v_add3_u32 v6, v7, v12, v6
	v_mul_f32_e32 v7, 0.5, v9
	s_delay_alu instid0(VALU_DEP_2) | instskip(NEXT) | instid1(VALU_DEP_1)
	v_cvt_f32_i32_e32 v6, v6
	v_fma_mix_f32 v6, v6, v8, v7 op_sel_hi:[0,1,0]
	s_delay_alu instid0(VALU_DEP_1)
	v_add_f32_e32 v3, v3, v6
	s_wait_alu 0xfffe
	s_and_not1_b32 exec_lo, exec_lo, s9
	s_cbranch_execnz .LBB238_3
; %bb.4:
	s_or_b32 exec_lo, exec_lo, s9
.LBB238_5:
	s_delay_alu instid0(SALU_CYCLE_1) | instskip(SKIP_1) | instid1(VALU_DEP_1)
	s_or_b32 exec_lo, exec_lo, s11
	v_mbcnt_lo_u32_b32 v2, -1, 0
	v_xor_b32_e32 v4, 16, v2
	v_xor_b32_e32 v5, 8, v2
	s_delay_alu instid0(VALU_DEP_2) | instskip(SKIP_2) | instid1(VALU_DEP_3)
	v_cmp_gt_i32_e32 vcc_lo, 32, v4
	s_wait_alu 0xfffd
	v_cndmask_b32_e32 v4, v2, v4, vcc_lo
	v_cmp_gt_i32_e32 vcc_lo, 32, v5
	s_wait_alu 0xfffd
	v_cndmask_b32_e32 v5, v2, v5, vcc_lo
	s_delay_alu instid0(VALU_DEP_1)
	v_lshlrev_b32_e32 v5, 2, v5
	v_lshlrev_b32_e32 v4, 2, v4
	ds_bpermute_b32 v4, v4, v3
	s_wait_dscnt 0x0
	v_add_f32_e32 v3, v3, v4
	ds_bpermute_b32 v4, v5, v3
	v_xor_b32_e32 v5, 4, v2
	s_delay_alu instid0(VALU_DEP_1) | instskip(SKIP_2) | instid1(VALU_DEP_1)
	v_cmp_gt_i32_e32 vcc_lo, 32, v5
	s_wait_alu 0xfffd
	v_cndmask_b32_e32 v5, v2, v5, vcc_lo
	v_lshlrev_b32_e32 v5, 2, v5
	s_wait_dscnt 0x0
	v_add_f32_e32 v3, v3, v4
	ds_bpermute_b32 v4, v5, v3
	v_xor_b32_e32 v5, 2, v2
	s_delay_alu instid0(VALU_DEP_1) | instskip(SKIP_2) | instid1(VALU_DEP_1)
	v_cmp_gt_i32_e32 vcc_lo, 32, v5
	s_wait_alu 0xfffd
	v_cndmask_b32_e32 v5, v2, v5, vcc_lo
	v_lshlrev_b32_e32 v5, 2, v5
	s_wait_dscnt 0x0
	v_add_f32_e32 v3, v3, v4
	ds_bpermute_b32 v4, v5, v3
	v_xor_b32_e32 v5, 1, v2
	s_delay_alu instid0(VALU_DEP_1) | instskip(SKIP_4) | instid1(VALU_DEP_2)
	v_cmp_gt_i32_e32 vcc_lo, 32, v5
	s_wait_alu 0xfffd
	v_cndmask_b32_e32 v5, v2, v5, vcc_lo
	v_cmp_eq_u32_e32 vcc_lo, 0, v0
	s_wait_dscnt 0x0
	v_dual_add_f32 v2, v3, v4 :: v_dual_lshlrev_b32 v3, 2, v5
	ds_bpermute_b32 v3, v3, v2
	s_and_b32 exec_lo, exec_lo, vcc_lo
	s_cbranch_execz .LBB238_7
; %bb.6:
	s_wait_alu 0xfffe
	v_mad_co_u64_u32 v[0:1], null, s6, s8, v[1:2]
	s_wait_dscnt 0x0
	v_dual_mov_b32 v1, 0 :: v_dual_add_f32 v2, v2, v3
	s_delay_alu instid0(VALU_DEP_1) | instskip(SKIP_1) | instid1(VALU_DEP_1)
	v_lshlrev_b64_e32 v[0:1], 2, v[0:1]
	s_wait_kmcnt 0x0
	v_add_co_u32 v0, vcc_lo, s2, v0
	s_wait_alu 0xfffd
	s_delay_alu instid0(VALU_DEP_2)
	v_add_co_ci_u32_e64 v1, null, s3, v1, vcc_lo
	global_store_b32 v[0:1], v2, off
.LBB238_7:
	s_endpgm
	.section	.rodata,"a",@progbits
	.p2align	6, 0x0
	.amdhsa_kernel _ZL9moe_vec_qIfLi32ELi4E10block_q4_1Li2EXadL_ZL17vec_dot_q4_1_q8_1PKvPK10block_q8_1RKiEEEvS2_S2_PT_PS6_iiii
		.amdhsa_group_segment_fixed_size 0
		.amdhsa_private_segment_fixed_size 0
		.amdhsa_kernarg_size 304
		.amdhsa_user_sgpr_count 2
		.amdhsa_user_sgpr_dispatch_ptr 0
		.amdhsa_user_sgpr_queue_ptr 0
		.amdhsa_user_sgpr_kernarg_segment_ptr 1
		.amdhsa_user_sgpr_dispatch_id 0
		.amdhsa_user_sgpr_private_segment_size 0
		.amdhsa_wavefront_size32 1
		.amdhsa_uses_dynamic_stack 0
		.amdhsa_enable_private_segment 0
		.amdhsa_system_sgpr_workgroup_id_x 1
		.amdhsa_system_sgpr_workgroup_id_y 0
		.amdhsa_system_sgpr_workgroup_id_z 1
		.amdhsa_system_sgpr_workgroup_info 0
		.amdhsa_system_vgpr_workitem_id 1
		.amdhsa_next_free_vgpr 39
		.amdhsa_next_free_sgpr 19
		.amdhsa_reserve_vcc 1
		.amdhsa_float_round_mode_32 0
		.amdhsa_float_round_mode_16_64 0
		.amdhsa_float_denorm_mode_32 3
		.amdhsa_float_denorm_mode_16_64 3
		.amdhsa_fp16_overflow 0
		.amdhsa_workgroup_processor_mode 1
		.amdhsa_memory_ordered 1
		.amdhsa_forward_progress 1
		.amdhsa_inst_pref_size 11
		.amdhsa_round_robin_scheduling 0
		.amdhsa_exception_fp_ieee_invalid_op 0
		.amdhsa_exception_fp_denorm_src 0
		.amdhsa_exception_fp_ieee_div_zero 0
		.amdhsa_exception_fp_ieee_overflow 0
		.amdhsa_exception_fp_ieee_underflow 0
		.amdhsa_exception_fp_ieee_inexact 0
		.amdhsa_exception_int_div_zero 0
	.end_amdhsa_kernel
	.section	.text._ZL9moe_vec_qIfLi32ELi4E10block_q4_1Li2EXadL_ZL17vec_dot_q4_1_q8_1PKvPK10block_q8_1RKiEEEvS2_S2_PT_PS6_iiii,"axG",@progbits,_ZL9moe_vec_qIfLi32ELi4E10block_q4_1Li2EXadL_ZL17vec_dot_q4_1_q8_1PKvPK10block_q8_1RKiEEEvS2_S2_PT_PS6_iiii,comdat
.Lfunc_end238:
	.size	_ZL9moe_vec_qIfLi32ELi4E10block_q4_1Li2EXadL_ZL17vec_dot_q4_1_q8_1PKvPK10block_q8_1RKiEEEvS2_S2_PT_PS6_iiii, .Lfunc_end238-_ZL9moe_vec_qIfLi32ELi4E10block_q4_1Li2EXadL_ZL17vec_dot_q4_1_q8_1PKvPK10block_q8_1RKiEEEvS2_S2_PT_PS6_iiii
                                        ; -- End function
	.set _ZL9moe_vec_qIfLi32ELi4E10block_q4_1Li2EXadL_ZL17vec_dot_q4_1_q8_1PKvPK10block_q8_1RKiEEEvS2_S2_PT_PS6_iiii.num_vgpr, 39
	.set _ZL9moe_vec_qIfLi32ELi4E10block_q4_1Li2EXadL_ZL17vec_dot_q4_1_q8_1PKvPK10block_q8_1RKiEEEvS2_S2_PT_PS6_iiii.num_agpr, 0
	.set _ZL9moe_vec_qIfLi32ELi4E10block_q4_1Li2EXadL_ZL17vec_dot_q4_1_q8_1PKvPK10block_q8_1RKiEEEvS2_S2_PT_PS6_iiii.numbered_sgpr, 19
	.set _ZL9moe_vec_qIfLi32ELi4E10block_q4_1Li2EXadL_ZL17vec_dot_q4_1_q8_1PKvPK10block_q8_1RKiEEEvS2_S2_PT_PS6_iiii.num_named_barrier, 0
	.set _ZL9moe_vec_qIfLi32ELi4E10block_q4_1Li2EXadL_ZL17vec_dot_q4_1_q8_1PKvPK10block_q8_1RKiEEEvS2_S2_PT_PS6_iiii.private_seg_size, 0
	.set _ZL9moe_vec_qIfLi32ELi4E10block_q4_1Li2EXadL_ZL17vec_dot_q4_1_q8_1PKvPK10block_q8_1RKiEEEvS2_S2_PT_PS6_iiii.uses_vcc, 1
	.set _ZL9moe_vec_qIfLi32ELi4E10block_q4_1Li2EXadL_ZL17vec_dot_q4_1_q8_1PKvPK10block_q8_1RKiEEEvS2_S2_PT_PS6_iiii.uses_flat_scratch, 0
	.set _ZL9moe_vec_qIfLi32ELi4E10block_q4_1Li2EXadL_ZL17vec_dot_q4_1_q8_1PKvPK10block_q8_1RKiEEEvS2_S2_PT_PS6_iiii.has_dyn_sized_stack, 0
	.set _ZL9moe_vec_qIfLi32ELi4E10block_q4_1Li2EXadL_ZL17vec_dot_q4_1_q8_1PKvPK10block_q8_1RKiEEEvS2_S2_PT_PS6_iiii.has_recursion, 0
	.set _ZL9moe_vec_qIfLi32ELi4E10block_q4_1Li2EXadL_ZL17vec_dot_q4_1_q8_1PKvPK10block_q8_1RKiEEEvS2_S2_PT_PS6_iiii.has_indirect_call, 0
	.section	.AMDGPU.csdata,"",@progbits
; Kernel info:
; codeLenInByte = 1316
; TotalNumSgprs: 21
; NumVgprs: 39
; ScratchSize: 0
; MemoryBound: 0
; FloatMode: 240
; IeeeMode: 1
; LDSByteSize: 0 bytes/workgroup (compile time only)
; SGPRBlocks: 0
; VGPRBlocks: 4
; NumSGPRsForWavesPerEU: 21
; NumVGPRsForWavesPerEU: 39
; Occupancy: 16
; WaveLimiterHint : 1
; COMPUTE_PGM_RSRC2:SCRATCH_EN: 0
; COMPUTE_PGM_RSRC2:USER_SGPR: 2
; COMPUTE_PGM_RSRC2:TRAP_HANDLER: 0
; COMPUTE_PGM_RSRC2:TGID_X_EN: 1
; COMPUTE_PGM_RSRC2:TGID_Y_EN: 0
; COMPUTE_PGM_RSRC2:TGID_Z_EN: 1
; COMPUTE_PGM_RSRC2:TIDIG_COMP_CNT: 1
	.section	.text._ZL9moe_vec_qIfLi32ELi4E10block_q5_0Li2EXadL_ZL17vec_dot_q5_0_q8_1PKvPK10block_q8_1RKiEEEvS2_S2_PT_PS6_iiii,"axG",@progbits,_ZL9moe_vec_qIfLi32ELi4E10block_q5_0Li2EXadL_ZL17vec_dot_q5_0_q8_1PKvPK10block_q8_1RKiEEEvS2_S2_PT_PS6_iiii,comdat
	.globl	_ZL9moe_vec_qIfLi32ELi4E10block_q5_0Li2EXadL_ZL17vec_dot_q5_0_q8_1PKvPK10block_q8_1RKiEEEvS2_S2_PT_PS6_iiii ; -- Begin function _ZL9moe_vec_qIfLi32ELi4E10block_q5_0Li2EXadL_ZL17vec_dot_q5_0_q8_1PKvPK10block_q8_1RKiEEEvS2_S2_PT_PS6_iiii
	.p2align	8
	.type	_ZL9moe_vec_qIfLi32ELi4E10block_q5_0Li2EXadL_ZL17vec_dot_q5_0_q8_1PKvPK10block_q8_1RKiEEEvS2_S2_PT_PS6_iiii,@function
_ZL9moe_vec_qIfLi32ELi4E10block_q5_0Li2EXadL_ZL17vec_dot_q5_0_q8_1PKvPK10block_q8_1RKiEEEvS2_S2_PT_PS6_iiii: ; @_ZL9moe_vec_qIfLi32ELi4E10block_q5_0Li2EXadL_ZL17vec_dot_q5_0_q8_1PKvPK10block_q8_1RKiEEEvS2_S2_PT_PS6_iiii
; %bb.0:
	s_clause 0x1
	s_load_u16 s2, s[0:1], 0x3e
	s_load_b128 s[4:7], s[0:1], 0x20
	v_bfe_u32 v1, v0, 10, 10
	s_wait_kmcnt 0x0
	s_delay_alu instid0(VALU_DEP_1)
	v_mad_co_u64_u32 v[1:2], null, ttmp9, s2, v[1:2]
	s_mov_b32 s2, exec_lo
	v_cmpx_gt_u32_e64 s6, v1
	s_cbranch_execz .LBB239_7
; %bb.1:
	s_load_b64 s[2:3], s[0:1], 0x10
	s_cvt_f32_u32 s8, s4
	v_bfe_u32 v2, v0, 1, 9
	v_and_b32_e32 v0, 0x3ff, v0
	s_mov_b32 s11, exec_lo
	v_rcp_iflag_f32_e32 v3, s8
	s_ashr_i32 s8, s5, 31
	s_wait_alu 0xfffe
	s_lshr_b32 s8, s8, 27
	s_wait_alu 0xfffe
	s_add_co_i32 s5, s5, s8
	s_lshr_b32 s8, ttmp7, 16
	s_ashr_i32 s10, s5, 5
	s_delay_alu instid0(TRANS32_DEP_1)
	v_readfirstlane_b32 s5, v3
	v_mov_b32_e32 v3, 0
	v_cmpx_gt_u32_e64 s10, v2
	s_cbranch_execz .LBB239_5
; %bb.2:
	s_load_b64 s[12:13], s[0:1], 0x18
	s_mul_f32 s5, s5, 0x4f7ffffe
	s_sub_co_i32 s14, 0, s4
	s_lshl_b32 s15, s8, 2
	s_mov_b32 s9, 0
	s_cvt_u32_f32 s5, s5
	v_lshlrev_b32_e32 v3, 3, v0
	v_mul_lo_u32 v4, v1, s10
	s_delay_alu instid0(SALU_CYCLE_1) | instskip(NEXT) | instid1(SALU_CYCLE_1)
	s_mul_i32 s14, s14, s5
	s_mul_hi_u32 s14, s5, s14
	s_delay_alu instid0(VALU_DEP_2) | instskip(SKIP_1) | instid1(VALU_DEP_2)
	v_and_b32_e32 v5, 8, v3
	v_mov_b32_e32 v3, 0
	v_or_b32_e32 v6, 4, v5
	s_wait_kmcnt 0x0
	s_load_b32 s18, s[12:13], s15 offset:0x0
	s_mov_b32 s13, s9
	s_add_co_i32 s12, s5, s14
	s_delay_alu instid0(SALU_CYCLE_1)
	s_mul_u64 s[16:17], s[8:9], s[12:13]
	s_load_b128 s[12:15], s[0:1], 0x0
	s_mul_i32 s1, s17, s4
	s_add_co_i32 s5, s17, 1
	s_wait_alu 0xfffe
	s_sub_co_i32 s1, s8, s1
	s_mul_i32 s0, s10, s6
	s_wait_alu 0xfffe
	s_sub_co_i32 s16, s1, s4
	s_cmp_ge_u32 s1, s4
	s_cselect_b32 s5, s5, s17
	s_cselect_b32 s1, s16, s1
	s_add_co_i32 s16, s5, 1
	s_wait_alu 0xfffe
	s_cmp_ge_u32 s1, s4
	s_cselect_b32 s4, s16, s5
	s_mov_b32 s5, s9
	s_wait_kmcnt 0x0
	s_mul_i32 s0, s0, s18
	s_mul_i32 s4, s4, s7
	s_wait_alu 0xfffe
	s_ashr_i32 s1, s0, 31
	s_lshl_b64 s[4:5], s[4:5], 2
	s_wait_alu 0xfffe
	s_mul_u64 s[0:1], s[0:1], 22
	s_add_nc_u64 s[4:5], s[14:15], s[4:5]
	s_wait_alu 0xfffe
	s_add_nc_u64 s[0:1], s[12:13], s[0:1]
.LBB239_3:                              ; =>This Inner Loop Header: Depth=1
	v_add_nc_u32_e32 v9, v4, v2
	v_mad_co_i64_i32 v[7:8], null, v2, 36, s[4:5]
	v_add_nc_u32_e32 v2, 16, v2
	s_wait_alu 0xfffe
	s_delay_alu instid0(VALU_DEP_3) | instskip(NEXT) | instid1(VALU_DEP_3)
	v_mad_co_i64_i32 v[9:10], null, v9, 22, s[0:1]
	v_add_co_u32 v11, vcc_lo, v7, v5
	s_wait_alu 0xfffd
	s_delay_alu instid0(VALU_DEP_4) | instskip(NEXT) | instid1(VALU_DEP_3)
	v_add_co_ci_u32_e64 v12, null, 0, v8, vcc_lo
	v_add_co_u32 v13, vcc_lo, v9, v5
	s_wait_alu 0xfffd
	s_delay_alu instid0(VALU_DEP_4)
	v_add_co_ci_u32_e64 v14, null, 0, v10, vcc_lo
	v_cmp_le_u32_e32 vcc_lo, s10, v2
	global_load_b32 v17, v[9:10], off offset:2
	global_load_b64 v[15:16], v[11:12], off offset:4
	global_load_b64 v[13:14], v[13:14], off offset:6
	s_clause 0x1
	global_load_b64 v[11:12], v[11:12], off offset:20
	global_load_b32 v7, v[7:8], off
	global_load_u16 v8, v[9:10], off
	s_or_b32 s9, vcc_lo, s9
	s_wait_loadcnt 0x5
	v_ashrrev_i32_e32 v9, v5, v17
	v_ashrrev_i32_e32 v17, v6, v17
	s_wait_loadcnt 0x3
	v_and_b32_e32 v29, 0xf0f0f0f, v13
	v_lshrrev_b32_e32 v13, 4, v13
	v_and_b32_e32 v37, 0xf0f0f0f, v14
	v_lshlrev_b32_e32 v30, 4, v9
	v_lshlrev_b32_e32 v31, 11, v9
	;; [unrolled: 1-line block ×3, first 2 shown]
	v_lshrrev_b32_e32 v34, 12, v9
	v_lshrrev_b32_e32 v35, 5, v9
	v_lshlrev_b32_e32 v36, 2, v9
	v_lshlrev_b32_e32 v38, 4, v17
	;; [unrolled: 1-line block ×4, first 2 shown]
	v_lshrrev_b32_e32 v42, 12, v17
	v_lshrrev_b32_e32 v43, 5, v17
	v_lshlrev_b32_e32 v44, 2, v17
	v_lshlrev_b32_e32 v32, 18, v9
	;; [unrolled: 1-line block ×4, first 2 shown]
	v_lshrrev_b32_e32 v14, 4, v14
	v_lshlrev_b32_e32 v17, 9, v17
	v_and_b32_e32 v30, 16, v30
	v_and_b32_e32 v31, 0x1000, v31
	v_and_or_b32 v33, 0x10000000, v33, v29
	v_and_b32_e32 v34, 16, v34
	v_and_b32_e32 v35, 0x1000, v35
	;; [unrolled: 1-line block ×14, first 2 shown]
	v_or3_b32 v29, v30, v29, v31
	v_lshrrev_b32_e32 v30, 24, v33
	v_or3_b32 v31, v35, v34, v36
	v_or3_b32 v33, v39, v38, v40
	;; [unrolled: 1-line block ×3, first 2 shown]
	v_lshrrev_b16 v10, 8, v15
	v_and_or_b32 v32, 0x100000, v32, v29
	v_lshrrev_b16 v29, 8, v29
	v_or3_b32 v9, v31, v9, v13
	v_or3_b32 v13, v33, v41, v37
	;; [unrolled: 1-line block ×3, first 2 shown]
	s_wait_loadcnt 0x2
	v_lshrrev_b16 v18, 8, v11
	v_ashrrev_i32_e32 v21, 24, v11
	v_ashrrev_i32_e32 v23, 24, v16
	v_bfe_i32 v24, v16, 16, 8
	v_bfe_i32 v25, v16, 8, 8
	;; [unrolled: 1-line block ×4, first 2 shown]
	v_bfe_u32 v17, v32, 16, 5
	v_and_b32_e32 v31, 31, v32
	v_and_b32_e32 v29, 0xffff, v29
	v_lshrrev_b32_e32 v32, 24, v9
	v_lshrrev_b16 v33, 8, v9
	v_lshrrev_b32_e32 v35, 24, v13
	v_lshrrev_b16 v36, 8, v13
	v_bfe_u32 v37, v13, 16, 5
	v_and_b32_e32 v13, 31, v13
	v_lshrrev_b16 v39, 8, v14
	v_ashrrev_i32_e32 v19, 24, v15
	v_bfe_i32 v22, v11, 16, 8
	v_bfe_i32 v11, v11, 0, 8
	v_ashrrev_i32_e32 v26, 24, v12
	v_bfe_i32 v28, v12, 8, 8
	v_bfe_i32 v18, v18, 0, 8
	v_bfe_u32 v34, v9, 16, 5
	v_and_b32_e32 v9, 31, v9
	v_lshrrev_b32_e32 v38, 24, v14
	v_mul_i32_i24_e32 v10, v29, v10
	v_and_b32_e32 v29, 0xffff, v33
	v_mul_i32_i24_e32 v21, v32, v21
	v_mul_i32_i24_e32 v13, v16, v13
	;; [unrolled: 1-line block ×3, first 2 shown]
	v_and_b32_e32 v24, 0xffff, v39
	v_bfe_i32 v20, v15, 16, 8
	v_bfe_i32 v15, v15, 0, 8
	;; [unrolled: 1-line block ×4, first 2 shown]
	v_bfe_u32 v40, v14, 16, 5
	v_and_b32_e32 v14, 31, v14
	v_mul_i32_i24_e32 v9, v9, v11
	v_mul_i32_i24_e32 v11, v34, v22
	v_and_b32_e32 v22, 0xffff, v36
	v_mul_i32_i24_e32 v23, v23, v35
	v_mul_i32_i24_e32 v26, v26, v38
	;; [unrolled: 1-line block ×4, first 2 shown]
	v_mad_i32_i24 v19, v30, v19, v21
	v_mul_i32_i24_e32 v12, v12, v14
	v_mul_i32_i24_e32 v14, v27, v40
	;; [unrolled: 1-line block ×3, first 2 shown]
	v_mad_i32_i24 v9, v31, v15, v9
	v_mad_i32_i24 v11, v17, v20, v11
	v_add3_u32 v10, v10, v18, v24
	v_add3_u32 v15, v19, v26, v23
	s_wait_loadcnt 0x1
	v_lshrrev_b32_e32 v17, 16, v7
	v_add3_u32 v9, v9, v12, v13
	v_add3_u32 v11, v11, v14, v16
	;; [unrolled: 1-line block ×3, first 2 shown]
	s_delay_alu instid0(VALU_DEP_4) | instskip(NEXT) | instid1(VALU_DEP_2)
	v_cvt_f32_f16_e32 v12, v17
	v_add3_u32 v9, v9, v11, v10
	s_delay_alu instid0(VALU_DEP_2) | instskip(NEXT) | instid1(VALU_DEP_2)
	v_mul_f32_e32 v10, 0xc1000000, v12
	v_cvt_f32_i32_e32 v9, v9
	s_delay_alu instid0(VALU_DEP_1) | instskip(SKIP_1) | instid1(VALU_DEP_1)
	v_fma_mix_f32 v7, v7, v9, v10 op_sel_hi:[1,0,0]
	s_wait_loadcnt 0x0
	v_fma_mix_f32 v3, v7, v8, v3 op_sel_hi:[0,1,0]
	s_wait_alu 0xfffe
	s_and_not1_b32 exec_lo, exec_lo, s9
	s_cbranch_execnz .LBB239_3
; %bb.4:
	s_or_b32 exec_lo, exec_lo, s9
.LBB239_5:
	s_delay_alu instid0(SALU_CYCLE_1) | instskip(SKIP_1) | instid1(VALU_DEP_1)
	s_or_b32 exec_lo, exec_lo, s11
	v_mbcnt_lo_u32_b32 v2, -1, 0
	v_xor_b32_e32 v4, 16, v2
	v_xor_b32_e32 v5, 8, v2
	s_delay_alu instid0(VALU_DEP_2) | instskip(SKIP_2) | instid1(VALU_DEP_3)
	v_cmp_gt_i32_e32 vcc_lo, 32, v4
	s_wait_alu 0xfffd
	v_cndmask_b32_e32 v4, v2, v4, vcc_lo
	v_cmp_gt_i32_e32 vcc_lo, 32, v5
	s_wait_alu 0xfffd
	v_cndmask_b32_e32 v5, v2, v5, vcc_lo
	s_delay_alu instid0(VALU_DEP_1)
	v_lshlrev_b32_e32 v5, 2, v5
	v_lshlrev_b32_e32 v4, 2, v4
	ds_bpermute_b32 v4, v4, v3
	s_wait_dscnt 0x0
	v_add_f32_e32 v3, v3, v4
	ds_bpermute_b32 v4, v5, v3
	v_xor_b32_e32 v5, 4, v2
	s_delay_alu instid0(VALU_DEP_1) | instskip(SKIP_2) | instid1(VALU_DEP_1)
	v_cmp_gt_i32_e32 vcc_lo, 32, v5
	s_wait_alu 0xfffd
	v_cndmask_b32_e32 v5, v2, v5, vcc_lo
	v_lshlrev_b32_e32 v5, 2, v5
	s_wait_dscnt 0x0
	v_add_f32_e32 v3, v3, v4
	ds_bpermute_b32 v4, v5, v3
	v_xor_b32_e32 v5, 2, v2
	s_delay_alu instid0(VALU_DEP_1) | instskip(SKIP_2) | instid1(VALU_DEP_1)
	v_cmp_gt_i32_e32 vcc_lo, 32, v5
	s_wait_alu 0xfffd
	v_cndmask_b32_e32 v5, v2, v5, vcc_lo
	v_lshlrev_b32_e32 v5, 2, v5
	s_wait_dscnt 0x0
	v_add_f32_e32 v3, v3, v4
	ds_bpermute_b32 v4, v5, v3
	v_xor_b32_e32 v5, 1, v2
	s_delay_alu instid0(VALU_DEP_1) | instskip(SKIP_4) | instid1(VALU_DEP_2)
	v_cmp_gt_i32_e32 vcc_lo, 32, v5
	s_wait_alu 0xfffd
	v_cndmask_b32_e32 v5, v2, v5, vcc_lo
	v_cmp_eq_u32_e32 vcc_lo, 0, v0
	s_wait_dscnt 0x0
	v_dual_add_f32 v2, v3, v4 :: v_dual_lshlrev_b32 v3, 2, v5
	ds_bpermute_b32 v3, v3, v2
	s_and_b32 exec_lo, exec_lo, vcc_lo
	s_cbranch_execz .LBB239_7
; %bb.6:
	s_wait_alu 0xfffe
	v_mad_co_u64_u32 v[0:1], null, s6, s8, v[1:2]
	s_wait_dscnt 0x0
	v_dual_mov_b32 v1, 0 :: v_dual_add_f32 v2, v2, v3
	s_delay_alu instid0(VALU_DEP_1) | instskip(SKIP_1) | instid1(VALU_DEP_1)
	v_lshlrev_b64_e32 v[0:1], 2, v[0:1]
	s_wait_kmcnt 0x0
	v_add_co_u32 v0, vcc_lo, s2, v0
	s_wait_alu 0xfffd
	s_delay_alu instid0(VALU_DEP_2)
	v_add_co_ci_u32_e64 v1, null, s3, v1, vcc_lo
	global_store_b32 v[0:1], v2, off
.LBB239_7:
	s_endpgm
	.section	.rodata,"a",@progbits
	.p2align	6, 0x0
	.amdhsa_kernel _ZL9moe_vec_qIfLi32ELi4E10block_q5_0Li2EXadL_ZL17vec_dot_q5_0_q8_1PKvPK10block_q8_1RKiEEEvS2_S2_PT_PS6_iiii
		.amdhsa_group_segment_fixed_size 0
		.amdhsa_private_segment_fixed_size 0
		.amdhsa_kernarg_size 304
		.amdhsa_user_sgpr_count 2
		.amdhsa_user_sgpr_dispatch_ptr 0
		.amdhsa_user_sgpr_queue_ptr 0
		.amdhsa_user_sgpr_kernarg_segment_ptr 1
		.amdhsa_user_sgpr_dispatch_id 0
		.amdhsa_user_sgpr_private_segment_size 0
		.amdhsa_wavefront_size32 1
		.amdhsa_uses_dynamic_stack 0
		.amdhsa_enable_private_segment 0
		.amdhsa_system_sgpr_workgroup_id_x 1
		.amdhsa_system_sgpr_workgroup_id_y 0
		.amdhsa_system_sgpr_workgroup_id_z 1
		.amdhsa_system_sgpr_workgroup_info 0
		.amdhsa_system_vgpr_workitem_id 1
		.amdhsa_next_free_vgpr 45
		.amdhsa_next_free_sgpr 19
		.amdhsa_reserve_vcc 1
		.amdhsa_float_round_mode_32 0
		.amdhsa_float_round_mode_16_64 0
		.amdhsa_float_denorm_mode_32 3
		.amdhsa_float_denorm_mode_16_64 3
		.amdhsa_fp16_overflow 0
		.amdhsa_workgroup_processor_mode 1
		.amdhsa_memory_ordered 1
		.amdhsa_forward_progress 1
		.amdhsa_inst_pref_size 13
		.amdhsa_round_robin_scheduling 0
		.amdhsa_exception_fp_ieee_invalid_op 0
		.amdhsa_exception_fp_denorm_src 0
		.amdhsa_exception_fp_ieee_div_zero 0
		.amdhsa_exception_fp_ieee_overflow 0
		.amdhsa_exception_fp_ieee_underflow 0
		.amdhsa_exception_fp_ieee_inexact 0
		.amdhsa_exception_int_div_zero 0
	.end_amdhsa_kernel
	.section	.text._ZL9moe_vec_qIfLi32ELi4E10block_q5_0Li2EXadL_ZL17vec_dot_q5_0_q8_1PKvPK10block_q8_1RKiEEEvS2_S2_PT_PS6_iiii,"axG",@progbits,_ZL9moe_vec_qIfLi32ELi4E10block_q5_0Li2EXadL_ZL17vec_dot_q5_0_q8_1PKvPK10block_q8_1RKiEEEvS2_S2_PT_PS6_iiii,comdat
.Lfunc_end239:
	.size	_ZL9moe_vec_qIfLi32ELi4E10block_q5_0Li2EXadL_ZL17vec_dot_q5_0_q8_1PKvPK10block_q8_1RKiEEEvS2_S2_PT_PS6_iiii, .Lfunc_end239-_ZL9moe_vec_qIfLi32ELi4E10block_q5_0Li2EXadL_ZL17vec_dot_q5_0_q8_1PKvPK10block_q8_1RKiEEEvS2_S2_PT_PS6_iiii
                                        ; -- End function
	.set _ZL9moe_vec_qIfLi32ELi4E10block_q5_0Li2EXadL_ZL17vec_dot_q5_0_q8_1PKvPK10block_q8_1RKiEEEvS2_S2_PT_PS6_iiii.num_vgpr, 45
	.set _ZL9moe_vec_qIfLi32ELi4E10block_q5_0Li2EXadL_ZL17vec_dot_q5_0_q8_1PKvPK10block_q8_1RKiEEEvS2_S2_PT_PS6_iiii.num_agpr, 0
	.set _ZL9moe_vec_qIfLi32ELi4E10block_q5_0Li2EXadL_ZL17vec_dot_q5_0_q8_1PKvPK10block_q8_1RKiEEEvS2_S2_PT_PS6_iiii.numbered_sgpr, 19
	.set _ZL9moe_vec_qIfLi32ELi4E10block_q5_0Li2EXadL_ZL17vec_dot_q5_0_q8_1PKvPK10block_q8_1RKiEEEvS2_S2_PT_PS6_iiii.num_named_barrier, 0
	.set _ZL9moe_vec_qIfLi32ELi4E10block_q5_0Li2EXadL_ZL17vec_dot_q5_0_q8_1PKvPK10block_q8_1RKiEEEvS2_S2_PT_PS6_iiii.private_seg_size, 0
	.set _ZL9moe_vec_qIfLi32ELi4E10block_q5_0Li2EXadL_ZL17vec_dot_q5_0_q8_1PKvPK10block_q8_1RKiEEEvS2_S2_PT_PS6_iiii.uses_vcc, 1
	.set _ZL9moe_vec_qIfLi32ELi4E10block_q5_0Li2EXadL_ZL17vec_dot_q5_0_q8_1PKvPK10block_q8_1RKiEEEvS2_S2_PT_PS6_iiii.uses_flat_scratch, 0
	.set _ZL9moe_vec_qIfLi32ELi4E10block_q5_0Li2EXadL_ZL17vec_dot_q5_0_q8_1PKvPK10block_q8_1RKiEEEvS2_S2_PT_PS6_iiii.has_dyn_sized_stack, 0
	.set _ZL9moe_vec_qIfLi32ELi4E10block_q5_0Li2EXadL_ZL17vec_dot_q5_0_q8_1PKvPK10block_q8_1RKiEEEvS2_S2_PT_PS6_iiii.has_recursion, 0
	.set _ZL9moe_vec_qIfLi32ELi4E10block_q5_0Li2EXadL_ZL17vec_dot_q5_0_q8_1PKvPK10block_q8_1RKiEEEvS2_S2_PT_PS6_iiii.has_indirect_call, 0
	.section	.AMDGPU.csdata,"",@progbits
; Kernel info:
; codeLenInByte = 1572
; TotalNumSgprs: 21
; NumVgprs: 45
; ScratchSize: 0
; MemoryBound: 0
; FloatMode: 240
; IeeeMode: 1
; LDSByteSize: 0 bytes/workgroup (compile time only)
; SGPRBlocks: 0
; VGPRBlocks: 5
; NumSGPRsForWavesPerEU: 21
; NumVGPRsForWavesPerEU: 45
; Occupancy: 16
; WaveLimiterHint : 1
; COMPUTE_PGM_RSRC2:SCRATCH_EN: 0
; COMPUTE_PGM_RSRC2:USER_SGPR: 2
; COMPUTE_PGM_RSRC2:TRAP_HANDLER: 0
; COMPUTE_PGM_RSRC2:TGID_X_EN: 1
; COMPUTE_PGM_RSRC2:TGID_Y_EN: 0
; COMPUTE_PGM_RSRC2:TGID_Z_EN: 1
; COMPUTE_PGM_RSRC2:TIDIG_COMP_CNT: 1
	.section	.text._ZL9moe_vec_qIfLi32ELi4E10block_q5_1Li2EXadL_ZL17vec_dot_q5_1_q8_1PKvPK10block_q8_1RKiEEEvS2_S2_PT_PS6_iiii,"axG",@progbits,_ZL9moe_vec_qIfLi32ELi4E10block_q5_1Li2EXadL_ZL17vec_dot_q5_1_q8_1PKvPK10block_q8_1RKiEEEvS2_S2_PT_PS6_iiii,comdat
	.globl	_ZL9moe_vec_qIfLi32ELi4E10block_q5_1Li2EXadL_ZL17vec_dot_q5_1_q8_1PKvPK10block_q8_1RKiEEEvS2_S2_PT_PS6_iiii ; -- Begin function _ZL9moe_vec_qIfLi32ELi4E10block_q5_1Li2EXadL_ZL17vec_dot_q5_1_q8_1PKvPK10block_q8_1RKiEEEvS2_S2_PT_PS6_iiii
	.p2align	8
	.type	_ZL9moe_vec_qIfLi32ELi4E10block_q5_1Li2EXadL_ZL17vec_dot_q5_1_q8_1PKvPK10block_q8_1RKiEEEvS2_S2_PT_PS6_iiii,@function
_ZL9moe_vec_qIfLi32ELi4E10block_q5_1Li2EXadL_ZL17vec_dot_q5_1_q8_1PKvPK10block_q8_1RKiEEEvS2_S2_PT_PS6_iiii: ; @_ZL9moe_vec_qIfLi32ELi4E10block_q5_1Li2EXadL_ZL17vec_dot_q5_1_q8_1PKvPK10block_q8_1RKiEEEvS2_S2_PT_PS6_iiii
; %bb.0:
	s_clause 0x1
	s_load_u16 s2, s[0:1], 0x3e
	s_load_b128 s[4:7], s[0:1], 0x20
	v_bfe_u32 v1, v0, 10, 10
	s_wait_kmcnt 0x0
	s_delay_alu instid0(VALU_DEP_1)
	v_mad_co_u64_u32 v[1:2], null, ttmp9, s2, v[1:2]
	s_mov_b32 s2, exec_lo
	v_cmpx_gt_u32_e64 s6, v1
	s_cbranch_execz .LBB240_7
; %bb.1:
	s_load_b64 s[2:3], s[0:1], 0x10
	s_cvt_f32_u32 s8, s4
	v_bfe_u32 v2, v0, 1, 9
	v_and_b32_e32 v0, 0x3ff, v0
	s_mov_b32 s11, exec_lo
	v_rcp_iflag_f32_e32 v3, s8
	s_ashr_i32 s8, s5, 31
	s_wait_alu 0xfffe
	s_lshr_b32 s8, s8, 27
	s_wait_alu 0xfffe
	s_add_co_i32 s5, s5, s8
	s_lshr_b32 s8, ttmp7, 16
	s_ashr_i32 s10, s5, 5
	s_delay_alu instid0(TRANS32_DEP_1)
	v_readfirstlane_b32 s5, v3
	v_mov_b32_e32 v3, 0
	v_cmpx_gt_u32_e64 s10, v2
	s_cbranch_execz .LBB240_5
; %bb.2:
	s_load_b64 s[12:13], s[0:1], 0x18
	s_mul_f32 s5, s5, 0x4f7ffffe
	s_sub_co_i32 s14, 0, s4
	s_lshl_b32 s15, s8, 2
	s_mov_b32 s9, 0
	s_cvt_u32_f32 s5, s5
	v_lshlrev_b32_e32 v3, 3, v0
	v_mul_lo_u32 v4, v1, s10
	s_delay_alu instid0(SALU_CYCLE_1) | instskip(NEXT) | instid1(SALU_CYCLE_1)
	s_mul_i32 s14, s14, s5
	s_mul_hi_u32 s14, s5, s14
	s_delay_alu instid0(VALU_DEP_2) | instskip(SKIP_1) | instid1(VALU_DEP_2)
	v_and_b32_e32 v5, 8, v3
	v_mov_b32_e32 v3, 0
	v_or_b32_e32 v6, 4, v5
	s_wait_kmcnt 0x0
	s_load_b32 s18, s[12:13], s15 offset:0x0
	s_mov_b32 s13, s9
	s_add_co_i32 s12, s5, s14
	s_delay_alu instid0(SALU_CYCLE_1)
	s_mul_u64 s[16:17], s[8:9], s[12:13]
	s_load_b128 s[12:15], s[0:1], 0x0
	s_mul_i32 s1, s17, s4
	s_add_co_i32 s5, s17, 1
	s_wait_alu 0xfffe
	s_sub_co_i32 s1, s8, s1
	s_mul_i32 s0, s10, s6
	s_wait_alu 0xfffe
	s_sub_co_i32 s16, s1, s4
	s_cmp_ge_u32 s1, s4
	s_cselect_b32 s5, s5, s17
	s_cselect_b32 s1, s16, s1
	s_add_co_i32 s16, s5, 1
	s_wait_alu 0xfffe
	s_cmp_ge_u32 s1, s4
	s_cselect_b32 s4, s16, s5
	s_mov_b32 s5, s9
	s_wait_kmcnt 0x0
	s_mul_i32 s0, s0, s18
	s_mul_i32 s4, s4, s7
	s_wait_alu 0xfffe
	s_ashr_i32 s1, s0, 31
	s_lshl_b64 s[4:5], s[4:5], 2
	s_wait_alu 0xfffe
	s_mul_u64 s[0:1], s[0:1], 24
	s_add_nc_u64 s[4:5], s[14:15], s[4:5]
	s_wait_alu 0xfffe
	s_add_nc_u64 s[0:1], s[12:13], s[0:1]
.LBB240_3:                              ; =>This Inner Loop Header: Depth=1
	v_mad_co_i64_i32 v[7:8], null, v2, 36, s[4:5]
	v_add_nc_u32_e32 v9, v4, v2
	v_add_nc_u32_e32 v2, 16, v2
	s_wait_alu 0xfffe
	s_delay_alu instid0(VALU_DEP_2) | instskip(NEXT) | instid1(VALU_DEP_4)
	v_mad_co_i64_i32 v[9:10], null, v9, 24, s[0:1]
	v_add_co_u32 v11, vcc_lo, v7, v5
	s_wait_alu 0xfffd
	v_add_co_ci_u32_e64 v12, null, 0, v8, vcc_lo
	global_load_b64 v[13:14], v[9:10], off
	s_clause 0x1
	global_load_b64 v[15:16], v[11:12], off offset:4
	global_load_b64 v[11:12], v[11:12], off offset:20
	v_add_co_u32 v9, vcc_lo, v9, v5
	s_wait_alu 0xfffd
	v_add_co_ci_u32_e64 v10, null, 0, v10, vcc_lo
	v_cmp_le_u32_e32 vcc_lo, s10, v2
	global_load_b64 v[9:10], v[9:10], off offset:8
	global_load_b32 v7, v[7:8], off
	s_or_b32 s9, vcc_lo, s9
	s_wait_loadcnt 0x4
	v_ashrrev_i32_e32 v8, v5, v14
	v_ashrrev_i32_e32 v14, v6, v14
	s_wait_loadcnt 0x3
	v_lshrrev_b16 v17, 8, v15
	s_wait_loadcnt 0x2
	v_lshrrev_b16 v18, 8, v11
	v_ashrrev_i32_e32 v21, 24, v11
	v_lshlrev_b32_e32 v29, 4, v8
	v_lshlrev_b32_e32 v30, 11, v8
	;; [unrolled: 1-line block ×3, first 2 shown]
	v_lshrrev_b32_e32 v33, 12, v8
	v_lshrrev_b32_e32 v34, 5, v8
	s_wait_loadcnt 0x0
	v_pk_mul_f16 v7, v13, v7
	v_and_b32_e32 v13, 0xf0f0f0f, v9
	v_lshlrev_b32_e32 v35, 2, v8
	v_lshlrev_b32_e32 v37, 4, v14
	;; [unrolled: 1-line block ×4, first 2 shown]
	v_lshrrev_b32_e32 v41, 12, v14
	v_lshrrev_b32_e32 v42, 5, v14
	v_lshlrev_b32_e32 v43, 2, v14
	v_lshlrev_b32_e32 v31, 18, v8
	v_lshrrev_b32_e32 v9, 4, v9
	v_lshlrev_b32_e32 v8, 9, v8
	v_and_b32_e32 v36, 0xf0f0f0f, v10
	v_lshlrev_b32_e32 v40, 25, v14
	v_lshrrev_b32_e32 v10, 4, v10
	v_lshlrev_b32_e32 v14, 9, v14
	v_and_b32_e32 v29, 16, v29
	v_and_b32_e32 v30, 0x1000, v30
	v_and_or_b32 v32, 0x10000000, v32, v13
	v_and_b32_e32 v33, 16, v33
	v_and_b32_e32 v34, 0x1000, v34
	;; [unrolled: 1-line block ×14, first 2 shown]
	v_or3_b32 v13, v29, v13, v30
	v_lshrrev_b32_e32 v29, 24, v32
	v_or3_b32 v30, v34, v33, v35
	v_or3_b32 v32, v38, v37, v39
	;; [unrolled: 1-line block ×3, first 2 shown]
	v_and_or_b32 v31, 0x100000, v31, v13
	v_lshrrev_b16 v13, 8, v13
	v_or3_b32 v8, v30, v8, v9
	v_or3_b32 v9, v32, v40, v36
	;; [unrolled: 1-line block ×3, first 2 shown]
	v_ashrrev_i32_e32 v23, 24, v16
	v_bfe_i32 v24, v16, 16, 8
	v_bfe_i32 v25, v16, 8, 8
	;; [unrolled: 1-line block ×4, first 2 shown]
	v_bfe_u32 v14, v31, 16, 5
	v_and_b32_e32 v30, 31, v31
	v_and_b32_e32 v13, 0xffff, v13
	v_lshrrev_b32_e32 v31, 24, v8
	v_lshrrev_b16 v32, 8, v8
	v_lshrrev_b32_e32 v34, 24, v9
	v_lshrrev_b16 v35, 8, v9
	v_bfe_u32 v36, v9, 16, 5
	v_and_b32_e32 v9, 31, v9
	v_lshrrev_b16 v38, 8, v10
	v_ashrrev_i32_e32 v19, 24, v15
	v_bfe_i32 v22, v11, 16, 8
	v_bfe_i32 v11, v11, 0, 8
	v_ashrrev_i32_e32 v26, 24, v12
	v_bfe_i32 v28, v12, 8, 8
	v_bfe_i32 v18, v18, 0, 8
	v_bfe_u32 v33, v8, 16, 5
	v_and_b32_e32 v8, 31, v8
	v_lshrrev_b32_e32 v37, 24, v10
	v_mul_i32_i24_e32 v13, v13, v17
	v_and_b32_e32 v17, 0xffff, v32
	v_mul_i32_i24_e32 v21, v31, v21
	v_mul_i32_i24_e32 v9, v16, v9
	;; [unrolled: 1-line block ×3, first 2 shown]
	v_and_b32_e32 v24, 0xffff, v38
	v_bfe_i32 v20, v15, 16, 8
	v_bfe_i32 v15, v15, 0, 8
	;; [unrolled: 1-line block ×4, first 2 shown]
	v_bfe_u32 v39, v10, 16, 5
	v_and_b32_e32 v10, 31, v10
	v_mul_i32_i24_e32 v8, v8, v11
	v_mul_i32_i24_e32 v11, v33, v22
	v_and_b32_e32 v22, 0xffff, v35
	v_mul_i32_i24_e32 v23, v23, v34
	v_mul_i32_i24_e32 v26, v26, v37
	;; [unrolled: 1-line block ×4, first 2 shown]
	v_mad_i32_i24 v19, v29, v19, v21
	v_mul_i32_i24_e32 v10, v12, v10
	v_mul_i32_i24_e32 v12, v27, v39
	;; [unrolled: 1-line block ×3, first 2 shown]
	v_mad_i32_i24 v8, v30, v15, v8
	v_mad_i32_i24 v11, v14, v20, v11
	v_add3_u32 v13, v13, v17, v18
	v_add3_u32 v14, v19, v26, v23
	v_lshrrev_b32_e32 v15, 16, v7
	v_add3_u32 v8, v8, v10, v9
	v_add3_u32 v11, v11, v12, v16
	s_delay_alu instid0(VALU_DEP_4) | instskip(NEXT) | instid1(VALU_DEP_4)
	v_add3_u32 v9, v13, v21, v14
	v_cvt_f32_f16_e32 v10, v15
	s_delay_alu instid0(VALU_DEP_2) | instskip(NEXT) | instid1(VALU_DEP_2)
	v_add3_u32 v8, v8, v11, v9
	v_mul_f32_e32 v9, 0.5, v10
	s_delay_alu instid0(VALU_DEP_2) | instskip(NEXT) | instid1(VALU_DEP_1)
	v_cvt_f32_i32_e32 v8, v8
	v_fma_mix_f32 v7, v8, v7, v9 op_sel_hi:[0,1,0]
	s_delay_alu instid0(VALU_DEP_1)
	v_add_f32_e32 v3, v3, v7
	s_wait_alu 0xfffe
	s_and_not1_b32 exec_lo, exec_lo, s9
	s_cbranch_execnz .LBB240_3
; %bb.4:
	s_or_b32 exec_lo, exec_lo, s9
.LBB240_5:
	s_delay_alu instid0(SALU_CYCLE_1) | instskip(SKIP_1) | instid1(VALU_DEP_1)
	s_or_b32 exec_lo, exec_lo, s11
	v_mbcnt_lo_u32_b32 v2, -1, 0
	v_xor_b32_e32 v4, 16, v2
	v_xor_b32_e32 v5, 8, v2
	s_delay_alu instid0(VALU_DEP_2) | instskip(SKIP_2) | instid1(VALU_DEP_3)
	v_cmp_gt_i32_e32 vcc_lo, 32, v4
	s_wait_alu 0xfffd
	v_cndmask_b32_e32 v4, v2, v4, vcc_lo
	v_cmp_gt_i32_e32 vcc_lo, 32, v5
	s_wait_alu 0xfffd
	v_cndmask_b32_e32 v5, v2, v5, vcc_lo
	s_delay_alu instid0(VALU_DEP_1)
	v_lshlrev_b32_e32 v5, 2, v5
	v_lshlrev_b32_e32 v4, 2, v4
	ds_bpermute_b32 v4, v4, v3
	s_wait_dscnt 0x0
	v_add_f32_e32 v3, v3, v4
	ds_bpermute_b32 v4, v5, v3
	v_xor_b32_e32 v5, 4, v2
	s_delay_alu instid0(VALU_DEP_1) | instskip(SKIP_2) | instid1(VALU_DEP_1)
	v_cmp_gt_i32_e32 vcc_lo, 32, v5
	s_wait_alu 0xfffd
	v_cndmask_b32_e32 v5, v2, v5, vcc_lo
	v_lshlrev_b32_e32 v5, 2, v5
	s_wait_dscnt 0x0
	v_add_f32_e32 v3, v3, v4
	ds_bpermute_b32 v4, v5, v3
	v_xor_b32_e32 v5, 2, v2
	s_delay_alu instid0(VALU_DEP_1) | instskip(SKIP_2) | instid1(VALU_DEP_1)
	v_cmp_gt_i32_e32 vcc_lo, 32, v5
	s_wait_alu 0xfffd
	v_cndmask_b32_e32 v5, v2, v5, vcc_lo
	v_lshlrev_b32_e32 v5, 2, v5
	s_wait_dscnt 0x0
	v_add_f32_e32 v3, v3, v4
	ds_bpermute_b32 v4, v5, v3
	v_xor_b32_e32 v5, 1, v2
	s_delay_alu instid0(VALU_DEP_1) | instskip(SKIP_4) | instid1(VALU_DEP_2)
	v_cmp_gt_i32_e32 vcc_lo, 32, v5
	s_wait_alu 0xfffd
	v_cndmask_b32_e32 v5, v2, v5, vcc_lo
	v_cmp_eq_u32_e32 vcc_lo, 0, v0
	s_wait_dscnt 0x0
	v_dual_add_f32 v2, v3, v4 :: v_dual_lshlrev_b32 v3, 2, v5
	ds_bpermute_b32 v3, v3, v2
	s_and_b32 exec_lo, exec_lo, vcc_lo
	s_cbranch_execz .LBB240_7
; %bb.6:
	s_wait_alu 0xfffe
	v_mad_co_u64_u32 v[0:1], null, s6, s8, v[1:2]
	s_wait_dscnt 0x0
	v_dual_mov_b32 v1, 0 :: v_dual_add_f32 v2, v2, v3
	s_delay_alu instid0(VALU_DEP_1) | instskip(SKIP_1) | instid1(VALU_DEP_1)
	v_lshlrev_b64_e32 v[0:1], 2, v[0:1]
	s_wait_kmcnt 0x0
	v_add_co_u32 v0, vcc_lo, s2, v0
	s_wait_alu 0xfffd
	s_delay_alu instid0(VALU_DEP_2)
	v_add_co_ci_u32_e64 v1, null, s3, v1, vcc_lo
	global_store_b32 v[0:1], v2, off
.LBB240_7:
	s_endpgm
	.section	.rodata,"a",@progbits
	.p2align	6, 0x0
	.amdhsa_kernel _ZL9moe_vec_qIfLi32ELi4E10block_q5_1Li2EXadL_ZL17vec_dot_q5_1_q8_1PKvPK10block_q8_1RKiEEEvS2_S2_PT_PS6_iiii
		.amdhsa_group_segment_fixed_size 0
		.amdhsa_private_segment_fixed_size 0
		.amdhsa_kernarg_size 304
		.amdhsa_user_sgpr_count 2
		.amdhsa_user_sgpr_dispatch_ptr 0
		.amdhsa_user_sgpr_queue_ptr 0
		.amdhsa_user_sgpr_kernarg_segment_ptr 1
		.amdhsa_user_sgpr_dispatch_id 0
		.amdhsa_user_sgpr_private_segment_size 0
		.amdhsa_wavefront_size32 1
		.amdhsa_uses_dynamic_stack 0
		.amdhsa_enable_private_segment 0
		.amdhsa_system_sgpr_workgroup_id_x 1
		.amdhsa_system_sgpr_workgroup_id_y 0
		.amdhsa_system_sgpr_workgroup_id_z 1
		.amdhsa_system_sgpr_workgroup_info 0
		.amdhsa_system_vgpr_workitem_id 1
		.amdhsa_next_free_vgpr 44
		.amdhsa_next_free_sgpr 19
		.amdhsa_reserve_vcc 1
		.amdhsa_float_round_mode_32 0
		.amdhsa_float_round_mode_16_64 0
		.amdhsa_float_denorm_mode_32 3
		.amdhsa_float_denorm_mode_16_64 3
		.amdhsa_fp16_overflow 0
		.amdhsa_workgroup_processor_mode 1
		.amdhsa_memory_ordered 1
		.amdhsa_forward_progress 1
		.amdhsa_inst_pref_size 13
		.amdhsa_round_robin_scheduling 0
		.amdhsa_exception_fp_ieee_invalid_op 0
		.amdhsa_exception_fp_denorm_src 0
		.amdhsa_exception_fp_ieee_div_zero 0
		.amdhsa_exception_fp_ieee_overflow 0
		.amdhsa_exception_fp_ieee_underflow 0
		.amdhsa_exception_fp_ieee_inexact 0
		.amdhsa_exception_int_div_zero 0
	.end_amdhsa_kernel
	.section	.text._ZL9moe_vec_qIfLi32ELi4E10block_q5_1Li2EXadL_ZL17vec_dot_q5_1_q8_1PKvPK10block_q8_1RKiEEEvS2_S2_PT_PS6_iiii,"axG",@progbits,_ZL9moe_vec_qIfLi32ELi4E10block_q5_1Li2EXadL_ZL17vec_dot_q5_1_q8_1PKvPK10block_q8_1RKiEEEvS2_S2_PT_PS6_iiii,comdat
.Lfunc_end240:
	.size	_ZL9moe_vec_qIfLi32ELi4E10block_q5_1Li2EXadL_ZL17vec_dot_q5_1_q8_1PKvPK10block_q8_1RKiEEEvS2_S2_PT_PS6_iiii, .Lfunc_end240-_ZL9moe_vec_qIfLi32ELi4E10block_q5_1Li2EXadL_ZL17vec_dot_q5_1_q8_1PKvPK10block_q8_1RKiEEEvS2_S2_PT_PS6_iiii
                                        ; -- End function
	.set _ZL9moe_vec_qIfLi32ELi4E10block_q5_1Li2EXadL_ZL17vec_dot_q5_1_q8_1PKvPK10block_q8_1RKiEEEvS2_S2_PT_PS6_iiii.num_vgpr, 44
	.set _ZL9moe_vec_qIfLi32ELi4E10block_q5_1Li2EXadL_ZL17vec_dot_q5_1_q8_1PKvPK10block_q8_1RKiEEEvS2_S2_PT_PS6_iiii.num_agpr, 0
	.set _ZL9moe_vec_qIfLi32ELi4E10block_q5_1Li2EXadL_ZL17vec_dot_q5_1_q8_1PKvPK10block_q8_1RKiEEEvS2_S2_PT_PS6_iiii.numbered_sgpr, 19
	.set _ZL9moe_vec_qIfLi32ELi4E10block_q5_1Li2EXadL_ZL17vec_dot_q5_1_q8_1PKvPK10block_q8_1RKiEEEvS2_S2_PT_PS6_iiii.num_named_barrier, 0
	.set _ZL9moe_vec_qIfLi32ELi4E10block_q5_1Li2EXadL_ZL17vec_dot_q5_1_q8_1PKvPK10block_q8_1RKiEEEvS2_S2_PT_PS6_iiii.private_seg_size, 0
	.set _ZL9moe_vec_qIfLi32ELi4E10block_q5_1Li2EXadL_ZL17vec_dot_q5_1_q8_1PKvPK10block_q8_1RKiEEEvS2_S2_PT_PS6_iiii.uses_vcc, 1
	.set _ZL9moe_vec_qIfLi32ELi4E10block_q5_1Li2EXadL_ZL17vec_dot_q5_1_q8_1PKvPK10block_q8_1RKiEEEvS2_S2_PT_PS6_iiii.uses_flat_scratch, 0
	.set _ZL9moe_vec_qIfLi32ELi4E10block_q5_1Li2EXadL_ZL17vec_dot_q5_1_q8_1PKvPK10block_q8_1RKiEEEvS2_S2_PT_PS6_iiii.has_dyn_sized_stack, 0
	.set _ZL9moe_vec_qIfLi32ELi4E10block_q5_1Li2EXadL_ZL17vec_dot_q5_1_q8_1PKvPK10block_q8_1RKiEEEvS2_S2_PT_PS6_iiii.has_recursion, 0
	.set _ZL9moe_vec_qIfLi32ELi4E10block_q5_1Li2EXadL_ZL17vec_dot_q5_1_q8_1PKvPK10block_q8_1RKiEEEvS2_S2_PT_PS6_iiii.has_indirect_call, 0
	.section	.AMDGPU.csdata,"",@progbits
; Kernel info:
; codeLenInByte = 1552
; TotalNumSgprs: 21
; NumVgprs: 44
; ScratchSize: 0
; MemoryBound: 0
; FloatMode: 240
; IeeeMode: 1
; LDSByteSize: 0 bytes/workgroup (compile time only)
; SGPRBlocks: 0
; VGPRBlocks: 5
; NumSGPRsForWavesPerEU: 21
; NumVGPRsForWavesPerEU: 44
; Occupancy: 16
; WaveLimiterHint : 1
; COMPUTE_PGM_RSRC2:SCRATCH_EN: 0
; COMPUTE_PGM_RSRC2:USER_SGPR: 2
; COMPUTE_PGM_RSRC2:TRAP_HANDLER: 0
; COMPUTE_PGM_RSRC2:TGID_X_EN: 1
; COMPUTE_PGM_RSRC2:TGID_Y_EN: 0
; COMPUTE_PGM_RSRC2:TGID_Z_EN: 1
; COMPUTE_PGM_RSRC2:TIDIG_COMP_CNT: 1
	.section	.text._ZL9moe_vec_qIfLi32ELi8E10block_q8_0Li2EXadL_ZL17vec_dot_q8_0_q8_1PKvPK10block_q8_1RKiEEEvS2_S2_PT_PS6_iiii,"axG",@progbits,_ZL9moe_vec_qIfLi32ELi8E10block_q8_0Li2EXadL_ZL17vec_dot_q8_0_q8_1PKvPK10block_q8_1RKiEEEvS2_S2_PT_PS6_iiii,comdat
	.globl	_ZL9moe_vec_qIfLi32ELi8E10block_q8_0Li2EXadL_ZL17vec_dot_q8_0_q8_1PKvPK10block_q8_1RKiEEEvS2_S2_PT_PS6_iiii ; -- Begin function _ZL9moe_vec_qIfLi32ELi8E10block_q8_0Li2EXadL_ZL17vec_dot_q8_0_q8_1PKvPK10block_q8_1RKiEEEvS2_S2_PT_PS6_iiii
	.p2align	8
	.type	_ZL9moe_vec_qIfLi32ELi8E10block_q8_0Li2EXadL_ZL17vec_dot_q8_0_q8_1PKvPK10block_q8_1RKiEEEvS2_S2_PT_PS6_iiii,@function
_ZL9moe_vec_qIfLi32ELi8E10block_q8_0Li2EXadL_ZL17vec_dot_q8_0_q8_1PKvPK10block_q8_1RKiEEEvS2_S2_PT_PS6_iiii: ; @_ZL9moe_vec_qIfLi32ELi8E10block_q8_0Li2EXadL_ZL17vec_dot_q8_0_q8_1PKvPK10block_q8_1RKiEEEvS2_S2_PT_PS6_iiii
; %bb.0:
	s_clause 0x1
	s_load_u16 s2, s[0:1], 0x3e
	s_load_b128 s[4:7], s[0:1], 0x20
	v_bfe_u32 v1, v0, 10, 10
	s_wait_kmcnt 0x0
	s_delay_alu instid0(VALU_DEP_1)
	v_mad_co_u64_u32 v[1:2], null, ttmp9, s2, v[1:2]
	s_mov_b32 s2, exec_lo
	v_cmpx_gt_u32_e64 s6, v1
	s_cbranch_execz .LBB241_7
; %bb.1:
	s_load_b64 s[2:3], s[0:1], 0x10
	s_cvt_f32_u32 s8, s4
	v_bfe_u32 v2, v0, 2, 8
	v_and_b32_e32 v0, 0x3ff, v0
	s_mov_b32 s11, exec_lo
	v_rcp_iflag_f32_e32 v3, s8
	s_ashr_i32 s8, s5, 31
	s_wait_alu 0xfffe
	s_lshr_b32 s8, s8, 27
	s_wait_alu 0xfffe
	s_add_co_i32 s5, s5, s8
	s_lshr_b32 s8, ttmp7, 16
	s_ashr_i32 s10, s5, 5
	s_delay_alu instid0(TRANS32_DEP_1)
	v_readfirstlane_b32 s5, v3
	v_mov_b32_e32 v3, 0
	v_cmpx_gt_u32_e64 s10, v2
	s_cbranch_execz .LBB241_5
; %bb.2:
	s_load_b64 s[12:13], s[0:1], 0x18
	s_mul_f32 s5, s5, 0x4f7ffffe
	s_sub_co_i32 s14, 0, s4
	s_lshl_b32 s15, s8, 2
	s_mov_b32 s9, 0
	s_cvt_u32_f32 s5, s5
	v_lshlrev_b32_e32 v5, 3, v0
	v_mul_lo_u32 v4, v1, s10
	v_mov_b32_e32 v3, 0
	s_mul_i32 s14, s14, s5
	s_delay_alu instid0(SALU_CYCLE_1)
	s_mul_hi_u32 s14, s5, s14
	v_and_b32_e32 v5, 24, v5
	s_wait_kmcnt 0x0
	s_load_b32 s18, s[12:13], s15 offset:0x0
	s_mov_b32 s13, s9
	s_add_co_i32 s12, s5, s14
	s_delay_alu instid0(SALU_CYCLE_1)
	s_mul_u64 s[16:17], s[8:9], s[12:13]
	s_load_b128 s[12:15], s[0:1], 0x0
	s_mul_i32 s1, s17, s4
	s_add_co_i32 s5, s17, 1
	s_wait_alu 0xfffe
	s_sub_co_i32 s1, s8, s1
	s_mul_i32 s0, s10, s6
	s_wait_alu 0xfffe
	s_sub_co_i32 s16, s1, s4
	s_cmp_ge_u32 s1, s4
	s_cselect_b32 s5, s5, s17
	s_cselect_b32 s1, s16, s1
	s_add_co_i32 s16, s5, 1
	s_wait_alu 0xfffe
	s_cmp_ge_u32 s1, s4
	s_cselect_b32 s4, s16, s5
	s_mov_b32 s5, s9
	s_wait_kmcnt 0x0
	s_mul_i32 s0, s0, s18
	s_mul_i32 s4, s4, s7
	s_wait_alu 0xfffe
	s_ashr_i32 s1, s0, 31
	s_lshl_b64 s[4:5], s[4:5], 2
	s_wait_alu 0xfffe
	s_mul_u64 s[0:1], s[0:1], 34
	s_add_nc_u64 s[4:5], s[14:15], s[4:5]
	s_wait_alu 0xfffe
	s_add_nc_u64 s[0:1], s[12:13], s[0:1]
.LBB241_3:                              ; =>This Inner Loop Header: Depth=1
	v_add_nc_u32_e32 v8, v4, v2
	v_mad_co_i64_i32 v[6:7], null, v2, 36, s[4:5]
	v_add_nc_u32_e32 v2, 8, v2
	s_wait_alu 0xfffe
	s_delay_alu instid0(VALU_DEP_3) | instskip(NEXT) | instid1(VALU_DEP_3)
	v_mad_co_i64_i32 v[8:9], null, v8, 34, s[0:1]
	v_add_co_u32 v10, vcc_lo, v6, v5
	s_wait_alu 0xfffd
	s_delay_alu instid0(VALU_DEP_4) | instskip(NEXT) | instid1(VALU_DEP_3)
	v_add_co_ci_u32_e64 v11, null, 0, v7, vcc_lo
	v_add_co_u32 v12, vcc_lo, v8, v5
	s_wait_alu 0xfffd
	s_delay_alu instid0(VALU_DEP_4)
	v_add_co_ci_u32_e64 v13, null, 0, v9, vcc_lo
	global_load_b64 v[10:11], v[10:11], off offset:4
	v_cmp_le_u32_e32 vcc_lo, s10, v2
	s_clause 0x1
	global_load_b32 v14, v[12:13], off offset:2
	global_load_b32 v12, v[12:13], off offset:6
	global_load_b32 v6, v[6:7], off
	global_load_u16 v7, v[8:9], off
	s_or_b32 s9, vcc_lo, s9
	s_wait_loadcnt 0x4
	v_lshrrev_b16 v8, 8, v10
	v_bfe_i32 v9, v10, 0, 8
	v_ashrrev_i32_e32 v13, 24, v10
	v_bfe_i32 v10, v10, 16, 8
	s_wait_loadcnt 0x3
	v_lshrrev_b16 v18, 8, v14
	v_bfe_i32 v19, v14, 0, 8
	v_ashrrev_i32_e32 v20, 24, v14
	v_bfe_i32 v14, v14, 16, 8
	v_bfe_i32 v15, v11, 0, 8
	v_bfe_i32 v16, v11, 8, 8
	v_bfe_i32 v17, v11, 16, 8
	v_ashrrev_i32_e32 v11, 24, v11
	v_bfe_i32 v8, v8, 0, 8
	s_wait_loadcnt 0x2
	v_bfe_i32 v22, v12, 8, 8
	v_ashrrev_i32_e32 v23, 24, v12
	v_bfe_i32 v18, v18, 0, 8
	v_mul_i32_i24_e32 v10, v10, v14
	v_mul_i32_i24_e32 v13, v13, v20
	v_bfe_i32 v21, v12, 0, 8
	v_bfe_i32 v12, v12, 16, 8
	v_mul_i32_i24_e32 v14, v16, v22
	v_mul_i32_i24_e32 v11, v11, v23
	v_mad_i32_i24 v9, v9, v19, v10
	v_mad_i32_i24 v8, v8, v18, v13
	v_mul_i32_i24_e32 v10, v17, v12
	v_mad_i32_i24 v12, v15, v21, v14
	s_wait_loadcnt 0x1
	v_cvt_f32_f16_e32 v6, v6
	s_wait_loadcnt 0x0
	v_cvt_f32_f16_e32 v7, v7
	v_add3_u32 v8, v9, v8, v11
	s_delay_alu instid0(VALU_DEP_2) | instskip(NEXT) | instid1(VALU_DEP_2)
	v_mul_f32_e32 v6, v7, v6
	v_add3_u32 v8, v8, v12, v10
	s_delay_alu instid0(VALU_DEP_1) | instskip(NEXT) | instid1(VALU_DEP_1)
	v_cvt_f32_i32_e32 v7, v8
	v_fmac_f32_e32 v3, v6, v7
	s_wait_alu 0xfffe
	s_and_not1_b32 exec_lo, exec_lo, s9
	s_cbranch_execnz .LBB241_3
; %bb.4:
	s_or_b32 exec_lo, exec_lo, s9
.LBB241_5:
	s_delay_alu instid0(SALU_CYCLE_1) | instskip(SKIP_1) | instid1(VALU_DEP_1)
	s_or_b32 exec_lo, exec_lo, s11
	v_mbcnt_lo_u32_b32 v2, -1, 0
	v_xor_b32_e32 v4, 16, v2
	v_xor_b32_e32 v5, 8, v2
	s_delay_alu instid0(VALU_DEP_2) | instskip(SKIP_2) | instid1(VALU_DEP_3)
	v_cmp_gt_i32_e32 vcc_lo, 32, v4
	s_wait_alu 0xfffd
	v_cndmask_b32_e32 v4, v2, v4, vcc_lo
	v_cmp_gt_i32_e32 vcc_lo, 32, v5
	s_wait_alu 0xfffd
	v_cndmask_b32_e32 v5, v2, v5, vcc_lo
	s_delay_alu instid0(VALU_DEP_1)
	v_lshlrev_b32_e32 v5, 2, v5
	v_lshlrev_b32_e32 v4, 2, v4
	ds_bpermute_b32 v4, v4, v3
	s_wait_dscnt 0x0
	v_add_f32_e32 v3, v3, v4
	ds_bpermute_b32 v4, v5, v3
	v_xor_b32_e32 v5, 4, v2
	s_delay_alu instid0(VALU_DEP_1) | instskip(SKIP_2) | instid1(VALU_DEP_1)
	v_cmp_gt_i32_e32 vcc_lo, 32, v5
	s_wait_alu 0xfffd
	v_cndmask_b32_e32 v5, v2, v5, vcc_lo
	v_lshlrev_b32_e32 v5, 2, v5
	s_wait_dscnt 0x0
	v_add_f32_e32 v3, v3, v4
	ds_bpermute_b32 v4, v5, v3
	v_xor_b32_e32 v5, 2, v2
	s_delay_alu instid0(VALU_DEP_1) | instskip(SKIP_2) | instid1(VALU_DEP_1)
	v_cmp_gt_i32_e32 vcc_lo, 32, v5
	s_wait_alu 0xfffd
	v_cndmask_b32_e32 v5, v2, v5, vcc_lo
	v_lshlrev_b32_e32 v5, 2, v5
	s_wait_dscnt 0x0
	v_add_f32_e32 v3, v3, v4
	ds_bpermute_b32 v4, v5, v3
	v_xor_b32_e32 v5, 1, v2
	s_delay_alu instid0(VALU_DEP_1) | instskip(SKIP_4) | instid1(VALU_DEP_2)
	v_cmp_gt_i32_e32 vcc_lo, 32, v5
	s_wait_alu 0xfffd
	v_cndmask_b32_e32 v5, v2, v5, vcc_lo
	v_cmp_eq_u32_e32 vcc_lo, 0, v0
	s_wait_dscnt 0x0
	v_dual_add_f32 v2, v3, v4 :: v_dual_lshlrev_b32 v3, 2, v5
	ds_bpermute_b32 v3, v3, v2
	s_and_b32 exec_lo, exec_lo, vcc_lo
	s_cbranch_execz .LBB241_7
; %bb.6:
	s_wait_alu 0xfffe
	v_mad_co_u64_u32 v[0:1], null, s6, s8, v[1:2]
	s_wait_dscnt 0x0
	v_dual_mov_b32 v1, 0 :: v_dual_add_f32 v2, v2, v3
	s_delay_alu instid0(VALU_DEP_1) | instskip(SKIP_1) | instid1(VALU_DEP_1)
	v_lshlrev_b64_e32 v[0:1], 2, v[0:1]
	s_wait_kmcnt 0x0
	v_add_co_u32 v0, vcc_lo, s2, v0
	s_wait_alu 0xfffd
	s_delay_alu instid0(VALU_DEP_2)
	v_add_co_ci_u32_e64 v1, null, s3, v1, vcc_lo
	global_store_b32 v[0:1], v2, off
.LBB241_7:
	s_endpgm
	.section	.rodata,"a",@progbits
	.p2align	6, 0x0
	.amdhsa_kernel _ZL9moe_vec_qIfLi32ELi8E10block_q8_0Li2EXadL_ZL17vec_dot_q8_0_q8_1PKvPK10block_q8_1RKiEEEvS2_S2_PT_PS6_iiii
		.amdhsa_group_segment_fixed_size 0
		.amdhsa_private_segment_fixed_size 0
		.amdhsa_kernarg_size 304
		.amdhsa_user_sgpr_count 2
		.amdhsa_user_sgpr_dispatch_ptr 0
		.amdhsa_user_sgpr_queue_ptr 0
		.amdhsa_user_sgpr_kernarg_segment_ptr 1
		.amdhsa_user_sgpr_dispatch_id 0
		.amdhsa_user_sgpr_private_segment_size 0
		.amdhsa_wavefront_size32 1
		.amdhsa_uses_dynamic_stack 0
		.amdhsa_enable_private_segment 0
		.amdhsa_system_sgpr_workgroup_id_x 1
		.amdhsa_system_sgpr_workgroup_id_y 0
		.amdhsa_system_sgpr_workgroup_id_z 1
		.amdhsa_system_sgpr_workgroup_info 0
		.amdhsa_system_vgpr_workitem_id 1
		.amdhsa_next_free_vgpr 24
		.amdhsa_next_free_sgpr 19
		.amdhsa_reserve_vcc 1
		.amdhsa_float_round_mode_32 0
		.amdhsa_float_round_mode_16_64 0
		.amdhsa_float_denorm_mode_32 3
		.amdhsa_float_denorm_mode_16_64 3
		.amdhsa_fp16_overflow 0
		.amdhsa_workgroup_processor_mode 1
		.amdhsa_memory_ordered 1
		.amdhsa_forward_progress 1
		.amdhsa_inst_pref_size 9
		.amdhsa_round_robin_scheduling 0
		.amdhsa_exception_fp_ieee_invalid_op 0
		.amdhsa_exception_fp_denorm_src 0
		.amdhsa_exception_fp_ieee_div_zero 0
		.amdhsa_exception_fp_ieee_overflow 0
		.amdhsa_exception_fp_ieee_underflow 0
		.amdhsa_exception_fp_ieee_inexact 0
		.amdhsa_exception_int_div_zero 0
	.end_amdhsa_kernel
	.section	.text._ZL9moe_vec_qIfLi32ELi8E10block_q8_0Li2EXadL_ZL17vec_dot_q8_0_q8_1PKvPK10block_q8_1RKiEEEvS2_S2_PT_PS6_iiii,"axG",@progbits,_ZL9moe_vec_qIfLi32ELi8E10block_q8_0Li2EXadL_ZL17vec_dot_q8_0_q8_1PKvPK10block_q8_1RKiEEEvS2_S2_PT_PS6_iiii,comdat
.Lfunc_end241:
	.size	_ZL9moe_vec_qIfLi32ELi8E10block_q8_0Li2EXadL_ZL17vec_dot_q8_0_q8_1PKvPK10block_q8_1RKiEEEvS2_S2_PT_PS6_iiii, .Lfunc_end241-_ZL9moe_vec_qIfLi32ELi8E10block_q8_0Li2EXadL_ZL17vec_dot_q8_0_q8_1PKvPK10block_q8_1RKiEEEvS2_S2_PT_PS6_iiii
                                        ; -- End function
	.set _ZL9moe_vec_qIfLi32ELi8E10block_q8_0Li2EXadL_ZL17vec_dot_q8_0_q8_1PKvPK10block_q8_1RKiEEEvS2_S2_PT_PS6_iiii.num_vgpr, 24
	.set _ZL9moe_vec_qIfLi32ELi8E10block_q8_0Li2EXadL_ZL17vec_dot_q8_0_q8_1PKvPK10block_q8_1RKiEEEvS2_S2_PT_PS6_iiii.num_agpr, 0
	.set _ZL9moe_vec_qIfLi32ELi8E10block_q8_0Li2EXadL_ZL17vec_dot_q8_0_q8_1PKvPK10block_q8_1RKiEEEvS2_S2_PT_PS6_iiii.numbered_sgpr, 19
	.set _ZL9moe_vec_qIfLi32ELi8E10block_q8_0Li2EXadL_ZL17vec_dot_q8_0_q8_1PKvPK10block_q8_1RKiEEEvS2_S2_PT_PS6_iiii.num_named_barrier, 0
	.set _ZL9moe_vec_qIfLi32ELi8E10block_q8_0Li2EXadL_ZL17vec_dot_q8_0_q8_1PKvPK10block_q8_1RKiEEEvS2_S2_PT_PS6_iiii.private_seg_size, 0
	.set _ZL9moe_vec_qIfLi32ELi8E10block_q8_0Li2EXadL_ZL17vec_dot_q8_0_q8_1PKvPK10block_q8_1RKiEEEvS2_S2_PT_PS6_iiii.uses_vcc, 1
	.set _ZL9moe_vec_qIfLi32ELi8E10block_q8_0Li2EXadL_ZL17vec_dot_q8_0_q8_1PKvPK10block_q8_1RKiEEEvS2_S2_PT_PS6_iiii.uses_flat_scratch, 0
	.set _ZL9moe_vec_qIfLi32ELi8E10block_q8_0Li2EXadL_ZL17vec_dot_q8_0_q8_1PKvPK10block_q8_1RKiEEEvS2_S2_PT_PS6_iiii.has_dyn_sized_stack, 0
	.set _ZL9moe_vec_qIfLi32ELi8E10block_q8_0Li2EXadL_ZL17vec_dot_q8_0_q8_1PKvPK10block_q8_1RKiEEEvS2_S2_PT_PS6_iiii.has_recursion, 0
	.set _ZL9moe_vec_qIfLi32ELi8E10block_q8_0Li2EXadL_ZL17vec_dot_q8_0_q8_1PKvPK10block_q8_1RKiEEEvS2_S2_PT_PS6_iiii.has_indirect_call, 0
	.section	.AMDGPU.csdata,"",@progbits
; Kernel info:
; codeLenInByte = 1052
; TotalNumSgprs: 21
; NumVgprs: 24
; ScratchSize: 0
; MemoryBound: 0
; FloatMode: 240
; IeeeMode: 1
; LDSByteSize: 0 bytes/workgroup (compile time only)
; SGPRBlocks: 0
; VGPRBlocks: 2
; NumSGPRsForWavesPerEU: 21
; NumVGPRsForWavesPerEU: 24
; Occupancy: 16
; WaveLimiterHint : 1
; COMPUTE_PGM_RSRC2:SCRATCH_EN: 0
; COMPUTE_PGM_RSRC2:USER_SGPR: 2
; COMPUTE_PGM_RSRC2:TRAP_HANDLER: 0
; COMPUTE_PGM_RSRC2:TGID_X_EN: 1
; COMPUTE_PGM_RSRC2:TGID_Y_EN: 0
; COMPUTE_PGM_RSRC2:TGID_Z_EN: 1
; COMPUTE_PGM_RSRC2:TIDIG_COMP_CNT: 1
	.section	.text._ZL9moe_vec_qIfLi256ELi16E10block_q2_KLi1EXadL_ZL17vec_dot_q2_K_q8_1PKvPK10block_q8_1RKiEEEvS2_S2_PT_PS6_iiii,"axG",@progbits,_ZL9moe_vec_qIfLi256ELi16E10block_q2_KLi1EXadL_ZL17vec_dot_q2_K_q8_1PKvPK10block_q8_1RKiEEEvS2_S2_PT_PS6_iiii,comdat
	.globl	_ZL9moe_vec_qIfLi256ELi16E10block_q2_KLi1EXadL_ZL17vec_dot_q2_K_q8_1PKvPK10block_q8_1RKiEEEvS2_S2_PT_PS6_iiii ; -- Begin function _ZL9moe_vec_qIfLi256ELi16E10block_q2_KLi1EXadL_ZL17vec_dot_q2_K_q8_1PKvPK10block_q8_1RKiEEEvS2_S2_PT_PS6_iiii
	.p2align	8
	.type	_ZL9moe_vec_qIfLi256ELi16E10block_q2_KLi1EXadL_ZL17vec_dot_q2_K_q8_1PKvPK10block_q8_1RKiEEEvS2_S2_PT_PS6_iiii,@function
_ZL9moe_vec_qIfLi256ELi16E10block_q2_KLi1EXadL_ZL17vec_dot_q2_K_q8_1PKvPK10block_q8_1RKiEEEvS2_S2_PT_PS6_iiii: ; @_ZL9moe_vec_qIfLi256ELi16E10block_q2_KLi1EXadL_ZL17vec_dot_q2_K_q8_1PKvPK10block_q8_1RKiEEEvS2_S2_PT_PS6_iiii
; %bb.0:
	s_clause 0x1
	s_load_u16 s2, s[0:1], 0x3e
	s_load_b128 s[4:7], s[0:1], 0x20
	v_bfe_u32 v1, v0, 10, 10
	s_wait_kmcnt 0x0
	s_delay_alu instid0(VALU_DEP_1)
	v_mad_co_u64_u32 v[1:2], null, ttmp9, s2, v[1:2]
	s_mov_b32 s2, exec_lo
	v_cmpx_gt_u32_e64 s6, v1
	s_cbranch_execz .LBB242_7
; %bb.1:
	s_load_b64 s[8:9], s[0:1], 0x10
	s_ashr_i32 s2, s5, 31
	v_bfe_u32 v8, v0, 4, 6
	s_wait_alu 0xfffe
	s_lshr_b32 s2, s2, 24
	v_dual_mov_b32 v3, 0 :: v_dual_and_b32 v0, 0x3ff, v0
	s_wait_alu 0xfffe
	s_add_co_i32 s2, s5, s2
	s_lshr_b32 s10, ttmp7, 16
	s_wait_alu 0xfffe
	s_ashr_i32 s11, s2, 8
	s_mov_b32 s12, exec_lo
	v_cmpx_gt_u32_e64 s11, v8
	s_cbranch_execz .LBB242_5
; %bb.2:
	s_load_b64 s[2:3], s[0:1], 0x18
	s_cvt_f32_u32 s5, s4
	s_lshl_b32 s13, s10, 2
	s_sub_co_i32 s16, 0, s4
	v_dual_mov_b32 v3, 0 :: v_dual_and_b32 v4, 15, v0
	v_rcp_iflag_f32_e32 v2, s5
	s_mul_i32 s15, s11, s6
	v_lshrrev_b32_e32 v5, 1, v0
	v_mul_lo_u32 v9, v1, s11
	v_lshlrev_b32_e32 v11, 2, v4
	v_lshlrev_b32_e32 v12, 3, v8
	s_delay_alu instid0(VALU_DEP_4) | instskip(NEXT) | instid1(TRANS32_DEP_1)
	v_and_b32_e32 v5, 4, v5
	v_readfirstlane_b32 s5, v2
	v_sub_co_u32 v2, vcc_lo, v4, 8
	s_wait_kmcnt 0x0
	s_load_b32 s13, s[2:3], s13 offset:0x0
	s_delay_alu instid0(VALU_DEP_2) | instskip(SKIP_2) | instid1(SALU_CYCLE_1)
	s_mul_f32 s5, s5, 0x4f7ffffe
	s_load_b128 s[0:3], s[0:1], 0x0
	v_cndmask_b32_e32 v2, v2, v4, vcc_lo
	s_cvt_u32_f32 s14, s5
	s_mov_b32 s5, 0
	s_delay_alu instid0(VALU_DEP_1) | instskip(NEXT) | instid1(SALU_CYCLE_1)
	v_sub_nc_u32_e32 v6, v4, v2
	s_mul_i32 s16, s16, s14
	v_cmp_lt_u32_e32 vcc_lo, 3, v2
	s_mul_hi_u32 s16, s14, s16
	s_delay_alu instid0(SALU_CYCLE_1) | instskip(NEXT) | instid1(SALU_CYCLE_1)
	s_add_co_i32 s14, s14, s16
	s_mul_hi_u32 s16, s10, s14
	s_wait_alu 0xfffd
	v_add_co_ci_u32_e64 v10, null, 0, v6, vcc_lo
	s_mul_i32 s14, s16, s4
	s_add_co_i32 s17, s16, 1
	s_sub_co_i32 s18, s10, s14
	s_wait_kmcnt 0x0
	s_mul_i32 s14, s15, s13
	s_sub_co_i32 s13, s18, s4
	s_ashr_i32 s15, s14, 31
	s_cmp_ge_u32 s18, s4
	v_lshlrev_b64_e32 v[6:7], 2, v[2:3]
	s_cselect_b32 s16, s17, s16
	s_cselect_b32 s13, s13, s18
	s_add_co_i32 s17, s16, 1
	s_cmp_ge_u32 s13, s4
	v_ashrrev_i32_e32 v2, 31, v10
	s_cselect_b32 s4, s17, s16
	s_mul_u64 s[14:15], s[14:15], 0x54
	s_wait_alu 0xfffe
	s_mul_i32 s4, s4, s7
	s_add_nc_u64 s[0:1], s[0:1], s[14:15]
	s_wait_alu 0xfffe
	s_lshl_b64 s[16:17], s[4:5], 2
	s_delay_alu instid0(SALU_CYCLE_1)
	s_add_nc_u64 s[2:3], s[2:3], s[16:17]
	s_wait_alu 0xfffe
	v_mad_co_u64_u32 v[4:5], null, v5, 36, s[2:3]
.LBB242_3:                              ; =>This Inner Loop Header: Depth=1
	v_add_nc_u32_e32 v15, v9, v8
	s_delay_alu instid0(VALU_DEP_2) | instskip(SKIP_2) | instid1(VALU_DEP_4)
	v_mad_co_i64_i32 v[13:14], null, v12, 36, v[4:5]
	v_add_nc_u32_e32 v8, 2, v8
	v_add_nc_u32_e32 v12, 16, v12
	v_mad_co_i64_i32 v[15:16], null, 0x54, v15, s[0:1]
	s_delay_alu instid0(VALU_DEP_4)
	v_add_co_u32 v17, vcc_lo, v13, v6
	s_wait_alu 0xfffd
	v_add_co_ci_u32_e64 v18, null, v14, v7, vcc_lo
	s_clause 0x6
	global_load_b32 v21, v[13:14], off
	global_load_b32 v22, v[13:14], off offset:36
	global_load_b32 v23, v[13:14], off offset:72
	;; [unrolled: 1-line block ×6, first 2 shown]
	v_add_co_u32 v17, vcc_lo, v15, v11
	s_wait_alu 0xfffd
	v_add_co_ci_u32_e64 v18, null, 0, v16, vcc_lo
	v_add_co_u32 v19, vcc_lo, v15, v10
	s_wait_alu 0xfffd
	v_add_co_ci_u32_e64 v20, null, v16, v2, vcc_lo
	s_clause 0x5
	global_load_b32 v17, v[17:18], off offset:16
	global_load_u8 v18, v[19:20], off
	global_load_u8 v28, v[19:20], off offset:2
	global_load_u8 v29, v[19:20], off offset:4
	;; [unrolled: 1-line block ×3, first 2 shown]
	global_load_b32 v15, v[15:16], off offset:80
	global_load_b32 v13, v[13:14], off offset:108
	v_cmp_le_u32_e32 vcc_lo, s11, v8
	s_or_b32 s5, vcc_lo, s5
	s_wait_loadcnt 0xa
	v_lshrrev_b16 v14, 8, v24
	v_ashrrev_i32_e32 v16, 24, v24
	v_bfe_i32 v20, v24, 16, 8
	v_bfe_i32 v24, v24, 0, 8
	s_wait_loadcnt 0x9
	v_bfe_i32 v30, v25, 0, 8
	s_wait_loadcnt 0x8
	v_lshlrev_b32_e32 v36, 16, v26
	v_lshlrev_b32_e32 v38, 8, v26
	;; [unrolled: 1-line block ×3, first 2 shown]
	s_wait_loadcnt 0x6
	v_and_b32_e32 v45, 3, v17
	s_wait_loadcnt 0x5
	v_and_b32_e32 v49, 15, v18
	v_lshrrev_b32_e32 v18, 4, v18
	v_bfe_u32 v50, v17, 2, 2
	s_wait_loadcnt 0x4
	v_and_b32_e32 v54, 15, v28
	v_lshrrev_b32_e32 v28, 4, v28
	v_bfe_i32 v32, v25, 8, 8
	v_mul_lo_u32 v18, 0x1010101, v18
	v_lshlrev_b32_e32 v33, 8, v25
	v_bfe_i32 v34, v25, 16, 8
	v_ashrrev_i32_e32 v25, 24, v25
	v_bfe_i32 v44, v27, 16, 8
	v_bfe_u32 v46, v17, 8, 2
	v_bfe_i32 v14, v14, 0, 8
	v_bfe_u32 v51, v17, 10, 2
	v_bfe_u32 v52, v17, 18, 2
	;; [unrolled: 1-line block ×3, first 2 shown]
	v_perm_b32 v36, v38, v36, 0xc0c0703
	v_bfe_u32 v38, v17, 22, 2
	v_mul_i32_i24_e32 v45, v24, v45
	v_mul_i32_i24_e32 v50, v30, v50
	s_wait_loadcnt 0x3
	v_and_b32_e32 v58, 15, v29
	v_lshrrev_b32_e32 v29, 4, v29
	v_mul_lo_u32 v28, 0x1010101, v28
	v_bfe_i32 v35, v26, 0, 8
	v_bfe_i32 v37, v26, 8, 8
	;; [unrolled: 1-line block ×3, first 2 shown]
	v_ashrrev_i32_e32 v26, 24, v26
	v_bfe_u32 v48, v17, 24, 2
	v_bfe_u32 v57, v17, 28, 2
	v_mul_i32_i24_e32 v34, v34, v52
	v_mul_i32_i24_e32 v52, v25, v53
	;; [unrolled: 1-line block ×3, first 2 shown]
	v_mad_i32_i24 v44, v14, v46, v45
	v_mad_i32_i24 v32, v32, v51, v50
	v_lshrrev_b32_e32 v45, 24, v18
	v_lshrrev_b16 v46, 8, v18
	v_bfe_u32 v47, v17, 16, 2
	s_wait_loadcnt 0x2
	v_and_b32_e32 v61, 15, v19
	v_lshrrev_b32_e32 v19, 4, v19
	v_mul_lo_u32 v29, 0x1010101, v29
	v_perm_b32 v31, v33, v31, 0xc0c0703
	v_bfe_u32 v33, v17, 4, 2
	v_bfe_u32 v55, v17, 12, 2
	v_mul_i32_i24_e32 v48, v16, v48
	v_mul_i32_i24_e32 v53, v26, v57
	v_bfe_i32 v50, v18, 16, 8
	v_bfe_i32 v18, v18, 0, 8
	;; [unrolled: 1-line block ×3, first 2 shown]
	v_add3_u32 v32, v32, v34, v52
	v_bfe_i32 v34, v46, 0, 8
	v_mul_i32_i24_e32 v16, v45, v16
	v_bfe_u32 v56, v17, 20, 2
	v_mul_i32_i24_e32 v47, v20, v47
	v_mul_lo_u32 v19, 0x1010101, v19
	v_bfe_i32 v40, v27, 0, 8
	v_lshlrev_b32_e32 v41, 16, v27
	v_bfe_i32 v42, v27, 8, 8
	v_lshlrev_b32_e32 v43, 8, v27
	v_ashrrev_i32_e32 v27, 24, v27
	v_bfe_u32 v59, v17, 6, 2
	v_bfe_u32 v60, v17, 14, 2
	v_lshrrev_b32_e32 v17, 30, v17
	v_mul_i32_i24_e32 v37, v37, v55
	v_mad_i32_i24 v33, v35, v33, v53
	v_lshrrev_b32_e32 v53, 24, v28
	v_perm_b32 v28, v28, v28, 0xc0c0201
	v_bfe_i32 v55, v29, 0, 8
	v_mul_i32_i24_e32 v18, v18, v24
	v_mul_i32_i24_e32 v20, v50, v20
	;; [unrolled: 1-line block ×3, first 2 shown]
	v_mad_i32_i24 v14, v34, v14, v16
	v_mul_i32_i24_e32 v39, v39, v56
	v_add3_u32 v44, v44, v47, v48
	v_mul_i32_i24_e32 v17, v27, v17
	v_lshrrev_b32_e32 v56, 24, v29
	v_perm_b32 v29, v29, v29, 0xc0c0201
	v_bfe_i32 v57, v19, 0, 8
	v_mul_i32_i24_e32 v30, v35, v55
	v_dot4_i32_iu8 v24, v31, v28, v24 neg_lo:[1,1,0]
	v_add3_u32 v14, v18, v20, v14
	v_add3_u32 v33, v33, v37, v39
	v_mul_lo_u32 v37, v49, v44
	v_perm_b32 v41, v43, v41, 0xc0c0703
	v_mad_i32_i24 v17, v40, v59, v17
	v_lshrrev_b32_e32 v59, 24, v19
	v_perm_b32 v19, v19, v19, 0xc0c0201
	v_mul_i32_i24_e32 v35, v40, v57
	v_dot4_i32_iu8 v28, v36, v29, v30 neg_lo:[1,1,0]
	v_mad_i32_i24 v20, v25, v53, v24
	v_cvt_f32_i32_e32 v14, v14
	v_mul_i32_i24_e32 v42, v42, v60
	v_mul_lo_u32 v32, v54, v32
	v_dot4_i32_iu8 v18, v41, v19, v35 neg_lo:[1,1,0]
	v_cvt_f32_i32_e32 v19, v37
	v_mad_i32_i24 v25, v26, v56, v28
	v_cvt_f32_i32_e32 v20, v20
	v_fma_mix_f32 v14, v21, v14, 0 op_sel_hi:[1,0,0]
	v_add3_u32 v17, v17, v42, v38
	v_mul_lo_u32 v16, v58, v33
	v_cvt_f32_i32_e32 v24, v32
	v_mad_i32_i24 v18, v27, v59, v18
	v_fma_mix_f32 v19, v21, v19, 0 op_sel_hi:[1,0,0]
	v_cvt_f32_i32_e32 v21, v25
	v_fma_mix_f32 v14, v22, v20, v14 op_sel_hi:[1,0,0]
	v_mul_lo_u32 v17, v61, v17
	s_wait_loadcnt 0x1
	v_lshrrev_b32_e32 v43, 16, v15
	v_cvt_f32_i32_e32 v16, v16
	v_cvt_f32_i32_e32 v18, v18
	v_fma_mix_f32 v19, v22, v24, v19 op_sel_hi:[1,0,0]
	v_fma_mix_f32 v14, v23, v21, v14 op_sel_hi:[1,0,0]
	v_cvt_f32_f16_e32 v20, v43
	v_cvt_f32_i32_e32 v17, v17
	s_delay_alu instid0(VALU_DEP_4) | instskip(SKIP_2) | instid1(VALU_DEP_2)
	v_fma_mix_f32 v16, v23, v16, v19 op_sel_hi:[1,0,0]
	s_wait_loadcnt 0x0
	v_fma_mix_f32 v14, v13, v18, v14 op_sel_hi:[1,0,0]
	v_fma_mix_f32 v13, v13, v17, v16 op_sel_hi:[1,0,0]
	s_delay_alu instid0(VALU_DEP_2) | instskip(NEXT) | instid1(VALU_DEP_1)
	v_mul_f32_e32 v14, v14, v20
	v_fma_mix_f32 v13, v13, v15, -v14 op_sel_hi:[0,1,0]
	s_delay_alu instid0(VALU_DEP_1)
	v_add_f32_e32 v3, v3, v13
	s_wait_alu 0xfffe
	s_and_not1_b32 exec_lo, exec_lo, s5
	s_cbranch_execnz .LBB242_3
; %bb.4:
	s_or_b32 exec_lo, exec_lo, s5
.LBB242_5:
	s_delay_alu instid0(SALU_CYCLE_1) | instskip(SKIP_1) | instid1(VALU_DEP_1)
	s_or_b32 exec_lo, exec_lo, s12
	v_mbcnt_lo_u32_b32 v2, -1, 0
	v_xor_b32_e32 v4, 16, v2
	v_xor_b32_e32 v5, 8, v2
	s_delay_alu instid0(VALU_DEP_2) | instskip(SKIP_2) | instid1(VALU_DEP_3)
	v_cmp_gt_i32_e32 vcc_lo, 32, v4
	s_wait_alu 0xfffd
	v_cndmask_b32_e32 v4, v2, v4, vcc_lo
	v_cmp_gt_i32_e32 vcc_lo, 32, v5
	s_wait_alu 0xfffd
	v_cndmask_b32_e32 v5, v2, v5, vcc_lo
	s_delay_alu instid0(VALU_DEP_1)
	v_lshlrev_b32_e32 v5, 2, v5
	v_lshlrev_b32_e32 v4, 2, v4
	ds_bpermute_b32 v4, v4, v3
	s_wait_dscnt 0x0
	v_add_f32_e32 v3, v3, v4
	ds_bpermute_b32 v4, v5, v3
	v_xor_b32_e32 v5, 4, v2
	s_delay_alu instid0(VALU_DEP_1) | instskip(SKIP_2) | instid1(VALU_DEP_1)
	v_cmp_gt_i32_e32 vcc_lo, 32, v5
	s_wait_alu 0xfffd
	v_cndmask_b32_e32 v5, v2, v5, vcc_lo
	v_lshlrev_b32_e32 v5, 2, v5
	s_wait_dscnt 0x0
	v_add_f32_e32 v3, v3, v4
	ds_bpermute_b32 v4, v5, v3
	v_xor_b32_e32 v5, 2, v2
	s_delay_alu instid0(VALU_DEP_1) | instskip(SKIP_2) | instid1(VALU_DEP_1)
	v_cmp_gt_i32_e32 vcc_lo, 32, v5
	s_wait_alu 0xfffd
	v_cndmask_b32_e32 v5, v2, v5, vcc_lo
	v_lshlrev_b32_e32 v5, 2, v5
	s_wait_dscnt 0x0
	v_add_f32_e32 v3, v3, v4
	ds_bpermute_b32 v4, v5, v3
	v_xor_b32_e32 v5, 1, v2
	s_delay_alu instid0(VALU_DEP_1) | instskip(SKIP_4) | instid1(VALU_DEP_2)
	v_cmp_gt_i32_e32 vcc_lo, 32, v5
	s_wait_alu 0xfffd
	v_cndmask_b32_e32 v5, v2, v5, vcc_lo
	v_cmp_eq_u32_e32 vcc_lo, 0, v0
	s_wait_dscnt 0x0
	v_dual_add_f32 v2, v3, v4 :: v_dual_lshlrev_b32 v3, 2, v5
	ds_bpermute_b32 v3, v3, v2
	s_and_b32 exec_lo, exec_lo, vcc_lo
	s_cbranch_execz .LBB242_7
; %bb.6:
	v_mad_co_u64_u32 v[0:1], null, s6, s10, v[1:2]
	s_wait_dscnt 0x0
	v_dual_mov_b32 v1, 0 :: v_dual_add_f32 v2, v2, v3
	s_delay_alu instid0(VALU_DEP_1) | instskip(SKIP_1) | instid1(VALU_DEP_1)
	v_lshlrev_b64_e32 v[0:1], 2, v[0:1]
	s_wait_kmcnt 0x0
	v_add_co_u32 v0, vcc_lo, s8, v0
	s_wait_alu 0xfffd
	s_delay_alu instid0(VALU_DEP_2)
	v_add_co_ci_u32_e64 v1, null, s9, v1, vcc_lo
	global_store_b32 v[0:1], v2, off
.LBB242_7:
	s_endpgm
	.section	.rodata,"a",@progbits
	.p2align	6, 0x0
	.amdhsa_kernel _ZL9moe_vec_qIfLi256ELi16E10block_q2_KLi1EXadL_ZL17vec_dot_q2_K_q8_1PKvPK10block_q8_1RKiEEEvS2_S2_PT_PS6_iiii
		.amdhsa_group_segment_fixed_size 0
		.amdhsa_private_segment_fixed_size 0
		.amdhsa_kernarg_size 304
		.amdhsa_user_sgpr_count 2
		.amdhsa_user_sgpr_dispatch_ptr 0
		.amdhsa_user_sgpr_queue_ptr 0
		.amdhsa_user_sgpr_kernarg_segment_ptr 1
		.amdhsa_user_sgpr_dispatch_id 0
		.amdhsa_user_sgpr_private_segment_size 0
		.amdhsa_wavefront_size32 1
		.amdhsa_uses_dynamic_stack 0
		.amdhsa_enable_private_segment 0
		.amdhsa_system_sgpr_workgroup_id_x 1
		.amdhsa_system_sgpr_workgroup_id_y 0
		.amdhsa_system_sgpr_workgroup_id_z 1
		.amdhsa_system_sgpr_workgroup_info 0
		.amdhsa_system_vgpr_workitem_id 1
		.amdhsa_next_free_vgpr 62
		.amdhsa_next_free_sgpr 19
		.amdhsa_reserve_vcc 1
		.amdhsa_float_round_mode_32 0
		.amdhsa_float_round_mode_16_64 0
		.amdhsa_float_denorm_mode_32 3
		.amdhsa_float_denorm_mode_16_64 3
		.amdhsa_fp16_overflow 0
		.amdhsa_workgroup_processor_mode 1
		.amdhsa_memory_ordered 1
		.amdhsa_forward_progress 1
		.amdhsa_inst_pref_size 15
		.amdhsa_round_robin_scheduling 0
		.amdhsa_exception_fp_ieee_invalid_op 0
		.amdhsa_exception_fp_denorm_src 0
		.amdhsa_exception_fp_ieee_div_zero 0
		.amdhsa_exception_fp_ieee_overflow 0
		.amdhsa_exception_fp_ieee_underflow 0
		.amdhsa_exception_fp_ieee_inexact 0
		.amdhsa_exception_int_div_zero 0
	.end_amdhsa_kernel
	.section	.text._ZL9moe_vec_qIfLi256ELi16E10block_q2_KLi1EXadL_ZL17vec_dot_q2_K_q8_1PKvPK10block_q8_1RKiEEEvS2_S2_PT_PS6_iiii,"axG",@progbits,_ZL9moe_vec_qIfLi256ELi16E10block_q2_KLi1EXadL_ZL17vec_dot_q2_K_q8_1PKvPK10block_q8_1RKiEEEvS2_S2_PT_PS6_iiii,comdat
.Lfunc_end242:
	.size	_ZL9moe_vec_qIfLi256ELi16E10block_q2_KLi1EXadL_ZL17vec_dot_q2_K_q8_1PKvPK10block_q8_1RKiEEEvS2_S2_PT_PS6_iiii, .Lfunc_end242-_ZL9moe_vec_qIfLi256ELi16E10block_q2_KLi1EXadL_ZL17vec_dot_q2_K_q8_1PKvPK10block_q8_1RKiEEEvS2_S2_PT_PS6_iiii
                                        ; -- End function
	.set _ZL9moe_vec_qIfLi256ELi16E10block_q2_KLi1EXadL_ZL17vec_dot_q2_K_q8_1PKvPK10block_q8_1RKiEEEvS2_S2_PT_PS6_iiii.num_vgpr, 62
	.set _ZL9moe_vec_qIfLi256ELi16E10block_q2_KLi1EXadL_ZL17vec_dot_q2_K_q8_1PKvPK10block_q8_1RKiEEEvS2_S2_PT_PS6_iiii.num_agpr, 0
	.set _ZL9moe_vec_qIfLi256ELi16E10block_q2_KLi1EXadL_ZL17vec_dot_q2_K_q8_1PKvPK10block_q8_1RKiEEEvS2_S2_PT_PS6_iiii.numbered_sgpr, 19
	.set _ZL9moe_vec_qIfLi256ELi16E10block_q2_KLi1EXadL_ZL17vec_dot_q2_K_q8_1PKvPK10block_q8_1RKiEEEvS2_S2_PT_PS6_iiii.num_named_barrier, 0
	.set _ZL9moe_vec_qIfLi256ELi16E10block_q2_KLi1EXadL_ZL17vec_dot_q2_K_q8_1PKvPK10block_q8_1RKiEEEvS2_S2_PT_PS6_iiii.private_seg_size, 0
	.set _ZL9moe_vec_qIfLi256ELi16E10block_q2_KLi1EXadL_ZL17vec_dot_q2_K_q8_1PKvPK10block_q8_1RKiEEEvS2_S2_PT_PS6_iiii.uses_vcc, 1
	.set _ZL9moe_vec_qIfLi256ELi16E10block_q2_KLi1EXadL_ZL17vec_dot_q2_K_q8_1PKvPK10block_q8_1RKiEEEvS2_S2_PT_PS6_iiii.uses_flat_scratch, 0
	.set _ZL9moe_vec_qIfLi256ELi16E10block_q2_KLi1EXadL_ZL17vec_dot_q2_K_q8_1PKvPK10block_q8_1RKiEEEvS2_S2_PT_PS6_iiii.has_dyn_sized_stack, 0
	.set _ZL9moe_vec_qIfLi256ELi16E10block_q2_KLi1EXadL_ZL17vec_dot_q2_K_q8_1PKvPK10block_q8_1RKiEEEvS2_S2_PT_PS6_iiii.has_recursion, 0
	.set _ZL9moe_vec_qIfLi256ELi16E10block_q2_KLi1EXadL_ZL17vec_dot_q2_K_q8_1PKvPK10block_q8_1RKiEEEvS2_S2_PT_PS6_iiii.has_indirect_call, 0
	.section	.AMDGPU.csdata,"",@progbits
; Kernel info:
; codeLenInByte = 1892
; TotalNumSgprs: 21
; NumVgprs: 62
; ScratchSize: 0
; MemoryBound: 0
; FloatMode: 240
; IeeeMode: 1
; LDSByteSize: 0 bytes/workgroup (compile time only)
; SGPRBlocks: 0
; VGPRBlocks: 7
; NumSGPRsForWavesPerEU: 21
; NumVGPRsForWavesPerEU: 62
; Occupancy: 16
; WaveLimiterHint : 1
; COMPUTE_PGM_RSRC2:SCRATCH_EN: 0
; COMPUTE_PGM_RSRC2:USER_SGPR: 2
; COMPUTE_PGM_RSRC2:TRAP_HANDLER: 0
; COMPUTE_PGM_RSRC2:TGID_X_EN: 1
; COMPUTE_PGM_RSRC2:TGID_Y_EN: 0
; COMPUTE_PGM_RSRC2:TGID_Z_EN: 1
; COMPUTE_PGM_RSRC2:TIDIG_COMP_CNT: 1
	.section	.text._ZL9moe_vec_qIfLi256ELi16E10block_q3_KLi1EXadL_ZL17vec_dot_q3_K_q8_1PKvPK10block_q8_1RKiEEEvS2_S2_PT_PS6_iiii,"axG",@progbits,_ZL9moe_vec_qIfLi256ELi16E10block_q3_KLi1EXadL_ZL17vec_dot_q3_K_q8_1PKvPK10block_q8_1RKiEEEvS2_S2_PT_PS6_iiii,comdat
	.globl	_ZL9moe_vec_qIfLi256ELi16E10block_q3_KLi1EXadL_ZL17vec_dot_q3_K_q8_1PKvPK10block_q8_1RKiEEEvS2_S2_PT_PS6_iiii ; -- Begin function _ZL9moe_vec_qIfLi256ELi16E10block_q3_KLi1EXadL_ZL17vec_dot_q3_K_q8_1PKvPK10block_q8_1RKiEEEvS2_S2_PT_PS6_iiii
	.p2align	8
	.type	_ZL9moe_vec_qIfLi256ELi16E10block_q3_KLi1EXadL_ZL17vec_dot_q3_K_q8_1PKvPK10block_q8_1RKiEEEvS2_S2_PT_PS6_iiii,@function
_ZL9moe_vec_qIfLi256ELi16E10block_q3_KLi1EXadL_ZL17vec_dot_q3_K_q8_1PKvPK10block_q8_1RKiEEEvS2_S2_PT_PS6_iiii: ; @_ZL9moe_vec_qIfLi256ELi16E10block_q3_KLi1EXadL_ZL17vec_dot_q3_K_q8_1PKvPK10block_q8_1RKiEEEvS2_S2_PT_PS6_iiii
; %bb.0:
	s_clause 0x1
	s_load_u16 s2, s[0:1], 0x3e
	s_load_b128 s[4:7], s[0:1], 0x20
	v_bfe_u32 v1, v0, 10, 10
	s_wait_kmcnt 0x0
	s_delay_alu instid0(VALU_DEP_1)
	v_mad_co_u64_u32 v[1:2], null, ttmp9, s2, v[1:2]
	s_mov_b32 s2, exec_lo
	v_cmpx_gt_u32_e64 s6, v1
	s_cbranch_execz .LBB243_7
; %bb.1:
	s_load_b64 s[8:9], s[0:1], 0x10
	s_ashr_i32 s2, s5, 31
	v_bfe_u32 v8, v0, 4, 6
	s_wait_alu 0xfffe
	s_lshr_b32 s2, s2, 24
	v_dual_mov_b32 v3, 0 :: v_dual_and_b32 v0, 0x3ff, v0
	s_wait_alu 0xfffe
	s_add_co_i32 s2, s5, s2
	s_lshr_b32 s12, ttmp7, 16
	s_wait_alu 0xfffe
	s_ashr_i32 s13, s2, 8
	s_mov_b32 s14, exec_lo
	v_cmpx_gt_u32_e64 s13, v8
	s_cbranch_execz .LBB243_5
; %bb.2:
	s_cvt_f32_u32 s5, s4
	v_and_b32_e32 v4, 15, v0
	s_load_b64 s[10:11], s[0:1], 0x18
	s_lshl_b32 s15, s12, 2
	v_rcp_iflag_f32_e32 v3, s5
	s_sub_co_i32 s17, 0, s4
	s_load_b128 s[0:3], s[0:1], 0x0
	s_mul_i32 s16, s13, s6
	s_mov_b32 s5, 0
	v_mul_lo_u32 v9, v1, s13
	v_lshlrev_b32_e32 v35, 3, v8
	s_delay_alu instid0(TRANS32_DEP_1) | instskip(SKIP_3) | instid1(VALU_DEP_4)
	v_readfirstlane_b32 s18, v3
	v_mov_b32_e32 v3, 0
	v_sub_co_u32 v2, vcc_lo, v4, 8
	v_lshlrev_b32_e32 v11, 2, v4
	s_mul_f32 s18, s18, 0x4f7ffffe
	s_delay_alu instid0(VALU_DEP_2) | instskip(SKIP_3) | instid1(VALU_DEP_1)
	v_cndmask_b32_e32 v2, v2, v4, vcc_lo
	s_wait_kmcnt 0x0
	s_load_b32 s10, s[10:11], s15 offset:0x0
	s_cvt_u32_f32 s11, s18
	v_sub_nc_u32_e32 v5, v4, v2
	v_cmp_lt_u32_e32 vcc_lo, 3, v2
	s_delay_alu instid0(SALU_CYCLE_1) | instskip(NEXT) | instid1(SALU_CYCLE_1)
	s_mul_i32 s17, s17, s11
	s_mul_hi_u32 s15, s11, s17
	s_wait_alu 0xfffd
	v_add_co_ci_u32_e64 v19, null, 0, v5, vcc_lo
	v_lshrrev_b32_e32 v5, 1, v0
	s_add_co_i32 s11, s11, s15
	s_delay_alu instid0(VALU_DEP_2) | instskip(SKIP_1) | instid1(VALU_DEP_3)
	v_bfe_i32 v6, v19, 0, 8
	v_add_nc_u16 v20, v19, 2
	v_and_b32_e32 v10, 4, v5
	v_lshlrev_b64_e32 v[4:5], 2, v[2:3]
	v_add_nc_u16 v26, v19, 4
	v_lshrrev_b16 v6, 7, v6
	v_bfe_i32 v7, v20, 0, 8
	v_add_nc_u16 v27, v19, 6
	s_mul_hi_u32 s15, s12, s11
	v_bfe_i32 v18, v26, 0, 8
	v_and_b32_e32 v2, 0xff, v6
	v_lshrrev_b16 v6, 7, v7
	v_bfe_i32 v28, v27, 0, 8
	s_mul_i32 s11, s15, s4
	v_lshrrev_b16 v18, 7, v18
	v_lshrrev_b16 v7, 5, v2
	;; [unrolled: 1-line block ×3, first 2 shown]
	v_and_b32_e32 v15, 0xff, v6
	s_sub_co_i32 s18, s12, s11
	v_and_b32_e32 v23, 0xff, v18
	s_wait_kmcnt 0x0
	s_mul_i32 s10, s16, s10
	v_add_nc_u16 v14, v19, v2
	v_lshrrev_b16 v17, 5, v15
	v_lshrrev_b16 v15, 6, v15
	;; [unrolled: 1-line block ×4, first 2 shown]
	v_bfe_i32 v16, v14, 0, 8
	v_add_nc_u16 v17, v20, v17
	v_and_b32_e32 v14, 0xfc, v14
	v_add_nc_u16 v24, v26, v24
	v_add_nc_u16 v29, v26, v23
	v_ashrrev_i16 v16, 2, v16
	v_bfe_i32 v21, v17, 0, 8
	v_sub_nc_u16 v22, v19, v14
	v_and_b32_e32 v17, 0xf8, v17
	v_add_nc_u16 v7, v19, v7
	v_bfe_i32 v16, v16, 0, 16
	s_add_co_i32 s17, s15, 1
	s_sub_co_i32 s16, s18, s4
	v_sub_nc_u16 v25, v20, v17
	s_ashr_i32 s11, s10, 31
	v_lshlrev_b32_e32 v14, 1, v16
	v_lshrrev_b16 v16, 3, v21
	v_add_nc_u16 v21, v20, v15
	v_bfe_i32 v15, v22, 0, 8
	s_cmp_ge_u32 s18, s4
	v_bfe_i32 v12, v7, 0, 8
	v_and_b32_e32 v18, 0xff, v16
	v_bfe_i32 v22, v21, 0, 8
	v_and_b32_e32 v21, 0xfc, v21
	s_cselect_b32 s15, s17, s15
	s_cselect_b32 s16, s16, s18
	v_lshlrev_b32_e32 v17, 2, v18
	v_ashrrev_i16 v22, 2, v22
	v_bfe_i32 v18, v25, 0, 8
	v_bfe_i32 v25, v24, 0, 8
	v_sub_nc_u16 v21, v20, v21
	v_and_b32_e32 v24, 0xf8, v24
	v_bfe_i32 v22, v22, 0, 16
	v_and_b32_e32 v7, 0xf8, v7
	s_add_co_i32 s17, s15, 1
	s_cmp_ge_u32 s16, s4
	v_sub_nc_u16 v24, v26, v24
	v_lshlrev_b32_e32 v20, 1, v22
	v_lshrrev_b16 v22, 3, v25
	v_lshrrev_b16 v25, 7, v28
	s_cselect_b32 s4, s17, s15
	v_lshrrev_b16 v12, 3, v12
	v_sub_nc_u16 v13, v19, v7
	v_and_b32_e32 v28, 0xff, v22
	v_and_b32_e32 v25, 0xff, v25
	s_wait_alu 0xfffe
	s_mul_i32 s4, s4, s7
	v_and_b32_e32 v12, 0xff, v12
	s_wait_alu 0xfffe
	s_lshl_b64 s[16:17], s[4:5], 2
	v_lshlrev_b32_e32 v23, 2, v28
	v_bfe_i32 v28, v29, 0, 8
	v_lshrrev_b16 v30, 5, v25
	v_lshrrev_b16 v31, 6, v25
	v_and_b32_e32 v29, 0xfc, v29
	s_add_nc_u64 s[2:3], s[2:3], s[16:17]
	v_lshrrev_b16 v28, 2, v28
	v_add_nc_u16 v30, v27, v30
	v_add_nc_u16 v31, v27, v31
	v_sub_nc_u16 v29, v26, v29
	v_bfe_i32 v2, v13, 0, 8
	v_and_b32_e32 v26, 0xff, v28
	v_bfe_i32 v28, v30, 0, 8
	v_and_b32_e32 v30, 0xf8, v30
	;; [unrolled: 2-line block ×3, first 2 shown]
	v_bfe_i32 v21, v21, 0, 8
	v_lshrrev_b16 v28, 3, v28
	v_sub_nc_u16 v30, v27, v30
	v_lshrrev_b16 v32, 2, v32
	v_sub_nc_u16 v31, v27, v31
	v_bfe_i32 v24, v24, 0, 8
	v_bfe_i32 v27, v29, 0, 8
	v_and_b32_e32 v33, 0xff, v28
	v_bfe_i32 v28, v30, 0, 8
	v_and_b32_e32 v34, 0xff, v32
	v_bfe_i32 v29, v31, 0, 8
	s_wait_alu 0xfffe
	v_mad_co_u64_u32 v[6:7], null, v10, 36, s[2:3]
	v_lshlrev_b32_e32 v12, 2, v12
	v_ashrrev_i32_e32 v13, 31, v2
	v_ashrrev_i32_e32 v16, 31, v15
	;; [unrolled: 1-line block ×5, first 2 shown]
	v_lshlrev_b32_e32 v26, 1, v26
	v_ashrrev_i32_e32 v30, 31, v27
	v_lshlrev_b32_e32 v31, 2, v33
	v_ashrrev_i32_e32 v32, 31, v28
	;; [unrolled: 2-line block ×3, first 2 shown]
	s_mul_u64 s[10:11], s[10:11], 0x6e
	s_delay_alu instid0(SALU_CYCLE_1)
	s_add_nc_u64 s[0:1], s[0:1], s[10:11]
.LBB243_3:                              ; =>This Inner Loop Header: Depth=1
	v_add_nc_u32_e32 v38, v9, v8
	v_mad_co_i64_i32 v[36:37], null, v35, 36, v[6:7]
	v_add_nc_u32_e32 v8, 2, v8
	v_add_nc_u32_e32 v35, 16, v35
	s_wait_alu 0xfffe
	v_mad_co_i64_i32 v[38:39], null, 0x6e, v38, s[0:1]
	s_delay_alu instid0(VALU_DEP_4) | instskip(SKIP_2) | instid1(VALU_DEP_3)
	v_add_co_u32 v40, vcc_lo, v36, v4
	s_wait_alu 0xfffd
	v_add_co_ci_u32_e64 v41, null, v37, v5, vcc_lo
	v_add_co_u32 v42, vcc_lo, v38, v11
	s_wait_alu 0xfffd
	s_delay_alu instid0(VALU_DEP_4)
	v_add_co_ci_u32_e64 v43, null, 0, v39, vcc_lo
	v_add_co_u32 v44, vcc_lo, v38, v4
	s_wait_alu 0xfffd
	v_add_co_ci_u32_e64 v45, null, v39, v5, vcc_lo
	s_clause 0x3
	global_load_b32 v60, v[40:41], off offset:4
	global_load_b32 v61, v[40:41], off offset:40
	;; [unrolled: 1-line block ×4, first 2 shown]
	v_add_co_u32 v40, vcc_lo, v38, v2
	s_wait_alu 0xfffd
	v_add_co_ci_u32_e64 v41, null, v39, v13, vcc_lo
	v_add_co_u32 v46, vcc_lo, v38, v15
	s_wait_alu 0xfffd
	v_add_co_ci_u32_e64 v47, null, v39, v16, vcc_lo
	;; [unrolled: 3-line block ×8, first 2 shown]
	s_clause 0xa
	global_load_u16 v38, v[38:39], off offset:108
	global_load_b32 v39, v[44:45], off
	global_load_u8 v40, v[40:41], off offset:96
	global_load_u8 v41, v[46:47], off offset:104
	global_load_b32 v42, v[42:43], off offset:32
	global_load_u8 v43, v[48:49], off offset:96
	global_load_u8 v44, v[50:51], off offset:104
	;; [unrolled: 1-line block ×6, first 2 shown]
	s_clause 0x3
	global_load_b32 v49, v[36:37], off
	global_load_b32 v50, v[36:37], off offset:36
	global_load_b32 v51, v[36:37], off offset:72
	global_load_b32 v36, v[36:37], off offset:108
	v_cmp_le_u32_e32 vcc_lo, s13, v8
	s_or_b32 s5, vcc_lo, s5
	s_wait_loadcnt 0x12
	v_lshrrev_b16 v37, 8, v60
	s_wait_loadcnt 0x11
	v_lshlrev_b32_e32 v57, 8, v61
	v_ashrrev_i32_e32 v52, 24, v60
	v_bfe_i32 v53, v60, 16, 8
	v_bfe_i32 v54, v60, 0, 8
	;; [unrolled: 1-line block ×4, first 2 shown]
	s_wait_loadcnt 0x10
	v_lshlrev_b32_e32 v59, 16, v62
	v_lshlrev_b32_e32 v60, 8, v62
	v_perm_b32 v57, v61, v57, 0xc0c0703
	s_wait_loadcnt 0xf
	v_lshlrev_b32_e32 v65, 16, v63
	v_lshlrev_b32_e32 v66, 8, v63
	v_bfe_i32 v37, v37, 0, 8
	v_perm_b32 v59, v60, v59, 0xc0c0703
	v_bfe_i32 v58, v62, 0, 8
	v_ashrrev_i32_e32 v62, 24, v62
	v_perm_b32 v65, v66, v65, 0xc0c0703
	v_bfe_i32 v64, v63, 0, 8
	v_ashrrev_i32_e32 v63, 24, v63
	s_wait_loadcnt 0xd
	v_ashrrev_i32_e32 v39, v10, v39
	s_wait_loadcnt 0xc
	v_bfe_u32 v40, v40, v12, 4
	s_wait_loadcnt 0xb
	v_lshrrev_b32_e32 v41, v14, v41
	s_wait_loadcnt 0xa
	v_lshrrev_b32_e32 v69, 2, v42
	v_lshrrev_b32_e32 v61, 4, v42
	v_not_b32_e32 v39, v39
	s_wait_loadcnt 0x8
	v_lshrrev_b32_e32 v44, v20, v44
	v_lshlrev_b32_e32 v41, 4, v41
	s_wait_loadcnt 0x6
	v_lshrrev_b32_e32 v46, v26, v46
	v_and_b32_e32 v67, 0x3030303, v42
	v_lshlrev_b32_e32 v74, 1, v39
	v_bfe_u32 v68, v42, 24, 2
	v_and_or_b32 v40, v41, 48, v40
	v_lshlrev_b32_e32 v41, 2, v39
	v_bfe_u32 v43, v43, v17, 4
	v_bfe_u32 v45, v45, v23, 4
	s_wait_loadcnt 0x4
	v_lshrrev_b32_e32 v48, v33, v48
	v_lshrrev_b32_e32 v60, 6, v42
	v_and_b32_e32 v41, 0x4040404, v41
	v_lshlrev_b32_e32 v44, 4, v44
	v_and_b32_e32 v71, 0x3030303, v69
	v_lshlrev_b32_e32 v46, 4, v46
	v_bfe_u32 v72, v61, 24, 2
	v_and_b32_e32 v61, 0x3030303, v61
	v_and_b32_e32 v76, 0x4040404, v39
	v_lshrrev_b32_e32 v39, 1, v39
	v_and_b32_e32 v74, 0x4040404, v74
	v_lshrrev_b32_e32 v81, 24, v41
	v_bfe_u32 v47, v47, v31, 4
	v_lshrrev_b16 v66, 8, v67
	v_lshrrev_b32_e32 v70, 16, v67
	v_bfe_u32 v69, v69, 24, 2
	v_lshlrev_b32_e32 v48, 4, v48
	v_and_b32_e32 v60, 0x3030303, v60
	v_and_or_b32 v43, v44, 48, v43
	v_lshrrev_b16 v44, 8, v71
	v_lshrrev_b32_e32 v73, 16, v71
	v_and_or_b32 v45, v46, 48, v45
	v_lshrrev_b32_e32 v46, 16, v61
	v_lshrrev_b16 v75, 8, v61
	v_lshrrev_b32_e32 v78, 24, v76
	v_lshrrev_b32_e32 v79, 16, v76
	v_lshrrev_b16 v80, 8, v76
	v_sub_nc_u16 v61, v61, v76
	v_and_b32_e32 v39, 0x4040404, v39
	v_lshrrev_b16 v76, 8, v41
	v_lshrrev_b32_e32 v82, 16, v41
	v_sub_nc_u16 v41, v67, v41
	v_lshrrev_b16 v67, 8, v74
	v_lshrrev_b32_e32 v83, 16, v74
	v_lshrrev_b32_e32 v84, 24, v74
	v_sub_nc_u16 v68, v68, v81
	v_lshrrev_b32_e32 v42, 30, v42
	v_and_or_b32 v47, v48, 48, v47
	v_lshrrev_b32_e32 v48, 16, v60
	v_lshrrev_b16 v77, 8, v60
	v_sub_nc_u16 v71, v71, v74
	v_sub_nc_u16 v74, v75, v80
	;; [unrolled: 1-line block ×4, first 2 shown]
	v_lshrrev_b32_e32 v75, 24, v39
	v_lshrrev_b32_e32 v78, 16, v39
	v_lshrrev_b16 v79, 8, v39
	v_sub_nc_u16 v39, v60, v39
	v_sub_nc_u16 v60, v70, v82
	;; [unrolled: 1-line block ×3, first 2 shown]
	v_bfe_i32 v41, v41, 0, 8
	v_sub_nc_u16 v69, v69, v84
	v_sub_nc_u16 v70, v73, v83
	;; [unrolled: 1-line block ×3, first 2 shown]
	v_bfe_i32 v68, v68, 0, 16
	v_bfe_i32 v67, v71, 0, 8
	v_lshlrev_b16 v72, 8, v72
	v_sub_nc_u16 v42, v42, v75
	v_bfe_i32 v66, v66, 0, 16
	v_bfe_i32 v60, v60, 0, 8
	v_mul_i32_i24_e32 v41, v41, v54
	v_lshlrev_b16 v54, 8, v69
	v_and_b32_e32 v69, 0xff, v70
	v_lshlrev_b16 v44, 8, v44
	v_mul_i32_i24_e32 v52, v68, v52
	v_mul_i32_i24_e32 v55, v55, v67
	v_bfe_i32 v67, v72, 8, 8
	v_lshlrev_b16 v42, 8, v42
	v_mul_i32_i24_e32 v53, v60, v53
	v_bfe_i32 v44, v44, 8, 8
	v_or_b32_e32 v54, v69, v54
	v_mad_i32_i24 v37, v66, v37, v52
	v_subrev_nc_u32_e32 v40, 32, v40
	v_bfe_i32 v61, v61, 0, 8
	v_lshlrev_b16 v71, 8, v74
	v_sub_nc_u16 v73, v77, v79
	v_mul_i32_i24_e32 v52, v62, v67
	v_bfe_i32 v42, v42, 8, 8
	v_mad_i32_i24 v44, v56, v44, v55
	v_perm_b32 v54, v54, v70, 0xc0c0500
	v_add3_u32 v37, v41, v53, v37
	v_subrev_nc_u32_e32 v43, 32, v43
	v_sub_nc_u16 v48, v48, v78
	v_bfe_i32 v39, v39, 0, 8
	v_perm_b32 v46, v46, v71, 0xc0c0401
	v_lshlrev_b16 v41, 8, v73
	v_mad_i32_i24 v52, v58, v61, v52
	v_mul_i32_i24_e32 v42, v63, v42
	v_dot4_i32_iu8 v44, v57, v54, v44 neg_lo:[1,1,0]
	v_mul_lo_u32 v37, v40, v37
	v_subrev_nc_u32_e32 v45, 32, v45
	v_perm_b32 v40, v48, v41, 0xc0c0401
	v_dot4_i32_iu8 v41, v59, v46, v52 neg_lo:[1,1,0]
	v_mad_i32_i24 v39, v64, v39, v42
	v_mul_lo_u32 v42, v43, v44
	v_subrev_nc_u32_e32 v43, 32, v47
	v_cvt_f32_i32_e32 v37, v37
	v_mul_lo_u32 v41, v45, v41
	v_dot4_i32_iu8 v39, v65, v40, v39 neg_lo:[1,1,0]
	v_cvt_f32_i32_e32 v40, v42
	s_wait_loadcnt 0x3
	v_fma_mix_f32 v37, v49, v37, 0 op_sel_hi:[1,0,0]
	s_delay_alu instid0(VALU_DEP_3) | instskip(SKIP_2) | instid1(VALU_DEP_3)
	v_mul_lo_u32 v39, v43, v39
	v_cvt_f32_i32_e32 v41, v41
	s_wait_loadcnt 0x2
	v_fma_mix_f32 v37, v50, v40, v37 op_sel_hi:[1,0,0]
	s_delay_alu instid0(VALU_DEP_3) | instskip(SKIP_1) | instid1(VALU_DEP_2)
	v_cvt_f32_i32_e32 v39, v39
	s_wait_loadcnt 0x1
	v_fma_mix_f32 v37, v51, v41, v37 op_sel_hi:[1,0,0]
	s_wait_loadcnt 0x0
	s_delay_alu instid0(VALU_DEP_1) | instskip(NEXT) | instid1(VALU_DEP_1)
	v_fma_mix_f32 v36, v36, v39, v37 op_sel_hi:[1,0,0]
	v_fma_mix_f32 v3, v36, v38, v3 op_sel_hi:[0,1,0]
	s_wait_alu 0xfffe
	s_and_not1_b32 exec_lo, exec_lo, s5
	s_cbranch_execnz .LBB243_3
; %bb.4:
	s_or_b32 exec_lo, exec_lo, s5
.LBB243_5:
	s_delay_alu instid0(SALU_CYCLE_1) | instskip(SKIP_1) | instid1(VALU_DEP_1)
	s_or_b32 exec_lo, exec_lo, s14
	v_mbcnt_lo_u32_b32 v2, -1, 0
	v_xor_b32_e32 v4, 16, v2
	v_xor_b32_e32 v5, 8, v2
	s_delay_alu instid0(VALU_DEP_2) | instskip(SKIP_2) | instid1(VALU_DEP_3)
	v_cmp_gt_i32_e32 vcc_lo, 32, v4
	s_wait_alu 0xfffd
	v_cndmask_b32_e32 v4, v2, v4, vcc_lo
	v_cmp_gt_i32_e32 vcc_lo, 32, v5
	s_wait_alu 0xfffd
	v_cndmask_b32_e32 v5, v2, v5, vcc_lo
	s_delay_alu instid0(VALU_DEP_1)
	v_lshlrev_b32_e32 v5, 2, v5
	v_lshlrev_b32_e32 v4, 2, v4
	ds_bpermute_b32 v4, v4, v3
	s_wait_dscnt 0x0
	v_add_f32_e32 v3, v3, v4
	ds_bpermute_b32 v4, v5, v3
	v_xor_b32_e32 v5, 4, v2
	s_delay_alu instid0(VALU_DEP_1) | instskip(SKIP_2) | instid1(VALU_DEP_1)
	v_cmp_gt_i32_e32 vcc_lo, 32, v5
	s_wait_alu 0xfffd
	v_cndmask_b32_e32 v5, v2, v5, vcc_lo
	v_lshlrev_b32_e32 v5, 2, v5
	s_wait_dscnt 0x0
	v_add_f32_e32 v3, v3, v4
	ds_bpermute_b32 v4, v5, v3
	v_xor_b32_e32 v5, 2, v2
	s_delay_alu instid0(VALU_DEP_1) | instskip(SKIP_2) | instid1(VALU_DEP_1)
	v_cmp_gt_i32_e32 vcc_lo, 32, v5
	s_wait_alu 0xfffd
	v_cndmask_b32_e32 v5, v2, v5, vcc_lo
	v_lshlrev_b32_e32 v5, 2, v5
	s_wait_dscnt 0x0
	v_add_f32_e32 v3, v3, v4
	ds_bpermute_b32 v4, v5, v3
	v_xor_b32_e32 v5, 1, v2
	s_delay_alu instid0(VALU_DEP_1) | instskip(SKIP_4) | instid1(VALU_DEP_2)
	v_cmp_gt_i32_e32 vcc_lo, 32, v5
	s_wait_alu 0xfffd
	v_cndmask_b32_e32 v5, v2, v5, vcc_lo
	v_cmp_eq_u32_e32 vcc_lo, 0, v0
	s_wait_dscnt 0x0
	v_dual_add_f32 v2, v3, v4 :: v_dual_lshlrev_b32 v3, 2, v5
	ds_bpermute_b32 v3, v3, v2
	s_and_b32 exec_lo, exec_lo, vcc_lo
	s_cbranch_execz .LBB243_7
; %bb.6:
	v_mad_co_u64_u32 v[0:1], null, s6, s12, v[1:2]
	s_wait_dscnt 0x0
	v_dual_mov_b32 v1, 0 :: v_dual_add_f32 v2, v2, v3
	s_delay_alu instid0(VALU_DEP_1) | instskip(SKIP_1) | instid1(VALU_DEP_1)
	v_lshlrev_b64_e32 v[0:1], 2, v[0:1]
	s_wait_kmcnt 0x0
	v_add_co_u32 v0, vcc_lo, s8, v0
	s_wait_alu 0xfffd
	s_delay_alu instid0(VALU_DEP_2)
	v_add_co_ci_u32_e64 v1, null, s9, v1, vcc_lo
	global_store_b32 v[0:1], v2, off
.LBB243_7:
	s_endpgm
	.section	.rodata,"a",@progbits
	.p2align	6, 0x0
	.amdhsa_kernel _ZL9moe_vec_qIfLi256ELi16E10block_q3_KLi1EXadL_ZL17vec_dot_q3_K_q8_1PKvPK10block_q8_1RKiEEEvS2_S2_PT_PS6_iiii
		.amdhsa_group_segment_fixed_size 0
		.amdhsa_private_segment_fixed_size 0
		.amdhsa_kernarg_size 304
		.amdhsa_user_sgpr_count 2
		.amdhsa_user_sgpr_dispatch_ptr 0
		.amdhsa_user_sgpr_queue_ptr 0
		.amdhsa_user_sgpr_kernarg_segment_ptr 1
		.amdhsa_user_sgpr_dispatch_id 0
		.amdhsa_user_sgpr_private_segment_size 0
		.amdhsa_wavefront_size32 1
		.amdhsa_uses_dynamic_stack 0
		.amdhsa_enable_private_segment 0
		.amdhsa_system_sgpr_workgroup_id_x 1
		.amdhsa_system_sgpr_workgroup_id_y 0
		.amdhsa_system_sgpr_workgroup_id_z 1
		.amdhsa_system_sgpr_workgroup_info 0
		.amdhsa_system_vgpr_workitem_id 1
		.amdhsa_next_free_vgpr 85
		.amdhsa_next_free_sgpr 19
		.amdhsa_reserve_vcc 1
		.amdhsa_float_round_mode_32 0
		.amdhsa_float_round_mode_16_64 0
		.amdhsa_float_denorm_mode_32 3
		.amdhsa_float_denorm_mode_16_64 3
		.amdhsa_fp16_overflow 0
		.amdhsa_workgroup_processor_mode 1
		.amdhsa_memory_ordered 1
		.amdhsa_forward_progress 1
		.amdhsa_inst_pref_size 24
		.amdhsa_round_robin_scheduling 0
		.amdhsa_exception_fp_ieee_invalid_op 0
		.amdhsa_exception_fp_denorm_src 0
		.amdhsa_exception_fp_ieee_div_zero 0
		.amdhsa_exception_fp_ieee_overflow 0
		.amdhsa_exception_fp_ieee_underflow 0
		.amdhsa_exception_fp_ieee_inexact 0
		.amdhsa_exception_int_div_zero 0
	.end_amdhsa_kernel
	.section	.text._ZL9moe_vec_qIfLi256ELi16E10block_q3_KLi1EXadL_ZL17vec_dot_q3_K_q8_1PKvPK10block_q8_1RKiEEEvS2_S2_PT_PS6_iiii,"axG",@progbits,_ZL9moe_vec_qIfLi256ELi16E10block_q3_KLi1EXadL_ZL17vec_dot_q3_K_q8_1PKvPK10block_q8_1RKiEEEvS2_S2_PT_PS6_iiii,comdat
.Lfunc_end243:
	.size	_ZL9moe_vec_qIfLi256ELi16E10block_q3_KLi1EXadL_ZL17vec_dot_q3_K_q8_1PKvPK10block_q8_1RKiEEEvS2_S2_PT_PS6_iiii, .Lfunc_end243-_ZL9moe_vec_qIfLi256ELi16E10block_q3_KLi1EXadL_ZL17vec_dot_q3_K_q8_1PKvPK10block_q8_1RKiEEEvS2_S2_PT_PS6_iiii
                                        ; -- End function
	.set _ZL9moe_vec_qIfLi256ELi16E10block_q3_KLi1EXadL_ZL17vec_dot_q3_K_q8_1PKvPK10block_q8_1RKiEEEvS2_S2_PT_PS6_iiii.num_vgpr, 85
	.set _ZL9moe_vec_qIfLi256ELi16E10block_q3_KLi1EXadL_ZL17vec_dot_q3_K_q8_1PKvPK10block_q8_1RKiEEEvS2_S2_PT_PS6_iiii.num_agpr, 0
	.set _ZL9moe_vec_qIfLi256ELi16E10block_q3_KLi1EXadL_ZL17vec_dot_q3_K_q8_1PKvPK10block_q8_1RKiEEEvS2_S2_PT_PS6_iiii.numbered_sgpr, 19
	.set _ZL9moe_vec_qIfLi256ELi16E10block_q3_KLi1EXadL_ZL17vec_dot_q3_K_q8_1PKvPK10block_q8_1RKiEEEvS2_S2_PT_PS6_iiii.num_named_barrier, 0
	.set _ZL9moe_vec_qIfLi256ELi16E10block_q3_KLi1EXadL_ZL17vec_dot_q3_K_q8_1PKvPK10block_q8_1RKiEEEvS2_S2_PT_PS6_iiii.private_seg_size, 0
	.set _ZL9moe_vec_qIfLi256ELi16E10block_q3_KLi1EXadL_ZL17vec_dot_q3_K_q8_1PKvPK10block_q8_1RKiEEEvS2_S2_PT_PS6_iiii.uses_vcc, 1
	.set _ZL9moe_vec_qIfLi256ELi16E10block_q3_KLi1EXadL_ZL17vec_dot_q3_K_q8_1PKvPK10block_q8_1RKiEEEvS2_S2_PT_PS6_iiii.uses_flat_scratch, 0
	.set _ZL9moe_vec_qIfLi256ELi16E10block_q3_KLi1EXadL_ZL17vec_dot_q3_K_q8_1PKvPK10block_q8_1RKiEEEvS2_S2_PT_PS6_iiii.has_dyn_sized_stack, 0
	.set _ZL9moe_vec_qIfLi256ELi16E10block_q3_KLi1EXadL_ZL17vec_dot_q3_K_q8_1PKvPK10block_q8_1RKiEEEvS2_S2_PT_PS6_iiii.has_recursion, 0
	.set _ZL9moe_vec_qIfLi256ELi16E10block_q3_KLi1EXadL_ZL17vec_dot_q3_K_q8_1PKvPK10block_q8_1RKiEEEvS2_S2_PT_PS6_iiii.has_indirect_call, 0
	.section	.AMDGPU.csdata,"",@progbits
; Kernel info:
; codeLenInByte = 2952
; TotalNumSgprs: 21
; NumVgprs: 85
; ScratchSize: 0
; MemoryBound: 0
; FloatMode: 240
; IeeeMode: 1
; LDSByteSize: 0 bytes/workgroup (compile time only)
; SGPRBlocks: 0
; VGPRBlocks: 10
; NumSGPRsForWavesPerEU: 21
; NumVGPRsForWavesPerEU: 85
; Occupancy: 16
; WaveLimiterHint : 1
; COMPUTE_PGM_RSRC2:SCRATCH_EN: 0
; COMPUTE_PGM_RSRC2:USER_SGPR: 2
; COMPUTE_PGM_RSRC2:TRAP_HANDLER: 0
; COMPUTE_PGM_RSRC2:TGID_X_EN: 1
; COMPUTE_PGM_RSRC2:TGID_Y_EN: 0
; COMPUTE_PGM_RSRC2:TGID_Z_EN: 1
; COMPUTE_PGM_RSRC2:TIDIG_COMP_CNT: 1
	.section	.text._ZL9moe_vec_qIfLi256ELi32E10block_q4_KLi2EXadL_ZL17vec_dot_q4_K_q8_1PKvPK10block_q8_1RKiEEEvS2_S2_PT_PS6_iiii,"axG",@progbits,_ZL9moe_vec_qIfLi256ELi32E10block_q4_KLi2EXadL_ZL17vec_dot_q4_K_q8_1PKvPK10block_q8_1RKiEEEvS2_S2_PT_PS6_iiii,comdat
	.globl	_ZL9moe_vec_qIfLi256ELi32E10block_q4_KLi2EXadL_ZL17vec_dot_q4_K_q8_1PKvPK10block_q8_1RKiEEEvS2_S2_PT_PS6_iiii ; -- Begin function _ZL9moe_vec_qIfLi256ELi32E10block_q4_KLi2EXadL_ZL17vec_dot_q4_K_q8_1PKvPK10block_q8_1RKiEEEvS2_S2_PT_PS6_iiii
	.p2align	8
	.type	_ZL9moe_vec_qIfLi256ELi32E10block_q4_KLi2EXadL_ZL17vec_dot_q4_K_q8_1PKvPK10block_q8_1RKiEEEvS2_S2_PT_PS6_iiii,@function
_ZL9moe_vec_qIfLi256ELi32E10block_q4_KLi2EXadL_ZL17vec_dot_q4_K_q8_1PKvPK10block_q8_1RKiEEEvS2_S2_PT_PS6_iiii: ; @_ZL9moe_vec_qIfLi256ELi32E10block_q4_KLi2EXadL_ZL17vec_dot_q4_K_q8_1PKvPK10block_q8_1RKiEEEvS2_S2_PT_PS6_iiii
; %bb.0:
	s_clause 0x1
	s_load_u16 s2, s[0:1], 0x3e
	s_load_b128 s[4:7], s[0:1], 0x20
	v_bfe_u32 v1, v0, 10, 10
	s_wait_kmcnt 0x0
	s_delay_alu instid0(VALU_DEP_1)
	v_mad_co_u64_u32 v[1:2], null, ttmp9, s2, v[1:2]
	s_mov_b32 s2, exec_lo
	v_cmpx_gt_u32_e64 s6, v1
	s_cbranch_execz .LBB244_11
; %bb.1:
	s_load_b64 s[8:9], s[0:1], 0x10
	s_ashr_i32 s2, s5, 31
	v_bfe_u32 v8, v0, 4, 6
	s_wait_alu 0xfffe
	s_lshr_b32 s2, s2, 24
	v_dual_mov_b32 v9, 0 :: v_dual_and_b32 v0, 0x3ff, v0
	s_wait_alu 0xfffe
	s_add_co_i32 s2, s5, s2
	s_lshr_b32 s10, ttmp7, 16
	s_wait_alu 0xfffe
	s_ashr_i32 s11, s2, 8
	s_mov_b32 s12, exec_lo
	v_cmpx_gt_u32_e64 s11, v8
	s_cbranch_execz .LBB244_9
; %bb.2:
	s_load_b64 s[2:3], s[0:1], 0x18
	s_cvt_f32_u32 s5, s4
	s_lshl_b32 s13, s10, 2
	s_sub_co_i32 s16, 0, s4
	s_mul_i32 s14, s11, s6
	v_rcp_iflag_f32_e32 v2, s5
	v_and_b32_e32 v4, 3, v0
	v_mul_lo_u32 v10, v1, s11
	v_lshlrev_b32_e32 v13, 3, v8
	v_mov_b32_e32 v9, 0
	s_delay_alu instid0(VALU_DEP_4) | instskip(SKIP_1) | instid1(TRANS32_DEP_1)
	v_lshlrev_b32_e32 v11, 2, v4
	v_lshlrev_b32_e32 v15, 2, v4
	v_readfirstlane_b32 s5, v2
	v_lshlrev_b32_e32 v2, 1, v0
	s_mul_f32 s5, s5, 0x4f7ffffe
	s_wait_kmcnt 0x0
	s_load_b32 s13, s[2:3], s13 offset:0x0
	s_load_b128 s[0:3], s[0:1], 0x0
	v_bfe_u32 v5, v2, 3, 2
	s_cvt_u32_f32 s15, s5
	s_mov_b32 s5, 0
	v_and_b32_e32 v3, 30, v2
	s_delay_alu instid0(SALU_CYCLE_1) | instskip(SKIP_2) | instid1(VALU_DEP_2)
	s_mul_i32 s16, s16, s15
	v_lshlrev_b32_e32 v2, 1, v5
	s_mul_hi_u32 s16, s15, s16
	v_cmp_lt_u32_e32 vcc_lo, 15, v3
	s_add_co_i32 s15, s15, s16
	v_lshlrev_b32_e32 v12, 5, v5
	s_mul_hi_u32 s16, s10, s15
	v_lshlrev_b32_e32 v14, 1, v5
	s_mul_i32 s15, s16, s4
	s_add_co_i32 s17, s16, 1
	s_sub_co_i32 s18, s10, s15
	s_wait_kmcnt 0x0
	s_mul_i32 s14, s14, s13
	s_sub_co_i32 s13, s18, s4
	s_ashr_i32 s15, s14, 31
	s_cmp_ge_u32 s18, s4
	s_mul_u64 s[14:15], s[14:15], 0x90
	s_cselect_b32 s16, s17, s16
	s_cselect_b32 s13, s13, s18
	s_add_co_i32 s17, s16, 1
	s_cmp_ge_u32 s13, s4
	s_cselect_b32 s4, s17, s16
	s_wait_alu 0xfffe
	s_mul_i32 s4, s4, s7
	s_wait_alu 0xfffe
	s_lshl_b64 s[16:17], s[4:5], 2
	s_delay_alu instid0(SALU_CYCLE_1)
	s_add_nc_u64 s[2:3], s[2:3], s[16:17]
	s_wait_alu 0xfffe
	v_mad_co_u64_u32 v[2:3], null, v2, 36, s[2:3]
	s_add_nc_u64 s[2:3], s[0:1], s[14:15]
	s_branch .LBB244_4
.LBB244_3:                              ;   in Loop: Header=BB244_4 Depth=1
	s_wait_alu 0xfffe
	s_or_b32 exec_lo, exec_lo, s0
	v_mad_co_i64_i32 v[6:7], null, v13, 36, v[2:3]
	s_wait_loadcnt 0x1
	v_and_b32_e32 v25, 0xf0f0f0f, v17
	s_wait_loadcnt 0x0
	v_and_b32_e32 v27, 0xf0f0f0f, v16
	v_lshrrev_b32_e32 v34, 4, v16
	v_bfe_u32 v28, v16, 24, 4
	v_bfe_u32 v36, v17, 4, 4
	v_lshrrev_b16 v25, 8, v25
	v_add_co_u32 v20, s0, v6, v15
	s_wait_alu 0xf1ff
	v_add_co_ci_u32_e64 v21, null, 0, v7, s0
	v_lshrrev_b16 v34, 8, v34
	v_lshrrev_b16 v27, 8, v27
	v_and_b32_e32 v25, 0xffff, v25
	s_clause 0x3
	global_load_b32 v22, v[20:21], off offset:4
	global_load_b32 v23, v[20:21], off offset:20
	;; [unrolled: 1-line block ×4, first 2 shown]
	global_load_b32 v4, v[4:5], off
	s_clause 0x1
	global_load_b32 v5, v[6:7], off
	global_load_b32 v6, v[6:7], off offset:36
	v_bfe_u32 v26, v17, 24, 4
	v_and_b32_e32 v31, 15, v16
	v_bfe_u32 v32, v16, 16, 4
	v_lshrrev_b32_e32 v35, 28, v16
	v_bfe_u32 v38, v16, 4, 4
	v_bfe_u32 v16, v16, 20, 4
	v_and_b32_e32 v34, 15, v34
	v_and_b32_e32 v27, 0xffff, v27
	v_lshrrev_b16 v7, 8, v19
	v_and_b32_e32 v29, 15, v17
	v_bfe_u32 v30, v17, 16, 4
	v_and_b32_e32 v19, 0xff, v19
	v_bfe_u32 v37, v17, 12, 4
	v_and_b32_e32 v34, 0xffff, v34
	v_lshrrev_b16 v21, 8, v18
	v_and_b32_e32 v18, 0xff, v18
	v_bfe_u32 v33, v17, 20, 4
	v_lshrrev_b32_e32 v17, 28, v17
	v_and_b32_e32 v19, 0xffff, v19
	v_and_b32_e32 v7, 0xffff, v7
	;; [unrolled: 1-line block ×4, first 2 shown]
	v_add_nc_u32_e32 v8, 2, v8
	v_add_nc_u32_e32 v13, 16, v13
	s_delay_alu instid0(VALU_DEP_2)
	v_cmp_le_u32_e64 s0, s11, v8
	s_or_b32 s5, s0, s5
	s_wait_loadcnt 0x6
	v_lshrrev_b16 v39, 8, v22
	v_bfe_i32 v43, v22, 0, 8
	s_wait_loadcnt 0x5
	v_lshrrev_b16 v40, 8, v23
	v_ashrrev_i32_e32 v42, 24, v22
	v_bfe_i32 v22, v22, 16, 8
	v_bfe_i32 v39, v39, 0, 8
	v_ashrrev_i32_e32 v44, 24, v23
	s_wait_loadcnt 0x3
	v_bfe_i32 v46, v20, 0, 8
	v_bfe_i32 v47, v20, 8, 8
	;; [unrolled: 1-line block ×3, first 2 shown]
	v_ashrrev_i32_e32 v20, 24, v20
	v_add_nc_u32_e32 v51, v39, v43
	v_lshrrev_b16 v41, 8, v24
	v_bfe_i32 v45, v23, 16, 8
	v_bfe_i32 v23, v23, 0, 8
	;; [unrolled: 1-line block ×3, first 2 shown]
	v_ashrrev_i32_e32 v50, 24, v24
	v_bfe_i32 v24, v24, 16, 8
	v_bfe_i32 v40, v40, 0, 8
	v_mul_i32_i24_e32 v28, v44, v28
	v_mul_i32_i24_e32 v36, v46, v36
	v_add_nc_u32_e32 v46, v46, v20
	v_mul_i32_i24_e32 v25, v39, v25
	v_add3_u32 v39, v51, v22, v42
	v_mul_i32_i24_e32 v31, v23, v31
	v_mul_i32_i24_e32 v32, v45, v32
	v_bfe_i32 v41, v41, 0, 8
	v_mul_i32_i24_e32 v16, v24, v16
	v_mul_i32_i24_e32 v35, v50, v35
	;; [unrolled: 1-line block ×3, first 2 shown]
	v_mad_i32_i24 v26, v42, v26, v28
	v_add3_u32 v28, v46, v47, v48
	v_add3_u32 v23, v39, v40, v23
	v_mul_i32_i24_e32 v37, v47, v37
	v_mad_i32_i24 v22, v22, v30, v32
	v_mad_i32_i24 v29, v43, v29, v31
	;; [unrolled: 1-line block ×4, first 2 shown]
	v_add3_u32 v25, v25, v27, v26
	v_add3_u32 v26, v28, v41, v49
	;; [unrolled: 1-line block ×3, first 2 shown]
	v_mul_i32_i24_e32 v33, v48, v33
	v_mad_i32_i24 v17, v20, v17, v37
	v_add3_u32 v16, v16, v30, v36
	v_add3_u32 v20, v29, v22, v25
	;; [unrolled: 1-line block ×3, first 2 shown]
	v_mul_lo_u32 v19, v23, v19
	s_delay_alu instid0(VALU_DEP_4) | instskip(NEXT) | instid1(VALU_DEP_4)
	v_add3_u32 v16, v16, v17, v33
	v_mul_lo_u32 v17, v20, v18
	s_delay_alu instid0(VALU_DEP_4) | instskip(NEXT) | instid1(VALU_DEP_3)
	v_mul_lo_u32 v7, v22, v7
	v_mul_lo_u32 v16, v16, v21
	v_cvt_f32_i32_e32 v18, v19
	s_wait_loadcnt 0x2
	v_lshrrev_b32_e32 v19, 16, v4
	v_cvt_f32_i32_e32 v17, v17
	v_cvt_f32_i32_e32 v7, v7
	s_wait_loadcnt 0x1
	v_fma_mix_f32 v18, v5, v18, 0 op_sel_hi:[1,0,0]
	v_cvt_f32_f16_e32 v19, v19
	v_cvt_f32_i32_e32 v16, v16
	v_fma_mix_f32 v5, v5, v17, 0 op_sel_hi:[1,0,0]
	s_wait_loadcnt 0x0
	v_fma_mix_f32 v7, v6, v7, v18 op_sel_hi:[1,0,0]
	s_delay_alu instid0(VALU_DEP_2) | instskip(NEXT) | instid1(VALU_DEP_2)
	v_fma_mix_f32 v5, v6, v16, v5 op_sel_hi:[1,0,0]
	v_mul_f32_e32 v6, v7, v19
	s_delay_alu instid0(VALU_DEP_1) | instskip(NEXT) | instid1(VALU_DEP_1)
	v_fma_mix_f32 v4, v5, v4, -v6 op_sel_hi:[0,1,0]
	v_add_f32_e32 v9, v9, v4
	s_wait_alu 0xfffe
	s_and_not1_b32 exec_lo, exec_lo, s5
	s_cbranch_execz .LBB244_8
.LBB244_4:                              ; =>This Inner Loop Header: Depth=1
	v_add_nc_u32_e32 v4, v10, v8
                                        ; implicit-def: $vgpr18
                                        ; implicit-def: $vgpr19
	s_wait_alu 0xfffe
	s_delay_alu instid0(VALU_DEP_1) | instskip(NEXT) | instid1(VALU_DEP_1)
	v_mad_co_i64_i32 v[4:5], null, 0x90, v4, s[2:3]
	v_add_co_u32 v6, s0, v4, v12
	s_wait_alu 0xf1ff
	s_delay_alu instid0(VALU_DEP_2) | instskip(NEXT) | instid1(VALU_DEP_2)
	v_add_co_ci_u32_e64 v7, null, 0, v5, s0
	v_add_co_u32 v6, s0, v6, v11
	s_wait_alu 0xf1ff
	s_delay_alu instid0(VALU_DEP_2)
	v_add_co_ci_u32_e64 v7, null, 0, v7, s0
	s_clause 0x1
	global_load_b32 v17, v[6:7], off offset:16
	global_load_b32 v16, v[6:7], off offset:32
	v_add_co_u32 v6, s0, v4, v14
	s_wait_alu 0xf1ff
	v_add_co_ci_u32_e64 v7, null, 0, v5, s0
	s_and_saveexec_b32 s0, vcc_lo
	s_wait_alu 0xfffe
	s_xor_b32 s0, exec_lo, s0
	s_cbranch_execz .LBB244_6
; %bb.5:                                ;   in Loop: Header=BB244_4 Depth=1
	s_clause 0x2
	global_load_u16 v18, v[6:7], off
	global_load_u16 v19, v[6:7], off offset:8
	global_load_u16 v6, v[6:7], off offset:4
	s_wait_loadcnt 0x2
	v_lshrrev_b16 v7, 2, v18
	s_wait_loadcnt 0x1
	v_lshrrev_b16 v18, 4, v19
	;; [unrolled: 2-line block ×3, first 2 shown]
	v_and_b32_e32 v19, 0xf0f, v19
	v_and_b32_e32 v7, 0x3030, v7
	;; [unrolled: 1-line block ×3, first 2 shown]
	s_delay_alu instid0(VALU_DEP_4) | instskip(NEXT) | instid1(VALU_DEP_3)
	v_and_b32_e32 v6, 0x3030, v6
	v_or_b32_e32 v18, v7, v19
	s_delay_alu instid0(VALU_DEP_2)
	v_or_b32_e32 v19, v6, v20
                                        ; implicit-def: $vgpr6_vgpr7
.LBB244_6:                              ;   in Loop: Header=BB244_4 Depth=1
	s_wait_alu 0xfffe
	s_and_not1_saveexec_b32 s0, s0
	s_cbranch_execz .LBB244_3
; %bb.7:                                ;   in Loop: Header=BB244_4 Depth=1
	s_clause 0x1
	global_load_u16 v18, v[6:7], off offset:4
	global_load_u16 v6, v[6:7], off offset:8
	s_wait_loadcnt 0x1
	v_and_b32_e32 v18, 0x3f3f, v18
	s_wait_loadcnt 0x0
	v_and_b32_e32 v19, 0x3f3f, v6
	s_branch .LBB244_3
.LBB244_8:
	s_or_b32 exec_lo, exec_lo, s5
.LBB244_9:
	s_delay_alu instid0(SALU_CYCLE_1) | instskip(SKIP_1) | instid1(VALU_DEP_1)
	s_or_b32 exec_lo, exec_lo, s12
	v_mbcnt_lo_u32_b32 v2, -1, 0
	v_xor_b32_e32 v3, 16, v2
	v_xor_b32_e32 v4, 8, v2
	;; [unrolled: 1-line block ×3, first 2 shown]
	s_delay_alu instid0(VALU_DEP_3) | instskip(SKIP_1) | instid1(VALU_DEP_4)
	v_cmp_gt_i32_e32 vcc_lo, 32, v3
	v_cndmask_b32_e32 v3, v2, v3, vcc_lo
	v_cmp_gt_i32_e32 vcc_lo, 32, v4
	s_wait_alu 0xfffd
	v_cndmask_b32_e32 v4, v2, v4, vcc_lo
	v_cmp_gt_i32_e32 vcc_lo, 32, v5
	s_delay_alu instid0(VALU_DEP_2)
	v_lshlrev_b32_e32 v4, 2, v4
	v_lshlrev_b32_e32 v3, 2, v3
	s_wait_alu 0xfffd
	v_cndmask_b32_e32 v5, v2, v5, vcc_lo
	ds_bpermute_b32 v3, v3, v9
	v_lshlrev_b32_e32 v5, 2, v5
	s_wait_dscnt 0x0
	v_add_f32_e32 v3, v9, v3
	ds_bpermute_b32 v4, v4, v3
	s_wait_dscnt 0x0
	v_add_f32_e32 v3, v3, v4
	ds_bpermute_b32 v4, v5, v3
	v_xor_b32_e32 v5, 2, v2
	s_delay_alu instid0(VALU_DEP_1) | instskip(SKIP_2) | instid1(VALU_DEP_1)
	v_cmp_gt_i32_e32 vcc_lo, 32, v5
	s_wait_alu 0xfffd
	v_cndmask_b32_e32 v5, v2, v5, vcc_lo
	v_lshlrev_b32_e32 v5, 2, v5
	s_wait_dscnt 0x0
	v_add_f32_e32 v3, v3, v4
	ds_bpermute_b32 v4, v5, v3
	v_xor_b32_e32 v5, 1, v2
	s_delay_alu instid0(VALU_DEP_1) | instskip(SKIP_4) | instid1(VALU_DEP_2)
	v_cmp_gt_i32_e32 vcc_lo, 32, v5
	s_wait_alu 0xfffd
	v_cndmask_b32_e32 v5, v2, v5, vcc_lo
	v_cmp_eq_u32_e32 vcc_lo, 0, v0
	s_wait_dscnt 0x0
	v_dual_add_f32 v2, v3, v4 :: v_dual_lshlrev_b32 v3, 2, v5
	ds_bpermute_b32 v3, v3, v2
	s_and_b32 exec_lo, exec_lo, vcc_lo
	s_cbranch_execz .LBB244_11
; %bb.10:
	v_mad_co_u64_u32 v[0:1], null, s6, s10, v[1:2]
	s_wait_dscnt 0x0
	v_dual_mov_b32 v1, 0 :: v_dual_add_f32 v2, v2, v3
	s_delay_alu instid0(VALU_DEP_1) | instskip(SKIP_1) | instid1(VALU_DEP_1)
	v_lshlrev_b64_e32 v[0:1], 2, v[0:1]
	s_wait_kmcnt 0x0
	v_add_co_u32 v0, vcc_lo, s8, v0
	s_wait_alu 0xfffd
	s_delay_alu instid0(VALU_DEP_2)
	v_add_co_ci_u32_e64 v1, null, s9, v1, vcc_lo
	global_store_b32 v[0:1], v2, off
.LBB244_11:
	s_endpgm
	.section	.rodata,"a",@progbits
	.p2align	6, 0x0
	.amdhsa_kernel _ZL9moe_vec_qIfLi256ELi32E10block_q4_KLi2EXadL_ZL17vec_dot_q4_K_q8_1PKvPK10block_q8_1RKiEEEvS2_S2_PT_PS6_iiii
		.amdhsa_group_segment_fixed_size 0
		.amdhsa_private_segment_fixed_size 0
		.amdhsa_kernarg_size 304
		.amdhsa_user_sgpr_count 2
		.amdhsa_user_sgpr_dispatch_ptr 0
		.amdhsa_user_sgpr_queue_ptr 0
		.amdhsa_user_sgpr_kernarg_segment_ptr 1
		.amdhsa_user_sgpr_dispatch_id 0
		.amdhsa_user_sgpr_private_segment_size 0
		.amdhsa_wavefront_size32 1
		.amdhsa_uses_dynamic_stack 0
		.amdhsa_enable_private_segment 0
		.amdhsa_system_sgpr_workgroup_id_x 1
		.amdhsa_system_sgpr_workgroup_id_y 0
		.amdhsa_system_sgpr_workgroup_id_z 1
		.amdhsa_system_sgpr_workgroup_info 0
		.amdhsa_system_vgpr_workitem_id 1
		.amdhsa_next_free_vgpr 52
		.amdhsa_next_free_sgpr 19
		.amdhsa_reserve_vcc 1
		.amdhsa_float_round_mode_32 0
		.amdhsa_float_round_mode_16_64 0
		.amdhsa_float_denorm_mode_32 3
		.amdhsa_float_denorm_mode_16_64 3
		.amdhsa_fp16_overflow 0
		.amdhsa_workgroup_processor_mode 1
		.amdhsa_memory_ordered 1
		.amdhsa_forward_progress 1
		.amdhsa_inst_pref_size 15
		.amdhsa_round_robin_scheduling 0
		.amdhsa_exception_fp_ieee_invalid_op 0
		.amdhsa_exception_fp_denorm_src 0
		.amdhsa_exception_fp_ieee_div_zero 0
		.amdhsa_exception_fp_ieee_overflow 0
		.amdhsa_exception_fp_ieee_underflow 0
		.amdhsa_exception_fp_ieee_inexact 0
		.amdhsa_exception_int_div_zero 0
	.end_amdhsa_kernel
	.section	.text._ZL9moe_vec_qIfLi256ELi32E10block_q4_KLi2EXadL_ZL17vec_dot_q4_K_q8_1PKvPK10block_q8_1RKiEEEvS2_S2_PT_PS6_iiii,"axG",@progbits,_ZL9moe_vec_qIfLi256ELi32E10block_q4_KLi2EXadL_ZL17vec_dot_q4_K_q8_1PKvPK10block_q8_1RKiEEEvS2_S2_PT_PS6_iiii,comdat
.Lfunc_end244:
	.size	_ZL9moe_vec_qIfLi256ELi32E10block_q4_KLi2EXadL_ZL17vec_dot_q4_K_q8_1PKvPK10block_q8_1RKiEEEvS2_S2_PT_PS6_iiii, .Lfunc_end244-_ZL9moe_vec_qIfLi256ELi32E10block_q4_KLi2EXadL_ZL17vec_dot_q4_K_q8_1PKvPK10block_q8_1RKiEEEvS2_S2_PT_PS6_iiii
                                        ; -- End function
	.set _ZL9moe_vec_qIfLi256ELi32E10block_q4_KLi2EXadL_ZL17vec_dot_q4_K_q8_1PKvPK10block_q8_1RKiEEEvS2_S2_PT_PS6_iiii.num_vgpr, 52
	.set _ZL9moe_vec_qIfLi256ELi32E10block_q4_KLi2EXadL_ZL17vec_dot_q4_K_q8_1PKvPK10block_q8_1RKiEEEvS2_S2_PT_PS6_iiii.num_agpr, 0
	.set _ZL9moe_vec_qIfLi256ELi32E10block_q4_KLi2EXadL_ZL17vec_dot_q4_K_q8_1PKvPK10block_q8_1RKiEEEvS2_S2_PT_PS6_iiii.numbered_sgpr, 19
	.set _ZL9moe_vec_qIfLi256ELi32E10block_q4_KLi2EXadL_ZL17vec_dot_q4_K_q8_1PKvPK10block_q8_1RKiEEEvS2_S2_PT_PS6_iiii.num_named_barrier, 0
	.set _ZL9moe_vec_qIfLi256ELi32E10block_q4_KLi2EXadL_ZL17vec_dot_q4_K_q8_1PKvPK10block_q8_1RKiEEEvS2_S2_PT_PS6_iiii.private_seg_size, 0
	.set _ZL9moe_vec_qIfLi256ELi32E10block_q4_KLi2EXadL_ZL17vec_dot_q4_K_q8_1PKvPK10block_q8_1RKiEEEvS2_S2_PT_PS6_iiii.uses_vcc, 1
	.set _ZL9moe_vec_qIfLi256ELi32E10block_q4_KLi2EXadL_ZL17vec_dot_q4_K_q8_1PKvPK10block_q8_1RKiEEEvS2_S2_PT_PS6_iiii.uses_flat_scratch, 0
	.set _ZL9moe_vec_qIfLi256ELi32E10block_q4_KLi2EXadL_ZL17vec_dot_q4_K_q8_1PKvPK10block_q8_1RKiEEEvS2_S2_PT_PS6_iiii.has_dyn_sized_stack, 0
	.set _ZL9moe_vec_qIfLi256ELi32E10block_q4_KLi2EXadL_ZL17vec_dot_q4_K_q8_1PKvPK10block_q8_1RKiEEEvS2_S2_PT_PS6_iiii.has_recursion, 0
	.set _ZL9moe_vec_qIfLi256ELi32E10block_q4_KLi2EXadL_ZL17vec_dot_q4_K_q8_1PKvPK10block_q8_1RKiEEEvS2_S2_PT_PS6_iiii.has_indirect_call, 0
	.section	.AMDGPU.csdata,"",@progbits
; Kernel info:
; codeLenInByte = 1860
; TotalNumSgprs: 21
; NumVgprs: 52
; ScratchSize: 0
; MemoryBound: 0
; FloatMode: 240
; IeeeMode: 1
; LDSByteSize: 0 bytes/workgroup (compile time only)
; SGPRBlocks: 0
; VGPRBlocks: 6
; NumSGPRsForWavesPerEU: 21
; NumVGPRsForWavesPerEU: 52
; Occupancy: 16
; WaveLimiterHint : 1
; COMPUTE_PGM_RSRC2:SCRATCH_EN: 0
; COMPUTE_PGM_RSRC2:USER_SGPR: 2
; COMPUTE_PGM_RSRC2:TRAP_HANDLER: 0
; COMPUTE_PGM_RSRC2:TGID_X_EN: 1
; COMPUTE_PGM_RSRC2:TGID_Y_EN: 0
; COMPUTE_PGM_RSRC2:TGID_Z_EN: 1
; COMPUTE_PGM_RSRC2:TIDIG_COMP_CNT: 1
	.section	.text._ZL9moe_vec_qIfLi256ELi32E10block_q5_KLi2EXadL_ZL17vec_dot_q5_K_q8_1PKvPK10block_q8_1RKiEEEvS2_S2_PT_PS6_iiii,"axG",@progbits,_ZL9moe_vec_qIfLi256ELi32E10block_q5_KLi2EXadL_ZL17vec_dot_q5_K_q8_1PKvPK10block_q8_1RKiEEEvS2_S2_PT_PS6_iiii,comdat
	.globl	_ZL9moe_vec_qIfLi256ELi32E10block_q5_KLi2EXadL_ZL17vec_dot_q5_K_q8_1PKvPK10block_q8_1RKiEEEvS2_S2_PT_PS6_iiii ; -- Begin function _ZL9moe_vec_qIfLi256ELi32E10block_q5_KLi2EXadL_ZL17vec_dot_q5_K_q8_1PKvPK10block_q8_1RKiEEEvS2_S2_PT_PS6_iiii
	.p2align	8
	.type	_ZL9moe_vec_qIfLi256ELi32E10block_q5_KLi2EXadL_ZL17vec_dot_q5_K_q8_1PKvPK10block_q8_1RKiEEEvS2_S2_PT_PS6_iiii,@function
_ZL9moe_vec_qIfLi256ELi32E10block_q5_KLi2EXadL_ZL17vec_dot_q5_K_q8_1PKvPK10block_q8_1RKiEEEvS2_S2_PT_PS6_iiii: ; @_ZL9moe_vec_qIfLi256ELi32E10block_q5_KLi2EXadL_ZL17vec_dot_q5_K_q8_1PKvPK10block_q8_1RKiEEEvS2_S2_PT_PS6_iiii
; %bb.0:
	s_clause 0x1
	s_load_u16 s2, s[0:1], 0x3e
	s_load_b128 s[4:7], s[0:1], 0x20
	v_bfe_u32 v1, v0, 10, 10
	s_wait_kmcnt 0x0
	s_delay_alu instid0(VALU_DEP_1)
	v_mad_co_u64_u32 v[1:2], null, ttmp9, s2, v[1:2]
	s_mov_b32 s2, exec_lo
	v_cmpx_gt_u32_e64 s6, v1
	s_cbranch_execz .LBB245_11
; %bb.1:
	s_load_b64 s[8:9], s[0:1], 0x10
	s_ashr_i32 s2, s5, 31
	v_bfe_u32 v8, v0, 4, 6
	s_wait_alu 0xfffe
	s_lshr_b32 s2, s2, 24
	v_dual_mov_b32 v9, 0 :: v_dual_and_b32 v0, 0x3ff, v0
	s_wait_alu 0xfffe
	s_add_co_i32 s2, s5, s2
	s_lshr_b32 s10, ttmp7, 16
	s_wait_alu 0xfffe
	s_ashr_i32 s11, s2, 8
	s_mov_b32 s12, exec_lo
	v_cmpx_gt_u32_e64 s11, v8
	s_cbranch_execz .LBB245_9
; %bb.2:
	s_load_b64 s[2:3], s[0:1], 0x18
	s_cvt_f32_u32 s5, s4
	s_lshl_b32 s13, s10, 2
	s_sub_co_i32 s16, 0, s4
	s_mul_i32 s14, s11, s6
	v_rcp_iflag_f32_e32 v2, s5
	v_and_b32_e32 v4, 3, v0
	v_mul_lo_u32 v10, v1, s11
	v_dual_mov_b32 v9, 0 :: v_dual_lshlrev_b32 v14, 3, v8
	s_delay_alu instid0(VALU_DEP_3) | instskip(SKIP_1) | instid1(TRANS32_DEP_1)
	v_lshlrev_b32_e32 v11, 2, v4
	v_lshlrev_b32_e32 v16, 2, v4
	v_readfirstlane_b32 s5, v2
	v_lshlrev_b32_e32 v2, 1, v0
	s_mul_f32 s5, s5, 0x4f7ffffe
	s_wait_kmcnt 0x0
	s_load_b32 s13, s[2:3], s13 offset:0x0
	s_load_b128 s[0:3], s[0:1], 0x0
	v_bfe_u32 v5, v2, 3, 2
	s_cvt_u32_f32 s15, s5
	s_mov_b32 s5, 0
	v_and_b32_e32 v3, 30, v2
	s_delay_alu instid0(SALU_CYCLE_1) | instskip(SKIP_2) | instid1(VALU_DEP_2)
	s_mul_i32 s16, s16, s15
	v_lshlrev_b32_e32 v13, 1, v5
	s_mul_hi_u32 s16, s15, s16
	v_cmp_lt_u32_e32 vcc_lo, 15, v3
	s_add_co_i32 s15, s15, s16
	v_lshlrev_b32_e32 v12, 5, v5
	s_mul_hi_u32 s16, s10, s15
	v_lshlrev_b32_e32 v15, 1, v5
	s_mul_i32 s15, s16, s4
	s_add_co_i32 s17, s16, 1
	s_sub_co_i32 s18, s10, s15
	s_wait_kmcnt 0x0
	s_mul_i32 s14, s14, s13
	s_sub_co_i32 s13, s18, s4
	s_ashr_i32 s15, s14, 31
	s_cmp_ge_u32 s18, s4
	s_mul_u64 s[14:15], s[14:15], 0xb0
	s_cselect_b32 s16, s17, s16
	s_cselect_b32 s13, s13, s18
	s_add_co_i32 s17, s16, 1
	s_cmp_ge_u32 s13, s4
	s_cselect_b32 s4, s17, s16
	s_wait_alu 0xfffe
	s_mul_i32 s4, s4, s7
	s_wait_alu 0xfffe
	s_lshl_b64 s[16:17], s[4:5], 2
	s_delay_alu instid0(SALU_CYCLE_1)
	s_add_nc_u64 s[2:3], s[2:3], s[16:17]
	s_wait_alu 0xfffe
	v_mad_co_u64_u32 v[2:3], null, v13, 36, s[2:3]
	s_add_nc_u64 s[2:3], s[0:1], s[14:15]
	s_branch .LBB245_4
.LBB245_3:                              ;   in Loop: Header=BB245_4 Depth=1
	s_wait_alu 0xfffe
	s_or_b32 exec_lo, exec_lo, s0
	v_mad_co_i64_i32 v[6:7], null, v14, 36, v[2:3]
	s_wait_loadcnt 0x0
	v_ashrrev_i32_e32 v22, v13, v22
	v_ashrrev_i32_e32 v21, v13, v21
	v_and_b32_e32 v29, 0xf0f0f0f, v17
	v_and_b32_e32 v28, 0xf0f0f0f, v18
	v_lshrrev_b32_e32 v18, 4, v18
	v_lshlrev_b32_e32 v31, 4, v22
	v_add_co_u32 v23, s0, v6, v16
	s_wait_alu 0xf1ff
	v_add_co_ci_u32_e64 v24, null, 0, v7, s0
	v_lshrrev_b32_e32 v17, 4, v17
	v_lshlrev_b32_e32 v30, 4, v21
	v_and_or_b32 v29, 0x10101010, v31, v29
	s_clause 0x3
	global_load_b32 v25, v[23:24], off offset:4
	global_load_b32 v26, v[23:24], off offset:20
	;; [unrolled: 1-line block ×4, first 2 shown]
	global_load_b32 v4, v[4:5], off
	s_clause 0x1
	global_load_b32 v5, v[6:7], off
	global_load_b32 v6, v[6:7], off offset:36
	v_and_b32_e32 v18, 0xf0f0f0f, v18
	v_and_b32_e32 v17, 0xf0f0f0f, v17
	v_lshlrev_b32_e32 v21, 3, v21
	v_lshlrev_b32_e32 v22, 3, v22
	v_and_or_b32 v28, 0x10101010, v30, v28
	v_bfe_u32 v32, v29, 16, 5
	v_lshrrev_b32_e32 v30, 24, v29
	v_and_or_b32 v18, 0x10101010, v21, v18
	v_and_or_b32 v17, 0x10101010, v22, v17
	v_lshrrev_b32_e32 v21, 24, v28
	v_lshrrev_b16 v22, 8, v28
	v_lshrrev_b16 v31, 8, v29
	v_and_b32_e32 v33, 31, v28
	v_bfe_u32 v28, v28, 16, 5
	v_and_b32_e32 v29, 31, v29
	v_lshrrev_b16 v35, 8, v18
	v_lshrrev_b32_e32 v36, 24, v17
	v_lshrrev_b16 v37, 8, v17
	v_and_b32_e32 v31, 0xffff, v31
	v_and_b32_e32 v22, 0xffff, v22
	v_lshrrev_b16 v7, 8, v20
	v_and_b32_e32 v20, 0xff, v20
	v_lshrrev_b32_e32 v34, 24, v18
	v_bfe_u32 v38, v17, 16, 5
	v_and_b32_e32 v17, 31, v17
	v_and_b32_e32 v37, 0xffff, v37
	;; [unrolled: 1-line block ×3, first 2 shown]
	v_lshrrev_b16 v24, 8, v19
	v_and_b32_e32 v19, 0xff, v19
	v_and_b32_e32 v20, 0xffff, v20
	;; [unrolled: 1-line block ×3, first 2 shown]
	v_bfe_u32 v18, v18, 16, 5
	v_and_b32_e32 v7, 0xffff, v7
	v_and_b32_e32 v19, 0xffff, v19
	v_add_nc_u32_e32 v8, 2, v8
	v_add_nc_u32_e32 v14, 16, v14
	s_delay_alu instid0(VALU_DEP_2)
	v_cmp_le_u32_e64 s0, s11, v8
	s_or_b32 s5, s0, s5
	s_wait_loadcnt 0x6
	v_lshrrev_b16 v40, 8, v25
	s_wait_loadcnt 0x5
	v_bfe_i32 v44, v26, 16, 8
	s_wait_loadcnt 0x4
	v_lshrrev_b16 v42, 8, v27
	v_bfe_i32 v46, v25, 0, 8
	v_lshrrev_b16 v41, 8, v26
	v_bfe_i32 v40, v40, 0, 8
	v_ashrrev_i32_e32 v43, 24, v26
	v_ashrrev_i32_e32 v45, 24, v25
	v_bfe_i32 v25, v25, 16, 8
	v_bfe_i32 v51, v27, 0, 8
	v_mul_i32_i24_e32 v32, v44, v32
	v_bfe_i32 v42, v42, 0, 8
	v_add_nc_u32_e32 v52, v46, v40
	v_bfe_i32 v26, v26, 0, 8
	s_wait_loadcnt 0x3
	v_ashrrev_i32_e32 v47, 24, v23
	v_ashrrev_i32_e32 v50, 24, v27
	v_bfe_i32 v27, v27, 16, 8
	v_bfe_i32 v41, v41, 0, 8
	v_mul_i32_i24_e32 v30, v43, v30
	v_mad_i32_i24 v28, v25, v28, v32
	v_add_nc_u32_e32 v32, v51, v42
	v_add3_u32 v25, v52, v25, v45
	v_bfe_i32 v48, v23, 16, 8
	v_bfe_i32 v49, v23, 8, 8
	;; [unrolled: 1-line block ×3, first 2 shown]
	v_mul_i32_i24_e32 v29, v26, v29
	v_mul_i32_i24_e32 v36, v47, v36
	;; [unrolled: 1-line block ×4, first 2 shown]
	v_mad_i32_i24 v21, v45, v21, v30
	v_add3_u32 v32, v32, v27, v50
	v_add3_u32 v25, v25, v26, v41
	v_mul_i32_i24_e32 v17, v23, v17
	v_mul_i32_i24_e32 v37, v49, v37
	;; [unrolled: 1-line block ×3, first 2 shown]
	v_mad_i32_i24 v29, v46, v33, v29
	v_mul_i32_i24_e32 v30, v42, v35
	v_mad_i32_i24 v26, v50, v34, v36
	v_add3_u32 v21, v22, v31, v21
	v_add3_u32 v22, v32, v47, v23
	;; [unrolled: 1-line block ×3, first 2 shown]
	v_mad_i32_i24 v18, v27, v18, v38
	v_mad_i32_i24 v17, v51, v39, v17
	v_add3_u32 v25, v30, v37, v26
	v_add3_u32 v21, v29, v28, v21
	;; [unrolled: 1-line block ×3, first 2 shown]
	v_mul_lo_u32 v20, v23, v20
	v_and_b32_e32 v23, 0xffff, v24
	v_add3_u32 v17, v17, v18, v25
	v_mul_lo_u32 v18, v21, v19
	v_mul_lo_u32 v7, v22, v7
	s_delay_alu instid0(VALU_DEP_3)
	v_mul_lo_u32 v17, v17, v23
	v_cvt_f32_i32_e32 v19, v20
	s_wait_loadcnt 0x2
	v_lshrrev_b32_e32 v20, 16, v4
	v_cvt_f32_i32_e32 v18, v18
	v_cvt_f32_i32_e32 v7, v7
	s_wait_loadcnt 0x1
	v_fma_mix_f32 v19, v5, v19, 0 op_sel_hi:[1,0,0]
	v_cvt_f32_f16_e32 v20, v20
	v_cvt_f32_i32_e32 v17, v17
	v_fma_mix_f32 v5, v5, v18, 0 op_sel_hi:[1,0,0]
	s_wait_loadcnt 0x0
	v_fma_mix_f32 v7, v6, v7, v19 op_sel_hi:[1,0,0]
	s_delay_alu instid0(VALU_DEP_2) | instskip(NEXT) | instid1(VALU_DEP_2)
	v_fma_mix_f32 v5, v6, v17, v5 op_sel_hi:[1,0,0]
	v_mul_f32_e32 v6, v7, v20
	s_delay_alu instid0(VALU_DEP_1) | instskip(NEXT) | instid1(VALU_DEP_1)
	v_fma_mix_f32 v4, v5, v4, -v6 op_sel_hi:[0,1,0]
	v_add_f32_e32 v9, v9, v4
	s_wait_alu 0xfffe
	s_and_not1_b32 exec_lo, exec_lo, s5
	s_cbranch_execz .LBB245_8
.LBB245_4:                              ; =>This Inner Loop Header: Depth=1
	v_add_nc_u32_e32 v4, v10, v8
	s_wait_alu 0xfffe
	s_delay_alu instid0(VALU_DEP_1) | instskip(NEXT) | instid1(VALU_DEP_1)
	v_mad_co_i64_i32 v[4:5], null, 0xb0, v4, s[2:3]
	v_add_co_u32 v6, s0, v4, v12
	s_wait_alu 0xf1ff
	s_delay_alu instid0(VALU_DEP_2) | instskip(NEXT) | instid1(VALU_DEP_2)
	v_add_co_ci_u32_e64 v7, null, 0, v5, s0
	v_add_co_u32 v6, s0, v6, v11
	s_wait_alu 0xf1ff
	s_delay_alu instid0(VALU_DEP_2)
	v_add_co_ci_u32_e64 v7, null, 0, v7, s0
	v_add_co_u32 v19, s0, v4, v11
	s_wait_alu 0xf1ff
	v_add_co_ci_u32_e64 v20, null, 0, v5, s0
	s_clause 0x3
	global_load_b32 v18, v[6:7], off offset:48
	global_load_b32 v17, v[6:7], off offset:64
	;; [unrolled: 1-line block ×4, first 2 shown]
	v_add_co_u32 v6, s0, v4, v15
	s_wait_alu 0xf1ff
	v_add_co_ci_u32_e64 v7, null, 0, v5, s0
                                        ; implicit-def: $vgpr19
                                        ; implicit-def: $vgpr20
	s_and_saveexec_b32 s0, vcc_lo
	s_wait_alu 0xfffe
	s_xor_b32 s0, exec_lo, s0
	s_cbranch_execz .LBB245_6
; %bb.5:                                ;   in Loop: Header=BB245_4 Depth=1
	s_clause 0x2
	global_load_u16 v19, v[6:7], off
	global_load_u16 v20, v[6:7], off offset:8
	global_load_u16 v6, v[6:7], off offset:4
	s_wait_loadcnt 0x2
	v_lshrrev_b16 v7, 2, v19
	s_wait_loadcnt 0x1
	v_lshrrev_b16 v19, 4, v20
	;; [unrolled: 2-line block ×3, first 2 shown]
	v_and_b32_e32 v20, 0xf0f, v20
	v_and_b32_e32 v7, 0x3030, v7
	v_and_b32_e32 v23, 0xf0f, v19
	s_delay_alu instid0(VALU_DEP_4) | instskip(NEXT) | instid1(VALU_DEP_3)
	v_and_b32_e32 v6, 0x3030, v6
	v_or_b32_e32 v19, v7, v20
	s_delay_alu instid0(VALU_DEP_2)
	v_or_b32_e32 v20, v6, v23
                                        ; implicit-def: $vgpr6_vgpr7
.LBB245_6:                              ;   in Loop: Header=BB245_4 Depth=1
	s_wait_alu 0xfffe
	s_and_not1_saveexec_b32 s0, s0
	s_cbranch_execz .LBB245_3
; %bb.7:                                ;   in Loop: Header=BB245_4 Depth=1
	s_clause 0x1
	global_load_u16 v19, v[6:7], off offset:4
	global_load_u16 v6, v[6:7], off offset:8
	s_wait_loadcnt 0x1
	v_and_b32_e32 v19, 0x3f3f, v19
	s_wait_loadcnt 0x0
	v_and_b32_e32 v20, 0x3f3f, v6
	s_branch .LBB245_3
.LBB245_8:
	s_or_b32 exec_lo, exec_lo, s5
.LBB245_9:
	s_delay_alu instid0(SALU_CYCLE_1) | instskip(SKIP_1) | instid1(VALU_DEP_1)
	s_or_b32 exec_lo, exec_lo, s12
	v_mbcnt_lo_u32_b32 v2, -1, 0
	v_xor_b32_e32 v3, 16, v2
	v_xor_b32_e32 v4, 8, v2
	;; [unrolled: 1-line block ×3, first 2 shown]
	s_delay_alu instid0(VALU_DEP_3) | instskip(SKIP_1) | instid1(VALU_DEP_4)
	v_cmp_gt_i32_e32 vcc_lo, 32, v3
	v_cndmask_b32_e32 v3, v2, v3, vcc_lo
	v_cmp_gt_i32_e32 vcc_lo, 32, v4
	s_wait_alu 0xfffd
	v_cndmask_b32_e32 v4, v2, v4, vcc_lo
	v_cmp_gt_i32_e32 vcc_lo, 32, v5
	s_delay_alu instid0(VALU_DEP_2)
	v_lshlrev_b32_e32 v4, 2, v4
	v_lshlrev_b32_e32 v3, 2, v3
	s_wait_alu 0xfffd
	v_cndmask_b32_e32 v5, v2, v5, vcc_lo
	ds_bpermute_b32 v3, v3, v9
	v_lshlrev_b32_e32 v5, 2, v5
	s_wait_dscnt 0x0
	v_add_f32_e32 v3, v9, v3
	ds_bpermute_b32 v4, v4, v3
	s_wait_dscnt 0x0
	v_add_f32_e32 v3, v3, v4
	ds_bpermute_b32 v4, v5, v3
	v_xor_b32_e32 v5, 2, v2
	s_delay_alu instid0(VALU_DEP_1) | instskip(SKIP_2) | instid1(VALU_DEP_1)
	v_cmp_gt_i32_e32 vcc_lo, 32, v5
	s_wait_alu 0xfffd
	v_cndmask_b32_e32 v5, v2, v5, vcc_lo
	v_lshlrev_b32_e32 v5, 2, v5
	s_wait_dscnt 0x0
	v_add_f32_e32 v3, v3, v4
	ds_bpermute_b32 v4, v5, v3
	v_xor_b32_e32 v5, 1, v2
	s_delay_alu instid0(VALU_DEP_1) | instskip(SKIP_4) | instid1(VALU_DEP_2)
	v_cmp_gt_i32_e32 vcc_lo, 32, v5
	s_wait_alu 0xfffd
	v_cndmask_b32_e32 v5, v2, v5, vcc_lo
	v_cmp_eq_u32_e32 vcc_lo, 0, v0
	s_wait_dscnt 0x0
	v_dual_add_f32 v2, v3, v4 :: v_dual_lshlrev_b32 v3, 2, v5
	ds_bpermute_b32 v3, v3, v2
	s_and_b32 exec_lo, exec_lo, vcc_lo
	s_cbranch_execz .LBB245_11
; %bb.10:
	v_mad_co_u64_u32 v[0:1], null, s6, s10, v[1:2]
	s_wait_dscnt 0x0
	v_dual_mov_b32 v1, 0 :: v_dual_add_f32 v2, v2, v3
	s_delay_alu instid0(VALU_DEP_1) | instskip(SKIP_1) | instid1(VALU_DEP_1)
	v_lshlrev_b64_e32 v[0:1], 2, v[0:1]
	s_wait_kmcnt 0x0
	v_add_co_u32 v0, vcc_lo, s8, v0
	s_wait_alu 0xfffd
	s_delay_alu instid0(VALU_DEP_2)
	v_add_co_ci_u32_e64 v1, null, s9, v1, vcc_lo
	global_store_b32 v[0:1], v2, off
.LBB245_11:
	s_endpgm
	.section	.rodata,"a",@progbits
	.p2align	6, 0x0
	.amdhsa_kernel _ZL9moe_vec_qIfLi256ELi32E10block_q5_KLi2EXadL_ZL17vec_dot_q5_K_q8_1PKvPK10block_q8_1RKiEEEvS2_S2_PT_PS6_iiii
		.amdhsa_group_segment_fixed_size 0
		.amdhsa_private_segment_fixed_size 0
		.amdhsa_kernarg_size 304
		.amdhsa_user_sgpr_count 2
		.amdhsa_user_sgpr_dispatch_ptr 0
		.amdhsa_user_sgpr_queue_ptr 0
		.amdhsa_user_sgpr_kernarg_segment_ptr 1
		.amdhsa_user_sgpr_dispatch_id 0
		.amdhsa_user_sgpr_private_segment_size 0
		.amdhsa_wavefront_size32 1
		.amdhsa_uses_dynamic_stack 0
		.amdhsa_enable_private_segment 0
		.amdhsa_system_sgpr_workgroup_id_x 1
		.amdhsa_system_sgpr_workgroup_id_y 0
		.amdhsa_system_sgpr_workgroup_id_z 1
		.amdhsa_system_sgpr_workgroup_info 0
		.amdhsa_system_vgpr_workitem_id 1
		.amdhsa_next_free_vgpr 53
		.amdhsa_next_free_sgpr 19
		.amdhsa_reserve_vcc 1
		.amdhsa_float_round_mode_32 0
		.amdhsa_float_round_mode_16_64 0
		.amdhsa_float_denorm_mode_32 3
		.amdhsa_float_denorm_mode_16_64 3
		.amdhsa_fp16_overflow 0
		.amdhsa_workgroup_processor_mode 1
		.amdhsa_memory_ordered 1
		.amdhsa_forward_progress 1
		.amdhsa_inst_pref_size 16
		.amdhsa_round_robin_scheduling 0
		.amdhsa_exception_fp_ieee_invalid_op 0
		.amdhsa_exception_fp_denorm_src 0
		.amdhsa_exception_fp_ieee_div_zero 0
		.amdhsa_exception_fp_ieee_overflow 0
		.amdhsa_exception_fp_ieee_underflow 0
		.amdhsa_exception_fp_ieee_inexact 0
		.amdhsa_exception_int_div_zero 0
	.end_amdhsa_kernel
	.section	.text._ZL9moe_vec_qIfLi256ELi32E10block_q5_KLi2EXadL_ZL17vec_dot_q5_K_q8_1PKvPK10block_q8_1RKiEEEvS2_S2_PT_PS6_iiii,"axG",@progbits,_ZL9moe_vec_qIfLi256ELi32E10block_q5_KLi2EXadL_ZL17vec_dot_q5_K_q8_1PKvPK10block_q8_1RKiEEEvS2_S2_PT_PS6_iiii,comdat
.Lfunc_end245:
	.size	_ZL9moe_vec_qIfLi256ELi32E10block_q5_KLi2EXadL_ZL17vec_dot_q5_K_q8_1PKvPK10block_q8_1RKiEEEvS2_S2_PT_PS6_iiii, .Lfunc_end245-_ZL9moe_vec_qIfLi256ELi32E10block_q5_KLi2EXadL_ZL17vec_dot_q5_K_q8_1PKvPK10block_q8_1RKiEEEvS2_S2_PT_PS6_iiii
                                        ; -- End function
	.set _ZL9moe_vec_qIfLi256ELi32E10block_q5_KLi2EXadL_ZL17vec_dot_q5_K_q8_1PKvPK10block_q8_1RKiEEEvS2_S2_PT_PS6_iiii.num_vgpr, 53
	.set _ZL9moe_vec_qIfLi256ELi32E10block_q5_KLi2EXadL_ZL17vec_dot_q5_K_q8_1PKvPK10block_q8_1RKiEEEvS2_S2_PT_PS6_iiii.num_agpr, 0
	.set _ZL9moe_vec_qIfLi256ELi32E10block_q5_KLi2EXadL_ZL17vec_dot_q5_K_q8_1PKvPK10block_q8_1RKiEEEvS2_S2_PT_PS6_iiii.numbered_sgpr, 19
	.set _ZL9moe_vec_qIfLi256ELi32E10block_q5_KLi2EXadL_ZL17vec_dot_q5_K_q8_1PKvPK10block_q8_1RKiEEEvS2_S2_PT_PS6_iiii.num_named_barrier, 0
	.set _ZL9moe_vec_qIfLi256ELi32E10block_q5_KLi2EXadL_ZL17vec_dot_q5_K_q8_1PKvPK10block_q8_1RKiEEEvS2_S2_PT_PS6_iiii.private_seg_size, 0
	.set _ZL9moe_vec_qIfLi256ELi32E10block_q5_KLi2EXadL_ZL17vec_dot_q5_K_q8_1PKvPK10block_q8_1RKiEEEvS2_S2_PT_PS6_iiii.uses_vcc, 1
	.set _ZL9moe_vec_qIfLi256ELi32E10block_q5_KLi2EXadL_ZL17vec_dot_q5_K_q8_1PKvPK10block_q8_1RKiEEEvS2_S2_PT_PS6_iiii.uses_flat_scratch, 0
	.set _ZL9moe_vec_qIfLi256ELi32E10block_q5_KLi2EXadL_ZL17vec_dot_q5_K_q8_1PKvPK10block_q8_1RKiEEEvS2_S2_PT_PS6_iiii.has_dyn_sized_stack, 0
	.set _ZL9moe_vec_qIfLi256ELi32E10block_q5_KLi2EXadL_ZL17vec_dot_q5_K_q8_1PKvPK10block_q8_1RKiEEEvS2_S2_PT_PS6_iiii.has_recursion, 0
	.set _ZL9moe_vec_qIfLi256ELi32E10block_q5_KLi2EXadL_ZL17vec_dot_q5_K_q8_1PKvPK10block_q8_1RKiEEEvS2_S2_PT_PS6_iiii.has_indirect_call, 0
	.section	.AMDGPU.csdata,"",@progbits
; Kernel info:
; codeLenInByte = 1980
; TotalNumSgprs: 21
; NumVgprs: 53
; ScratchSize: 0
; MemoryBound: 0
; FloatMode: 240
; IeeeMode: 1
; LDSByteSize: 0 bytes/workgroup (compile time only)
; SGPRBlocks: 0
; VGPRBlocks: 6
; NumSGPRsForWavesPerEU: 21
; NumVGPRsForWavesPerEU: 53
; Occupancy: 16
; WaveLimiterHint : 1
; COMPUTE_PGM_RSRC2:SCRATCH_EN: 0
; COMPUTE_PGM_RSRC2:USER_SGPR: 2
; COMPUTE_PGM_RSRC2:TRAP_HANDLER: 0
; COMPUTE_PGM_RSRC2:TGID_X_EN: 1
; COMPUTE_PGM_RSRC2:TGID_Y_EN: 0
; COMPUTE_PGM_RSRC2:TGID_Z_EN: 1
; COMPUTE_PGM_RSRC2:TIDIG_COMP_CNT: 1
	.section	.text._ZL9moe_vec_qIfLi256ELi32E10block_q6_KLi1EXadL_ZL17vec_dot_q6_K_q8_1PKvPK10block_q8_1RKiEEEvS2_S2_PT_PS6_iiii,"axG",@progbits,_ZL9moe_vec_qIfLi256ELi32E10block_q6_KLi1EXadL_ZL17vec_dot_q6_K_q8_1PKvPK10block_q8_1RKiEEEvS2_S2_PT_PS6_iiii,comdat
	.globl	_ZL9moe_vec_qIfLi256ELi32E10block_q6_KLi1EXadL_ZL17vec_dot_q6_K_q8_1PKvPK10block_q8_1RKiEEEvS2_S2_PT_PS6_iiii ; -- Begin function _ZL9moe_vec_qIfLi256ELi32E10block_q6_KLi1EXadL_ZL17vec_dot_q6_K_q8_1PKvPK10block_q8_1RKiEEEvS2_S2_PT_PS6_iiii
	.p2align	8
	.type	_ZL9moe_vec_qIfLi256ELi32E10block_q6_KLi1EXadL_ZL17vec_dot_q6_K_q8_1PKvPK10block_q8_1RKiEEEvS2_S2_PT_PS6_iiii,@function
_ZL9moe_vec_qIfLi256ELi32E10block_q6_KLi1EXadL_ZL17vec_dot_q6_K_q8_1PKvPK10block_q8_1RKiEEEvS2_S2_PT_PS6_iiii: ; @_ZL9moe_vec_qIfLi256ELi32E10block_q6_KLi1EXadL_ZL17vec_dot_q6_K_q8_1PKvPK10block_q8_1RKiEEEvS2_S2_PT_PS6_iiii
; %bb.0:
	s_clause 0x1
	s_load_u16 s2, s[0:1], 0x3e
	s_load_b128 s[4:7], s[0:1], 0x20
	v_bfe_u32 v1, v0, 10, 10
	s_wait_kmcnt 0x0
	s_delay_alu instid0(VALU_DEP_1)
	v_mad_co_u64_u32 v[1:2], null, ttmp9, s2, v[1:2]
	s_mov_b32 s2, exec_lo
	v_cmpx_gt_u32_e64 s6, v1
	s_cbranch_execz .LBB246_7
; %bb.1:
	s_load_b64 s[2:3], s[0:1], 0x10
	s_ashr_i32 s8, s5, 31
	v_bfe_u32 v4, v0, 5, 5
	s_lshr_b32 s8, s8, 24
	v_dual_mov_b32 v7, 0 :: v_dual_and_b32 v0, 0x3ff, v0
	s_add_co_i32 s5, s5, s8
	s_lshr_b32 s12, ttmp7, 16
	s_ashr_i32 s13, s5, 8
	s_mov_b32 s14, exec_lo
	v_cmpx_gt_u32_e64 s13, v4
	s_cbranch_execz .LBB246_5
; %bb.2:
	s_load_b64 s[8:9], s[0:1], 0x18
	s_cvt_f32_u32 s5, s4
	s_lshl_b32 s10, s12, 2
	s_sub_co_i32 s16, 0, s4
	v_and_b32_e32 v9, 7, v0
	v_rcp_iflag_f32_e32 v2, s5
	v_mul_lo_u32 v5, v1, s13
	v_mov_b32_e32 v7, 0
	s_delay_alu instid0(TRANS32_DEP_1)
	v_readfirstlane_b32 s5, v2
	v_and_b32_e32 v2, 31, v0
	s_mul_f32 s5, s5, 0x4f7ffffe
	s_wait_kmcnt 0x0
	s_load_b32 s15, s[8:9], s10 offset:0x0
	s_load_b128 s[8:11], s[0:1], 0x0
	s_mul_i32 s0, s13, s6
	s_cvt_u32_f32 s5, s5
	v_add_nc_u32_e32 v3, 0xf0, v2
	v_cmp_lt_u32_e32 vcc_lo, 15, v2
	s_mov_b32 s1, 0
	s_wait_alu 0xfffe
	s_mul_i32 s16, s16, s5
	v_lshlrev_b32_e32 v6, 2, v2
	s_mul_hi_u32 s16, s5, s16
	v_cndmask_b32_e64 v11, 0, 8, vcc_lo
	s_add_co_i32 s5, s5, s16
	s_wait_alu 0xfffe
	s_mul_hi_u32 s5, s12, s5
	s_wait_alu 0xfffe
	s_mul_i32 s16, s5, s4
	s_add_co_i32 s18, s5, 1
	s_sub_co_i32 s19, s12, s16
	v_or_b32_e32 v12, v11, v9
	v_lshlrev_b32_e32 v9, 2, v9
	s_wait_kmcnt 0x0
	s_mul_i32 s16, s0, s15
	v_cmp_gt_u32_e64 s0, 16, v2
	s_sub_co_i32 s15, s19, s4
	s_ashr_i32 s17, s16, 31
	s_cmp_ge_u32 s19, s4
	s_mul_u64 s[16:17], s[16:17], 0xd2
	v_cndmask_b32_e64 v10, v3, v2, s0
	s_cselect_b32 s0, s18, s5
	s_cselect_b32 s5, s15, s19
	s_wait_alu 0xfffe
	s_add_co_i32 s15, s0, 1
	s_cmp_ge_u32 s5, s4
	v_and_b32_e32 v8, 0xf8, v10
	s_cselect_b32 s0, s15, s0
	v_cndmask_b32_e64 v2, 0, 4, vcc_lo
	s_wait_alu 0xfffe
	s_mul_i32 s0, s0, s7
	s_wait_alu 0xfffe
	s_lshl_b64 s[4:5], s[0:1], 2
	v_cmp_ne_u32_e32 vcc_lo, 0, v8
	s_wait_alu 0xfffe
	s_add_nc_u64 s[4:5], s[10:11], s[4:5]
	v_lshlrev_b32_e32 v8, 2, v12
	s_wait_alu 0xfffe
	v_mad_co_u64_u32 v[2:3], null, v2, 36, s[4:5]
	s_wait_alu 0xfffd
	v_cndmask_b32_e64 v13, 0, 1, vcc_lo
	v_bfe_u32 v12, v10, 2, 6
	v_cndmask_b32_e64 v10, 0, 2, vcc_lo
	s_add_nc_u64 s[4:5], s[8:9], s[16:17]
	s_delay_alu instid0(VALU_DEP_3) | instskip(NEXT) | instid1(VALU_DEP_3)
	v_mad_co_u64_u32 v[2:3], null, v13, 36, v[2:3]
	v_add_nc_u32_e32 v11, v12, v11
	v_lshlrev_b32_e32 v12, 3, v4
.LBB246_3:                              ; =>This Inner Loop Header: Depth=1
	v_add_nc_u32_e32 v15, v5, v4
	s_delay_alu instid0(VALU_DEP_2) | instskip(SKIP_4) | instid1(VALU_DEP_4)
	v_mad_co_i64_i32 v[13:14], null, v12, 36, v[2:3]
	v_add_nc_u32_e32 v4, 1, v4
	v_add_nc_u32_e32 v12, 8, v12
	s_wait_alu 0xfffe
	v_mad_co_i64_i32 v[15:16], null, 0xd2, v15, s[4:5]
	v_add_co_u32 v17, vcc_lo, v13, v9
	s_wait_alu 0xfffd
	v_add_co_ci_u32_e64 v18, null, 0, v14, vcc_lo
	s_delay_alu instid0(VALU_DEP_3) | instskip(SKIP_1) | instid1(VALU_DEP_4)
	v_add_co_u32 v19, vcc_lo, v15, v6
	s_wait_alu 0xfffd
	v_add_co_ci_u32_e64 v20, null, 0, v16, vcc_lo
	v_add_co_u32 v21, vcc_lo, v15, v8
	s_wait_alu 0xfffd
	v_add_co_ci_u32_e64 v22, null, 0, v16, vcc_lo
	global_load_b32 v23, v[17:18], off offset:4
	s_clause 0x1
	global_load_b32 v19, v[19:20], off
	global_load_b32 v20, v[21:22], off offset:128
	global_load_b32 v21, v[17:18], off offset:76
	v_add_co_u32 v17, vcc_lo, v15, v11
	s_wait_alu 0xfffd
	v_add_co_ci_u32_e64 v18, null, 0, v16, vcc_lo
	s_clause 0x1
	global_load_i8 v22, v[17:18], off offset:192
	global_load_i8 v17, v[17:18], off offset:196
	s_clause 0x1
	global_load_b32 v18, v[13:14], off
	global_load_b32 v13, v[13:14], off offset:72
	global_load_u16 v14, v[15:16], off offset:208
	v_cmp_le_u32_e32 vcc_lo, s13, v4
	s_or_b32 s1, vcc_lo, s1
	s_wait_loadcnt 0x8
	v_lshrrev_b16 v15, 8, v23
	s_wait_loadcnt 0x7
	v_and_b32_e32 v28, 0xf0f0f0f, v19
	s_wait_loadcnt 0x6
	v_ashrrev_i32_e32 v20, v10, v20
	v_lshrrev_b32_e32 v19, 4, v19
	v_ashrrev_i32_e32 v16, 24, v23
	v_bfe_i32 v24, v23, 16, 8
	v_bfe_i32 v23, v23, 0, 8
	v_lshlrev_b32_e32 v29, 4, v20
	v_and_b32_e32 v19, 0xf0f0f0f, v19
	s_wait_loadcnt 0x5
	v_bfe_i32 v25, v21, 0, 8
	v_bfe_i32 v15, v15, 0, 8
	v_bfe_i32 v26, v21, 8, 8
	v_and_or_b32 v28, 0x30303030, v29, v28
	v_and_or_b32 v19, 0x30303030, v20, v19
	v_bfe_i32 v27, v21, 16, 8
	v_ashrrev_i32_e32 v21, 24, v21
	s_delay_alu instid0(VALU_DEP_4) | instskip(NEXT) | instid1(VALU_DEP_4)
	v_lshrrev_b32_e32 v20, 16, v28
	v_lshrrev_b32_e32 v30, 16, v19
	v_and_b32_e32 v31, 0x3f00, v19
	v_lshlrev_b16 v19, 8, v19
	v_lshlrev_b16 v29, 8, v28
	;; [unrolled: 1-line block ×3, first 2 shown]
	v_and_b32_e32 v20, 0x3f00, v20
	v_and_b32_e32 v33, 0x3f00, v30
	v_lshlrev_b16 v30, 8, v30
	v_add_nc_u16 v19, 0xe000, v19
	v_and_b32_e32 v28, 0x3f00, v28
	v_add_nc_u16 v29, 0xe000, v29
	v_add_nc_u16 v20, 0xe000, v20
	;; [unrolled: 1-line block ×3, first 2 shown]
	v_lshrrev_b16 v19, 8, v19
	v_add_nc_u16 v28, 0xe000, v28
	v_ashrrev_i16 v29, 8, v29
	v_add_nc_u16 v32, 0xe000, v32
	v_ashrrev_i16 v20, 8, v20
	v_lshrrev_b16 v30, 8, v30
	v_or_b32_e32 v19, v31, v19
	v_ashrrev_i16 v28, 8, v28
	v_ashrrev_i16 v32, 8, v32
	v_bfe_i32 v29, v29, 0, 16
	v_bfe_i32 v20, v20, 0, 16
	v_or_b32_e32 v30, v33, v30
	v_add_nc_u16 v19, 0xe000, v19
	v_bfe_i32 v28, v28, 0, 16
	v_bfe_i32 v31, v32, 0, 16
	v_mul_i32_i24_e32 v23, v29, v23
	v_mul_i32_i24_e32 v16, v20, v16
	v_add_nc_u16 v20, 0xe000, v30
	v_bfe_i32 v29, v19, 0, 8
	v_mul_i32_i24_e32 v24, v31, v24
	v_bfe_i32 v19, v19, 8, 8
	v_mad_i32_i24 v15, v28, v15, v16
	v_bfe_i32 v16, v20, 0, 8
	v_bfe_i32 v20, v20, 8, 8
	v_mul_i32_i24_e32 v25, v25, v29
	s_delay_alu instid0(VALU_DEP_4) | instskip(NEXT) | instid1(VALU_DEP_4)
	v_add3_u32 v15, v23, v24, v15
	v_mul_i32_i24_e32 v16, v27, v16
	s_delay_alu instid0(VALU_DEP_4) | instskip(NEXT) | instid1(VALU_DEP_4)
	v_mul_i32_i24_e32 v20, v21, v20
	v_mad_i32_i24 v19, v26, v19, v25
	s_wait_loadcnt 0x4
	v_mul_lo_u32 v15, v15, v22
	s_delay_alu instid0(VALU_DEP_2) | instskip(SKIP_1) | instid1(VALU_DEP_1)
	v_add3_u32 v16, v19, v16, v20
	s_wait_loadcnt 0x3
	v_mul_lo_u32 v16, v16, v17
	s_delay_alu instid0(VALU_DEP_3) | instskip(SKIP_1) | instid1(VALU_DEP_1)
	v_cvt_f32_i32_e32 v15, v15
	s_wait_loadcnt 0x2
	v_fma_mix_f32 v15, v18, v15, 0 op_sel_hi:[1,0,0]
	s_delay_alu instid0(VALU_DEP_3) | instskip(SKIP_1) | instid1(VALU_DEP_1)
	v_cvt_f32_i32_e32 v16, v16
	s_wait_loadcnt 0x1
	v_fma_mix_f32 v13, v13, v16, v15 op_sel_hi:[1,0,0]
	s_wait_loadcnt 0x0
	s_delay_alu instid0(VALU_DEP_1)
	v_fma_mix_f32 v7, v13, v14, v7 op_sel_hi:[0,1,0]
	s_wait_alu 0xfffe
	s_and_not1_b32 exec_lo, exec_lo, s1
	s_cbranch_execnz .LBB246_3
; %bb.4:
	s_or_b32 exec_lo, exec_lo, s1
.LBB246_5:
	s_delay_alu instid0(SALU_CYCLE_1) | instskip(SKIP_1) | instid1(VALU_DEP_1)
	s_or_b32 exec_lo, exec_lo, s14
	v_mbcnt_lo_u32_b32 v2, -1, 0
	v_xor_b32_e32 v3, 16, v2
	v_xor_b32_e32 v4, 8, v2
	;; [unrolled: 1-line block ×3, first 2 shown]
	s_delay_alu instid0(VALU_DEP_3)
	v_cmp_gt_i32_e32 vcc_lo, 32, v3
	s_wait_alu 0xfffd
	v_cndmask_b32_e32 v3, v2, v3, vcc_lo
	v_cmp_gt_i32_e32 vcc_lo, 32, v4
	s_wait_alu 0xfffd
	v_cndmask_b32_e32 v4, v2, v4, vcc_lo
	v_cmp_gt_i32_e32 vcc_lo, 32, v5
	s_delay_alu instid0(VALU_DEP_2)
	v_lshlrev_b32_e32 v4, 2, v4
	v_lshlrev_b32_e32 v3, 2, v3
	s_wait_alu 0xfffd
	v_cndmask_b32_e32 v5, v2, v5, vcc_lo
	ds_bpermute_b32 v3, v3, v7
	v_lshlrev_b32_e32 v5, 2, v5
	s_wait_dscnt 0x0
	v_add_f32_e32 v3, v7, v3
	ds_bpermute_b32 v4, v4, v3
	s_wait_dscnt 0x0
	v_add_f32_e32 v3, v3, v4
	ds_bpermute_b32 v4, v5, v3
	v_xor_b32_e32 v5, 2, v2
	s_delay_alu instid0(VALU_DEP_1) | instskip(SKIP_2) | instid1(VALU_DEP_1)
	v_cmp_gt_i32_e32 vcc_lo, 32, v5
	s_wait_alu 0xfffd
	v_cndmask_b32_e32 v5, v2, v5, vcc_lo
	v_lshlrev_b32_e32 v5, 2, v5
	s_wait_dscnt 0x0
	v_add_f32_e32 v3, v3, v4
	ds_bpermute_b32 v4, v5, v3
	v_xor_b32_e32 v5, 1, v2
	s_delay_alu instid0(VALU_DEP_1) | instskip(SKIP_4) | instid1(VALU_DEP_2)
	v_cmp_gt_i32_e32 vcc_lo, 32, v5
	s_wait_alu 0xfffd
	v_cndmask_b32_e32 v5, v2, v5, vcc_lo
	v_cmp_eq_u32_e32 vcc_lo, 0, v0
	s_wait_dscnt 0x0
	v_dual_add_f32 v2, v3, v4 :: v_dual_lshlrev_b32 v3, 2, v5
	ds_bpermute_b32 v3, v3, v2
	s_and_b32 exec_lo, exec_lo, vcc_lo
	s_cbranch_execz .LBB246_7
; %bb.6:
	v_mad_co_u64_u32 v[0:1], null, s6, s12, v[1:2]
	s_wait_dscnt 0x0
	v_dual_mov_b32 v1, 0 :: v_dual_add_f32 v2, v2, v3
	s_delay_alu instid0(VALU_DEP_1) | instskip(SKIP_1) | instid1(VALU_DEP_1)
	v_lshlrev_b64_e32 v[0:1], 2, v[0:1]
	s_wait_kmcnt 0x0
	v_add_co_u32 v0, vcc_lo, s2, v0
	s_wait_alu 0xfffd
	s_delay_alu instid0(VALU_DEP_2)
	v_add_co_ci_u32_e64 v1, null, s3, v1, vcc_lo
	global_store_b32 v[0:1], v2, off
.LBB246_7:
	s_endpgm
	.section	.rodata,"a",@progbits
	.p2align	6, 0x0
	.amdhsa_kernel _ZL9moe_vec_qIfLi256ELi32E10block_q6_KLi1EXadL_ZL17vec_dot_q6_K_q8_1PKvPK10block_q8_1RKiEEEvS2_S2_PT_PS6_iiii
		.amdhsa_group_segment_fixed_size 0
		.amdhsa_private_segment_fixed_size 0
		.amdhsa_kernarg_size 304
		.amdhsa_user_sgpr_count 2
		.amdhsa_user_sgpr_dispatch_ptr 0
		.amdhsa_user_sgpr_queue_ptr 0
		.amdhsa_user_sgpr_kernarg_segment_ptr 1
		.amdhsa_user_sgpr_dispatch_id 0
		.amdhsa_user_sgpr_private_segment_size 0
		.amdhsa_wavefront_size32 1
		.amdhsa_uses_dynamic_stack 0
		.amdhsa_enable_private_segment 0
		.amdhsa_system_sgpr_workgroup_id_x 1
		.amdhsa_system_sgpr_workgroup_id_y 0
		.amdhsa_system_sgpr_workgroup_id_z 1
		.amdhsa_system_sgpr_workgroup_info 0
		.amdhsa_system_vgpr_workitem_id 1
		.amdhsa_next_free_vgpr 34
		.amdhsa_next_free_sgpr 20
		.amdhsa_reserve_vcc 1
		.amdhsa_float_round_mode_32 0
		.amdhsa_float_round_mode_16_64 0
		.amdhsa_float_denorm_mode_32 3
		.amdhsa_float_denorm_mode_16_64 3
		.amdhsa_fp16_overflow 0
		.amdhsa_workgroup_processor_mode 1
		.amdhsa_memory_ordered 1
		.amdhsa_forward_progress 1
		.amdhsa_inst_pref_size 13
		.amdhsa_round_robin_scheduling 0
		.amdhsa_exception_fp_ieee_invalid_op 0
		.amdhsa_exception_fp_denorm_src 0
		.amdhsa_exception_fp_ieee_div_zero 0
		.amdhsa_exception_fp_ieee_overflow 0
		.amdhsa_exception_fp_ieee_underflow 0
		.amdhsa_exception_fp_ieee_inexact 0
		.amdhsa_exception_int_div_zero 0
	.end_amdhsa_kernel
	.section	.text._ZL9moe_vec_qIfLi256ELi32E10block_q6_KLi1EXadL_ZL17vec_dot_q6_K_q8_1PKvPK10block_q8_1RKiEEEvS2_S2_PT_PS6_iiii,"axG",@progbits,_ZL9moe_vec_qIfLi256ELi32E10block_q6_KLi1EXadL_ZL17vec_dot_q6_K_q8_1PKvPK10block_q8_1RKiEEEvS2_S2_PT_PS6_iiii,comdat
.Lfunc_end246:
	.size	_ZL9moe_vec_qIfLi256ELi32E10block_q6_KLi1EXadL_ZL17vec_dot_q6_K_q8_1PKvPK10block_q8_1RKiEEEvS2_S2_PT_PS6_iiii, .Lfunc_end246-_ZL9moe_vec_qIfLi256ELi32E10block_q6_KLi1EXadL_ZL17vec_dot_q6_K_q8_1PKvPK10block_q8_1RKiEEEvS2_S2_PT_PS6_iiii
                                        ; -- End function
	.set _ZL9moe_vec_qIfLi256ELi32E10block_q6_KLi1EXadL_ZL17vec_dot_q6_K_q8_1PKvPK10block_q8_1RKiEEEvS2_S2_PT_PS6_iiii.num_vgpr, 34
	.set _ZL9moe_vec_qIfLi256ELi32E10block_q6_KLi1EXadL_ZL17vec_dot_q6_K_q8_1PKvPK10block_q8_1RKiEEEvS2_S2_PT_PS6_iiii.num_agpr, 0
	.set _ZL9moe_vec_qIfLi256ELi32E10block_q6_KLi1EXadL_ZL17vec_dot_q6_K_q8_1PKvPK10block_q8_1RKiEEEvS2_S2_PT_PS6_iiii.numbered_sgpr, 20
	.set _ZL9moe_vec_qIfLi256ELi32E10block_q6_KLi1EXadL_ZL17vec_dot_q6_K_q8_1PKvPK10block_q8_1RKiEEEvS2_S2_PT_PS6_iiii.num_named_barrier, 0
	.set _ZL9moe_vec_qIfLi256ELi32E10block_q6_KLi1EXadL_ZL17vec_dot_q6_K_q8_1PKvPK10block_q8_1RKiEEEvS2_S2_PT_PS6_iiii.private_seg_size, 0
	.set _ZL9moe_vec_qIfLi256ELi32E10block_q6_KLi1EXadL_ZL17vec_dot_q6_K_q8_1PKvPK10block_q8_1RKiEEEvS2_S2_PT_PS6_iiii.uses_vcc, 1
	.set _ZL9moe_vec_qIfLi256ELi32E10block_q6_KLi1EXadL_ZL17vec_dot_q6_K_q8_1PKvPK10block_q8_1RKiEEEvS2_S2_PT_PS6_iiii.uses_flat_scratch, 0
	.set _ZL9moe_vec_qIfLi256ELi32E10block_q6_KLi1EXadL_ZL17vec_dot_q6_K_q8_1PKvPK10block_q8_1RKiEEEvS2_S2_PT_PS6_iiii.has_dyn_sized_stack, 0
	.set _ZL9moe_vec_qIfLi256ELi32E10block_q6_KLi1EXadL_ZL17vec_dot_q6_K_q8_1PKvPK10block_q8_1RKiEEEvS2_S2_PT_PS6_iiii.has_recursion, 0
	.set _ZL9moe_vec_qIfLi256ELi32E10block_q6_KLi1EXadL_ZL17vec_dot_q6_K_q8_1PKvPK10block_q8_1RKiEEEvS2_S2_PT_PS6_iiii.has_indirect_call, 0
	.section	.AMDGPU.csdata,"",@progbits
; Kernel info:
; codeLenInByte = 1596
; TotalNumSgprs: 22
; NumVgprs: 34
; ScratchSize: 0
; MemoryBound: 0
; FloatMode: 240
; IeeeMode: 1
; LDSByteSize: 0 bytes/workgroup (compile time only)
; SGPRBlocks: 0
; VGPRBlocks: 4
; NumSGPRsForWavesPerEU: 22
; NumVGPRsForWavesPerEU: 34
; Occupancy: 16
; WaveLimiterHint : 1
; COMPUTE_PGM_RSRC2:SCRATCH_EN: 0
; COMPUTE_PGM_RSRC2:USER_SGPR: 2
; COMPUTE_PGM_RSRC2:TRAP_HANDLER: 0
; COMPUTE_PGM_RSRC2:TGID_X_EN: 1
; COMPUTE_PGM_RSRC2:TGID_Y_EN: 0
; COMPUTE_PGM_RSRC2:TGID_Z_EN: 1
; COMPUTE_PGM_RSRC2:TIDIG_COMP_CNT: 1
	.section	.text._ZL9moe_vec_qIfLi256ELi8E13block_iq2_xxsLi1EXadL_ZL20vec_dot_iq2_xxs_q8_1PKvPK10block_q8_1RKiEEEvS2_S2_PT_PS6_iiii,"axG",@progbits,_ZL9moe_vec_qIfLi256ELi8E13block_iq2_xxsLi1EXadL_ZL20vec_dot_iq2_xxs_q8_1PKvPK10block_q8_1RKiEEEvS2_S2_PT_PS6_iiii,comdat
	.globl	_ZL9moe_vec_qIfLi256ELi8E13block_iq2_xxsLi1EXadL_ZL20vec_dot_iq2_xxs_q8_1PKvPK10block_q8_1RKiEEEvS2_S2_PT_PS6_iiii ; -- Begin function _ZL9moe_vec_qIfLi256ELi8E13block_iq2_xxsLi1EXadL_ZL20vec_dot_iq2_xxs_q8_1PKvPK10block_q8_1RKiEEEvS2_S2_PT_PS6_iiii
	.p2align	8
	.type	_ZL9moe_vec_qIfLi256ELi8E13block_iq2_xxsLi1EXadL_ZL20vec_dot_iq2_xxs_q8_1PKvPK10block_q8_1RKiEEEvS2_S2_PT_PS6_iiii,@function
_ZL9moe_vec_qIfLi256ELi8E13block_iq2_xxsLi1EXadL_ZL20vec_dot_iq2_xxs_q8_1PKvPK10block_q8_1RKiEEEvS2_S2_PT_PS6_iiii: ; @_ZL9moe_vec_qIfLi256ELi8E13block_iq2_xxsLi1EXadL_ZL20vec_dot_iq2_xxs_q8_1PKvPK10block_q8_1RKiEEEvS2_S2_PT_PS6_iiii
; %bb.0:
	s_clause 0x1
	s_load_u16 s2, s[0:1], 0x3e
	s_load_b128 s[12:15], s[0:1], 0x20
	v_bfe_u32 v1, v0, 10, 10
	s_wait_kmcnt 0x0
	s_delay_alu instid0(VALU_DEP_1)
	v_mad_co_u64_u32 v[1:2], null, ttmp9, s2, v[1:2]
	s_mov_b32 s2, exec_lo
	v_cmpx_gt_u32_e64 s14, v1
	s_cbranch_execz .LBB247_7
; %bb.1:
	s_load_b64 s[16:17], s[0:1], 0x10
	s_ashr_i32 s2, s13, 31
	v_bfe_u32 v4, v0, 3, 7
	s_wait_alu 0xfffe
	s_lshr_b32 s2, s2, 24
	v_dual_mov_b32 v5, 0 :: v_dual_and_b32 v0, 0x3ff, v0
	s_wait_alu 0xfffe
	s_add_co_i32 s2, s13, s2
	s_lshr_b32 s18, ttmp7, 16
	s_wait_alu 0xfffe
	s_ashr_i32 s19, s2, 8
	s_mov_b32 s20, exec_lo
	v_cmpx_gt_u32_e64 s19, v4
	s_cbranch_execz .LBB247_5
; %bb.2:
	s_load_b64 s[2:3], s[0:1], 0x18
	s_cvt_f32_u32 s4, s12
	s_lshl_b32 s5, s18, 2
	s_mov_b32 s11, 0
	v_mul_lo_u32 v6, v1, s19
	v_rcp_iflag_f32_e32 v2, s4
	v_lshlrev_b32_e32 v7, 3, v4
	v_mov_b32_e32 v5, 0
	s_delay_alu instid0(TRANS32_DEP_1)
	v_readfirstlane_b32 s4, v2
	v_and_b32_e32 v2, 7, v0
	s_wait_kmcnt 0x0
	s_load_b32 s5, s[2:3], s5 offset:0x0
	s_mul_f32 s2, s4, 0x4f7ffffe
	s_sub_co_i32 s3, 0, s12
	v_lshlrev_b32_e32 v8, 2, v2
	s_wait_alu 0xfffe
	s_cvt_u32_f32 s2, s2
	s_delay_alu instid0(VALU_DEP_1) | instskip(SKIP_1) | instid1(SALU_CYCLE_1)
	v_lshlrev_b32_e32 v8, 1, v8
	s_wait_alu 0xfffe
	s_mul_i32 s3, s3, s2
	s_wait_alu 0xfffe
	s_mul_hi_u32 s3, s2, s3
	s_wait_alu 0xfffe
	s_add_co_i32 s4, s2, s3
	s_load_b128 s[0:3], s[0:1], 0x0
	s_mul_hi_u32 s6, s18, s4
	s_mul_i32 s4, s19, s14
	s_mul_i32 s7, s6, s12
	s_add_co_i32 s8, s6, 1
	s_sub_co_i32 s7, s18, s7
	s_wait_kmcnt 0x0
	s_wait_alu 0xfffe
	s_mul_i32 s4, s4, s5
	s_sub_co_i32 s9, s7, s12
	s_wait_alu 0xfffe
	s_ashr_i32 s5, s4, 31
	s_cmp_ge_u32 s7, s12
	s_wait_alu 0xfffe
	s_mul_u64 s[4:5], s[4:5], 0x42
	s_cselect_b32 s6, s8, s6
	s_cselect_b32 s7, s9, s7
	s_add_co_i32 s8, s6, 1
	s_cmp_ge_u32 s7, s12
	s_cselect_b32 s6, s8, s6
	s_delay_alu instid0(SALU_CYCLE_1) | instskip(SKIP_3) | instid1(SALU_CYCLE_1)
	s_mul_i32 s10, s6, s15
	s_wait_alu 0xfffe
	s_add_nc_u64 s[12:13], s[0:1], s[4:5]
	s_lshl_b64 s[6:7], s[10:11], 2
	s_add_nc_u64 s[2:3], s[2:3], s[6:7]
	s_wait_alu 0xfffe
	v_mad_co_u64_u32 v[2:3], null, v2, 36, s[2:3]
.LBB247_3:                              ; =>This Inner Loop Header: Depth=1
	v_add_nc_u32_e32 v9, v6, v4
	s_delay_alu instid0(VALU_DEP_2)
	v_mad_co_i64_i32 v[19:20], null, v7, 36, v[2:3]
	s_getpc_b64 s[0:1]
	s_wait_alu 0xfffe
	s_sext_i32_i16 s1, s1
	s_add_co_u32 s0, s0, _ZL11iq2xxs_grid@rel32@lo+12
	s_wait_alu 0xfffe
	s_add_co_ci_u32 s1, s1, _ZL11iq2xxs_grid@rel32@hi+24
	s_getpc_b64 s[2:3]
	s_wait_alu 0xfffe
	s_sext_i32_i16 s3, s3
	s_add_co_u32 s2, s2, _ZL12ksigns_iq2xs@rel32@lo+12
	s_wait_alu 0xfffe
	s_add_co_ci_u32 s3, s3, _ZL12ksigns_iq2xs@rel32@hi+24
	v_mad_co_i64_i32 v[17:18], null, 0x42, v9, s[12:13]
	v_add_nc_u32_e32 v4, 4, v4
	v_add_nc_u32_e32 v7, 32, v7
	s_delay_alu instid0(VALU_DEP_3) | instskip(SKIP_1) | instid1(VALU_DEP_4)
	v_add_co_u32 v9, vcc_lo, v17, v8
	s_wait_alu 0xfffd
	v_add_co_ci_u32_e64 v10, null, 0, v18, vcc_lo
	s_clause 0x1
	global_load_b32 v21, v[9:10], off offset:2
	global_load_b32 v27, v[9:10], off offset:6
	s_clause 0x1
	global_load_b128 v[9:12], v[19:20], off offset:4
	global_load_b128 v[13:16], v[19:20], off offset:20
	global_load_u16 v28, v[17:18], off
	s_wait_loadcnt 0x2
	v_bfe_i32 v39, v10, 0, 8
	v_and_b32_e32 v29, 0x7f, v27
	v_bfe_u32 v30, v27, 7, 7
	v_bfe_u32 v31, v27, 14, 7
	v_bfe_u32 v32, v27, 21, 7
	v_lshrrev_b32_e32 v27, 28, v27
	s_clause 0x2
	global_load_i8 v33, v29, s[2:3]
	global_load_i8 v34, v30, s[2:3]
	global_load_i8 v35, v31, s[2:3]
	v_lshrrev_b32_e32 v22, 13, v21
	v_cvt_f32_ubyte0_e32 v27, v27
	v_and_b32_e32 v17, 0xff, v21
	v_lshrrev_b32_e32 v18, 5, v21
	s_wait_loadcnt 0x3
	v_cvt_f32_f16_e32 v28, v28
	v_dual_add_f32 v27, 0.5, v27 :: v_dual_and_b32 v24, 0x7f8, v22
	v_lshrrev_b32_e32 v21, 21, v21
	v_lshlrev_b32_e32 v17, 3, v17
	v_bfe_i32 v37, v9, 8, 8
	v_bfe_i32 v59, v16, 16, 8
	v_mul_f32_e32 v27, v27, v28
	v_and_b32_e32 v25, 0x7f8, v21
	v_bfe_i32 v38, v9, 16, 8
	v_bfe_i32 v50, v13, 16, 8
	;; [unrolled: 1-line block ×15, first 2 shown]
	v_ashrrev_i32_e32 v10, 24, v10
	v_bfe_i32 v42, v11, 0, 8
	v_bfe_i32 v43, v11, 8, 8
	;; [unrolled: 1-line block ×3, first 2 shown]
	v_ashrrev_i32_e32 v11, 24, v11
	v_bfe_i32 v45, v12, 0, 8
	v_bfe_i32 v46, v12, 8, 8
	v_ashrrev_i32_e32 v12, 24, v12
	v_ashrrev_i32_e32 v13, 24, v13
	;; [unrolled: 1-line block ×5, first 2 shown]
	s_wait_loadcnt 0x2
	v_and_b32_e32 v28, 1, v33
	v_and_b32_e32 v23, 0x7f8, v18
	;; [unrolled: 1-line block ×3, first 2 shown]
	global_load_i8 v36, v32, s[2:3]
	s_clause 0x3
	global_load_b64 v[17:18], v17, s[0:1]
	global_load_b64 v[21:22], v23, s[0:1]
	;; [unrolled: 1-line block ×4, first 2 shown]
	global_load_u16 v19, v[19:20], off
	v_bfe_i32 v20, v9, 0, 8
	v_ashrrev_i32_e32 v9, 24, v9
	v_and_b32_e32 v62, 8, v33
	v_cmp_eq_u16_e64 s10, 0, v28
	v_and_b32_e32 v63, 16, v33
	v_and_b32_e32 v64, 32, v33
	s_wait_loadcnt 0x7
	v_and_b32_e32 v65, 1, v34
	v_cmp_eq_u16_e64 s0, 0, v62
	v_cmp_gt_i16_e64 s2, 0, v33
	v_and_b32_e32 v67, 4, v34
	v_cmp_eq_u16_e64 s1, 0, v64
	v_and_b32_e32 v68, 8, v34
	v_and_b32_e32 v93, 16, v34
	v_cmp_gt_i16_e64 s6, 0, v34
	s_delay_alu instid0(VALU_DEP_3)
	v_cmp_eq_u16_e64 s4, 0, v68
	s_wait_loadcnt 0x4
	v_and_b32_e32 v73, 0xff, v18
	v_and_b32_e32 v71, 0xff, v17
	v_bfe_u32 v72, v17, 8, 8
	s_wait_loadcnt 0x1
	v_lshrrev_b32_e32 v88, 24, v26
	v_and_b32_e32 v91, 0xff, v26
	v_bfe_u32 v92, v26, 8, 8
	v_bfe_u32 v26, v26, 16, 8
	v_mul_i32_i24_e32 v39, v73, v39
	v_lshrrev_b32_e32 v69, 24, v17
	v_bfe_u32 v17, v17, 16, 8
	v_lshrrev_b32_e32 v81, 24, v23
	v_and_b32_e32 v83, 0xff, v23
	v_bfe_u32 v84, v23, 8, 8
	v_bfe_u32 v23, v23, 16, 8
	;; [unrolled: 1-line block ×3, first 2 shown]
	v_lshrrev_b32_e32 v87, 24, v25
	v_and_b32_e32 v89, 0xff, v25
	v_bfe_u32 v90, v25, 8, 8
	v_bfe_u32 v25, v25, 16, 8
	v_mul_i32_i24_e32 v20, v71, v20
	v_mul_i32_i24_e32 v37, v72, v37
	;; [unrolled: 1-line block ×3, first 2 shown]
	v_sub_nc_u32_e32 v59, 0, v39
	v_and_b32_e32 v60, 2, v33
	v_bfe_u32 v74, v18, 8, 8
	v_lshrrev_b32_e32 v76, 24, v22
	v_and_b32_e32 v79, 0xff, v22
	v_bfe_u32 v80, v22, 8, 8
	v_bfe_u32 v22, v22, 16, 8
	v_lshrrev_b32_e32 v82, 24, v24
	v_and_b32_e32 v85, 0xff, v24
	v_bfe_u32 v24, v24, 16, 8
	v_mul_i32_i24_e32 v17, v17, v38
	v_mul_i32_i24_e32 v9, v69, v9
	v_mul_i32_i24_e32 v23, v23, v50
	v_mul_i32_i24_e32 v50, v86, v52
	v_mul_i32_i24_e32 v52, v90, v55
	v_mul_i32_i24_e32 v25, v25, v56
	v_sub_nc_u32_e32 v55, 0, v20
	v_sub_nc_u32_e32 v56, 0, v37
	v_cmp_eq_u16_e32 vcc_lo, 0, v60
	v_lshrrev_b32_e32 v70, 24, v18
	v_bfe_u32 v18, v18, 16, 8
	v_mul_i32_i24_e32 v40, v74, v40
	v_mul_i32_i24_e32 v22, v22, v47
	;; [unrolled: 1-line block ×9, first 2 shown]
	v_sub_nc_u32_e32 v57, 0, v17
	v_sub_nc_u32_e32 v58, 0, v9
	s_wait_alu 0xf1ff
	v_cndmask_b32_e64 v20, v55, v20, s10
	s_wait_alu 0xfffd
	v_cndmask_b32_e32 v28, v56, v37, vcc_lo
	v_cmp_eq_u16_e32 vcc_lo, 0, v61
	v_and_b32_e32 v66, 2, v34
	v_and_b32_e32 v77, 0xff, v21
	v_bfe_u32 v78, v21, 8, 8
	v_mul_i32_i24_e32 v18, v18, v41
	v_mul_i32_i24_e32 v10, v70, v10
	v_sub_nc_u32_e32 v60, 0, v40
	s_wait_alu 0xfffd
	v_cndmask_b32_e32 v17, v57, v17, vcc_lo
	v_cndmask_b32_e64 v9, v58, v9, s0
	v_add_nc_u32_e32 v20, v28, v20
	v_cmp_eq_u16_e32 vcc_lo, 0, v63
	v_lshrrev_b32_e32 v75, 24, v21
	v_bfe_u32 v21, v21, 16, 8
	v_mul_i32_i24_e32 v42, v77, v42
	v_mul_i32_i24_e32 v43, v78, v43
	v_sub_nc_u32_e32 v62, 0, v18
	v_sub_nc_u32_e32 v64, 0, v10
	s_wait_alu 0xfffd
	v_cndmask_b32_e32 v39, v59, v39, vcc_lo
	v_cndmask_b32_e64 v40, v60, v40, s1
	v_add3_u32 v9, v20, v17, v9
	v_cmp_gt_u32_e64 s0, 64, v29
	v_mul_i32_i24_e32 v21, v21, v44
	v_mul_i32_i24_e32 v11, v75, v11
	;; [unrolled: 1-line block ×3, first 2 shown]
	v_sub_nc_u32_e32 v33, 0, v42
	v_sub_nc_u32_e32 v76, 0, v43
	v_cmp_eq_u16_e64 s3, 0, v66
	s_wait_alu 0xf1ff
	v_cndmask_b32_e64 v17, v62, v18, s0
	v_cndmask_b32_e64 v10, v10, v64, s2
	v_add3_u32 v9, v9, v39, v40
	v_cmp_eq_u16_e64 s0, 0, v65
	v_and_b32_e32 v71, 32, v34
	v_mul_i32_i24_e32 v45, v79, v45
	v_mul_i32_i24_e32 v46, v80, v46
	v_sub_nc_u32_e32 v66, 0, v21
	v_sub_nc_u32_e32 v80, 0, v11
	s_wait_alu 0xf1ff
	v_cndmask_b32_e64 v20, v33, v42, s0
	s_wait_alu 0xfffe
	v_cndmask_b32_e64 v29, v76, v43, s3
	v_add3_u32 v9, v9, v17, v10
	v_cmp_eq_u16_e64 s0, 0, v67
	v_mul_i32_i24_e32 v13, v81, v13
	v_sub_nc_u32_e32 v68, 0, v45
	v_sub_nc_u32_e32 v81, 0, v46
	v_cmp_eq_u16_e64 s5, 0, v71
	s_wait_alu 0xf1ff
	v_cndmask_b32_e64 v17, v66, v21, s0
	v_cndmask_b32_e64 v11, v80, v11, s4
	v_add3_u32 v9, v9, v20, v29
	v_cmp_eq_u16_e64 s1, 0, v93
	v_and_b32_e32 v72, 1, v35
	v_and_b32_e32 v38, 2, v35
	v_mul_i32_i24_e32 v14, v82, v14
	v_sub_nc_u32_e32 v71, 0, v22
	v_sub_nc_u32_e32 v82, 0, v12
	s_wait_alu 0xf1ff
	v_cndmask_b32_e64 v20, v68, v45, s1
	v_cndmask_b32_e64 v21, v81, v46, s5
	v_add3_u32 v9, v9, v17, v11
	v_cmp_gt_u32_e64 s1, 64, v30
	v_and_b32_e32 v69, 4, v35
	v_and_b32_e32 v73, 8, v35
	v_sub_nc_u32_e32 v34, 0, v47
	v_sub_nc_u32_e32 v83, 0, v48
	v_cmp_eq_u16_e64 s7, 0, v38
	s_wait_alu 0xf1ff
	v_cndmask_b32_e64 v17, v71, v22, s1
	v_cndmask_b32_e64 v12, v12, v82, s6
	v_add3_u32 v9, v9, v20, v21
	v_cmp_eq_u16_e64 s1, 0, v72
	v_and_b32_e32 v74, 16, v35
	v_and_b32_e32 v41, 32, v35
	v_sub_nc_u32_e32 v38, 0, v23
	v_sub_nc_u32_e32 v84, 0, v13
	v_cmp_eq_u16_e64 s8, 0, v73
	s_wait_alu 0xf1ff
	v_cndmask_b32_e64 v21, v34, v47, s1
	v_cndmask_b32_e64 v22, v83, v48, s7
	v_add3_u32 v9, v9, v17, v12
	v_cmp_eq_u16_e64 s2, 0, v69
	v_sub_nc_u32_e32 v73, 0, v49
	v_sub_nc_u32_e32 v85, 0, v50
	v_cmp_eq_u16_e64 s9, 0, v41
	v_cndmask_b32_e64 v13, v84, v13, s8
	s_wait_alu 0xf1ff
	v_cndmask_b32_e64 v12, v38, v23, s2
	v_add3_u32 v9, v9, v21, v22
	v_cmp_eq_u16_e64 s2, 0, v74
	v_and_b32_e32 v70, 1, v36
	v_and_b32_e32 v77, 2, v36
	v_sub_nc_u32_e32 v37, 0, v24
	v_sub_nc_u32_e32 v28, 0, v14
	v_cmp_gt_i16_e32 vcc_lo, 0, v35
	s_wait_alu 0xf1ff
	v_cndmask_b32_e64 v21, v73, v49, s2
	v_cndmask_b32_e64 v22, v85, v50, s9
	v_add3_u32 v9, v9, v12, v13
	v_cmp_gt_u32_e64 s2, 64, v31
	v_and_b32_e32 v78, 4, v36
	v_and_b32_e32 v44, 8, v36
	v_mul_i32_i24_e32 v15, v87, v15
	v_sub_nc_u32_e32 v18, 0, v51
	v_sub_nc_u32_e32 v10, 0, v52
	v_cmp_eq_u16_e64 s0, 0, v77
	s_wait_alu 0xf1ff
	v_cndmask_b32_e64 v13, v37, v24, s2
	s_wait_alu 0xfffd
	v_cndmask_b32_e32 v14, v14, v28, vcc_lo
	v_add3_u32 v9, v9, v21, v22
	v_cmp_eq_u16_e64 s2, 0, v70
	v_and_b32_e32 v75, 16, v36
	v_and_b32_e32 v79, 32, v36
	v_sub_nc_u32_e32 v11, 0, v25
	v_sub_nc_u32_e32 v20, 0, v15
	v_cmp_eq_u16_e64 s1, 0, v44
	s_wait_alu 0xf1ff
	v_cndmask_b32_e64 v18, v18, v51, s2
	v_cndmask_b32_e64 v10, v10, v52, s0
	v_add3_u32 v9, v9, v13, v14
	v_cmp_eq_u16_e64 s0, 0, v78
	v_mul_i32_i24_e32 v16, v88, v16
	v_sub_nc_u32_e32 v17, 0, v53
	v_sub_nc_u32_e32 v12, 0, v54
	v_cmp_eq_u16_e32 vcc_lo, 0, v79
	s_wait_alu 0xf1ff
	v_cndmask_b32_e64 v11, v11, v25, s0
	v_cndmask_b32_e64 v14, v20, v15, s1
	v_add3_u32 v9, v9, v18, v10
	v_cmp_eq_u16_e64 s0, 0, v75
	v_sub_nc_u32_e32 v13, 0, v26
	v_sub_nc_u32_e32 v10, 0, v16
	s_wait_alu 0xfffd
	v_cndmask_b32_e32 v12, v12, v54, vcc_lo
	v_add3_u32 v9, v9, v11, v14
	s_wait_alu 0xf1ff
	v_cndmask_b32_e64 v15, v17, v53, s0
	v_cmp_gt_i16_e32 vcc_lo, 0, v36
	v_cmp_gt_u32_e64 s0, 64, v32
	s_wait_loadcnt 0x0
	v_cvt_f32_f16_e32 v19, v19
	v_add3_u32 v9, v9, v15, v12
	s_wait_alu 0xfffd
	v_cndmask_b32_e32 v10, v16, v10, vcc_lo
	s_wait_alu 0xf1ff
	v_cndmask_b32_e64 v11, v13, v26, s0
	v_mul_f32_e32 v12, v27, v19
	v_cmp_le_u32_e32 vcc_lo, s19, v4
	s_delay_alu instid0(VALU_DEP_3) | instskip(NEXT) | instid1(VALU_DEP_3)
	v_add3_u32 v9, v9, v11, v10
	v_mul_f32_e32 v10, 0x3e800000, v12
	s_or_b32 s11, vcc_lo, s11
	s_delay_alu instid0(VALU_DEP_2) | instskip(NEXT) | instid1(VALU_DEP_1)
	v_cvt_f32_i32_e32 v9, v9
	v_fmac_f32_e32 v5, v10, v9
	s_wait_alu 0xfffe
	s_and_not1_b32 exec_lo, exec_lo, s11
	s_cbranch_execnz .LBB247_3
; %bb.4:
	s_or_b32 exec_lo, exec_lo, s11
.LBB247_5:
	s_delay_alu instid0(SALU_CYCLE_1) | instskip(SKIP_1) | instid1(VALU_DEP_1)
	s_or_b32 exec_lo, exec_lo, s20
	v_mbcnt_lo_u32_b32 v2, -1, 0
	v_xor_b32_e32 v3, 16, v2
	v_xor_b32_e32 v4, 8, v2
	s_delay_alu instid0(VALU_DEP_2) | instskip(SKIP_2) | instid1(VALU_DEP_3)
	v_cmp_gt_i32_e32 vcc_lo, 32, v3
	s_wait_alu 0xfffd
	v_cndmask_b32_e32 v3, v2, v3, vcc_lo
	v_cmp_gt_i32_e32 vcc_lo, 32, v4
	s_wait_alu 0xfffd
	v_cndmask_b32_e32 v4, v2, v4, vcc_lo
	s_delay_alu instid0(VALU_DEP_1)
	v_lshlrev_b32_e32 v4, 2, v4
	v_lshlrev_b32_e32 v3, 2, v3
	ds_bpermute_b32 v3, v3, v5
	s_wait_dscnt 0x0
	v_add_f32_e32 v3, v5, v3
	v_xor_b32_e32 v5, 4, v2
	ds_bpermute_b32 v4, v4, v3
	v_cmp_gt_i32_e32 vcc_lo, 32, v5
	s_wait_alu 0xfffd
	v_cndmask_b32_e32 v5, v2, v5, vcc_lo
	s_delay_alu instid0(VALU_DEP_1) | instskip(SKIP_4) | instid1(VALU_DEP_1)
	v_lshlrev_b32_e32 v5, 2, v5
	s_wait_dscnt 0x0
	v_add_f32_e32 v3, v3, v4
	ds_bpermute_b32 v4, v5, v3
	v_xor_b32_e32 v5, 2, v2
	v_cmp_gt_i32_e32 vcc_lo, 32, v5
	s_wait_alu 0xfffd
	v_cndmask_b32_e32 v5, v2, v5, vcc_lo
	s_delay_alu instid0(VALU_DEP_1) | instskip(SKIP_4) | instid1(VALU_DEP_1)
	v_lshlrev_b32_e32 v5, 2, v5
	s_wait_dscnt 0x0
	v_add_f32_e32 v3, v3, v4
	ds_bpermute_b32 v4, v5, v3
	v_xor_b32_e32 v5, 1, v2
	v_cmp_gt_i32_e32 vcc_lo, 32, v5
	s_wait_alu 0xfffd
	v_cndmask_b32_e32 v5, v2, v5, vcc_lo
	v_cmp_eq_u32_e32 vcc_lo, 0, v0
	s_wait_dscnt 0x0
	s_delay_alu instid0(VALU_DEP_2)
	v_dual_add_f32 v2, v3, v4 :: v_dual_lshlrev_b32 v3, 2, v5
	ds_bpermute_b32 v3, v3, v2
	s_and_b32 exec_lo, exec_lo, vcc_lo
	s_cbranch_execz .LBB247_7
; %bb.6:
	v_mad_co_u64_u32 v[0:1], null, s14, s18, v[1:2]
	s_wait_dscnt 0x0
	v_dual_mov_b32 v1, 0 :: v_dual_add_f32 v2, v2, v3
	s_delay_alu instid0(VALU_DEP_1) | instskip(SKIP_1) | instid1(VALU_DEP_1)
	v_lshlrev_b64_e32 v[0:1], 2, v[0:1]
	s_wait_kmcnt 0x0
	v_add_co_u32 v0, vcc_lo, s16, v0
	s_wait_alu 0xfffd
	s_delay_alu instid0(VALU_DEP_2)
	v_add_co_ci_u32_e64 v1, null, s17, v1, vcc_lo
	global_store_b32 v[0:1], v2, off
.LBB247_7:
	s_endpgm
	.section	.rodata,"a",@progbits
	.p2align	6, 0x0
	.amdhsa_kernel _ZL9moe_vec_qIfLi256ELi8E13block_iq2_xxsLi1EXadL_ZL20vec_dot_iq2_xxs_q8_1PKvPK10block_q8_1RKiEEEvS2_S2_PT_PS6_iiii
		.amdhsa_group_segment_fixed_size 0
		.amdhsa_private_segment_fixed_size 0
		.amdhsa_kernarg_size 304
		.amdhsa_user_sgpr_count 2
		.amdhsa_user_sgpr_dispatch_ptr 0
		.amdhsa_user_sgpr_queue_ptr 0
		.amdhsa_user_sgpr_kernarg_segment_ptr 1
		.amdhsa_user_sgpr_dispatch_id 0
		.amdhsa_user_sgpr_private_segment_size 0
		.amdhsa_wavefront_size32 1
		.amdhsa_uses_dynamic_stack 0
		.amdhsa_enable_private_segment 0
		.amdhsa_system_sgpr_workgroup_id_x 1
		.amdhsa_system_sgpr_workgroup_id_y 0
		.amdhsa_system_sgpr_workgroup_id_z 1
		.amdhsa_system_sgpr_workgroup_info 0
		.amdhsa_system_vgpr_workitem_id 1
		.amdhsa_next_free_vgpr 94
		.amdhsa_next_free_sgpr 21
		.amdhsa_reserve_vcc 1
		.amdhsa_float_round_mode_32 0
		.amdhsa_float_round_mode_16_64 0
		.amdhsa_float_denorm_mode_32 3
		.amdhsa_float_denorm_mode_16_64 3
		.amdhsa_fp16_overflow 0
		.amdhsa_workgroup_processor_mode 1
		.amdhsa_memory_ordered 1
		.amdhsa_forward_progress 1
		.amdhsa_inst_pref_size 21
		.amdhsa_round_robin_scheduling 0
		.amdhsa_exception_fp_ieee_invalid_op 0
		.amdhsa_exception_fp_denorm_src 0
		.amdhsa_exception_fp_ieee_div_zero 0
		.amdhsa_exception_fp_ieee_overflow 0
		.amdhsa_exception_fp_ieee_underflow 0
		.amdhsa_exception_fp_ieee_inexact 0
		.amdhsa_exception_int_div_zero 0
	.end_amdhsa_kernel
	.section	.text._ZL9moe_vec_qIfLi256ELi8E13block_iq2_xxsLi1EXadL_ZL20vec_dot_iq2_xxs_q8_1PKvPK10block_q8_1RKiEEEvS2_S2_PT_PS6_iiii,"axG",@progbits,_ZL9moe_vec_qIfLi256ELi8E13block_iq2_xxsLi1EXadL_ZL20vec_dot_iq2_xxs_q8_1PKvPK10block_q8_1RKiEEEvS2_S2_PT_PS6_iiii,comdat
.Lfunc_end247:
	.size	_ZL9moe_vec_qIfLi256ELi8E13block_iq2_xxsLi1EXadL_ZL20vec_dot_iq2_xxs_q8_1PKvPK10block_q8_1RKiEEEvS2_S2_PT_PS6_iiii, .Lfunc_end247-_ZL9moe_vec_qIfLi256ELi8E13block_iq2_xxsLi1EXadL_ZL20vec_dot_iq2_xxs_q8_1PKvPK10block_q8_1RKiEEEvS2_S2_PT_PS6_iiii
                                        ; -- End function
	.set _ZL9moe_vec_qIfLi256ELi8E13block_iq2_xxsLi1EXadL_ZL20vec_dot_iq2_xxs_q8_1PKvPK10block_q8_1RKiEEEvS2_S2_PT_PS6_iiii.num_vgpr, 94
	.set _ZL9moe_vec_qIfLi256ELi8E13block_iq2_xxsLi1EXadL_ZL20vec_dot_iq2_xxs_q8_1PKvPK10block_q8_1RKiEEEvS2_S2_PT_PS6_iiii.num_agpr, 0
	.set _ZL9moe_vec_qIfLi256ELi8E13block_iq2_xxsLi1EXadL_ZL20vec_dot_iq2_xxs_q8_1PKvPK10block_q8_1RKiEEEvS2_S2_PT_PS6_iiii.numbered_sgpr, 21
	.set _ZL9moe_vec_qIfLi256ELi8E13block_iq2_xxsLi1EXadL_ZL20vec_dot_iq2_xxs_q8_1PKvPK10block_q8_1RKiEEEvS2_S2_PT_PS6_iiii.num_named_barrier, 0
	.set _ZL9moe_vec_qIfLi256ELi8E13block_iq2_xxsLi1EXadL_ZL20vec_dot_iq2_xxs_q8_1PKvPK10block_q8_1RKiEEEvS2_S2_PT_PS6_iiii.private_seg_size, 0
	.set _ZL9moe_vec_qIfLi256ELi8E13block_iq2_xxsLi1EXadL_ZL20vec_dot_iq2_xxs_q8_1PKvPK10block_q8_1RKiEEEvS2_S2_PT_PS6_iiii.uses_vcc, 1
	.set _ZL9moe_vec_qIfLi256ELi8E13block_iq2_xxsLi1EXadL_ZL20vec_dot_iq2_xxs_q8_1PKvPK10block_q8_1RKiEEEvS2_S2_PT_PS6_iiii.uses_flat_scratch, 0
	.set _ZL9moe_vec_qIfLi256ELi8E13block_iq2_xxsLi1EXadL_ZL20vec_dot_iq2_xxs_q8_1PKvPK10block_q8_1RKiEEEvS2_S2_PT_PS6_iiii.has_dyn_sized_stack, 0
	.set _ZL9moe_vec_qIfLi256ELi8E13block_iq2_xxsLi1EXadL_ZL20vec_dot_iq2_xxs_q8_1PKvPK10block_q8_1RKiEEEvS2_S2_PT_PS6_iiii.has_recursion, 0
	.set _ZL9moe_vec_qIfLi256ELi8E13block_iq2_xxsLi1EXadL_ZL20vec_dot_iq2_xxs_q8_1PKvPK10block_q8_1RKiEEEvS2_S2_PT_PS6_iiii.has_indirect_call, 0
	.section	.AMDGPU.csdata,"",@progbits
; Kernel info:
; codeLenInByte = 2640
; TotalNumSgprs: 23
; NumVgprs: 94
; ScratchSize: 0
; MemoryBound: 0
; FloatMode: 240
; IeeeMode: 1
; LDSByteSize: 0 bytes/workgroup (compile time only)
; SGPRBlocks: 0
; VGPRBlocks: 11
; NumSGPRsForWavesPerEU: 23
; NumVGPRsForWavesPerEU: 94
; Occupancy: 16
; WaveLimiterHint : 1
; COMPUTE_PGM_RSRC2:SCRATCH_EN: 0
; COMPUTE_PGM_RSRC2:USER_SGPR: 2
; COMPUTE_PGM_RSRC2:TRAP_HANDLER: 0
; COMPUTE_PGM_RSRC2:TGID_X_EN: 1
; COMPUTE_PGM_RSRC2:TGID_Y_EN: 0
; COMPUTE_PGM_RSRC2:TGID_Z_EN: 1
; COMPUTE_PGM_RSRC2:TIDIG_COMP_CNT: 1
	.section	.text._ZL9moe_vec_qIfLi256ELi8E12block_iq2_xsLi1EXadL_ZL19vec_dot_iq2_xs_q8_1PKvPK10block_q8_1RKiEEEvS2_S2_PT_PS6_iiii,"axG",@progbits,_ZL9moe_vec_qIfLi256ELi8E12block_iq2_xsLi1EXadL_ZL19vec_dot_iq2_xs_q8_1PKvPK10block_q8_1RKiEEEvS2_S2_PT_PS6_iiii,comdat
	.globl	_ZL9moe_vec_qIfLi256ELi8E12block_iq2_xsLi1EXadL_ZL19vec_dot_iq2_xs_q8_1PKvPK10block_q8_1RKiEEEvS2_S2_PT_PS6_iiii ; -- Begin function _ZL9moe_vec_qIfLi256ELi8E12block_iq2_xsLi1EXadL_ZL19vec_dot_iq2_xs_q8_1PKvPK10block_q8_1RKiEEEvS2_S2_PT_PS6_iiii
	.p2align	8
	.type	_ZL9moe_vec_qIfLi256ELi8E12block_iq2_xsLi1EXadL_ZL19vec_dot_iq2_xs_q8_1PKvPK10block_q8_1RKiEEEvS2_S2_PT_PS6_iiii,@function
_ZL9moe_vec_qIfLi256ELi8E12block_iq2_xsLi1EXadL_ZL19vec_dot_iq2_xs_q8_1PKvPK10block_q8_1RKiEEEvS2_S2_PT_PS6_iiii: ; @_ZL9moe_vec_qIfLi256ELi8E12block_iq2_xsLi1EXadL_ZL19vec_dot_iq2_xs_q8_1PKvPK10block_q8_1RKiEEEvS2_S2_PT_PS6_iiii
; %bb.0:
	s_clause 0x1
	s_load_u16 s2, s[0:1], 0x3e
	s_load_b128 s[28:31], s[0:1], 0x20
	v_bfe_u32 v1, v0, 10, 10
	s_wait_kmcnt 0x0
	s_delay_alu instid0(VALU_DEP_1)
	v_mad_co_u64_u32 v[1:2], null, ttmp9, s2, v[1:2]
	s_mov_b32 s2, exec_lo
	v_cmpx_gt_u32_e64 s30, v1
	s_cbranch_execz .LBB248_7
; %bb.1:
	s_load_b64 s[34:35], s[0:1], 0x10
	s_ashr_i32 s2, s29, 31
	v_bfe_u32 v6, v0, 3, 7
	s_wait_alu 0xfffe
	s_lshr_b32 s2, s2, 24
	v_dual_mov_b32 v7, 0 :: v_dual_and_b32 v0, 0x3ff, v0
	s_wait_alu 0xfffe
	s_add_co_i32 s2, s29, s2
	s_lshr_b32 s33, ttmp7, 16
	s_wait_alu 0xfffe
	s_ashr_i32 s40, s2, 8
	s_mov_b32 s41, exec_lo
	v_cmpx_gt_u32_e64 s40, v6
	s_cbranch_execz .LBB248_5
; %bb.2:
	s_load_b64 s[2:3], s[0:1], 0x18
	s_cvt_f32_u32 s4, s28
	s_lshl_b32 s5, s33, 2
	v_dual_mov_b32 v7, 0 :: v_dual_and_b32 v8, 7, v0
	s_delay_alu instid0(SALU_CYCLE_1) | instskip(SKIP_2) | instid1(VALU_DEP_2)
	v_rcp_iflag_f32_e32 v2, s4
	s_mov_b32 s37, 0
	v_mul_lo_u32 v9, v1, s40
	v_lshlrev_b32_e32 v4, 2, v8
	v_lshlrev_b32_e32 v10, 3, v6
	s_delay_alu instid0(VALU_DEP_2) | instskip(NEXT) | instid1(TRANS32_DEP_1)
	v_lshlrev_b32_e32 v11, 1, v4
	v_readfirstlane_b32 s4, v2
	s_wait_kmcnt 0x0
	s_load_b32 s5, s[2:3], s5 offset:0x0
	s_mul_f32 s2, s4, 0x4f7ffffe
	s_sub_co_i32 s3, 0, s28
	s_wait_alu 0xfffe
	s_delay_alu instid0(SALU_CYCLE_1) | instskip(SKIP_1) | instid1(SALU_CYCLE_2)
	s_cvt_u32_f32 s2, s2
	s_wait_alu 0xfffe
	s_mul_i32 s3, s3, s2
	s_wait_alu 0xfffe
	s_mul_hi_u32 s3, s2, s3
	s_wait_alu 0xfffe
	s_add_co_i32 s4, s2, s3
	s_load_b128 s[0:3], s[0:1], 0x0
	s_mul_hi_u32 s6, s33, s4
	s_mul_i32 s4, s40, s30
	s_mul_i32 s7, s6, s28
	s_add_co_i32 s8, s6, 1
	s_sub_co_i32 s7, s33, s7
	s_wait_kmcnt 0x0
	s_wait_alu 0xfffe
	s_mul_i32 s4, s4, s5
	s_sub_co_i32 s9, s7, s28
	s_wait_alu 0xfffe
	s_ashr_i32 s5, s4, 31
	s_cmp_ge_u32 s7, s28
	s_wait_alu 0xfffe
	s_mul_u64 s[4:5], s[4:5], 0x4a
	s_cselect_b32 s6, s8, s6
	s_cselect_b32 s7, s9, s7
	s_add_co_i32 s8, s6, 1
	s_cmp_ge_u32 s7, s28
	s_cselect_b32 s6, s8, s6
	s_delay_alu instid0(SALU_CYCLE_1) | instskip(SKIP_3) | instid1(SALU_CYCLE_1)
	s_mul_i32 s36, s6, s31
	s_wait_alu 0xfffe
	s_add_nc_u64 s[38:39], s[0:1], s[4:5]
	s_lshl_b64 s[6:7], s[36:37], 2
	s_add_nc_u64 s[2:3], s[2:3], s[6:7]
	s_wait_alu 0xfffe
	v_mad_co_u64_u32 v[2:3], null, v8, 36, s[2:3]
.LBB248_3:                              ; =>This Inner Loop Header: Depth=1
	v_add_nc_u32_e32 v4, v9, v6
	s_delay_alu instid0(VALU_DEP_2)
	v_mad_co_i64_i32 v[22:23], null, v10, 36, v[2:3]
	s_getpc_b64 s[0:1]
	s_wait_alu 0xfffe
	s_sext_i32_i16 s1, s1
	s_add_co_u32 s0, s0, _ZL10iq2xs_grid@rel32@lo+12
	s_wait_alu 0xfffe
	s_add_co_ci_u32 s1, s1, _ZL10iq2xs_grid@rel32@hi+24
	s_getpc_b64 s[2:3]
	s_wait_alu 0xfffe
	s_sext_i32_i16 s3, s3
	s_add_co_u32 s2, s2, _ZL12ksigns_iq2xs@rel32@lo+12
	s_wait_alu 0xfffe
	s_add_co_ci_u32 s3, s3, _ZL12ksigns_iq2xs@rel32@hi+24
	v_mad_co_i64_i32 v[20:21], null, 0x4a, v4, s[38:39]
	v_add_nc_u32_e32 v6, 4, v6
	v_add_nc_u32_e32 v10, 32, v10
	s_delay_alu instid0(VALU_DEP_3) | instskip(SKIP_1) | instid1(VALU_DEP_4)
	v_add_co_u32 v4, vcc_lo, v20, v11
	s_wait_alu 0xfffd
	v_add_co_ci_u32_e64 v5, null, 0, v21, vcc_lo
	v_add_co_u32 v24, vcc_lo, v20, v8
	s_wait_alu 0xfffd
	v_add_co_ci_u32_e64 v25, null, 0, v21, vcc_lo
	global_load_b64 v[4:5], v[4:5], off offset:2
	s_clause 0x1
	global_load_b128 v[12:15], v[22:23], off offset:4
	global_load_b128 v[16:19], v[22:23], off offset:20
	s_clause 0x1
	global_load_u8 v30, v[24:25], off offset:66
	global_load_u16 v31, v[20:21], off
	s_wait_loadcnt 0x3
	v_bfe_i32 v36, v12, 8, 8
	v_and_b32_e32 v20, 0x1ff, v4
	v_lshrrev_b32_e32 v24, 13, v4
	v_and_b32_e32 v26, 0x1ff, v5
	v_lshrrev_b32_e32 v28, 13, v5
	v_bfe_u32 v21, v4, 9, 7
	v_lshrrev_b32_e32 v25, 25, v4
	v_bfe_u32 v27, v5, 9, 7
	v_lshrrev_b32_e32 v29, 25, v5
	v_lshlrev_b32_e32 v20, 3, v20
	v_and_b32_e32 v24, 0xff8, v24
	v_lshlrev_b32_e32 v26, 3, v26
	v_and_b32_e32 v28, 0xff8, v28
	s_clause 0x3
	global_load_i8 v32, v21, s[2:3]
	global_load_i8 v33, v25, s[2:3]
	;; [unrolled: 1-line block ×4, first 2 shown]
	s_clause 0x3
	global_load_b64 v[20:21], v20, s[0:1]
	global_load_b64 v[24:25], v24, s[0:1]
	;; [unrolled: 1-line block ×4, first 2 shown]
	global_load_u16 v22, v[22:23], off
	v_bfe_i32 v38, v13, 0, 8
	v_bfe_i32 v39, v13, 8, 8
	s_wait_loadcnt 0xb
	v_bfe_i32 v47, v16, 0, 8
	v_bfe_i32 v48, v16, 8, 8
	s_wait_loadcnt 0xa
	v_lshrrev_b16 v59, 4, v30
	v_bfe_i32 v23, v12, 0, 8
	v_bfe_i32 v37, v12, 16, 8
	v_ashrrev_i32_e32 v12, 24, v12
	v_bfe_i32 v40, v13, 16, 8
	v_ashrrev_i32_e32 v13, 24, v13
	;; [unrolled: 2-line block ×3, first 2 shown]
	v_bfe_i32 v50, v17, 0, 8
	v_bfe_i32 v51, v17, 8, 8
	;; [unrolled: 1-line block ×4, first 2 shown]
	v_cvt_f32_ubyte0_e32 v59, v59
	v_bfe_i32 v41, v14, 0, 8
	v_bfe_i32 v42, v14, 8, 8
	;; [unrolled: 1-line block ×3, first 2 shown]
	v_ashrrev_i32_e32 v14, 24, v14
	v_bfe_i32 v44, v15, 0, 8
	v_bfe_i32 v45, v15, 8, 8
	;; [unrolled: 1-line block ×3, first 2 shown]
	v_ashrrev_i32_e32 v15, 24, v15
	v_bfe_i32 v55, v18, 16, 8
	v_bfe_i32 v52, v17, 16, 8
	v_ashrrev_i32_e32 v17, 24, v17
	v_bfe_i32 v54, v18, 8, 8
	v_bfe_i32 v57, v19, 8, 8
	;; [unrolled: 1-line block ×3, first 2 shown]
	v_lshrrev_b32_e32 v60, 16, v4
	v_cmp_gt_i16_e64 s4, 0, v4
	v_ashrrev_i32_e32 v18, 24, v18
	v_lshrrev_b32_e32 v61, 16, v5
	v_cmp_gt_i16_e64 s19, 0, v5
	v_ashrrev_i32_e32 v19, 24, v19
	v_and_b32_e32 v30, 15, v30
	s_delay_alu instid0(VALU_DEP_4)
	v_cmp_gt_i16_e64 s27, 0, v61
	s_wait_loadcnt 0x5
	v_cmp_gt_i16_e64 s28, 0, v35
	s_wait_loadcnt 0x4
	v_bfe_u32 v72, v20, 8, 8
	v_and_b32_e32 v73, 0xff, v21
	v_bfe_u32 v74, v21, 8, 8
	s_wait_loadcnt 0x2
	v_and_b32_e32 v83, 0xff, v26
	v_bfe_u32 v84, v26, 8, 8
	v_and_b32_e32 v63, 2, v32
	v_and_b32_e32 v64, 4, v32
	;; [unrolled: 1-line block ×4, first 2 shown]
	v_lshrrev_b32_e32 v69, 24, v20
	v_lshrrev_b32_e32 v70, 24, v21
	v_and_b32_e32 v71, 0xff, v20
	v_bfe_u32 v20, v20, 16, 8
	v_bfe_u32 v21, v21, 16, 8
	v_lshrrev_b32_e32 v81, 24, v26
	v_bfe_u32 v26, v26, 16, 8
	v_and_b32_e32 v85, 0xff, v27
	v_bfe_u32 v86, v27, 8, 8
	s_wait_loadcnt 0x1
	v_and_b32_e32 v89, 0xff, v28
	v_and_b32_e32 v91, 0xff, v29
	v_mul_i32_i24_e32 v36, v72, v36
	v_mul_i32_i24_e32 v38, v73, v38
	v_and_b32_e32 v73, 1, v34
	v_mul_i32_i24_e32 v39, v74, v39
	v_and_b32_e32 v74, 2, v34
	v_mul_i32_i24_e32 v47, v83, v47
	v_mul_i32_i24_e32 v48, v84, v48
	v_and_b32_e32 v62, 1, v32
	v_and_b32_e32 v68, 1, v33
	v_lshrrev_b32_e32 v75, 24, v24
	v_lshrrev_b32_e32 v76, 24, v25
	v_and_b32_e32 v77, 0xff, v24
	v_bfe_u32 v78, v24, 8, 8
	v_bfe_u32 v24, v24, 16, 8
	v_and_b32_e32 v79, 0xff, v25
	v_bfe_u32 v80, v25, 8, 8
	v_bfe_u32 v25, v25, 16, 8
	v_lshrrev_b32_e32 v87, 24, v28
	v_bfe_u32 v90, v28, 8, 8
	v_bfe_u32 v28, v28, 16, 8
	v_and_b32_e32 v93, 2, v33
	v_mul_i32_i24_e32 v23, v71, v23
	v_and_b32_e32 v71, 4, v33
	v_and_b32_e32 v72, 8, v33
	v_mul_i32_i24_e32 v20, v20, v37
	v_and_b32_e32 v37, 16, v33
	v_mul_i32_i24_e32 v12, v69, v12
	;; [unrolled: 2-line block ×5, first 2 shown]
	v_mul_i32_i24_e32 v16, v81, v16
	v_mul_i32_i24_e32 v49, v85, v50
	v_mul_i32_i24_e32 v50, v86, v51
	v_mul_i32_i24_e32 v51, v89, v53
	v_mul_i32_i24_e32 v53, v91, v56
	v_sub_nc_u32_e32 v56, 0, v36
	v_cmp_eq_u16_e32 vcc_lo, 0, v63
	v_cmp_eq_u16_e64 s0, 0, v64
	v_sub_nc_u32_e32 v63, 0, v38
	v_cmp_eq_u16_e64 s2, 0, v66
	v_sub_nc_u32_e32 v64, 0, v39
	v_cmp_eq_u16_e64 s3, 0, v67
	v_cmp_gt_i16_e64 s12, 0, v33
	v_sub_nc_u32_e32 v33, 0, v47
	v_cmp_eq_u16_e64 s13, 0, v73
	v_sub_nc_u32_e32 v73, 0, v48
	v_cmp_eq_u16_e64 s14, 0, v74
	s_wait_loadcnt 0x0
	v_cvt_f32_f16_e32 v22, v22
	v_and_b32_e32 v65, 8, v32
	v_lshrrev_b32_e32 v82, 24, v27
	v_bfe_u32 v27, v27, 16, 8
	v_lshrrev_b32_e32 v88, 24, v29
	v_bfe_u32 v92, v29, 8, 8
	v_bfe_u32 v29, v29, 16, 8
	v_mul_i32_i24_e32 v41, v77, v41
	v_and_b32_e32 v77, 16, v34
	v_mul_i32_i24_e32 v42, v78, v42
	v_and_b32_e32 v78, 32, v34
	;; [unrolled: 2-line block ×8, first 2 shown]
	v_mul_i32_i24_e32 v28, v28, v55
	v_sub_nc_u32_e32 v55, 0, v23
	v_sub_nc_u32_e32 v4, 0, v13
	v_cmp_gt_i16_e64 s5, 0, v32
	v_sub_nc_u32_e32 v74, 0, v26
	v_cmp_eq_u16_e64 s15, 0, v40
	v_sub_nc_u32_e32 v40, 0, v16
	v_cmp_eq_u16_e64 s16, 0, v70
	v_cmp_eq_u16_e64 s29, 0, v62
	s_wait_alu 0xfffd
	v_cndmask_b32_e32 v35, v56, v36, vcc_lo
	s_wait_alu 0xf1ff
	v_cndmask_b32_e64 v36, v63, v38, s2
	s_wait_alu 0xfffe
	v_cndmask_b32_e64 v38, v64, v39, s3
	v_cndmask_b32_e64 v33, v33, v47, s13
	v_cndmask_b32_e64 v39, v73, v48, s14
	v_mul_i32_i24_e32 v27, v27, v52
	v_mul_i32_i24_e32 v17, v82, v17
	;; [unrolled: 1-line block ×5, first 2 shown]
	v_sub_nc_u32_e32 v57, 0, v20
	v_sub_nc_u32_e32 v58, 0, v12
	v_cmp_eq_u16_e64 s1, 0, v65
	v_sub_nc_u32_e32 v70, 0, v49
	v_cmp_eq_u16_e64 s17, 0, v77
	;; [unrolled: 2-line block ×3, first 2 shown]
	v_cndmask_b32_e64 v23, v55, v23, s29
	v_cndmask_b32_e64 v4, v13, v4, s5
	;; [unrolled: 1-line block ×4, first 2 shown]
	v_add_nc_u32_e32 v26, v39, v33
	v_sub_nc_u32_e32 v78, 0, v27
	v_sub_nc_u32_e32 v5, 0, v17
	v_cmp_gt_i16_e64 s20, 0, v34
	v_cndmask_b32_e64 v20, v57, v20, s0
	s_wait_alu 0xf1ff
	v_cndmask_b32_e64 v12, v58, v12, s1
	v_cndmask_b32_e64 v33, v70, v49, s17
	;; [unrolled: 1-line block ×3, first 2 shown]
	v_add_nc_u32_e32 v23, v35, v23
	v_add3_u32 v13, v26, v13, v16
	v_mul_i32_i24_e32 v18, v87, v18
	v_sub_nc_u32_e32 v65, 0, v21
	v_sub_nc_u32_e32 v34, 0, v51
	v_cmp_eq_u16_e64 s21, 0, v43
	v_sub_nc_u32_e32 v43, 0, v52
	v_cmp_eq_u16_e64 s22, 0, v75
	v_cndmask_b32_e64 v26, v27, v78, s19
	v_cndmask_b32_e64 v5, v17, v5, s20
	v_add3_u32 v12, v23, v20, v12
	v_add3_u32 v13, v13, v33, v39
	v_sub_nc_u32_e32 v32, 0, v41
	v_cmp_eq_u16_e64 s6, 0, v68
	v_sub_nc_u32_e32 v66, 0, v42
	v_cmp_eq_u16_e64 s7, 0, v93
	;; [unrolled: 2-line block ×5, first 2 shown]
	v_cndmask_b32_e64 v21, v21, v65, s4
	s_wait_alu 0xf1ff
	v_cndmask_b32_e64 v20, v34, v51, s21
	v_cndmask_b32_e64 v23, v43, v52, s22
	v_add3_u32 v12, v12, v36, v38
	v_add3_u32 v5, v13, v26, v5
	v_mul_i32_i24_e32 v19, v88, v19
	v_sub_nc_u32_e32 v67, 0, v24
	v_cmp_eq_u16_e64 s8, 0, v71
	v_sub_nc_u32_e32 v80, 0, v53
	v_cmp_eq_u16_e64 s25, 0, v46
	;; [unrolled: 2-line block ×3, first 2 shown]
	v_cndmask_b32_e64 v32, v32, v41, s6
	v_cndmask_b32_e64 v16, v66, v42, s7
	;; [unrolled: 1-line block ×5, first 2 shown]
	v_add3_u32 v4, v12, v21, v4
	v_add3_u32 v5, v5, v20, v23
	v_sub_nc_u32_e32 v71, 0, v44
	v_cmp_eq_u16_e64 s10, 0, v37
	v_sub_nc_u32_e32 v37, 0, v45
	v_cmp_eq_u16_e64 s11, 0, v69
	v_sub_nc_u32_e32 v76, 0, v29
	v_sub_nc_u32_e32 v61, 0, v19
	s_wait_alu 0xf1ff
	v_cndmask_b32_e64 v17, v67, v24, s8
	v_cndmask_b32_e64 v20, v80, v53, s25
	;; [unrolled: 1-line block ×3, first 2 shown]
	v_add3_u32 v4, v4, v32, v16
	v_add3_u32 v5, v5, v14, v18
	v_sub_nc_u32_e32 v69, 0, v25
	v_sub_nc_u32_e32 v72, 0, v15
	v_cndmask_b32_e64 v12, v71, v44, s10
	v_cndmask_b32_e64 v14, v37, v45, s11
	;; [unrolled: 1-line block ×4, first 2 shown]
	v_add3_u32 v4, v4, v17, v13
	v_add3_u32 v5, v5, v20, v21
	v_cmp_gt_i16_e32 vcc_lo, 0, v60
	v_cndmask_b32_e64 v15, v15, v72, s12
	s_delay_alu instid0(VALU_DEP_4) | instskip(NEXT) | instid1(VALU_DEP_4)
	v_add3_u32 v4, v4, v12, v14
	v_add3_u32 v5, v5, v16, v18
	s_wait_alu 0xfffd
	v_cndmask_b32_e32 v13, v25, v69, vcc_lo
	v_cvt_f32_f16_e32 v12, v31
	v_cvt_f32_ubyte0_e32 v14, v30
	v_add_f32_e32 v16, 0.5, v59
	v_cvt_f32_i32_e32 v5, v5
	v_add3_u32 v4, v4, v13, v15
	v_mul_f32_e32 v12, v12, v22
	v_add_f32_e32 v13, 0.5, v14
	v_cmp_le_u32_e32 vcc_lo, s40, v6
	v_mul_f32_e32 v5, v16, v5
	v_cvt_f32_i32_e32 v4, v4
	v_mul_f32_e32 v12, 0x3e800000, v12
	s_or_b32 s37, vcc_lo, s37
	s_delay_alu instid0(VALU_DEP_2) | instskip(NEXT) | instid1(VALU_DEP_1)
	v_fmac_f32_e32 v5, v13, v4
	v_fmac_f32_e32 v7, v12, v5
	s_and_not1_b32 exec_lo, exec_lo, s37
	s_cbranch_execnz .LBB248_3
; %bb.4:
	s_or_b32 exec_lo, exec_lo, s37
.LBB248_5:
	s_delay_alu instid0(SALU_CYCLE_1) | instskip(SKIP_1) | instid1(VALU_DEP_1)
	s_or_b32 exec_lo, exec_lo, s41
	v_mbcnt_lo_u32_b32 v2, -1, 0
	v_xor_b32_e32 v3, 16, v2
	v_xor_b32_e32 v4, 8, v2
	;; [unrolled: 1-line block ×3, first 2 shown]
	s_delay_alu instid0(VALU_DEP_3)
	v_cmp_gt_i32_e32 vcc_lo, 32, v3
	s_wait_alu 0xfffd
	v_cndmask_b32_e32 v3, v2, v3, vcc_lo
	v_cmp_gt_i32_e32 vcc_lo, 32, v4
	s_wait_alu 0xfffd
	v_cndmask_b32_e32 v4, v2, v4, vcc_lo
	v_cmp_gt_i32_e32 vcc_lo, 32, v5
	s_delay_alu instid0(VALU_DEP_2)
	v_lshlrev_b32_e32 v4, 2, v4
	v_lshlrev_b32_e32 v3, 2, v3
	s_wait_alu 0xfffd
	v_cndmask_b32_e32 v5, v2, v5, vcc_lo
	ds_bpermute_b32 v3, v3, v7
	v_lshlrev_b32_e32 v5, 2, v5
	s_wait_dscnt 0x0
	v_add_f32_e32 v3, v7, v3
	ds_bpermute_b32 v4, v4, v3
	s_wait_dscnt 0x0
	v_add_f32_e32 v3, v3, v4
	ds_bpermute_b32 v4, v5, v3
	v_xor_b32_e32 v5, 2, v2
	s_delay_alu instid0(VALU_DEP_1) | instskip(SKIP_2) | instid1(VALU_DEP_1)
	v_cmp_gt_i32_e32 vcc_lo, 32, v5
	s_wait_alu 0xfffd
	v_cndmask_b32_e32 v5, v2, v5, vcc_lo
	v_lshlrev_b32_e32 v5, 2, v5
	s_wait_dscnt 0x0
	v_add_f32_e32 v3, v3, v4
	ds_bpermute_b32 v4, v5, v3
	v_xor_b32_e32 v5, 1, v2
	s_delay_alu instid0(VALU_DEP_1) | instskip(SKIP_4) | instid1(VALU_DEP_2)
	v_cmp_gt_i32_e32 vcc_lo, 32, v5
	s_wait_alu 0xfffd
	v_cndmask_b32_e32 v5, v2, v5, vcc_lo
	v_cmp_eq_u32_e32 vcc_lo, 0, v0
	s_wait_dscnt 0x0
	v_dual_add_f32 v2, v3, v4 :: v_dual_lshlrev_b32 v3, 2, v5
	ds_bpermute_b32 v3, v3, v2
	s_and_b32 exec_lo, exec_lo, vcc_lo
	s_cbranch_execz .LBB248_7
; %bb.6:
	v_mad_co_u64_u32 v[0:1], null, s30, s33, v[1:2]
	s_wait_dscnt 0x0
	v_dual_mov_b32 v1, 0 :: v_dual_add_f32 v2, v2, v3
	s_delay_alu instid0(VALU_DEP_1) | instskip(SKIP_1) | instid1(VALU_DEP_1)
	v_lshlrev_b64_e32 v[0:1], 2, v[0:1]
	s_wait_kmcnt 0x0
	v_add_co_u32 v0, vcc_lo, s34, v0
	s_wait_alu 0xfffd
	s_delay_alu instid0(VALU_DEP_2)
	v_add_co_ci_u32_e64 v1, null, s35, v1, vcc_lo
	global_store_b32 v[0:1], v2, off
.LBB248_7:
	s_endpgm
	.section	.rodata,"a",@progbits
	.p2align	6, 0x0
	.amdhsa_kernel _ZL9moe_vec_qIfLi256ELi8E12block_iq2_xsLi1EXadL_ZL19vec_dot_iq2_xs_q8_1PKvPK10block_q8_1RKiEEEvS2_S2_PT_PS6_iiii
		.amdhsa_group_segment_fixed_size 0
		.amdhsa_private_segment_fixed_size 0
		.amdhsa_kernarg_size 304
		.amdhsa_user_sgpr_count 2
		.amdhsa_user_sgpr_dispatch_ptr 0
		.amdhsa_user_sgpr_queue_ptr 0
		.amdhsa_user_sgpr_kernarg_segment_ptr 1
		.amdhsa_user_sgpr_dispatch_id 0
		.amdhsa_user_sgpr_private_segment_size 0
		.amdhsa_wavefront_size32 1
		.amdhsa_uses_dynamic_stack 0
		.amdhsa_enable_private_segment 0
		.amdhsa_system_sgpr_workgroup_id_x 1
		.amdhsa_system_sgpr_workgroup_id_y 0
		.amdhsa_system_sgpr_workgroup_id_z 1
		.amdhsa_system_sgpr_workgroup_info 0
		.amdhsa_system_vgpr_workitem_id 1
		.amdhsa_next_free_vgpr 94
		.amdhsa_next_free_sgpr 42
		.amdhsa_reserve_vcc 1
		.amdhsa_float_round_mode_32 0
		.amdhsa_float_round_mode_16_64 0
		.amdhsa_float_denorm_mode_32 3
		.amdhsa_float_denorm_mode_16_64 3
		.amdhsa_fp16_overflow 0
		.amdhsa_workgroup_processor_mode 1
		.amdhsa_memory_ordered 1
		.amdhsa_forward_progress 1
		.amdhsa_inst_pref_size 21
		.amdhsa_round_robin_scheduling 0
		.amdhsa_exception_fp_ieee_invalid_op 0
		.amdhsa_exception_fp_denorm_src 0
		.amdhsa_exception_fp_ieee_div_zero 0
		.amdhsa_exception_fp_ieee_overflow 0
		.amdhsa_exception_fp_ieee_underflow 0
		.amdhsa_exception_fp_ieee_inexact 0
		.amdhsa_exception_int_div_zero 0
	.end_amdhsa_kernel
	.section	.text._ZL9moe_vec_qIfLi256ELi8E12block_iq2_xsLi1EXadL_ZL19vec_dot_iq2_xs_q8_1PKvPK10block_q8_1RKiEEEvS2_S2_PT_PS6_iiii,"axG",@progbits,_ZL9moe_vec_qIfLi256ELi8E12block_iq2_xsLi1EXadL_ZL19vec_dot_iq2_xs_q8_1PKvPK10block_q8_1RKiEEEvS2_S2_PT_PS6_iiii,comdat
.Lfunc_end248:
	.size	_ZL9moe_vec_qIfLi256ELi8E12block_iq2_xsLi1EXadL_ZL19vec_dot_iq2_xs_q8_1PKvPK10block_q8_1RKiEEEvS2_S2_PT_PS6_iiii, .Lfunc_end248-_ZL9moe_vec_qIfLi256ELi8E12block_iq2_xsLi1EXadL_ZL19vec_dot_iq2_xs_q8_1PKvPK10block_q8_1RKiEEEvS2_S2_PT_PS6_iiii
                                        ; -- End function
	.set _ZL9moe_vec_qIfLi256ELi8E12block_iq2_xsLi1EXadL_ZL19vec_dot_iq2_xs_q8_1PKvPK10block_q8_1RKiEEEvS2_S2_PT_PS6_iiii.num_vgpr, 94
	.set _ZL9moe_vec_qIfLi256ELi8E12block_iq2_xsLi1EXadL_ZL19vec_dot_iq2_xs_q8_1PKvPK10block_q8_1RKiEEEvS2_S2_PT_PS6_iiii.num_agpr, 0
	.set _ZL9moe_vec_qIfLi256ELi8E12block_iq2_xsLi1EXadL_ZL19vec_dot_iq2_xs_q8_1PKvPK10block_q8_1RKiEEEvS2_S2_PT_PS6_iiii.numbered_sgpr, 42
	.set _ZL9moe_vec_qIfLi256ELi8E12block_iq2_xsLi1EXadL_ZL19vec_dot_iq2_xs_q8_1PKvPK10block_q8_1RKiEEEvS2_S2_PT_PS6_iiii.num_named_barrier, 0
	.set _ZL9moe_vec_qIfLi256ELi8E12block_iq2_xsLi1EXadL_ZL19vec_dot_iq2_xs_q8_1PKvPK10block_q8_1RKiEEEvS2_S2_PT_PS6_iiii.private_seg_size, 0
	.set _ZL9moe_vec_qIfLi256ELi8E12block_iq2_xsLi1EXadL_ZL19vec_dot_iq2_xs_q8_1PKvPK10block_q8_1RKiEEEvS2_S2_PT_PS6_iiii.uses_vcc, 1
	.set _ZL9moe_vec_qIfLi256ELi8E12block_iq2_xsLi1EXadL_ZL19vec_dot_iq2_xs_q8_1PKvPK10block_q8_1RKiEEEvS2_S2_PT_PS6_iiii.uses_flat_scratch, 0
	.set _ZL9moe_vec_qIfLi256ELi8E12block_iq2_xsLi1EXadL_ZL19vec_dot_iq2_xs_q8_1PKvPK10block_q8_1RKiEEEvS2_S2_PT_PS6_iiii.has_dyn_sized_stack, 0
	.set _ZL9moe_vec_qIfLi256ELi8E12block_iq2_xsLi1EXadL_ZL19vec_dot_iq2_xs_q8_1PKvPK10block_q8_1RKiEEEvS2_S2_PT_PS6_iiii.has_recursion, 0
	.set _ZL9moe_vec_qIfLi256ELi8E12block_iq2_xsLi1EXadL_ZL19vec_dot_iq2_xs_q8_1PKvPK10block_q8_1RKiEEEvS2_S2_PT_PS6_iiii.has_indirect_call, 0
	.section	.AMDGPU.csdata,"",@progbits
; Kernel info:
; codeLenInByte = 2656
; TotalNumSgprs: 44
; NumVgprs: 94
; ScratchSize: 0
; MemoryBound: 0
; FloatMode: 240
; IeeeMode: 1
; LDSByteSize: 0 bytes/workgroup (compile time only)
; SGPRBlocks: 0
; VGPRBlocks: 11
; NumSGPRsForWavesPerEU: 44
; NumVGPRsForWavesPerEU: 94
; Occupancy: 16
; WaveLimiterHint : 1
; COMPUTE_PGM_RSRC2:SCRATCH_EN: 0
; COMPUTE_PGM_RSRC2:USER_SGPR: 2
; COMPUTE_PGM_RSRC2:TRAP_HANDLER: 0
; COMPUTE_PGM_RSRC2:TGID_X_EN: 1
; COMPUTE_PGM_RSRC2:TGID_Y_EN: 0
; COMPUTE_PGM_RSRC2:TGID_Z_EN: 1
; COMPUTE_PGM_RSRC2:TIDIG_COMP_CNT: 1
	.section	.text._ZL9moe_vec_qIfLi256ELi8E13block_iq3_xxsLi1EXadL_ZL20vec_dot_iq3_xxs_q8_1PKvPK10block_q8_1RKiEEEvS2_S2_PT_PS6_iiii,"axG",@progbits,_ZL9moe_vec_qIfLi256ELi8E13block_iq3_xxsLi1EXadL_ZL20vec_dot_iq3_xxs_q8_1PKvPK10block_q8_1RKiEEEvS2_S2_PT_PS6_iiii,comdat
	.globl	_ZL9moe_vec_qIfLi256ELi8E13block_iq3_xxsLi1EXadL_ZL20vec_dot_iq3_xxs_q8_1PKvPK10block_q8_1RKiEEEvS2_S2_PT_PS6_iiii ; -- Begin function _ZL9moe_vec_qIfLi256ELi8E13block_iq3_xxsLi1EXadL_ZL20vec_dot_iq3_xxs_q8_1PKvPK10block_q8_1RKiEEEvS2_S2_PT_PS6_iiii
	.p2align	8
	.type	_ZL9moe_vec_qIfLi256ELi8E13block_iq3_xxsLi1EXadL_ZL20vec_dot_iq3_xxs_q8_1PKvPK10block_q8_1RKiEEEvS2_S2_PT_PS6_iiii,@function
_ZL9moe_vec_qIfLi256ELi8E13block_iq3_xxsLi1EXadL_ZL20vec_dot_iq3_xxs_q8_1PKvPK10block_q8_1RKiEEEvS2_S2_PT_PS6_iiii: ; @_ZL9moe_vec_qIfLi256ELi8E13block_iq3_xxsLi1EXadL_ZL20vec_dot_iq3_xxs_q8_1PKvPK10block_q8_1RKiEEEvS2_S2_PT_PS6_iiii
; %bb.0:
	s_clause 0x1
	s_load_u16 s2, s[0:1], 0x3e
	s_load_b128 s[4:7], s[0:1], 0x20
	v_bfe_u32 v1, v0, 10, 10
	s_wait_kmcnt 0x0
	s_delay_alu instid0(VALU_DEP_1)
	v_mad_co_u64_u32 v[1:2], null, ttmp9, s2, v[1:2]
	s_mov_b32 s2, exec_lo
	v_cmpx_gt_u32_e64 s6, v1
	s_cbranch_execz .LBB249_9
; %bb.1:
	s_load_b64 s[8:9], s[0:1], 0x10
	s_ashr_i32 s2, s5, 31
	v_bfe_u32 v14, v0, 3, 7
	s_wait_alu 0xfffe
	s_lshr_b32 s2, s2, 24
	v_dual_mov_b32 v15, 0 :: v_dual_and_b32 v0, 0x3ff, v0
	s_wait_alu 0xfffe
	s_add_co_i32 s2, s5, s2
	s_lshr_b32 s10, ttmp7, 16
	s_wait_alu 0xfffe
	s_ashr_i32 s11, s2, 8
	s_mov_b32 s12, exec_lo
	v_cmpx_gt_u32_e64 s11, v14
	s_cbranch_execz .LBB249_7
; %bb.2:
	s_load_b64 s[2:3], s[0:1], 0x18
	s_cvt_f32_u32 s5, s4
	s_lshl_b32 s13, s10, 2
	s_mul_i32 s15, s11, s6
	v_mul_lo_u32 v16, v1, s11
	v_rcp_iflag_f32_e32 v2, s5
	v_lshlrev_b32_e32 v17, 3, v14
	s_delay_alu instid0(VALU_DEP_2) | instskip(NEXT) | instid1(TRANS32_DEP_1)
	v_dual_mov_b32 v15, 0 :: v_dual_add_nc_u32 v18, v14, v16
	v_readfirstlane_b32 s5, v2
	v_and_b32_e32 v2, 7, v0
	s_wait_kmcnt 0x0
	s_load_b32 s13, s[2:3], s13 offset:0x0
	s_mul_f32 s2, s5, 0x4f7ffffe
	s_sub_co_i32 s5, 0, s4
	v_lshlrev_b32_e32 v4, 3, v2
	v_lshlrev_b32_e32 v8, 1, v2
	s_wait_alu 0xfffe
	s_cvt_u32_f32 s14, s2
	s_load_b128 s[0:3], s[0:1], 0x0
	s_delay_alu instid0(VALU_DEP_1) | instskip(NEXT) | instid1(SALU_CYCLE_1)
	v_lshlrev_b32_e32 v19, 1, v8
	s_mul_i32 s16, s5, s14
	s_mov_b32 s5, 0
	s_mul_hi_u32 s16, s14, s16
	s_delay_alu instid0(SALU_CYCLE_1) | instskip(NEXT) | instid1(SALU_CYCLE_1)
	s_add_co_i32 s14, s14, s16
	s_mul_hi_u32 s16, s10, s14
	s_delay_alu instid0(SALU_CYCLE_1)
	s_mul_i32 s14, s16, s4
	s_add_co_i32 s17, s16, 1
	s_sub_co_i32 s18, s10, s14
	s_wait_kmcnt 0x0
	s_mul_i32 s14, s15, s13
	s_sub_co_i32 s13, s18, s4
	s_ashr_i32 s15, s14, 31
	s_cmp_ge_u32 s18, s4
	s_mul_u64 s[14:15], s[14:15], 0x62
	s_cselect_b32 s16, s17, s16
	s_cselect_b32 s13, s13, s18
	s_add_co_i32 s17, s16, 1
	s_cmp_ge_u32 s13, s4
	s_add_nc_u64 s[0:1], s[0:1], s[14:15]
	s_cselect_b32 s4, s17, s16
	s_wait_alu 0xfffe
	s_mul_i32 s4, s4, s7
	s_wait_alu 0xfffe
	s_lshl_b64 s[16:17], s[4:5], 2
	s_getpc_b64 s[14:15]
	s_sext_i32_i16 s15, s15
	s_add_co_u32 s14, s14, _ZL11iq3xxs_grid@rel32@lo+8
	s_add_co_ci_u32 s15, s15, _ZL11iq3xxs_grid@rel32@hi+16
	s_add_nc_u64 s[2:3], s[2:3], s[16:17]
	s_wait_alu 0xfffe
	v_mad_co_u64_u32 v[2:3], null, v2, 36, s[2:3]
	v_add_co_u32 v4, s2, s0, v4
	s_wait_alu 0xf1ff
	v_add_co_ci_u32_e64 v5, null, s1, 0, s2
	s_delay_alu instid0(VALU_DEP_2) | instskip(NEXT) | instid1(VALU_DEP_1)
	v_add_co_u32 v4, vcc_lo, v4, 2
	v_add_co_ci_u32_e64 v5, null, 0, v5, vcc_lo
	v_add_co_u32 v6, vcc_lo, v2, 4
	s_wait_alu 0xfffd
	v_add_co_ci_u32_e64 v7, null, 0, v3, vcc_lo
.LBB249_3:                              ; =>This Loop Header: Depth=1
                                        ;     Child Loop BB249_4 Depth 2
	v_add_nc_u32_e32 v8, v14, v16
	v_mad_co_i64_i32 v[12:13], null, 0x62, v18, v[4:5]
	v_mov_b32_e32 v20, 0
	s_mov_b64 s[2:3], 0
	s_delay_alu instid0(VALU_DEP_3) | instskip(NEXT) | instid1(VALU_DEP_1)
	v_mad_co_i64_i32 v[8:9], null, 0x62, v8, s[0:1]
	v_add_co_u32 v10, vcc_lo, v8, v19
	s_wait_alu 0xfffd
	s_delay_alu instid0(VALU_DEP_2)
	v_add_co_ci_u32_e64 v11, null, 0, v9, vcc_lo
	global_load_b32 v21, v[10:11], off offset:66
	v_mad_co_i64_i32 v[10:11], null, v17, 36, v[6:7]
.LBB249_4:                              ;   Parent Loop BB249_3 Depth=1
                                        ; =>  This Inner Loop Header: Depth=2
	global_load_u16 v26, v[12:13], off
	s_wait_loadcnt 0x1
	v_and_b32_e32 v24, 0x7f, v21
	s_wait_alu 0xfffe
	v_add_co_u32 v22, vcc_lo, v10, s2
	s_getpc_b64 s[16:17]
	s_sext_i32_i16 s17, s17
	s_add_co_u32 s16, s16, _ZL8ksigns64@rel32@lo+8
	s_add_co_ci_u32 s17, s17, _ZL8ksigns64@rel32@hi+16
	s_wait_alu 0xfffd
	v_add_co_ci_u32_e64 v23, null, s3, v11, vcc_lo
	v_lshlrev_b32_e32 v24, 3, v24
	v_add_co_u32 v12, vcc_lo, v12, 2
	v_lshrrev_b32_e32 v21, 7, v21
	s_wait_alu 0xfffd
	v_add_co_ci_u32_e64 v13, null, 0, v13, vcc_lo
	global_load_b64 v[24:25], v24, s[16:17]
	s_add_nc_u64 s[2:3], s[2:3], 8
	s_wait_alu 0xfffe
	s_cmp_lg_u32 s2, 32
	s_wait_loadcnt 0x1
	v_lshrrev_b16 v27, 8, v26
	v_and_b32_e32 v26, 0xff, v26
	s_delay_alu instid0(VALU_DEP_2) | instskip(NEXT) | instid1(VALU_DEP_2)
	v_and_b32_e32 v27, 0xffff, v27
	v_lshlrev_b32_e32 v26, 2, v26
	s_delay_alu instid0(VALU_DEP_2)
	v_lshlrev_b32_e32 v27, 2, v27
	s_clause 0x1
	global_load_b32 v26, v26, s[14:15]
	global_load_b32 v27, v27, s[14:15]
	global_load_b64 v[22:23], v[22:23], off
	s_wait_loadcnt 0x3
	v_and_b32_e32 v35, 0xff0000, v24
	v_and_b32_e32 v34, 0xff000000, v24
	;; [unrolled: 1-line block ×6, first 2 shown]
	s_wait_loadcnt 0x2
	v_xor_b32_e32 v26, v24, v26
	s_wait_loadcnt 0x1
	v_xor_b32_e32 v27, v25, v27
	s_wait_loadcnt 0x0
	v_lshrrev_b16 v28, 8, v22
	v_lshrrev_b16 v29, 8, v23
	v_ashrrev_i32_e32 v32, 24, v23
	v_sub_nc_u32_e32 v35, v26, v35
	v_sub_nc_u32_e32 v24, v26, v24
	;; [unrolled: 1-line block ×6, first 2 shown]
	v_perm_b32 v24, v35, v24, 0xc060c00
	v_sub_nc_u32_e32 v35, v27, v38
	v_sub_nc_u32_e32 v27, v27, v37
	v_bfe_i32 v33, v23, 16, 8
	v_lshrrev_b16 v26, 8, v26
	v_ashrrev_i32_e32 v30, 24, v22
	v_perm_b32 v25, v35, v25, 0xc060c00
	v_lshrrev_b16 v35, 8, v36
	v_ashrrev_i32_e32 v27, 24, v27
	v_bfe_i32 v31, v22, 16, 8
	v_bfe_i32 v22, v22, 0, 8
	;; [unrolled: 1-line block ×6, first 2 shown]
	v_ashrrev_i32_e32 v34, 24, v34
	v_bfe_i32 v36, v24, 0, 8
	v_bfe_i32 v24, v24, 16, 8
	;; [unrolled: 1-line block ×5, first 2 shown]
	v_mul_i32_i24_e32 v27, v27, v32
	v_mul_i32_i24_e32 v32, v37, v33
	;; [unrolled: 1-line block ×6, first 2 shown]
	v_mad_i32_i24 v27, v34, v30, v27
	v_mad_i32_i24 v24, v24, v31, v32
	s_delay_alu instid0(VALU_DEP_2) | instskip(NEXT) | instid1(VALU_DEP_2)
	v_add3_u32 v25, v26, v25, v27
	v_add3_u32 v22, v22, v23, v24
	s_delay_alu instid0(VALU_DEP_1)
	v_add3_u32 v20, v22, v25, v20
	s_cbranch_scc1 .LBB249_4
; %bb.5:                                ;   in Loop: Header=BB249_3 Depth=1
	v_lshlrev_b32_e32 v10, 3, v14
	v_add_nc_u32_e32 v14, 4, v14
	v_add_nc_u32_e32 v18, 4, v18
	;; [unrolled: 1-line block ×3, first 2 shown]
	s_delay_alu instid0(VALU_DEP_4) | instskip(SKIP_4) | instid1(VALU_DEP_2)
	v_mad_co_i64_i32 v[10:11], null, v10, 36, v[2:3]
	global_load_u16 v8, v[8:9], off
	global_load_b32 v9, v[10:11], off
	v_cvt_f32_u32_e32 v10, v21
	v_cmp_le_u32_e32 vcc_lo, s11, v14
	v_add_f32_e32 v10, 0.5, v10
	s_or_b32 s5, vcc_lo, s5
	s_wait_loadcnt 0x1
	v_cvt_f32_f16_e32 v8, v8
	s_wait_loadcnt 0x0
	v_cvt_f32_f16_e32 v9, v9
	s_delay_alu instid0(VALU_DEP_2) | instskip(NEXT) | instid1(VALU_DEP_1)
	v_mul_f32_e32 v8, v10, v8
	v_mul_f32_e32 v8, v8, v9
	v_cvt_f32_i32_e32 v9, v20
	s_delay_alu instid0(VALU_DEP_2) | instskip(NEXT) | instid1(VALU_DEP_1)
	v_mul_f32_e32 v8, 0.5, v8
	v_fmac_f32_e32 v15, v8, v9
	s_wait_alu 0xfffe
	s_and_not1_b32 exec_lo, exec_lo, s5
	s_cbranch_execnz .LBB249_3
; %bb.6:
	s_or_b32 exec_lo, exec_lo, s5
.LBB249_7:
	s_delay_alu instid0(SALU_CYCLE_1) | instskip(SKIP_1) | instid1(VALU_DEP_1)
	s_or_b32 exec_lo, exec_lo, s12
	v_mbcnt_lo_u32_b32 v2, -1, 0
	v_xor_b32_e32 v3, 16, v2
	v_xor_b32_e32 v4, 8, v2
	;; [unrolled: 1-line block ×3, first 2 shown]
	s_delay_alu instid0(VALU_DEP_3)
	v_cmp_gt_i32_e32 vcc_lo, 32, v3
	s_wait_alu 0xfffd
	v_cndmask_b32_e32 v3, v2, v3, vcc_lo
	v_cmp_gt_i32_e32 vcc_lo, 32, v4
	s_wait_alu 0xfffd
	v_cndmask_b32_e32 v4, v2, v4, vcc_lo
	v_cmp_gt_i32_e32 vcc_lo, 32, v5
	s_delay_alu instid0(VALU_DEP_2)
	v_lshlrev_b32_e32 v4, 2, v4
	v_lshlrev_b32_e32 v3, 2, v3
	s_wait_alu 0xfffd
	v_cndmask_b32_e32 v5, v2, v5, vcc_lo
	ds_bpermute_b32 v3, v3, v15
	v_lshlrev_b32_e32 v5, 2, v5
	s_wait_dscnt 0x0
	v_add_f32_e32 v3, v15, v3
	ds_bpermute_b32 v4, v4, v3
	s_wait_dscnt 0x0
	v_add_f32_e32 v3, v3, v4
	ds_bpermute_b32 v4, v5, v3
	v_xor_b32_e32 v5, 2, v2
	s_delay_alu instid0(VALU_DEP_1) | instskip(SKIP_2) | instid1(VALU_DEP_1)
	v_cmp_gt_i32_e32 vcc_lo, 32, v5
	s_wait_alu 0xfffd
	v_cndmask_b32_e32 v5, v2, v5, vcc_lo
	v_lshlrev_b32_e32 v5, 2, v5
	s_wait_dscnt 0x0
	v_add_f32_e32 v3, v3, v4
	ds_bpermute_b32 v4, v5, v3
	v_xor_b32_e32 v5, 1, v2
	s_delay_alu instid0(VALU_DEP_1) | instskip(SKIP_4) | instid1(VALU_DEP_2)
	v_cmp_gt_i32_e32 vcc_lo, 32, v5
	s_wait_alu 0xfffd
	v_cndmask_b32_e32 v5, v2, v5, vcc_lo
	v_cmp_eq_u32_e32 vcc_lo, 0, v0
	s_wait_dscnt 0x0
	v_dual_add_f32 v2, v3, v4 :: v_dual_lshlrev_b32 v3, 2, v5
	ds_bpermute_b32 v3, v3, v2
	s_and_b32 exec_lo, exec_lo, vcc_lo
	s_cbranch_execz .LBB249_9
; %bb.8:
	v_mad_co_u64_u32 v[0:1], null, s6, s10, v[1:2]
	s_wait_dscnt 0x0
	v_dual_mov_b32 v1, 0 :: v_dual_add_f32 v2, v2, v3
	s_delay_alu instid0(VALU_DEP_1) | instskip(SKIP_1) | instid1(VALU_DEP_1)
	v_lshlrev_b64_e32 v[0:1], 2, v[0:1]
	s_wait_kmcnt 0x0
	v_add_co_u32 v0, vcc_lo, s8, v0
	s_wait_alu 0xfffd
	s_delay_alu instid0(VALU_DEP_2)
	v_add_co_ci_u32_e64 v1, null, s9, v1, vcc_lo
	global_store_b32 v[0:1], v2, off
.LBB249_9:
	s_endpgm
	.section	.rodata,"a",@progbits
	.p2align	6, 0x0
	.amdhsa_kernel _ZL9moe_vec_qIfLi256ELi8E13block_iq3_xxsLi1EXadL_ZL20vec_dot_iq3_xxs_q8_1PKvPK10block_q8_1RKiEEEvS2_S2_PT_PS6_iiii
		.amdhsa_group_segment_fixed_size 0
		.amdhsa_private_segment_fixed_size 0
		.amdhsa_kernarg_size 304
		.amdhsa_user_sgpr_count 2
		.amdhsa_user_sgpr_dispatch_ptr 0
		.amdhsa_user_sgpr_queue_ptr 0
		.amdhsa_user_sgpr_kernarg_segment_ptr 1
		.amdhsa_user_sgpr_dispatch_id 0
		.amdhsa_user_sgpr_private_segment_size 0
		.amdhsa_wavefront_size32 1
		.amdhsa_uses_dynamic_stack 0
		.amdhsa_enable_private_segment 0
		.amdhsa_system_sgpr_workgroup_id_x 1
		.amdhsa_system_sgpr_workgroup_id_y 0
		.amdhsa_system_sgpr_workgroup_id_z 1
		.amdhsa_system_sgpr_workgroup_info 0
		.amdhsa_system_vgpr_workitem_id 1
		.amdhsa_next_free_vgpr 40
		.amdhsa_next_free_sgpr 19
		.amdhsa_reserve_vcc 1
		.amdhsa_float_round_mode_32 0
		.amdhsa_float_round_mode_16_64 0
		.amdhsa_float_denorm_mode_32 3
		.amdhsa_float_denorm_mode_16_64 3
		.amdhsa_fp16_overflow 0
		.amdhsa_workgroup_processor_mode 1
		.amdhsa_memory_ordered 1
		.amdhsa_forward_progress 1
		.amdhsa_inst_pref_size 12
		.amdhsa_round_robin_scheduling 0
		.amdhsa_exception_fp_ieee_invalid_op 0
		.amdhsa_exception_fp_denorm_src 0
		.amdhsa_exception_fp_ieee_div_zero 0
		.amdhsa_exception_fp_ieee_overflow 0
		.amdhsa_exception_fp_ieee_underflow 0
		.amdhsa_exception_fp_ieee_inexact 0
		.amdhsa_exception_int_div_zero 0
	.end_amdhsa_kernel
	.section	.text._ZL9moe_vec_qIfLi256ELi8E13block_iq3_xxsLi1EXadL_ZL20vec_dot_iq3_xxs_q8_1PKvPK10block_q8_1RKiEEEvS2_S2_PT_PS6_iiii,"axG",@progbits,_ZL9moe_vec_qIfLi256ELi8E13block_iq3_xxsLi1EXadL_ZL20vec_dot_iq3_xxs_q8_1PKvPK10block_q8_1RKiEEEvS2_S2_PT_PS6_iiii,comdat
.Lfunc_end249:
	.size	_ZL9moe_vec_qIfLi256ELi8E13block_iq3_xxsLi1EXadL_ZL20vec_dot_iq3_xxs_q8_1PKvPK10block_q8_1RKiEEEvS2_S2_PT_PS6_iiii, .Lfunc_end249-_ZL9moe_vec_qIfLi256ELi8E13block_iq3_xxsLi1EXadL_ZL20vec_dot_iq3_xxs_q8_1PKvPK10block_q8_1RKiEEEvS2_S2_PT_PS6_iiii
                                        ; -- End function
	.set _ZL9moe_vec_qIfLi256ELi8E13block_iq3_xxsLi1EXadL_ZL20vec_dot_iq3_xxs_q8_1PKvPK10block_q8_1RKiEEEvS2_S2_PT_PS6_iiii.num_vgpr, 40
	.set _ZL9moe_vec_qIfLi256ELi8E13block_iq3_xxsLi1EXadL_ZL20vec_dot_iq3_xxs_q8_1PKvPK10block_q8_1RKiEEEvS2_S2_PT_PS6_iiii.num_agpr, 0
	.set _ZL9moe_vec_qIfLi256ELi8E13block_iq3_xxsLi1EXadL_ZL20vec_dot_iq3_xxs_q8_1PKvPK10block_q8_1RKiEEEvS2_S2_PT_PS6_iiii.numbered_sgpr, 19
	.set _ZL9moe_vec_qIfLi256ELi8E13block_iq3_xxsLi1EXadL_ZL20vec_dot_iq3_xxs_q8_1PKvPK10block_q8_1RKiEEEvS2_S2_PT_PS6_iiii.num_named_barrier, 0
	.set _ZL9moe_vec_qIfLi256ELi8E13block_iq3_xxsLi1EXadL_ZL20vec_dot_iq3_xxs_q8_1PKvPK10block_q8_1RKiEEEvS2_S2_PT_PS6_iiii.private_seg_size, 0
	.set _ZL9moe_vec_qIfLi256ELi8E13block_iq3_xxsLi1EXadL_ZL20vec_dot_iq3_xxs_q8_1PKvPK10block_q8_1RKiEEEvS2_S2_PT_PS6_iiii.uses_vcc, 1
	.set _ZL9moe_vec_qIfLi256ELi8E13block_iq3_xxsLi1EXadL_ZL20vec_dot_iq3_xxs_q8_1PKvPK10block_q8_1RKiEEEvS2_S2_PT_PS6_iiii.uses_flat_scratch, 0
	.set _ZL9moe_vec_qIfLi256ELi8E13block_iq3_xxsLi1EXadL_ZL20vec_dot_iq3_xxs_q8_1PKvPK10block_q8_1RKiEEEvS2_S2_PT_PS6_iiii.has_dyn_sized_stack, 0
	.set _ZL9moe_vec_qIfLi256ELi8E13block_iq3_xxsLi1EXadL_ZL20vec_dot_iq3_xxs_q8_1PKvPK10block_q8_1RKiEEEvS2_S2_PT_PS6_iiii.has_recursion, 0
	.set _ZL9moe_vec_qIfLi256ELi8E13block_iq3_xxsLi1EXadL_ZL20vec_dot_iq3_xxs_q8_1PKvPK10block_q8_1RKiEEEvS2_S2_PT_PS6_iiii.has_indirect_call, 0
	.section	.AMDGPU.csdata,"",@progbits
; Kernel info:
; codeLenInByte = 1512
; TotalNumSgprs: 21
; NumVgprs: 40
; ScratchSize: 0
; MemoryBound: 0
; FloatMode: 240
; IeeeMode: 1
; LDSByteSize: 0 bytes/workgroup (compile time only)
; SGPRBlocks: 0
; VGPRBlocks: 4
; NumSGPRsForWavesPerEU: 21
; NumVGPRsForWavesPerEU: 40
; Occupancy: 16
; WaveLimiterHint : 1
; COMPUTE_PGM_RSRC2:SCRATCH_EN: 0
; COMPUTE_PGM_RSRC2:USER_SGPR: 2
; COMPUTE_PGM_RSRC2:TRAP_HANDLER: 0
; COMPUTE_PGM_RSRC2:TGID_X_EN: 1
; COMPUTE_PGM_RSRC2:TGID_Y_EN: 0
; COMPUTE_PGM_RSRC2:TGID_Z_EN: 1
; COMPUTE_PGM_RSRC2:TIDIG_COMP_CNT: 1
	.section	.text._ZL9moe_vec_qIfLi256ELi8E11block_iq1_sLi1EXadL_ZL18vec_dot_iq1_s_q8_1PKvPK10block_q8_1RKiEEEvS2_S2_PT_PS6_iiii,"axG",@progbits,_ZL9moe_vec_qIfLi256ELi8E11block_iq1_sLi1EXadL_ZL18vec_dot_iq1_s_q8_1PKvPK10block_q8_1RKiEEEvS2_S2_PT_PS6_iiii,comdat
	.globl	_ZL9moe_vec_qIfLi256ELi8E11block_iq1_sLi1EXadL_ZL18vec_dot_iq1_s_q8_1PKvPK10block_q8_1RKiEEEvS2_S2_PT_PS6_iiii ; -- Begin function _ZL9moe_vec_qIfLi256ELi8E11block_iq1_sLi1EXadL_ZL18vec_dot_iq1_s_q8_1PKvPK10block_q8_1RKiEEEvS2_S2_PT_PS6_iiii
	.p2align	8
	.type	_ZL9moe_vec_qIfLi256ELi8E11block_iq1_sLi1EXadL_ZL18vec_dot_iq1_s_q8_1PKvPK10block_q8_1RKiEEEvS2_S2_PT_PS6_iiii,@function
_ZL9moe_vec_qIfLi256ELi8E11block_iq1_sLi1EXadL_ZL18vec_dot_iq1_s_q8_1PKvPK10block_q8_1RKiEEEvS2_S2_PT_PS6_iiii: ; @_ZL9moe_vec_qIfLi256ELi8E11block_iq1_sLi1EXadL_ZL18vec_dot_iq1_s_q8_1PKvPK10block_q8_1RKiEEEvS2_S2_PT_PS6_iiii
; %bb.0:
	s_clause 0x1
	s_load_u16 s2, s[0:1], 0x3e
	s_load_b128 s[4:7], s[0:1], 0x20
	v_bfe_u32 v1, v0, 10, 10
	s_wait_kmcnt 0x0
	s_delay_alu instid0(VALU_DEP_1)
	v_mad_co_u64_u32 v[1:2], null, ttmp9, s2, v[1:2]
	s_mov_b32 s2, exec_lo
	v_cmpx_gt_u32_e64 s6, v1
	s_cbranch_execz .LBB250_7
; %bb.1:
	s_load_b64 s[2:3], s[0:1], 0x10
	s_ashr_i32 s8, s5, 31
	v_bfe_u32 v4, v0, 3, 7
	s_lshr_b32 s8, s8, 24
	v_dual_mov_b32 v5, 0 :: v_dual_and_b32 v0, 0x3ff, v0
	s_add_co_i32 s5, s5, s8
	s_lshr_b32 s10, ttmp7, 16
	s_ashr_i32 s11, s5, 8
	s_mov_b32 s12, exec_lo
	v_cmpx_gt_u32_e64 s11, v4
	s_cbranch_execz .LBB250_5
; %bb.2:
	s_clause 0x1
	s_load_b64 s[8:9], s[0:1], 0x18
	s_load_b128 s[16:19], s[0:1], 0x0
	s_cvt_f32_u32 s5, s4
	s_lshl_b32 s13, s10, 2
	s_mul_i32 s1, s11, s6
	v_and_b32_e32 v9, 7, v0
	v_rcp_iflag_f32_e32 v2, s5
	v_mul_lo_u32 v6, v1, s11
	v_mov_b32_e32 v5, 0
	v_lshlrev_b32_e32 v7, 3, v4
	v_lshlrev_b32_e32 v8, 1, v9
	s_delay_alu instid0(VALU_DEP_1) | instskip(NEXT) | instid1(TRANS32_DEP_1)
	v_lshlrev_b32_e32 v8, 1, v8
	v_readfirstlane_b32 s5, v2
	s_wait_kmcnt 0x0
	s_load_b32 s8, s[8:9], s13 offset:0x0
	s_mul_f32 s5, s5, 0x4f7ffffe
	s_sub_co_i32 s9, 0, s4
	s_wait_alu 0xfffe
	s_delay_alu instid0(SALU_CYCLE_1) | instskip(SKIP_1) | instid1(SALU_CYCLE_2)
	s_cvt_u32_f32 s5, s5
	s_wait_alu 0xfffe
	s_mul_i32 s9, s9, s5
	s_delay_alu instid0(SALU_CYCLE_1) | instskip(NEXT) | instid1(SALU_CYCLE_1)
	s_mul_hi_u32 s9, s5, s9
	s_add_co_i32 s5, s5, s9
	s_wait_alu 0xfffe
	s_mul_hi_u32 s0, s10, s5
	s_wait_alu 0xfffe
	s_mul_i32 s5, s0, s4
	s_add_co_i32 s13, s0, 1
	s_wait_alu 0xfffe
	s_sub_co_i32 s5, s10, s5
	s_wait_kmcnt 0x0
	s_mul_i32 s8, s1, s8
	s_wait_alu 0xfffe
	s_sub_co_i32 s1, s5, s4
	s_ashr_i32 s9, s8, 31
	s_cmp_ge_u32 s5, s4
	s_mul_u64 s[8:9], s[8:9], 50
	s_cselect_b32 s0, s13, s0
	s_wait_alu 0xfffe
	s_cselect_b32 s1, s1, s5
	s_add_co_i32 s5, s0, 1
	s_wait_alu 0xfffe
	s_cmp_ge_u32 s1, s4
	s_mov_b32 s1, 0
	s_cselect_b32 s0, s5, s0
	s_wait_alu 0xfffe
	s_mul_i32 s0, s0, s7
	s_wait_alu 0xfffe
	s_lshl_b64 s[4:5], s[0:1], 2
	s_mov_b32 s0, 0xb7000000
	s_wait_alu 0xfffe
	s_add_nc_u64 s[4:5], s[18:19], s[4:5]
	s_wait_alu 0xfffe
	v_mad_co_u64_u32 v[2:3], null, v9, 36, s[4:5]
	v_lshlrev_b32_e32 v9, 1, v9
	s_add_nc_u64 s[4:5], s[16:17], s[8:9]
	s_getpc_b64 s[8:9]
	s_sext_i32_i16 s9, s9
	s_add_co_u32 s8, s8, _ZL13iq1s_grid_gpu@rel32@lo+8
	s_add_co_ci_u32 s9, s9, _ZL13iq1s_grid_gpu@rel32@hi+16
.LBB250_3:                              ; =>This Inner Loop Header: Depth=1
	v_add_nc_u32_e32 v10, v6, v4
	v_mad_co_i64_i32 v[20:21], null, v7, 36, v[2:3]
	v_add_nc_u32_e32 v4, 4, v4
	v_add_nc_u32_e32 v7, 32, v7
	s_wait_alu 0xfffe
	v_mad_co_i64_i32 v[18:19], null, v10, 50, s[4:5]
	s_delay_alu instid0(VALU_DEP_1) | instskip(SKIP_1) | instid1(VALU_DEP_2)
	v_add_co_u32 v10, vcc_lo, v18, v8
	s_wait_alu 0xfffd
	v_add_co_ci_u32_e64 v11, null, 0, v19, vcc_lo
	v_add_co_u32 v12, vcc_lo, v18, v9
	s_wait_alu 0xfffd
	v_add_co_ci_u32_e64 v13, null, 0, v19, vcc_lo
	s_clause 0x1
	global_load_b32 v22, v[10:11], off offset:2
	global_load_u16 v23, v[12:13], off offset:34
	s_clause 0x1
	global_load_b128 v[10:13], v[20:21], off offset:4
	global_load_b128 v[14:17], v[20:21], off offset:20
	global_load_u16 v18, v[18:19], off
	v_cmp_le_u32_e32 vcc_lo, s11, v4
	s_or_b32 s1, vcc_lo, s1
	s_wait_loadcnt 0x2
	v_ashrrev_i32_e32 v31, 24, v11
	v_and_b32_e32 v24, 0xff, v22
	v_lshlrev_b32_e32 v25, 8, v23
	v_bfe_u32 v26, v22, 8, 8
	v_lshlrev_b32_e32 v27, 5, v23
	v_lshrrev_b32_e32 v19, 24, v22
	v_bfe_u32 v22, v22, 16, 8
	v_lshlrev_b32_e32 v28, 2, v23
	v_lshrrev_b32_e32 v29, 1, v23
	v_and_or_b32 v24, 0x700, v25, v24
	v_and_or_b32 v25, 0x700, v27, v26
	v_lshrrev_b16 v26, 8, v11
	v_and_or_b32 v22, 0x700, v28, v22
	v_and_or_b32 v19, 0x700, v29, v19
	v_lshlrev_b32_e32 v24, 3, v24
	v_lshlrev_b32_e32 v25, 3, v25
	v_bfe_i32 v32, v11, 16, 8
	v_lshlrev_b32_e32 v22, 3, v22
	v_lshlrev_b32_e32 v19, 3, v19
	s_clause 0x3
	global_load_b32 v24, v24, s[8:9]
	global_load_b32 v25, v25, s[8:9]
	;; [unrolled: 1-line block ×4, first 2 shown]
	global_load_b32 v20, v[20:21], off
	v_bfe_i32 v11, v11, 0, 8
	s_wait_loadcnt 0x6
	v_lshrrev_b16 v40, 8, v17
	v_ashrrev_i32_e32 v47, 24, v17
	v_bfe_i32 v48, v17, 16, 8
	v_bfe_i32 v17, v17, 0, 8
	v_lshrrev_b16 v21, 8, v10
	v_lshrrev_b16 v27, 8, v12
	;; [unrolled: 1-line block ×3, first 2 shown]
	v_bfe_i32 v29, v10, 16, 8
	v_ashrrev_i32_e32 v35, 24, v13
	v_bfe_i32 v36, v13, 16, 8
	v_bfe_i32 v13, v13, 0, 8
	;; [unrolled: 1-line block ×3, first 2 shown]
	v_ashrrev_i32_e32 v10, 24, v10
	v_ashrrev_i32_e32 v33, 24, v12
	v_lshrrev_b16 v37, 8, v14
	v_lshrrev_b16 v38, 8, v15
	v_ashrrev_i32_e32 v43, 24, v15
	v_bfe_i32 v44, v15, 16, 8
	v_bfe_i32 v15, v15, 0, 8
	;; [unrolled: 1-line block ×7, first 2 shown]
	v_lshrrev_b16 v39, 8, v16
	v_ashrrev_i32_e32 v41, 24, v14
	v_bfe_i32 v28, v28, 0, 8
	v_bfe_i32 v37, v37, 0, 8
	v_bfe_i32 v42, v14, 16, 8
	v_bfe_i32 v14, v14, 0, 8
	v_ashrrev_i32_e32 v45, 24, v16
	v_bfe_i32 v38, v38, 0, 8
	v_bfe_i32 v39, v39, 0, 8
	;; [unrolled: 1-line block ×5, first 2 shown]
	s_wait_loadcnt 0x4
	v_lshrrev_b32_e32 v51, 4, v24
	v_bfe_u32 v49, v24, 24, 4
	v_and_b32_e32 v50, 0xf0f0f0f, v24
	v_lshrrev_b32_e32 v52, 28, v24
	v_bfe_u32 v53, v24, 16, 4
	v_and_b32_e32 v54, 15, v24
	v_bfe_u32 v55, v24, 20, 4
	v_bfe_u32 v24, v24, 4, 4
	s_wait_loadcnt 0x3
	v_and_b32_e32 v57, 0xf0f0f0f, v25
	v_lshrrev_b32_e32 v58, 4, v25
	s_wait_loadcnt 0x1
	v_bfe_u32 v70, v19, 24, 4
	v_and_b32_e32 v71, 0xf0f0f0f, v19
	v_lshrrev_b32_e32 v72, 4, v19
	v_lshrrev_b32_e32 v73, 28, v19
	v_bfe_u32 v74, v19, 16, 4
	v_and_b32_e32 v75, 15, v19
	v_bfe_u32 v76, v19, 20, 4
	v_bfe_u32 v19, v19, 4, 4
	v_lshrrev_b16 v51, 8, v51
	v_bfe_u32 v56, v25, 24, 4
	v_lshrrev_b32_e32 v59, 28, v25
	v_bfe_u32 v60, v25, 16, 4
	v_and_b32_e32 v61, 15, v25
	v_bfe_u32 v62, v25, 20, 4
	v_bfe_u32 v25, v25, 4, 4
	v_and_b32_e32 v64, 0xf0f0f0f, v22
	v_lshrrev_b32_e32 v65, 4, v22
	v_lshrrev_b16 v50, 8, v50
	v_mul_i32_i24_e32 v11, v24, v11
	v_mul_i32_i24_e32 v24, v55, v32
	;; [unrolled: 1-line block ×3, first 2 shown]
	v_lshrrev_b16 v32, 8, v57
	v_lshrrev_b16 v52, 8, v58
	v_mul_i32_i24_e32 v17, v19, v17
	v_mul_i32_i24_e32 v19, v76, v48
	v_and_b32_e32 v48, 15, v51
	v_bfe_u32 v63, v22, 24, 4
	v_lshrrev_b32_e32 v66, 28, v22
	v_bfe_u32 v67, v22, 16, 4
	v_and_b32_e32 v68, 15, v22
	v_bfe_u32 v69, v22, 20, 4
	v_bfe_u32 v22, v22, 4, 4
	v_mul_i32_i24_e32 v13, v25, v13
	v_mul_i32_i24_e32 v25, v62, v36
	v_lshrrev_b16 v36, 8, v64
	v_lshrrev_b16 v55, 8, v65
	v_and_b32_e32 v50, 0xffff, v50
	v_and_b32_e32 v51, 15, v52
	;; [unrolled: 1-line block ×3, first 2 shown]
	v_mad_i32_i24 v24, v53, v29, v24
	v_and_b32_e32 v29, 0xffff, v48
	v_mul_i32_i24_e32 v33, v33, v56
	v_mul_i32_i24_e32 v35, v59, v35
	v_mul_i32_i24_e32 v15, v22, v15
	v_mul_i32_i24_e32 v22, v69, v44
	v_lshrrev_b16 v44, 8, v71
	v_lshrrev_b16 v56, 8, v72
	v_and_b32_e32 v52, 15, v55
	v_and_b32_e32 v36, 0xffff, v36
	v_mad_i32_i24 v10, v49, v10, v31
	v_mad_i32_i24 v11, v54, v30, v11
	v_mul_i32_i24_e32 v21, v50, v21
	v_mul_i32_i24_e32 v27, v27, v32
	v_and_b32_e32 v30, 0xffff, v51
	v_mul_i32_i24_e32 v26, v29, v26
	v_mul_i32_i24_e32 v12, v12, v61
	;; [unrolled: 1-line block ×5, first 2 shown]
	v_and_b32_e32 v55, 15, v56
	v_and_b32_e32 v44, 0xffff, v44
	v_mul_i32_i24_e32 v31, v37, v36
	v_and_b32_e32 v32, 0xffff, v52
	v_add3_u32 v10, v10, v33, v35
	v_mul_i32_i24_e32 v28, v30, v28
	v_add3_u32 v21, v21, v26, v27
	v_mul_i32_i24_e32 v14, v14, v68
	v_mul_i32_i24_e32 v42, v42, v67
	;; [unrolled: 1-line block ×5, first 2 shown]
	v_and_b32_e32 v36, 0xffff, v55
	v_add3_u32 v24, v24, v34, v25
	v_add3_u32 v11, v11, v12, v13
	v_mul_i32_i24_e32 v12, v32, v38
	v_add3_u32 v10, v10, v41, v43
	v_add3_u32 v13, v21, v28, v31
	v_mul_i32_i24_e32 v16, v16, v75
	v_mul_i32_i24_e32 v46, v46, v74
	;; [unrolled: 1-line block ×3, first 2 shown]
	v_add3_u32 v11, v11, v14, v15
	v_add3_u32 v14, v24, v42, v22
	;; [unrolled: 1-line block ×4, first 2 shown]
	s_delay_alu instid0(VALU_DEP_4) | instskip(NEXT) | instid1(VALU_DEP_4)
	v_add3_u32 v11, v11, v16, v17
	v_add3_u32 v13, v14, v46, v19
	v_and_b32_e32 v14, 0x8000, v23
	s_delay_alu instid0(VALU_DEP_4) | instskip(SKIP_1) | instid1(VALU_DEP_2)
	v_add3_u32 v10, v12, v21, v10
	v_lshrrev_b32_e32 v12, 11, v23
	v_add3_u32 v10, v11, v13, v10
	s_wait_loadcnt 0x0
	v_cvt_f32_f16_e32 v11, v20
	s_delay_alu instid0(VALU_DEP_3) | instskip(SKIP_3) | instid1(VALU_DEP_4)
	v_and_or_b32 v12, v12, 14, 1
	v_cvt_f32_u32_e32 v13, v14
	v_cvt_f32_f16_e32 v14, v18
	v_cvt_f32_i32_e32 v10, v10
	v_cvt_f32_ubyte0_e32 v12, v12
	s_delay_alu instid0(VALU_DEP_2) | instskip(NEXT) | instid1(VALU_DEP_2)
	v_dual_fmaak_f32 v13, s0, v13, 0xbf600000 :: v_dual_mul_f32 v10, v11, v10
	v_mul_f32_e32 v11, v12, v14
	s_delay_alu instid0(VALU_DEP_2) | instskip(NEXT) | instid1(VALU_DEP_1)
	v_fma_mix_f32 v10, v13, v20, v10 op_sel:[0,1,0] op_sel_hi:[0,1,0]
	v_fmac_f32_e32 v5, v11, v10
	s_wait_alu 0xfffe
	s_and_not1_b32 exec_lo, exec_lo, s1
	s_cbranch_execnz .LBB250_3
; %bb.4:
	s_or_b32 exec_lo, exec_lo, s1
.LBB250_5:
	s_delay_alu instid0(SALU_CYCLE_1) | instskip(SKIP_1) | instid1(VALU_DEP_1)
	s_or_b32 exec_lo, exec_lo, s12
	v_mbcnt_lo_u32_b32 v2, -1, 0
	v_xor_b32_e32 v3, 16, v2
	v_xor_b32_e32 v4, 8, v2
	s_delay_alu instid0(VALU_DEP_2) | instskip(SKIP_2) | instid1(VALU_DEP_3)
	v_cmp_gt_i32_e32 vcc_lo, 32, v3
	s_wait_alu 0xfffd
	v_cndmask_b32_e32 v3, v2, v3, vcc_lo
	v_cmp_gt_i32_e32 vcc_lo, 32, v4
	s_wait_alu 0xfffd
	v_cndmask_b32_e32 v4, v2, v4, vcc_lo
	s_delay_alu instid0(VALU_DEP_1)
	v_lshlrev_b32_e32 v4, 2, v4
	v_lshlrev_b32_e32 v3, 2, v3
	ds_bpermute_b32 v3, v3, v5
	s_wait_dscnt 0x0
	v_add_f32_e32 v3, v5, v3
	v_xor_b32_e32 v5, 4, v2
	ds_bpermute_b32 v4, v4, v3
	v_cmp_gt_i32_e32 vcc_lo, 32, v5
	s_wait_alu 0xfffd
	v_cndmask_b32_e32 v5, v2, v5, vcc_lo
	s_delay_alu instid0(VALU_DEP_1) | instskip(SKIP_4) | instid1(VALU_DEP_1)
	v_lshlrev_b32_e32 v5, 2, v5
	s_wait_dscnt 0x0
	v_add_f32_e32 v3, v3, v4
	ds_bpermute_b32 v4, v5, v3
	v_xor_b32_e32 v5, 2, v2
	v_cmp_gt_i32_e32 vcc_lo, 32, v5
	s_wait_alu 0xfffd
	v_cndmask_b32_e32 v5, v2, v5, vcc_lo
	s_delay_alu instid0(VALU_DEP_1) | instskip(SKIP_4) | instid1(VALU_DEP_1)
	v_lshlrev_b32_e32 v5, 2, v5
	s_wait_dscnt 0x0
	v_add_f32_e32 v3, v3, v4
	ds_bpermute_b32 v4, v5, v3
	v_xor_b32_e32 v5, 1, v2
	v_cmp_gt_i32_e32 vcc_lo, 32, v5
	s_wait_alu 0xfffd
	v_cndmask_b32_e32 v5, v2, v5, vcc_lo
	v_cmp_eq_u32_e32 vcc_lo, 0, v0
	s_wait_dscnt 0x0
	s_delay_alu instid0(VALU_DEP_2)
	v_dual_add_f32 v2, v3, v4 :: v_dual_lshlrev_b32 v3, 2, v5
	ds_bpermute_b32 v3, v3, v2
	s_and_b32 exec_lo, exec_lo, vcc_lo
	s_cbranch_execz .LBB250_7
; %bb.6:
	v_mad_co_u64_u32 v[0:1], null, s6, s10, v[1:2]
	s_wait_dscnt 0x0
	v_dual_mov_b32 v1, 0 :: v_dual_add_f32 v2, v2, v3
	s_delay_alu instid0(VALU_DEP_1) | instskip(SKIP_1) | instid1(VALU_DEP_1)
	v_lshlrev_b64_e32 v[0:1], 2, v[0:1]
	s_wait_kmcnt 0x0
	v_add_co_u32 v0, vcc_lo, s2, v0
	s_wait_alu 0xfffd
	s_delay_alu instid0(VALU_DEP_2)
	v_add_co_ci_u32_e64 v1, null, s3, v1, vcc_lo
	global_store_b32 v[0:1], v2, off
.LBB250_7:
	s_endpgm
	.section	.rodata,"a",@progbits
	.p2align	6, 0x0
	.amdhsa_kernel _ZL9moe_vec_qIfLi256ELi8E11block_iq1_sLi1EXadL_ZL18vec_dot_iq1_s_q8_1PKvPK10block_q8_1RKiEEEvS2_S2_PT_PS6_iiii
		.amdhsa_group_segment_fixed_size 0
		.amdhsa_private_segment_fixed_size 0
		.amdhsa_kernarg_size 304
		.amdhsa_user_sgpr_count 2
		.amdhsa_user_sgpr_dispatch_ptr 0
		.amdhsa_user_sgpr_queue_ptr 0
		.amdhsa_user_sgpr_kernarg_segment_ptr 1
		.amdhsa_user_sgpr_dispatch_id 0
		.amdhsa_user_sgpr_private_segment_size 0
		.amdhsa_wavefront_size32 1
		.amdhsa_uses_dynamic_stack 0
		.amdhsa_enable_private_segment 0
		.amdhsa_system_sgpr_workgroup_id_x 1
		.amdhsa_system_sgpr_workgroup_id_y 0
		.amdhsa_system_sgpr_workgroup_id_z 1
		.amdhsa_system_sgpr_workgroup_info 0
		.amdhsa_system_vgpr_workitem_id 1
		.amdhsa_next_free_vgpr 77
		.amdhsa_next_free_sgpr 20
		.amdhsa_reserve_vcc 1
		.amdhsa_float_round_mode_32 0
		.amdhsa_float_round_mode_16_64 0
		.amdhsa_float_denorm_mode_32 3
		.amdhsa_float_denorm_mode_16_64 3
		.amdhsa_fp16_overflow 0
		.amdhsa_workgroup_processor_mode 1
		.amdhsa_memory_ordered 1
		.amdhsa_forward_progress 1
		.amdhsa_inst_pref_size 17
		.amdhsa_round_robin_scheduling 0
		.amdhsa_exception_fp_ieee_invalid_op 0
		.amdhsa_exception_fp_denorm_src 0
		.amdhsa_exception_fp_ieee_div_zero 0
		.amdhsa_exception_fp_ieee_overflow 0
		.amdhsa_exception_fp_ieee_underflow 0
		.amdhsa_exception_fp_ieee_inexact 0
		.amdhsa_exception_int_div_zero 0
	.end_amdhsa_kernel
	.section	.text._ZL9moe_vec_qIfLi256ELi8E11block_iq1_sLi1EXadL_ZL18vec_dot_iq1_s_q8_1PKvPK10block_q8_1RKiEEEvS2_S2_PT_PS6_iiii,"axG",@progbits,_ZL9moe_vec_qIfLi256ELi8E11block_iq1_sLi1EXadL_ZL18vec_dot_iq1_s_q8_1PKvPK10block_q8_1RKiEEEvS2_S2_PT_PS6_iiii,comdat
.Lfunc_end250:
	.size	_ZL9moe_vec_qIfLi256ELi8E11block_iq1_sLi1EXadL_ZL18vec_dot_iq1_s_q8_1PKvPK10block_q8_1RKiEEEvS2_S2_PT_PS6_iiii, .Lfunc_end250-_ZL9moe_vec_qIfLi256ELi8E11block_iq1_sLi1EXadL_ZL18vec_dot_iq1_s_q8_1PKvPK10block_q8_1RKiEEEvS2_S2_PT_PS6_iiii
                                        ; -- End function
	.set _ZL9moe_vec_qIfLi256ELi8E11block_iq1_sLi1EXadL_ZL18vec_dot_iq1_s_q8_1PKvPK10block_q8_1RKiEEEvS2_S2_PT_PS6_iiii.num_vgpr, 77
	.set _ZL9moe_vec_qIfLi256ELi8E11block_iq1_sLi1EXadL_ZL18vec_dot_iq1_s_q8_1PKvPK10block_q8_1RKiEEEvS2_S2_PT_PS6_iiii.num_agpr, 0
	.set _ZL9moe_vec_qIfLi256ELi8E11block_iq1_sLi1EXadL_ZL18vec_dot_iq1_s_q8_1PKvPK10block_q8_1RKiEEEvS2_S2_PT_PS6_iiii.numbered_sgpr, 20
	.set _ZL9moe_vec_qIfLi256ELi8E11block_iq1_sLi1EXadL_ZL18vec_dot_iq1_s_q8_1PKvPK10block_q8_1RKiEEEvS2_S2_PT_PS6_iiii.num_named_barrier, 0
	.set _ZL9moe_vec_qIfLi256ELi8E11block_iq1_sLi1EXadL_ZL18vec_dot_iq1_s_q8_1PKvPK10block_q8_1RKiEEEvS2_S2_PT_PS6_iiii.private_seg_size, 0
	.set _ZL9moe_vec_qIfLi256ELi8E11block_iq1_sLi1EXadL_ZL18vec_dot_iq1_s_q8_1PKvPK10block_q8_1RKiEEEvS2_S2_PT_PS6_iiii.uses_vcc, 1
	.set _ZL9moe_vec_qIfLi256ELi8E11block_iq1_sLi1EXadL_ZL18vec_dot_iq1_s_q8_1PKvPK10block_q8_1RKiEEEvS2_S2_PT_PS6_iiii.uses_flat_scratch, 0
	.set _ZL9moe_vec_qIfLi256ELi8E11block_iq1_sLi1EXadL_ZL18vec_dot_iq1_s_q8_1PKvPK10block_q8_1RKiEEEvS2_S2_PT_PS6_iiii.has_dyn_sized_stack, 0
	.set _ZL9moe_vec_qIfLi256ELi8E11block_iq1_sLi1EXadL_ZL18vec_dot_iq1_s_q8_1PKvPK10block_q8_1RKiEEEvS2_S2_PT_PS6_iiii.has_recursion, 0
	.set _ZL9moe_vec_qIfLi256ELi8E11block_iq1_sLi1EXadL_ZL18vec_dot_iq1_s_q8_1PKvPK10block_q8_1RKiEEEvS2_S2_PT_PS6_iiii.has_indirect_call, 0
	.section	.AMDGPU.csdata,"",@progbits
; Kernel info:
; codeLenInByte = 2052
; TotalNumSgprs: 22
; NumVgprs: 77
; ScratchSize: 0
; MemoryBound: 0
; FloatMode: 240
; IeeeMode: 1
; LDSByteSize: 0 bytes/workgroup (compile time only)
; SGPRBlocks: 0
; VGPRBlocks: 9
; NumSGPRsForWavesPerEU: 22
; NumVGPRsForWavesPerEU: 77
; Occupancy: 16
; WaveLimiterHint : 1
; COMPUTE_PGM_RSRC2:SCRATCH_EN: 0
; COMPUTE_PGM_RSRC2:USER_SGPR: 2
; COMPUTE_PGM_RSRC2:TRAP_HANDLER: 0
; COMPUTE_PGM_RSRC2:TGID_X_EN: 1
; COMPUTE_PGM_RSRC2:TGID_Y_EN: 0
; COMPUTE_PGM_RSRC2:TGID_Z_EN: 1
; COMPUTE_PGM_RSRC2:TIDIG_COMP_CNT: 1
	.section	.text._ZL9moe_vec_qIfLi32ELi4E12block_iq4_nlLi2EXadL_ZL19vec_dot_iq4_nl_q8_1PKvPK10block_q8_1RKiEEEvS2_S2_PT_PS6_iiii,"axG",@progbits,_ZL9moe_vec_qIfLi32ELi4E12block_iq4_nlLi2EXadL_ZL19vec_dot_iq4_nl_q8_1PKvPK10block_q8_1RKiEEEvS2_S2_PT_PS6_iiii,comdat
	.globl	_ZL9moe_vec_qIfLi32ELi4E12block_iq4_nlLi2EXadL_ZL19vec_dot_iq4_nl_q8_1PKvPK10block_q8_1RKiEEEvS2_S2_PT_PS6_iiii ; -- Begin function _ZL9moe_vec_qIfLi32ELi4E12block_iq4_nlLi2EXadL_ZL19vec_dot_iq4_nl_q8_1PKvPK10block_q8_1RKiEEEvS2_S2_PT_PS6_iiii
	.p2align	8
	.type	_ZL9moe_vec_qIfLi32ELi4E12block_iq4_nlLi2EXadL_ZL19vec_dot_iq4_nl_q8_1PKvPK10block_q8_1RKiEEEvS2_S2_PT_PS6_iiii,@function
_ZL9moe_vec_qIfLi32ELi4E12block_iq4_nlLi2EXadL_ZL19vec_dot_iq4_nl_q8_1PKvPK10block_q8_1RKiEEEvS2_S2_PT_PS6_iiii: ; @_ZL9moe_vec_qIfLi32ELi4E12block_iq4_nlLi2EXadL_ZL19vec_dot_iq4_nl_q8_1PKvPK10block_q8_1RKiEEEvS2_S2_PT_PS6_iiii
; %bb.0:
	s_clause 0x1
	s_load_u16 s2, s[0:1], 0x3e
	s_load_b128 s[4:7], s[0:1], 0x20
	v_bfe_u32 v1, v0, 10, 10
	s_wait_kmcnt 0x0
	s_delay_alu instid0(VALU_DEP_1)
	v_mad_co_u64_u32 v[1:2], null, ttmp9, s2, v[1:2]
	s_mov_b32 s2, exec_lo
	v_cmpx_gt_u32_e64 s6, v1
	s_cbranch_execz .LBB251_7
; %bb.1:
	s_load_b64 s[8:9], s[0:1], 0x10
	s_cvt_f32_u32 s2, s4
	v_bfe_u32 v2, v0, 1, 9
	v_and_b32_e32 v0, 0x3ff, v0
	s_lshr_b32 s10, ttmp7, 16
	s_wait_alu 0xfffe
	v_rcp_iflag_f32_e32 v3, s2
	s_ashr_i32 s2, s5, 31
	s_mov_b32 s12, exec_lo
	s_wait_alu 0xfffe
	s_lshr_b32 s2, s2, 27
	s_wait_alu 0xfffe
	s_add_co_i32 s2, s5, s2
	s_wait_alu 0xfffe
	s_ashr_i32 s5, s2, 5
	s_delay_alu instid0(TRANS32_DEP_1)
	v_readfirstlane_b32 s2, v3
	v_mov_b32_e32 v3, 0
	v_cmpx_gt_u32_e64 s5, v2
	s_cbranch_execz .LBB251_5
; %bb.2:
	s_load_b64 s[14:15], s[0:1], 0x18
	s_mul_f32 s2, s2, 0x4f7ffffe
	s_sub_co_i32 s3, 0, s4
	s_lshl_b32 s13, s10, 2
	s_mov_b32 s11, 0
	s_wait_alu 0xfffe
	s_cvt_u32_f32 s2, s2
	v_lshlrev_b32_e32 v5, 1, v0
	v_mul_lo_u32 v4, v1, s5
	s_wait_alu 0xfffe
	s_mul_i32 s3, s3, s2
	s_wait_alu 0xfffe
	s_mul_hi_u32 s3, s2, s3
	v_and_b32_e32 v5, 2, v5
	s_delay_alu instid0(VALU_DEP_1)
	v_dual_mov_b32 v3, 0 :: v_dual_lshlrev_b32 v6, 1, v5
	v_lshlrev_b32_e32 v5, 2, v5
	s_wait_kmcnt 0x0
	s_load_b32 s13, s[14:15], s13 offset:0x0
	s_mov_b32 s15, s11
	s_add_co_i32 s14, s2, s3
	s_load_b128 s[0:3], s[0:1], 0x0
	s_mul_u64 s[14:15], s[10:11], s[14:15]
	s_mul_i32 s14, s5, s6
	s_mul_i32 s16, s15, s4
	s_add_co_i32 s17, s15, 1
	s_sub_co_i32 s16, s10, s16
	v_lshlrev_b32_e32 v6, 1, v6
	s_sub_co_i32 s18, s16, s4
	s_cmp_ge_u32 s16, s4
	s_cselect_b32 s15, s17, s15
	s_cselect_b32 s16, s18, s16
	s_add_co_i32 s17, s15, 1
	s_cmp_ge_u32 s16, s4
	s_cselect_b32 s4, s17, s15
	s_mov_b32 s17, s11
	s_wait_kmcnt 0x0
	s_mul_i32 s14, s14, s13
	s_wait_alu 0xfffe
	s_mul_i32 s16, s4, s7
	s_ashr_i32 s15, s14, 31
	s_lshl_b64 s[16:17], s[16:17], 2
	s_mul_u64 s[14:15], s[14:15], 18
	s_add_nc_u64 s[2:3], s[2:3], s[16:17]
	s_add_nc_u64 s[0:1], s[0:1], s[14:15]
	s_getpc_b64 s[14:15]
	s_sext_i32_i16 s15, s15
	s_add_co_u32 s14, s14, _ZL13kvalues_iq4nl@rel32@lo+8
	s_add_co_ci_u32 s15, s15, _ZL13kvalues_iq4nl@rel32@hi+16
.LBB251_3:                              ; =>This Inner Loop Header: Depth=1
	v_add_nc_u32_e32 v7, v4, v2
	s_wait_alu 0xfffe
	v_mad_co_i64_i32 v[11:12], null, v2, 36, s[2:3]
	s_delay_alu instid0(VALU_DEP_2) | instskip(NEXT) | instid1(VALU_DEP_1)
	v_mad_co_i64_i32 v[7:8], null, v7, 18, s[0:1]
	v_add_co_u32 v9, vcc_lo, v7, v6
	s_wait_alu 0xfffd
	s_delay_alu instid0(VALU_DEP_2) | instskip(NEXT) | instid1(VALU_DEP_4)
	v_add_co_ci_u32_e64 v10, null, 0, v8, vcc_lo
	v_add_co_u32 v13, vcc_lo, v11, v5
	s_wait_alu 0xfffd
	v_add_co_ci_u32_e64 v14, null, 0, v12, vcc_lo
	global_load_b64 v[9:10], v[9:10], off offset:2
	global_load_b64 v[15:16], v[13:14], off offset:4
	s_wait_loadcnt 0x1
	v_and_b32_e32 v18, 15, v9
	v_bfe_u32 v19, v9, 8, 4
	v_bfe_u32 v20, v9, 16, 4
	;; [unrolled: 1-line block ×5, first 2 shown]
	v_lshrrev_b32_e32 v23, 28, v9
	v_bfe_u32 v9, v9, 4, 4
	s_clause 0x7
	global_load_i8 v18, v18, s[14:15]
	global_load_i8 v19, v19, s[14:15]
	;; [unrolled: 1-line block ×8, first 2 shown]
	v_and_b32_e32 v25, 15, v10
	v_bfe_u32 v26, v10, 8, 4
	v_bfe_u32 v27, v10, 16, 4
	;; [unrolled: 1-line block ×5, first 2 shown]
	v_lshrrev_b32_e32 v30, 28, v10
	v_bfe_u32 v9, v10, 4, 4
	s_clause 0x7
	global_load_i8 v25, v25, s[14:15]
	global_load_i8 v26, v26, s[14:15]
	;; [unrolled: 1-line block ×8, first 2 shown]
	s_clause 0x1
	global_load_b64 v[9:10], v[13:14], off offset:20
	global_load_b32 v11, v[11:12], off
	global_load_u16 v7, v[7:8], off
	s_wait_loadcnt 0x11
	v_perm_b32 v8, v19, v18, 0xc0c0400
	s_wait_loadcnt 0xe
	v_perm_b32 v13, v21, v31, 0xc0c0400
	;; [unrolled: 2-line block ×4, first 2 shown]
	s_delay_alu instid0(VALU_DEP_2) | instskip(NEXT) | instid1(VALU_DEP_2)
	v_or_b32_e32 v13, v14, v13
	v_or_b32_e32 v8, v12, v8
	s_wait_loadcnt 0x9
	v_perm_b32 v12, v26, v25, 0xc0c0400
	s_wait_loadcnt 0x4
	v_perm_b32 v17, v24, v27, 0x4000c0c
	;; [unrolled: 2-line block ×3, first 2 shown]
	s_wait_loadcnt 0x1
	v_cvt_f32_f16_e32 v11, v11
	v_dot4_i32_iu8 v8, v15, v8, 0 neg_lo:[1,1,0]
	v_perm_b32 v15, v30, v29, 0x4000c0c
	v_or_b32_e32 v12, v17, v12
	s_wait_loadcnt 0x0
	v_cvt_f32_f16_e32 v7, v7
	v_dot4_i32_iu8 v8, v9, v13, v8 neg_lo:[1,1,0]
	v_or_b32_e32 v9, v15, v14
	s_delay_alu instid0(VALU_DEP_3) | instskip(NEXT) | instid1(VALU_DEP_3)
	v_mul_f32_e32 v7, v7, v11
	v_dot4_i32_iu8 v8, v16, v12, v8 neg_lo:[1,1,0]
	s_delay_alu instid0(VALU_DEP_1) | instskip(NEXT) | instid1(VALU_DEP_1)
	v_dot4_i32_iu8 v8, v10, v9, v8 neg_lo:[1,1,0]
	v_cvt_f32_i32_e32 v8, v8
	s_delay_alu instid0(VALU_DEP_1) | instskip(NEXT) | instid1(VALU_DEP_1)
	v_dual_fmac_f32 v3, v7, v8 :: v_dual_add_nc_u32 v2, 16, v2
	v_cmp_le_u32_e32 vcc_lo, s5, v2
	s_or_b32 s11, vcc_lo, s11
	s_delay_alu instid0(SALU_CYCLE_1)
	s_and_not1_b32 exec_lo, exec_lo, s11
	s_cbranch_execnz .LBB251_3
; %bb.4:
	s_or_b32 exec_lo, exec_lo, s11
.LBB251_5:
	s_delay_alu instid0(SALU_CYCLE_1) | instskip(SKIP_1) | instid1(VALU_DEP_1)
	s_or_b32 exec_lo, exec_lo, s12
	v_mbcnt_lo_u32_b32 v2, -1, 0
	v_xor_b32_e32 v4, 16, v2
	v_xor_b32_e32 v5, 8, v2
	s_delay_alu instid0(VALU_DEP_2) | instskip(SKIP_2) | instid1(VALU_DEP_3)
	v_cmp_gt_i32_e32 vcc_lo, 32, v4
	s_wait_alu 0xfffd
	v_cndmask_b32_e32 v4, v2, v4, vcc_lo
	v_cmp_gt_i32_e32 vcc_lo, 32, v5
	s_wait_alu 0xfffd
	v_cndmask_b32_e32 v5, v2, v5, vcc_lo
	s_delay_alu instid0(VALU_DEP_1)
	v_lshlrev_b32_e32 v5, 2, v5
	v_lshlrev_b32_e32 v4, 2, v4
	ds_bpermute_b32 v4, v4, v3
	s_wait_dscnt 0x0
	v_add_f32_e32 v3, v3, v4
	ds_bpermute_b32 v4, v5, v3
	v_xor_b32_e32 v5, 4, v2
	s_delay_alu instid0(VALU_DEP_1) | instskip(SKIP_2) | instid1(VALU_DEP_1)
	v_cmp_gt_i32_e32 vcc_lo, 32, v5
	s_wait_alu 0xfffd
	v_cndmask_b32_e32 v5, v2, v5, vcc_lo
	v_lshlrev_b32_e32 v5, 2, v5
	s_wait_dscnt 0x0
	v_add_f32_e32 v3, v3, v4
	ds_bpermute_b32 v4, v5, v3
	v_xor_b32_e32 v5, 2, v2
	s_delay_alu instid0(VALU_DEP_1) | instskip(SKIP_2) | instid1(VALU_DEP_1)
	v_cmp_gt_i32_e32 vcc_lo, 32, v5
	s_wait_alu 0xfffd
	v_cndmask_b32_e32 v5, v2, v5, vcc_lo
	v_lshlrev_b32_e32 v5, 2, v5
	s_wait_dscnt 0x0
	v_add_f32_e32 v3, v3, v4
	ds_bpermute_b32 v4, v5, v3
	v_xor_b32_e32 v5, 1, v2
	s_delay_alu instid0(VALU_DEP_1) | instskip(SKIP_4) | instid1(VALU_DEP_2)
	v_cmp_gt_i32_e32 vcc_lo, 32, v5
	s_wait_alu 0xfffd
	v_cndmask_b32_e32 v5, v2, v5, vcc_lo
	v_cmp_eq_u32_e32 vcc_lo, 0, v0
	s_wait_dscnt 0x0
	v_dual_add_f32 v2, v3, v4 :: v_dual_lshlrev_b32 v3, 2, v5
	ds_bpermute_b32 v3, v3, v2
	s_and_b32 exec_lo, exec_lo, vcc_lo
	s_cbranch_execz .LBB251_7
; %bb.6:
	v_mad_co_u64_u32 v[0:1], null, s6, s10, v[1:2]
	s_wait_dscnt 0x0
	v_dual_mov_b32 v1, 0 :: v_dual_add_f32 v2, v2, v3
	s_delay_alu instid0(VALU_DEP_1) | instskip(SKIP_1) | instid1(VALU_DEP_1)
	v_lshlrev_b64_e32 v[0:1], 2, v[0:1]
	s_wait_kmcnt 0x0
	v_add_co_u32 v0, vcc_lo, s8, v0
	s_wait_alu 0xfffd
	s_delay_alu instid0(VALU_DEP_2)
	v_add_co_ci_u32_e64 v1, null, s9, v1, vcc_lo
	global_store_b32 v[0:1], v2, off
.LBB251_7:
	s_endpgm
	.section	.rodata,"a",@progbits
	.p2align	6, 0x0
	.amdhsa_kernel _ZL9moe_vec_qIfLi32ELi4E12block_iq4_nlLi2EXadL_ZL19vec_dot_iq4_nl_q8_1PKvPK10block_q8_1RKiEEEvS2_S2_PT_PS6_iiii
		.amdhsa_group_segment_fixed_size 0
		.amdhsa_private_segment_fixed_size 0
		.amdhsa_kernarg_size 304
		.amdhsa_user_sgpr_count 2
		.amdhsa_user_sgpr_dispatch_ptr 0
		.amdhsa_user_sgpr_queue_ptr 0
		.amdhsa_user_sgpr_kernarg_segment_ptr 1
		.amdhsa_user_sgpr_dispatch_id 0
		.amdhsa_user_sgpr_private_segment_size 0
		.amdhsa_wavefront_size32 1
		.amdhsa_uses_dynamic_stack 0
		.amdhsa_enable_private_segment 0
		.amdhsa_system_sgpr_workgroup_id_x 1
		.amdhsa_system_sgpr_workgroup_id_y 0
		.amdhsa_system_sgpr_workgroup_id_z 1
		.amdhsa_system_sgpr_workgroup_info 0
		.amdhsa_system_vgpr_workitem_id 1
		.amdhsa_next_free_vgpr 33
		.amdhsa_next_free_sgpr 19
		.amdhsa_reserve_vcc 1
		.amdhsa_float_round_mode_32 0
		.amdhsa_float_round_mode_16_64 0
		.amdhsa_float_denorm_mode_32 3
		.amdhsa_float_denorm_mode_16_64 3
		.amdhsa_fp16_overflow 0
		.amdhsa_workgroup_processor_mode 1
		.amdhsa_memory_ordered 1
		.amdhsa_forward_progress 1
		.amdhsa_inst_pref_size 11
		.amdhsa_round_robin_scheduling 0
		.amdhsa_exception_fp_ieee_invalid_op 0
		.amdhsa_exception_fp_denorm_src 0
		.amdhsa_exception_fp_ieee_div_zero 0
		.amdhsa_exception_fp_ieee_overflow 0
		.amdhsa_exception_fp_ieee_underflow 0
		.amdhsa_exception_fp_ieee_inexact 0
		.amdhsa_exception_int_div_zero 0
	.end_amdhsa_kernel
	.section	.text._ZL9moe_vec_qIfLi32ELi4E12block_iq4_nlLi2EXadL_ZL19vec_dot_iq4_nl_q8_1PKvPK10block_q8_1RKiEEEvS2_S2_PT_PS6_iiii,"axG",@progbits,_ZL9moe_vec_qIfLi32ELi4E12block_iq4_nlLi2EXadL_ZL19vec_dot_iq4_nl_q8_1PKvPK10block_q8_1RKiEEEvS2_S2_PT_PS6_iiii,comdat
.Lfunc_end251:
	.size	_ZL9moe_vec_qIfLi32ELi4E12block_iq4_nlLi2EXadL_ZL19vec_dot_iq4_nl_q8_1PKvPK10block_q8_1RKiEEEvS2_S2_PT_PS6_iiii, .Lfunc_end251-_ZL9moe_vec_qIfLi32ELi4E12block_iq4_nlLi2EXadL_ZL19vec_dot_iq4_nl_q8_1PKvPK10block_q8_1RKiEEEvS2_S2_PT_PS6_iiii
                                        ; -- End function
	.set _ZL9moe_vec_qIfLi32ELi4E12block_iq4_nlLi2EXadL_ZL19vec_dot_iq4_nl_q8_1PKvPK10block_q8_1RKiEEEvS2_S2_PT_PS6_iiii.num_vgpr, 33
	.set _ZL9moe_vec_qIfLi32ELi4E12block_iq4_nlLi2EXadL_ZL19vec_dot_iq4_nl_q8_1PKvPK10block_q8_1RKiEEEvS2_S2_PT_PS6_iiii.num_agpr, 0
	.set _ZL9moe_vec_qIfLi32ELi4E12block_iq4_nlLi2EXadL_ZL19vec_dot_iq4_nl_q8_1PKvPK10block_q8_1RKiEEEvS2_S2_PT_PS6_iiii.numbered_sgpr, 19
	.set _ZL9moe_vec_qIfLi32ELi4E12block_iq4_nlLi2EXadL_ZL19vec_dot_iq4_nl_q8_1PKvPK10block_q8_1RKiEEEvS2_S2_PT_PS6_iiii.num_named_barrier, 0
	.set _ZL9moe_vec_qIfLi32ELi4E12block_iq4_nlLi2EXadL_ZL19vec_dot_iq4_nl_q8_1PKvPK10block_q8_1RKiEEEvS2_S2_PT_PS6_iiii.private_seg_size, 0
	.set _ZL9moe_vec_qIfLi32ELi4E12block_iq4_nlLi2EXadL_ZL19vec_dot_iq4_nl_q8_1PKvPK10block_q8_1RKiEEEvS2_S2_PT_PS6_iiii.uses_vcc, 1
	.set _ZL9moe_vec_qIfLi32ELi4E12block_iq4_nlLi2EXadL_ZL19vec_dot_iq4_nl_q8_1PKvPK10block_q8_1RKiEEEvS2_S2_PT_PS6_iiii.uses_flat_scratch, 0
	.set _ZL9moe_vec_qIfLi32ELi4E12block_iq4_nlLi2EXadL_ZL19vec_dot_iq4_nl_q8_1PKvPK10block_q8_1RKiEEEvS2_S2_PT_PS6_iiii.has_dyn_sized_stack, 0
	.set _ZL9moe_vec_qIfLi32ELi4E12block_iq4_nlLi2EXadL_ZL19vec_dot_iq4_nl_q8_1PKvPK10block_q8_1RKiEEEvS2_S2_PT_PS6_iiii.has_recursion, 0
	.set _ZL9moe_vec_qIfLi32ELi4E12block_iq4_nlLi2EXadL_ZL19vec_dot_iq4_nl_q8_1PKvPK10block_q8_1RKiEEEvS2_S2_PT_PS6_iiii.has_indirect_call, 0
	.section	.AMDGPU.csdata,"",@progbits
; Kernel info:
; codeLenInByte = 1372
; TotalNumSgprs: 21
; NumVgprs: 33
; ScratchSize: 0
; MemoryBound: 0
; FloatMode: 240
; IeeeMode: 1
; LDSByteSize: 0 bytes/workgroup (compile time only)
; SGPRBlocks: 0
; VGPRBlocks: 4
; NumSGPRsForWavesPerEU: 21
; NumVGPRsForWavesPerEU: 33
; Occupancy: 16
; WaveLimiterHint : 1
; COMPUTE_PGM_RSRC2:SCRATCH_EN: 0
; COMPUTE_PGM_RSRC2:USER_SGPR: 2
; COMPUTE_PGM_RSRC2:TRAP_HANDLER: 0
; COMPUTE_PGM_RSRC2:TGID_X_EN: 1
; COMPUTE_PGM_RSRC2:TGID_Y_EN: 0
; COMPUTE_PGM_RSRC2:TGID_Z_EN: 1
; COMPUTE_PGM_RSRC2:TIDIG_COMP_CNT: 1
	.section	.text._ZL9moe_vec_qIfLi256ELi8E11block_iq3_sLi1EXadL_ZL18vec_dot_iq3_s_q8_1PKvPK10block_q8_1RKiEEEvS2_S2_PT_PS6_iiii,"axG",@progbits,_ZL9moe_vec_qIfLi256ELi8E11block_iq3_sLi1EXadL_ZL18vec_dot_iq3_s_q8_1PKvPK10block_q8_1RKiEEEvS2_S2_PT_PS6_iiii,comdat
	.globl	_ZL9moe_vec_qIfLi256ELi8E11block_iq3_sLi1EXadL_ZL18vec_dot_iq3_s_q8_1PKvPK10block_q8_1RKiEEEvS2_S2_PT_PS6_iiii ; -- Begin function _ZL9moe_vec_qIfLi256ELi8E11block_iq3_sLi1EXadL_ZL18vec_dot_iq3_s_q8_1PKvPK10block_q8_1RKiEEEvS2_S2_PT_PS6_iiii
	.p2align	8
	.type	_ZL9moe_vec_qIfLi256ELi8E11block_iq3_sLi1EXadL_ZL18vec_dot_iq3_s_q8_1PKvPK10block_q8_1RKiEEEvS2_S2_PT_PS6_iiii,@function
_ZL9moe_vec_qIfLi256ELi8E11block_iq3_sLi1EXadL_ZL18vec_dot_iq3_s_q8_1PKvPK10block_q8_1RKiEEEvS2_S2_PT_PS6_iiii: ; @_ZL9moe_vec_qIfLi256ELi8E11block_iq3_sLi1EXadL_ZL18vec_dot_iq3_s_q8_1PKvPK10block_q8_1RKiEEEvS2_S2_PT_PS6_iiii
; %bb.0:
	s_clause 0x1
	s_load_u16 s2, s[0:1], 0x3e
	s_load_b128 s[4:7], s[0:1], 0x20
	v_bfe_u32 v1, v0, 10, 10
	s_wait_kmcnt 0x0
	s_delay_alu instid0(VALU_DEP_1)
	v_mad_co_u64_u32 v[1:2], null, ttmp9, s2, v[1:2]
	s_mov_b32 s2, exec_lo
	v_cmpx_gt_u32_e64 s6, v1
	s_cbranch_execz .LBB252_9
; %bb.1:
	s_load_b64 s[8:9], s[0:1], 0x10
	s_ashr_i32 s2, s5, 31
	v_bfe_u32 v18, v0, 3, 7
	s_wait_alu 0xfffe
	s_lshr_b32 s2, s2, 24
	v_dual_mov_b32 v19, 0 :: v_dual_and_b32 v0, 0x3ff, v0
	s_wait_alu 0xfffe
	s_add_co_i32 s2, s5, s2
	s_lshr_b32 s10, ttmp7, 16
	s_wait_alu 0xfffe
	s_ashr_i32 s11, s2, 8
	s_mov_b32 s12, exec_lo
	v_cmpx_gt_u32_e64 s11, v18
	s_cbranch_execz .LBB252_7
; %bb.2:
	s_load_b64 s[14:15], s[0:1], 0x18
	s_cvt_f32_u32 s2, s4
	s_lshl_b32 s13, s10, 2
	s_mul_i32 s16, s11, s6
	v_and_b32_e32 v21, 7, v0
	s_wait_alu 0xfffe
	v_rcp_iflag_f32_e32 v2, s2
	s_load_b128 s[0:3], s[0:1], 0x0
	v_mov_b32_e32 v19, 0
	v_mul_lo_u32 v20, v1, s11
	v_lshlrev_b32_e32 v3, 3, v21
	v_bfe_u32 v22, v0, 1, 2
	s_delay_alu instid0(TRANS32_DEP_1)
	v_readfirstlane_b32 s5, v2
	v_lshlrev_b32_e32 v2, 2, v0
	v_add_nc_u32_e32 v24, v18, v20
	s_wait_kmcnt 0x0
	s_load_b32 s13, s[14:15], s13 offset:0x0
	s_mul_f32 s14, s5, 0x4f7ffffe
	s_sub_co_i32 s15, 0, s4
	v_and_b32_e32 v23, 4, v2
	v_lshlrev_b32_e32 v2, 2, v21
	s_cvt_u32_f32 s14, s14
	s_mov_b32 s5, 0
	s_delay_alu instid0(SALU_CYCLE_2) | instskip(NEXT) | instid1(SALU_CYCLE_1)
	s_mul_i32 s15, s15, s14
	s_mul_hi_u32 s15, s14, s15
	s_delay_alu instid0(SALU_CYCLE_1) | instskip(NEXT) | instid1(SALU_CYCLE_1)
	s_add_co_i32 s14, s14, s15
	s_mul_hi_u32 s17, s10, s14
	s_delay_alu instid0(SALU_CYCLE_1)
	s_mul_i32 s14, s17, s4
	s_add_co_i32 s18, s17, 1
	s_sub_co_i32 s19, s10, s14
	s_wait_kmcnt 0x0
	s_mul_i32 s14, s16, s13
	s_sub_co_i32 s13, s19, s4
	s_ashr_i32 s15, s14, 31
	s_cmp_ge_u32 s19, s4
	s_mul_u64 s[14:15], s[14:15], 0x6e
	s_cselect_b32 s16, s18, s17
	s_cselect_b32 s13, s13, s19
	s_add_co_i32 s17, s16, 1
	s_cmp_ge_u32 s13, s4
	s_add_nc_u64 s[0:1], s[0:1], s[14:15]
	s_cselect_b32 s4, s17, s16
	s_delay_alu instid0(SALU_CYCLE_1)
	s_mul_i32 s4, s4, s7
	s_wait_alu 0xfffe
	v_add_co_u32 v2, s7, s0, v2
	s_wait_alu 0xf1ff
	v_add_co_ci_u32_e64 v4, null, s1, 0, s7
	s_lshl_b64 s[14:15], s[4:5], 2
	v_add_co_u32 v6, s4, s0, v3
	s_delay_alu instid0(VALU_DEP_1) | instskip(SKIP_2) | instid1(VALU_DEP_1)
	v_add_co_ci_u32_e64 v7, null, s1, 0, s4
	s_add_nc_u64 s[2:3], s[2:3], s[14:15]
	v_add_co_u32 v2, vcc_lo, 0x4a, v2
	v_add_co_ci_u32_e64 v3, null, 0, v4, vcc_lo
	s_wait_alu 0xfffe
	v_mad_co_u64_u32 v[4:5], null, v21, 36, s[2:3]
	v_add_co_u32 v6, vcc_lo, v6, 2
	s_wait_alu 0xfffd
	v_add_co_ci_u32_e64 v7, null, 0, v7, vcc_lo
.LBB252_3:                              ; =>This Loop Header: Depth=1
                                        ;     Child Loop BB252_4 Depth 2
	v_dual_mov_b32 v25, 0 :: v_dual_add_nc_u32 v8, v18, v20
	v_mad_co_i64_i32 v[12:13], null, 0x6e, v24, v[2:3]
	s_delay_alu instid0(VALU_DEP_3) | instskip(NEXT) | instid1(VALU_DEP_3)
	v_mad_co_i64_i32 v[14:15], null, 0x6e, v24, v[6:7]
	v_mad_co_i64_i32 v[8:9], null, 0x6e, v8, s[0:1]
	s_mov_b32 s2, 7
	v_add_co_u32 v10, vcc_lo, v8, v21
	s_wait_alu 0xfffd
	v_add_co_ci_u32_e64 v11, null, 0, v9, vcc_lo
	global_load_u8 v26, v[10:11], off offset:66
	v_lshlrev_b32_e32 v10, 3, v18
	s_delay_alu instid0(VALU_DEP_1) | instskip(NEXT) | instid1(VALU_DEP_1)
	v_mad_co_i64_i32 v[10:11], null, v10, 36, v[4:5]
	v_add_co_u32 v16, vcc_lo, v10, 4
	s_wait_alu 0xfffd
	s_delay_alu instid0(VALU_DEP_2)
	v_add_co_ci_u32_e64 v17, null, 0, v11, vcc_lo
.LBB252_4:                              ;   Parent Loop BB252_3 Depth=1
                                        ; =>  This Inner Loop Header: Depth=2
	global_load_u16 v27, v[14:15], off
	global_load_u8 v29, v[12:13], off
	s_wait_alu 0xfffe
	s_add_co_i32 s3, s2, 1
	s_wait_loadcnt 0x2
	v_lshlrev_b32_e32 v28, s2, v26
	s_wait_alu 0xfffe
	v_lshlrev_b32_e32 v30, s3, v26
	s_getpc_b64 s[14:15]
	s_sext_i32_i16 s15, s15
	s_add_co_u32 s14, s14, _ZL10iq3xs_grid@rel32@lo+8
	s_add_co_ci_u32 s15, s15, _ZL10iq3xs_grid@rel32@hi+16
	s_add_co_i32 s2, s2, -2
	s_wait_alu 0xfffe
	s_cmp_lg_u32 s2, -1
	s_wait_loadcnt 0x1
	v_lshrrev_b16 v31, 8, v27
	v_and_b32_e32 v27, 0xff, v27
	s_wait_loadcnt 0x0
	v_and_b32_e32 v32, 15, v29
	v_lshrrev_b16 v29, 4, v29
	v_and_b32_e32 v31, 0xffff, v31
	v_and_or_b32 v27, 0x100, v30, v27
	s_delay_alu instid0(VALU_DEP_4) | instskip(NEXT) | instid1(VALU_DEP_4)
	v_and_b32_e32 v32, 0xffff, v32
	v_and_b32_e32 v29, 0xffff, v29
	s_delay_alu instid0(VALU_DEP_4) | instskip(NEXT) | instid1(VALU_DEP_4)
	v_and_or_b32 v28, 0x100, v28, v31
	v_lshlrev_b32_e32 v27, 2, v27
	s_delay_alu instid0(VALU_DEP_4) | instskip(NEXT) | instid1(VALU_DEP_4)
	v_mul_lo_u32 v32, 0x1010101, v32
	v_mul_lo_u32 v29, 0x1010101, v29
	s_delay_alu instid0(VALU_DEP_4)
	v_lshlrev_b32_e32 v28, 2, v28
	s_clause 0x1
	global_load_b32 v30, v27, s[14:15]
	global_load_b32 v31, v28, s[14:15]
	global_load_b64 v[27:28], v[16:17], off
	v_not_b32_e32 v32, v32
	v_add_co_u32 v16, vcc_lo, v16, 8
	s_wait_alu 0xfffd
	v_add_co_ci_u32_e64 v17, null, 0, v17, vcc_lo
	s_delay_alu instid0(VALU_DEP_3)
	v_and_b32_e32 v39, 0x8040201, v32
	v_and_b32_e32 v40, 0x40000, v32
	;; [unrolled: 1-line block ×3, first 2 shown]
	v_not_b32_e32 v29, v29
	v_and_b32_e32 v32, 1, v32
	v_cmp_gt_u32_e32 vcc_lo, 0x1000000, v39
	s_delay_alu instid0(VALU_DEP_3)
	v_and_b32_e32 v42, 0x8040201, v29
	v_and_b32_e32 v43, 0x40000, v29
	s_wait_alu 0xfffd
	v_cndmask_b32_e64 v39, 0, -1, vcc_lo
	v_cmp_eq_u32_e32 vcc_lo, 0, v40
	v_and_b32_e32 v44, 0x200, v29
	v_and_b32_e32 v29, 1, v29
	s_delay_alu instid0(VALU_DEP_4)
	v_lshlrev_b32_e32 v39, 24, v39
	s_wait_alu 0xfffd
	v_cndmask_b32_e64 v40, 0, 0xff0000, vcc_lo
	v_cmp_eq_u32_e32 vcc_lo, 0, v41
	s_wait_alu 0xfffd
	v_cndmask_b32_e64 v41, 0, 0xff00, vcc_lo
	v_cmp_eq_u32_e32 vcc_lo, 0, v32
	s_wait_alu 0xfffd
	v_cndmask_b32_e64 v32, 0, 0xff, vcc_lo
	v_cmp_gt_u32_e32 vcc_lo, 0x1000000, v42
	s_delay_alu instid0(VALU_DEP_2) | instskip(SKIP_3) | instid1(VALU_DEP_3)
	v_or_b32_e32 v45, v41, v32
	s_wait_alu 0xfffd
	v_cndmask_b32_e64 v42, 0, -1, vcc_lo
	v_cmp_eq_u32_e32 vcc_lo, 0, v43
	v_or3_b32 v45, v45, v40, v39
	s_delay_alu instid0(VALU_DEP_3)
	v_lshlrev_b32_e32 v42, 24, v42
	s_wait_alu 0xfffd
	v_cndmask_b32_e64 v43, 0, 0xff0000, vcc_lo
	v_cmp_eq_u32_e32 vcc_lo, 0, v44
	s_wait_alu 0xfffd
	v_cndmask_b32_e64 v44, 0, 0xff00, vcc_lo
	v_cmp_eq_u32_e32 vcc_lo, 0, v29
	s_wait_alu 0xfffd
	v_cndmask_b32_e64 v29, 0, 0xff, vcc_lo
	v_add_co_u32 v12, vcc_lo, v12, 1
	s_wait_alu 0xfffd
	v_add_co_ci_u32_e64 v13, null, 0, v13, vcc_lo
	s_delay_alu instid0(VALU_DEP_3) | instskip(SKIP_3) | instid1(VALU_DEP_3)
	v_or_b32_e32 v46, v44, v29
	v_add_co_u32 v14, vcc_lo, v14, 2
	s_wait_alu 0xfffd
	v_add_co_ci_u32_e64 v15, null, 0, v15, vcc_lo
	v_or3_b32 v46, v46, v43, v42
	s_wait_loadcnt 0x2
	v_xor_b32_e32 v30, v45, v30
	s_wait_loadcnt 0x1
	s_delay_alu instid0(VALU_DEP_2)
	v_xor_b32_e32 v31, v46, v31
	s_wait_loadcnt 0x0
	v_lshrrev_b16 v33, 8, v27
	v_ashrrev_i32_e32 v35, 24, v27
	v_bfe_i32 v36, v27, 16, 8
	v_sub_nc_u32_e32 v40, v30, v40
	v_sub_nc_u32_e32 v32, v30, v32
	;; [unrolled: 1-line block ×6, first 2 shown]
	v_perm_b32 v32, v40, v32, 0xc060c00
	v_bfe_i32 v27, v27, 0, 8
	v_lshrrev_b16 v40, 8, v41
	v_sub_nc_u32_e32 v41, v31, v44
	v_sub_nc_u32_e32 v31, v31, v42
	v_perm_b32 v29, v39, v29, 0xc060c00
	v_bfe_i32 v39, v32, 0, 8
	v_lshrrev_b16 v34, 8, v28
	v_ashrrev_i32_e32 v37, 24, v28
	v_bfe_i32 v38, v28, 16, 8
	v_bfe_i32 v33, v33, 0, 8
	v_lshrrev_b16 v41, 8, v41
	v_bfe_i32 v40, v40, 0, 8
	v_ashrrev_i32_e32 v31, 24, v31
	v_mul_i32_i24_e32 v27, v39, v27
	v_bfe_i32 v39, v29, 16, 8
	v_bfe_i32 v28, v28, 0, 8
	;; [unrolled: 1-line block ×3, first 2 shown]
	v_ashrrev_i32_e32 v30, 24, v30
	v_bfe_i32 v32, v32, 16, 8
	v_mul_i32_i24_e32 v33, v40, v33
	v_bfe_i32 v29, v29, 0, 8
	v_bfe_i32 v40, v41, 0, 8
	v_mul_i32_i24_e32 v31, v31, v37
	v_mul_i32_i24_e32 v37, v39, v38
	s_delay_alu instid0(VALU_DEP_4) | instskip(NEXT) | instid1(VALU_DEP_4)
	v_mul_i32_i24_e32 v28, v29, v28
	v_mul_i32_i24_e32 v29, v40, v34
	s_delay_alu instid0(VALU_DEP_4) | instskip(NEXT) | instid1(VALU_DEP_4)
	v_mad_i32_i24 v30, v30, v35, v31
	v_mad_i32_i24 v31, v32, v36, v37
	s_delay_alu instid0(VALU_DEP_2) | instskip(NEXT) | instid1(VALU_DEP_2)
	v_add3_u32 v29, v33, v29, v30
	v_add3_u32 v27, v27, v28, v31
	s_delay_alu instid0(VALU_DEP_1)
	v_add3_u32 v25, v27, v29, v25
	s_cbranch_scc1 .LBB252_4
; %bb.5:                                ;   in Loop: Header=BB252_3 Depth=1
	v_add_co_u32 v12, vcc_lo, v8, v22
	s_wait_alu 0xfffd
	v_add_co_ci_u32_e64 v13, null, 0, v9, vcc_lo
	v_add_nc_u32_e32 v18, 4, v18
	v_add_nc_u32_e32 v24, 4, v24
	s_clause 0x1
	global_load_u8 v12, v[12:13], off offset:106
	global_load_u16 v8, v[8:9], off
	global_load_b32 v9, v[10:11], off
	v_cmp_le_u32_e32 vcc_lo, s11, v18
	s_or_b32 s5, vcc_lo, s5
	s_wait_loadcnt 0x2
	v_bfe_u32 v10, v12, v23, 4
	s_wait_loadcnt 0x1
	v_cvt_f32_f16_e32 v8, v8
	s_wait_loadcnt 0x0
	v_cvt_f32_f16_e32 v9, v9
	v_cvt_f32_ubyte0_e32 v10, v10
	s_delay_alu instid0(VALU_DEP_1) | instskip(NEXT) | instid1(VALU_DEP_1)
	v_add_f32_e32 v10, 0.5, v10
	v_mul_f32_e32 v8, v10, v8
	s_delay_alu instid0(VALU_DEP_1) | instskip(SKIP_1) | instid1(VALU_DEP_2)
	v_mul_f32_e32 v8, v8, v9
	v_cvt_f32_i32_e32 v9, v25
	v_mul_f32_e32 v8, 0.5, v8
	s_delay_alu instid0(VALU_DEP_1)
	v_fmac_f32_e32 v19, v8, v9
	s_wait_alu 0xfffe
	s_and_not1_b32 exec_lo, exec_lo, s5
	s_cbranch_execnz .LBB252_3
; %bb.6:
	s_or_b32 exec_lo, exec_lo, s5
.LBB252_7:
	s_delay_alu instid0(SALU_CYCLE_1) | instskip(SKIP_1) | instid1(VALU_DEP_1)
	s_or_b32 exec_lo, exec_lo, s12
	v_mbcnt_lo_u32_b32 v2, -1, 0
	v_xor_b32_e32 v3, 16, v2
	v_xor_b32_e32 v4, 8, v2
	;; [unrolled: 1-line block ×3, first 2 shown]
	s_delay_alu instid0(VALU_DEP_3)
	v_cmp_gt_i32_e32 vcc_lo, 32, v3
	s_wait_alu 0xfffd
	v_cndmask_b32_e32 v3, v2, v3, vcc_lo
	v_cmp_gt_i32_e32 vcc_lo, 32, v4
	s_wait_alu 0xfffd
	v_cndmask_b32_e32 v4, v2, v4, vcc_lo
	v_cmp_gt_i32_e32 vcc_lo, 32, v5
	s_delay_alu instid0(VALU_DEP_2)
	v_lshlrev_b32_e32 v4, 2, v4
	v_lshlrev_b32_e32 v3, 2, v3
	s_wait_alu 0xfffd
	v_cndmask_b32_e32 v5, v2, v5, vcc_lo
	ds_bpermute_b32 v3, v3, v19
	v_lshlrev_b32_e32 v5, 2, v5
	s_wait_dscnt 0x0
	v_add_f32_e32 v3, v19, v3
	ds_bpermute_b32 v4, v4, v3
	s_wait_dscnt 0x0
	v_add_f32_e32 v3, v3, v4
	ds_bpermute_b32 v4, v5, v3
	v_xor_b32_e32 v5, 2, v2
	s_delay_alu instid0(VALU_DEP_1) | instskip(SKIP_2) | instid1(VALU_DEP_1)
	v_cmp_gt_i32_e32 vcc_lo, 32, v5
	s_wait_alu 0xfffd
	v_cndmask_b32_e32 v5, v2, v5, vcc_lo
	v_lshlrev_b32_e32 v5, 2, v5
	s_wait_dscnt 0x0
	v_add_f32_e32 v3, v3, v4
	ds_bpermute_b32 v4, v5, v3
	v_xor_b32_e32 v5, 1, v2
	s_delay_alu instid0(VALU_DEP_1) | instskip(SKIP_4) | instid1(VALU_DEP_2)
	v_cmp_gt_i32_e32 vcc_lo, 32, v5
	s_wait_alu 0xfffd
	v_cndmask_b32_e32 v5, v2, v5, vcc_lo
	v_cmp_eq_u32_e32 vcc_lo, 0, v0
	s_wait_dscnt 0x0
	v_dual_add_f32 v2, v3, v4 :: v_dual_lshlrev_b32 v3, 2, v5
	ds_bpermute_b32 v3, v3, v2
	s_and_b32 exec_lo, exec_lo, vcc_lo
	s_cbranch_execz .LBB252_9
; %bb.8:
	v_mad_co_u64_u32 v[0:1], null, s6, s10, v[1:2]
	s_wait_dscnt 0x0
	v_dual_mov_b32 v1, 0 :: v_dual_add_f32 v2, v2, v3
	s_delay_alu instid0(VALU_DEP_1) | instskip(SKIP_1) | instid1(VALU_DEP_1)
	v_lshlrev_b64_e32 v[0:1], 2, v[0:1]
	s_wait_kmcnt 0x0
	v_add_co_u32 v0, vcc_lo, s8, v0
	s_wait_alu 0xfffd
	s_delay_alu instid0(VALU_DEP_2)
	v_add_co_ci_u32_e64 v1, null, s9, v1, vcc_lo
	global_store_b32 v[0:1], v2, off
.LBB252_9:
	s_endpgm
	.section	.rodata,"a",@progbits
	.p2align	6, 0x0
	.amdhsa_kernel _ZL9moe_vec_qIfLi256ELi8E11block_iq3_sLi1EXadL_ZL18vec_dot_iq3_s_q8_1PKvPK10block_q8_1RKiEEEvS2_S2_PT_PS6_iiii
		.amdhsa_group_segment_fixed_size 0
		.amdhsa_private_segment_fixed_size 0
		.amdhsa_kernarg_size 304
		.amdhsa_user_sgpr_count 2
		.amdhsa_user_sgpr_dispatch_ptr 0
		.amdhsa_user_sgpr_queue_ptr 0
		.amdhsa_user_sgpr_kernarg_segment_ptr 1
		.amdhsa_user_sgpr_dispatch_id 0
		.amdhsa_user_sgpr_private_segment_size 0
		.amdhsa_wavefront_size32 1
		.amdhsa_uses_dynamic_stack 0
		.amdhsa_enable_private_segment 0
		.amdhsa_system_sgpr_workgroup_id_x 1
		.amdhsa_system_sgpr_workgroup_id_y 0
		.amdhsa_system_sgpr_workgroup_id_z 1
		.amdhsa_system_sgpr_workgroup_info 0
		.amdhsa_system_vgpr_workitem_id 1
		.amdhsa_next_free_vgpr 47
		.amdhsa_next_free_sgpr 20
		.amdhsa_reserve_vcc 1
		.amdhsa_float_round_mode_32 0
		.amdhsa_float_round_mode_16_64 0
		.amdhsa_float_denorm_mode_32 3
		.amdhsa_float_denorm_mode_16_64 3
		.amdhsa_fp16_overflow 0
		.amdhsa_workgroup_processor_mode 1
		.amdhsa_memory_ordered 1
		.amdhsa_forward_progress 1
		.amdhsa_inst_pref_size 16
		.amdhsa_round_robin_scheduling 0
		.amdhsa_exception_fp_ieee_invalid_op 0
		.amdhsa_exception_fp_denorm_src 0
		.amdhsa_exception_fp_ieee_div_zero 0
		.amdhsa_exception_fp_ieee_overflow 0
		.amdhsa_exception_fp_ieee_underflow 0
		.amdhsa_exception_fp_ieee_inexact 0
		.amdhsa_exception_int_div_zero 0
	.end_amdhsa_kernel
	.section	.text._ZL9moe_vec_qIfLi256ELi8E11block_iq3_sLi1EXadL_ZL18vec_dot_iq3_s_q8_1PKvPK10block_q8_1RKiEEEvS2_S2_PT_PS6_iiii,"axG",@progbits,_ZL9moe_vec_qIfLi256ELi8E11block_iq3_sLi1EXadL_ZL18vec_dot_iq3_s_q8_1PKvPK10block_q8_1RKiEEEvS2_S2_PT_PS6_iiii,comdat
.Lfunc_end252:
	.size	_ZL9moe_vec_qIfLi256ELi8E11block_iq3_sLi1EXadL_ZL18vec_dot_iq3_s_q8_1PKvPK10block_q8_1RKiEEEvS2_S2_PT_PS6_iiii, .Lfunc_end252-_ZL9moe_vec_qIfLi256ELi8E11block_iq3_sLi1EXadL_ZL18vec_dot_iq3_s_q8_1PKvPK10block_q8_1RKiEEEvS2_S2_PT_PS6_iiii
                                        ; -- End function
	.set _ZL9moe_vec_qIfLi256ELi8E11block_iq3_sLi1EXadL_ZL18vec_dot_iq3_s_q8_1PKvPK10block_q8_1RKiEEEvS2_S2_PT_PS6_iiii.num_vgpr, 47
	.set _ZL9moe_vec_qIfLi256ELi8E11block_iq3_sLi1EXadL_ZL18vec_dot_iq3_s_q8_1PKvPK10block_q8_1RKiEEEvS2_S2_PT_PS6_iiii.num_agpr, 0
	.set _ZL9moe_vec_qIfLi256ELi8E11block_iq3_sLi1EXadL_ZL18vec_dot_iq3_s_q8_1PKvPK10block_q8_1RKiEEEvS2_S2_PT_PS6_iiii.numbered_sgpr, 20
	.set _ZL9moe_vec_qIfLi256ELi8E11block_iq3_sLi1EXadL_ZL18vec_dot_iq3_s_q8_1PKvPK10block_q8_1RKiEEEvS2_S2_PT_PS6_iiii.num_named_barrier, 0
	.set _ZL9moe_vec_qIfLi256ELi8E11block_iq3_sLi1EXadL_ZL18vec_dot_iq3_s_q8_1PKvPK10block_q8_1RKiEEEvS2_S2_PT_PS6_iiii.private_seg_size, 0
	.set _ZL9moe_vec_qIfLi256ELi8E11block_iq3_sLi1EXadL_ZL18vec_dot_iq3_s_q8_1PKvPK10block_q8_1RKiEEEvS2_S2_PT_PS6_iiii.uses_vcc, 1
	.set _ZL9moe_vec_qIfLi256ELi8E11block_iq3_sLi1EXadL_ZL18vec_dot_iq3_s_q8_1PKvPK10block_q8_1RKiEEEvS2_S2_PT_PS6_iiii.uses_flat_scratch, 0
	.set _ZL9moe_vec_qIfLi256ELi8E11block_iq3_sLi1EXadL_ZL18vec_dot_iq3_s_q8_1PKvPK10block_q8_1RKiEEEvS2_S2_PT_PS6_iiii.has_dyn_sized_stack, 0
	.set _ZL9moe_vec_qIfLi256ELi8E11block_iq3_sLi1EXadL_ZL18vec_dot_iq3_s_q8_1PKvPK10block_q8_1RKiEEEvS2_S2_PT_PS6_iiii.has_recursion, 0
	.set _ZL9moe_vec_qIfLi256ELi8E11block_iq3_sLi1EXadL_ZL18vec_dot_iq3_s_q8_1PKvPK10block_q8_1RKiEEEvS2_S2_PT_PS6_iiii.has_indirect_call, 0
	.section	.AMDGPU.csdata,"",@progbits
; Kernel info:
; codeLenInByte = 1936
; TotalNumSgprs: 22
; NumVgprs: 47
; ScratchSize: 0
; MemoryBound: 0
; FloatMode: 240
; IeeeMode: 1
; LDSByteSize: 0 bytes/workgroup (compile time only)
; SGPRBlocks: 0
; VGPRBlocks: 5
; NumSGPRsForWavesPerEU: 22
; NumVGPRsForWavesPerEU: 47
; Occupancy: 16
; WaveLimiterHint : 1
; COMPUTE_PGM_RSRC2:SCRATCH_EN: 0
; COMPUTE_PGM_RSRC2:USER_SGPR: 2
; COMPUTE_PGM_RSRC2:TRAP_HANDLER: 0
; COMPUTE_PGM_RSRC2:TGID_X_EN: 1
; COMPUTE_PGM_RSRC2:TGID_Y_EN: 0
; COMPUTE_PGM_RSRC2:TGID_Z_EN: 1
; COMPUTE_PGM_RSRC2:TIDIG_COMP_CNT: 1
	.section	.text._ZL9moe_vec_qIfLi256ELi8E11block_iq2_sLi1EXadL_ZL18vec_dot_iq2_s_q8_1PKvPK10block_q8_1RKiEEEvS2_S2_PT_PS6_iiii,"axG",@progbits,_ZL9moe_vec_qIfLi256ELi8E11block_iq2_sLi1EXadL_ZL18vec_dot_iq2_s_q8_1PKvPK10block_q8_1RKiEEEvS2_S2_PT_PS6_iiii,comdat
	.globl	_ZL9moe_vec_qIfLi256ELi8E11block_iq2_sLi1EXadL_ZL18vec_dot_iq2_s_q8_1PKvPK10block_q8_1RKiEEEvS2_S2_PT_PS6_iiii ; -- Begin function _ZL9moe_vec_qIfLi256ELi8E11block_iq2_sLi1EXadL_ZL18vec_dot_iq2_s_q8_1PKvPK10block_q8_1RKiEEEvS2_S2_PT_PS6_iiii
	.p2align	8
	.type	_ZL9moe_vec_qIfLi256ELi8E11block_iq2_sLi1EXadL_ZL18vec_dot_iq2_s_q8_1PKvPK10block_q8_1RKiEEEvS2_S2_PT_PS6_iiii,@function
_ZL9moe_vec_qIfLi256ELi8E11block_iq2_sLi1EXadL_ZL18vec_dot_iq2_s_q8_1PKvPK10block_q8_1RKiEEEvS2_S2_PT_PS6_iiii: ; @_ZL9moe_vec_qIfLi256ELi8E11block_iq2_sLi1EXadL_ZL18vec_dot_iq2_s_q8_1PKvPK10block_q8_1RKiEEEvS2_S2_PT_PS6_iiii
; %bb.0:
	s_clause 0x1
	s_load_u16 s2, s[0:1], 0x3e
	s_load_b128 s[4:7], s[0:1], 0x20
	v_bfe_u32 v1, v0, 10, 10
	s_wait_kmcnt 0x0
	s_delay_alu instid0(VALU_DEP_1)
	v_mad_co_u64_u32 v[1:2], null, ttmp9, s2, v[1:2]
	s_mov_b32 s2, exec_lo
	v_cmpx_gt_u32_e64 s6, v1
	s_cbranch_execz .LBB253_7
; %bb.1:
	s_load_b64 s[2:3], s[0:1], 0x10
	s_ashr_i32 s8, s5, 31
	v_bfe_u32 v4, v0, 3, 7
	s_lshr_b32 s8, s8, 24
	v_dual_mov_b32 v5, 0 :: v_dual_and_b32 v0, 0x3ff, v0
	s_add_co_i32 s5, s5, s8
	s_lshr_b32 s10, ttmp7, 16
	s_ashr_i32 s11, s5, 8
	s_mov_b32 s12, exec_lo
	v_cmpx_gt_u32_e64 s11, v4
	s_cbranch_execz .LBB253_5
; %bb.2:
	s_clause 0x1
	s_load_b64 s[8:9], s[0:1], 0x18
	s_load_b128 s[16:19], s[0:1], 0x0
	s_cvt_f32_u32 s5, s4
	s_lshl_b32 s13, s10, 2
	s_mul_i32 s1, s11, s6
	v_dual_mov_b32 v5, 0 :: v_dual_and_b32 v6, 7, v0
	v_rcp_iflag_f32_e32 v2, s5
	v_mul_lo_u32 v7, v1, s11
	v_lshlrev_b32_e32 v9, 3, v4
	s_delay_alu instid0(VALU_DEP_3) | instskip(NEXT) | instid1(TRANS32_DEP_1)
	v_lshlrev_b32_e32 v8, 2, v6
	v_readfirstlane_b32 s5, v2
	s_wait_kmcnt 0x0
	s_load_b32 s8, s[8:9], s13 offset:0x0
	s_sub_co_i32 s9, 0, s4
	s_mul_f32 s5, s5, 0x4f7ffffe
	s_wait_alu 0xfffe
	s_delay_alu instid0(SALU_CYCLE_2) | instskip(SKIP_1) | instid1(SALU_CYCLE_2)
	s_cvt_u32_f32 s5, s5
	s_wait_alu 0xfffe
	s_mul_i32 s9, s9, s5
	s_delay_alu instid0(SALU_CYCLE_1) | instskip(NEXT) | instid1(SALU_CYCLE_1)
	s_mul_hi_u32 s9, s5, s9
	s_add_co_i32 s5, s5, s9
	s_wait_alu 0xfffe
	s_mul_hi_u32 s0, s10, s5
	s_wait_alu 0xfffe
	s_mul_i32 s5, s0, s4
	s_add_co_i32 s13, s0, 1
	s_wait_alu 0xfffe
	s_sub_co_i32 s5, s10, s5
	s_wait_kmcnt 0x0
	s_mul_i32 s8, s1, s8
	s_wait_alu 0xfffe
	s_sub_co_i32 s1, s5, s4
	s_ashr_i32 s9, s8, 31
	s_cmp_ge_u32 s5, s4
	s_mul_u64 s[8:9], s[8:9], 0x52
	s_cselect_b32 s0, s13, s0
	s_wait_alu 0xfffe
	s_cselect_b32 s1, s1, s5
	s_add_co_i32 s5, s0, 1
	s_wait_alu 0xfffe
	s_cmp_ge_u32 s1, s4
	s_mov_b32 s1, 0
	s_cselect_b32 s0, s5, s0
	s_wait_alu 0xfffe
	s_mul_i32 s0, s0, s7
	s_wait_alu 0xfffe
	s_lshl_b64 s[4:5], s[0:1], 2
	s_wait_alu 0xfffe
	s_add_nc_u64 s[4:5], s[18:19], s[4:5]
	s_wait_alu 0xfffe
	v_mad_co_u64_u32 v[2:3], null, v6, 36, s[4:5]
	s_add_nc_u64 s[4:5], s[16:17], s[8:9]
	s_getpc_b64 s[8:9]
	s_sext_i32_i16 s9, s9
	s_add_co_u32 s8, s8, _ZL9iq2s_grid@rel32@lo+8
	s_add_co_ci_u32 s9, s9, _ZL9iq2s_grid@rel32@hi+16
.LBB253_3:                              ; =>This Inner Loop Header: Depth=1
	v_add_nc_u32_e32 v10, v7, v4
	v_mad_co_i64_i32 v[22:23], null, v9, 36, v[2:3]
	v_add_nc_u32_e32 v4, 4, v4
	v_add_nc_u32_e32 v9, 32, v9
	s_wait_alu 0xfffe
	v_mad_co_i64_i32 v[18:19], null, 0x52, v10, s[4:5]
	s_delay_alu instid0(VALU_DEP_1) | instskip(SKIP_1) | instid1(VALU_DEP_2)
	v_add_co_u32 v20, vcc_lo, v18, v8
	s_wait_alu 0xfffd
	v_add_co_ci_u32_e64 v21, null, 0, v19, vcc_lo
	v_add_co_u32 v10, vcc_lo, v18, v6
	s_wait_alu 0xfffd
	v_add_co_ci_u32_e64 v11, null, 0, v19, vcc_lo
	s_clause 0x2
	global_load_b32 v24, v[20:21], off offset:2
	global_load_u8 v25, v[10:11], off offset:66
	global_load_u8 v30, v[10:11], off offset:74
	s_clause 0x1
	global_load_b128 v[10:13], v[22:23], off offset:4
	global_load_b128 v[14:17], v[22:23], off offset:20
	global_load_b32 v31, v[20:21], off offset:34
	s_wait_loadcnt 0x5
	v_and_b32_e32 v21, 0xff, v24
	s_wait_loadcnt 0x4
	v_lshlrev_b32_e32 v26, 8, v25
	v_bfe_u32 v27, v24, 8, 8
	v_lshlrev_b32_e32 v28, 6, v25
	v_lshrrev_b32_e32 v20, 24, v24
	v_bfe_u32 v24, v24, 16, 8
	v_lshlrev_b32_e32 v29, 4, v25
	v_lshlrev_b32_e32 v25, 2, v25
	v_and_or_b32 v21, 0x300, v26, v21
	v_and_or_b32 v26, 0x300, v28, v27
	s_wait_loadcnt 0x1
	v_perm_b32 v32, v14, v15, 0xc0c0400
	v_and_or_b32 v24, 0x300, v29, v24
	v_and_or_b32 v20, 0x300, v25, v20
	v_lshlrev_b32_e32 v21, 3, v21
	v_lshlrev_b32_e32 v25, 3, v26
	v_perm_b32 v33, v17, v16, 0x4000c0c
	v_lshlrev_b32_e32 v26, 3, v24
	v_lshlrev_b32_e32 v28, 3, v20
	s_clause 0x3
	global_load_b64 v[20:21], v21, s[8:9]
	global_load_b64 v[24:25], v25, s[8:9]
	;; [unrolled: 1-line block ×4, first 2 shown]
	global_load_b32 v22, v[22:23], off
	global_load_u16 v18, v[18:19], off
	v_perm_b32 v19, v14, v15, 0xc0c0602
	v_perm_b32 v23, v17, v16, 0x6020c0c
	;; [unrolled: 1-line block ×14, first 2 shown]
	v_or_b32_e32 v13, v23, v19
	v_or_b32_e32 v19, v33, v32
	s_wait_loadcnt 0x6
	v_and_b32_e32 v32, 15, v31
	v_or_b32_e32 v14, v15, v14
	v_or_b32_e32 v15, v17, v16
	;; [unrolled: 1-line block ×4, first 2 shown]
	v_mul_lo_u32 v32, 0x1010101, v32
	v_bfe_u32 v36, v31, 20, 4
	v_or_b32_e32 v10, v11, v10
	v_lshrrev_b32_e32 v11, 8, v31
	v_lshrrev_b32_e32 v23, 24, v31
	v_lshrrev_b16 v33, 4, v31
	v_mul_lo_u32 v36, 0x1010101, v36
	v_lshrrev_b16 v37, 4, v30
	v_not_b32_e32 v32, v32
	v_lshrrev_b16 v23, 4, v23
	v_and_b32_e32 v33, 15, v33
	v_lshrrev_b16 v11, 4, v11
	v_and_b32_e32 v30, 15, v30
	v_and_b32_e32 v38, 0x8040201, v32
	;; [unrolled: 1-line block ×5, first 2 shown]
	v_not_b32_e32 v36, v36
	v_cmp_gt_u32_e32 vcc_lo, 0x1000000, v38
	v_and_b32_e32 v33, 0xffff, v33
	v_and_b32_e32 v23, 0xffff, v23
	;; [unrolled: 1-line block ×4, first 2 shown]
	s_wait_alu 0xfffd
	v_cndmask_b32_e64 v38, 0, -1, vcc_lo
	v_cmp_eq_u32_e32 vcc_lo, 0, v39
	v_and_b32_e32 v48, 0x40000, v36
	v_and_b32_e32 v49, 0x200, v36
	v_and_b32_e32 v36, 1, v36
	v_mul_lo_u32 v33, 0x1010101, v33
	s_wait_alu 0xfffd
	v_cndmask_b32_e64 v39, 0, 0xff0000, vcc_lo
	v_cmp_eq_u32_e32 vcc_lo, 0, v40
	v_mul_lo_u32 v23, 0x1010101, v23
	v_and_b32_e32 v11, 0xffff, v11
	v_lshlrev_b32_e32 v38, 24, v38
	s_wait_alu 0xfffd
	v_cndmask_b32_e64 v40, 0, 0xff00, vcc_lo
	v_cmp_eq_u32_e32 vcc_lo, 0, v32
	v_not_b32_e32 v33, v33
	v_mul_lo_u32 v11, 0x1010101, v11
	v_not_b32_e32 v23, v23
	s_wait_alu 0xfffd
	v_cndmask_b32_e64 v32, 0, 0xff, vcc_lo
	v_and_b32_e32 v54, 0x8040201, v33
	v_and_b32_e32 v55, 0x40000, v33
	;; [unrolled: 1-line block ×7, first 2 shown]
	v_not_b32_e32 v11, v11
	v_and_b32_e32 v23, 1, v23
	v_or_b32_e32 v53, v40, v32
	s_delay_alu instid0(VALU_DEP_3)
	v_and_b32_e32 v64, 0x8040201, v11
	v_and_b32_e32 v66, 0x200, v11
	;; [unrolled: 1-line block ×4, first 2 shown]
	v_or3_b32 v53, v53, v39, v38
	s_wait_loadcnt 0x5
	s_delay_alu instid0(VALU_DEP_1)
	v_xor_b32_e32 v20, v53, v20
	s_wait_loadcnt 0x1
	v_cvt_f32_f16_e32 v12, v22
	v_or_b32_e32 v22, v35, v34
	v_bfe_u32 v34, v31, 8, 4
	v_bfe_u32 v35, v31, 16, 4
	;; [unrolled: 1-line block ×3, first 2 shown]
	v_sub_nc_u32_e32 v38, v20, v38
	v_sub_nc_u32_e32 v39, v20, v39
	v_mul_lo_u32 v34, 0x1010101, v34
	v_mul_lo_u32 v35, 0x1010101, v35
	;; [unrolled: 1-line block ×3, first 2 shown]
	v_sub_nc_u32_e32 v40, v20, v40
	v_sub_nc_u32_e32 v20, v20, v32
	v_not_b32_e32 v34, v34
	v_not_b32_e32 v35, v35
	;; [unrolled: 1-line block ×3, first 2 shown]
	s_delay_alu instid0(VALU_DEP_3)
	v_and_b32_e32 v41, 0x8040201, v34
	v_and_b32_e32 v42, 0x40000, v34
	;; [unrolled: 1-line block ×5, first 2 shown]
	v_cmp_gt_u32_e32 vcc_lo, 0x1000000, v41
	v_and_b32_e32 v45, 0x40000, v35
	v_and_b32_e32 v46, 0x200, v35
	;; [unrolled: 1-line block ×4, first 2 shown]
	s_wait_alu 0xfffd
	v_cndmask_b32_e64 v41, 0, -1, vcc_lo
	v_cmp_eq_u32_e32 vcc_lo, 0, v42
	v_and_b32_e32 v51, 0x40000, v31
	v_and_b32_e32 v52, 0x200, v31
	;; [unrolled: 1-line block ×3, first 2 shown]
	v_lshlrev_b32_e32 v41, 24, v41
	s_wait_alu 0xfffd
	v_cndmask_b32_e64 v42, 0, 0xff0000, vcc_lo
	v_cmp_eq_u32_e32 vcc_lo, 0, v43
	s_wait_alu 0xfffd
	v_cndmask_b32_e64 v43, 0, 0xff00, vcc_lo
	v_cmp_eq_u32_e32 vcc_lo, 0, v34
	s_wait_alu 0xfffd
	v_cndmask_b32_e64 v34, 0, 0xff, vcc_lo
	v_cmp_gt_u32_e32 vcc_lo, 0x1000000, v44
	s_delay_alu instid0(VALU_DEP_2) | instskip(SKIP_3) | instid1(VALU_DEP_3)
	v_or_b32_e32 v57, v43, v34
	s_wait_alu 0xfffd
	v_cndmask_b32_e64 v44, 0, -1, vcc_lo
	v_cmp_eq_u32_e32 vcc_lo, 0, v45
	v_or3_b32 v57, v57, v42, v41
	s_delay_alu instid0(VALU_DEP_3)
	v_lshlrev_b32_e32 v44, 24, v44
	s_wait_alu 0xfffd
	v_cndmask_b32_e64 v45, 0, 0xff0000, vcc_lo
	v_cmp_eq_u32_e32 vcc_lo, 0, v46
	v_xor_b32_e32 v24, v57, v24
	s_wait_alu 0xfffd
	v_cndmask_b32_e64 v46, 0, 0xff00, vcc_lo
	v_cmp_eq_u32_e32 vcc_lo, 0, v35
	s_wait_alu 0xfffd
	v_cndmask_b32_e64 v35, 0, 0xff, vcc_lo
	v_cmp_gt_u32_e32 vcc_lo, 0x1000000, v47
	s_delay_alu instid0(VALU_DEP_2) | instskip(SKIP_3) | instid1(VALU_DEP_3)
	v_or_b32_e32 v58, v46, v35
	s_wait_alu 0xfffd
	v_cndmask_b32_e64 v47, 0, -1, vcc_lo
	v_cmp_eq_u32_e32 vcc_lo, 0, v48
	v_or3_b32 v58, v58, v45, v44
	s_delay_alu instid0(VALU_DEP_3)
	v_lshlrev_b32_e32 v47, 24, v47
	s_wait_alu 0xfffd
	v_cndmask_b32_e64 v48, 0, 0xff0000, vcc_lo
	v_cmp_eq_u32_e32 vcc_lo, 0, v49
	v_xor_b32_e32 v26, v58, v26
	;; [unrolled: 18-line block ×5, first 2 shown]
	s_wait_alu 0xfffd
	v_cndmask_b32_e64 v63, 0, 0xff00, vcc_lo
	v_cmp_eq_u32_e32 vcc_lo, 0, v23
	s_delay_alu instid0(VALU_DEP_3)
	v_sub_nc_u32_e32 v32, v21, v54
	v_sub_nc_u32_e32 v53, v21, v55
	;; [unrolled: 1-line block ×4, first 2 shown]
	s_wait_alu 0xfffd
	v_cndmask_b32_e64 v23, 0, 0xff, vcc_lo
	v_cmp_gt_u32_e32 vcc_lo, 0x1000000, v64
	v_sub_nc_u32_e32 v33, v24, v41
	v_sub_nc_u32_e32 v41, v24, v42
	;; [unrolled: 1-line block ×3, first 2 shown]
	v_or_b32_e32 v68, v63, v23
	s_wait_alu 0xfffd
	v_cndmask_b32_e64 v64, 0, -1, vcc_lo
	v_cmp_eq_u32_e32 vcc_lo, 0, v66
	v_sub_nc_u32_e32 v24, v24, v34
	v_or3_b32 v68, v68, v62, v61
	s_delay_alu instid0(VALU_DEP_4)
	v_lshlrev_b32_e32 v64, 24, v64
	s_wait_alu 0xfffd
	v_cndmask_b32_e64 v66, 0, 0xff00, vcc_lo
	v_cmp_eq_u32_e32 vcc_lo, 0, v11
	v_perm_b32 v41, v41, v24, 0xc060c00
	v_xor_b32_e32 v29, v68, v29
	s_wait_alu 0xfffd
	v_cndmask_b32_e64 v11, 0, 0xff, vcc_lo
	v_cmp_eq_u32_e32 vcc_lo, 0, v65
	s_delay_alu instid0(VALU_DEP_3) | instskip(NEXT) | instid1(VALU_DEP_3)
	v_sub_nc_u32_e32 v23, v29, v23
	v_or_b32_e32 v69, v66, v11
	s_wait_alu 0xfffd
	v_cndmask_b32_e64 v65, 0, 0xff0000, vcc_lo
	v_cmp_le_u32_e32 vcc_lo, s11, v4
	s_delay_alu instid0(VALU_DEP_2) | instskip(SKIP_1) | instid1(VALU_DEP_1)
	v_or3_b32 v69, v69, v65, v64
	s_or_b32 s1, vcc_lo, s1
	v_xor_b32_e32 v25, v69, v25
	s_delay_alu instid0(VALU_DEP_1)
	v_sub_nc_u32_e32 v34, v25, v64
	v_sub_nc_u32_e32 v43, v25, v65
	;; [unrolled: 1-line block ×19, first 2 shown]
	v_perm_b32 v44, v44, v26, 0xc060c00
	v_perm_b32 v46, v46, v27, 0xc060c00
	;; [unrolled: 1-line block ×21, first 2 shown]
	v_or_b32_e32 v23, v23, v26
	v_or_b32_e32 v25, v27, v25
	;; [unrolled: 1-line block ×3, first 2 shown]
	v_perm_b32 v27, v29, v39, 0xc0c0602
	v_perm_b32 v28, v43, v41, 0x6020c0c
	v_or_b32_e32 v11, v11, v20
	v_or_b32_e32 v20, v24, v21
	;; [unrolled: 1-line block ×4, first 2 shown]
	v_dot4_i32_iu8 v22, v25, v22, 0 neg_lo:[1,1,0]
	v_dot4_i32_iu8 v14, v26, v14, 0 neg_lo:[1,1,0]
	;; [unrolled: 1-line block ×3, first 2 shown]
	v_or_b32_e32 v23, v28, v27
	v_dot4_i32_iu8 v17, v20, v17, 0 neg_lo:[1,1,0]
	v_dot4_i32_iu8 v10, v21, v10, 0 neg_lo:[1,1,0]
	v_dot4_i32_iu8 v13, v24, v13, 0 neg_lo:[1,1,0]
	v_add_nc_u32_e32 v14, v14, v22
	v_cvt_f32_ubyte0_e32 v20, v37
	v_dot4_i32_iu8 v11, v11, v16, 0 neg_lo:[1,1,0]
	v_dot4_i32_iu8 v15, v23, v15, 0 neg_lo:[1,1,0]
	v_add_nc_u32_e32 v10, v10, v17
	v_add3_u32 v13, v19, v13, v14
	s_wait_loadcnt 0x0
	v_cvt_f32_f16_e32 v14, v18
	v_cvt_f32_ubyte0_e32 v16, v30
	v_add_f32_e32 v17, 0.5, v20
	v_add3_u32 v10, v11, v15, v10
	v_cvt_f32_i32_e32 v11, v13
	v_mul_f32_e32 v12, v14, v12
	v_add_f32_e32 v13, 0.5, v16
	s_delay_alu instid0(VALU_DEP_4) | instskip(NEXT) | instid1(VALU_DEP_3)
	v_cvt_f32_i32_e32 v10, v10
	v_dual_mul_f32 v11, v17, v11 :: v_dual_mul_f32 v12, 0x3e800000, v12
	s_delay_alu instid0(VALU_DEP_1) | instskip(NEXT) | instid1(VALU_DEP_1)
	v_fmac_f32_e32 v11, v13, v10
	v_fmac_f32_e32 v5, v12, v11
	s_wait_alu 0xfffe
	s_and_not1_b32 exec_lo, exec_lo, s1
	s_cbranch_execnz .LBB253_3
; %bb.4:
	s_or_b32 exec_lo, exec_lo, s1
.LBB253_5:
	s_delay_alu instid0(SALU_CYCLE_1) | instskip(SKIP_1) | instid1(VALU_DEP_1)
	s_or_b32 exec_lo, exec_lo, s12
	v_mbcnt_lo_u32_b32 v2, -1, 0
	v_xor_b32_e32 v3, 16, v2
	v_xor_b32_e32 v4, 8, v2
	s_delay_alu instid0(VALU_DEP_2) | instskip(SKIP_2) | instid1(VALU_DEP_3)
	v_cmp_gt_i32_e32 vcc_lo, 32, v3
	s_wait_alu 0xfffd
	v_cndmask_b32_e32 v3, v2, v3, vcc_lo
	v_cmp_gt_i32_e32 vcc_lo, 32, v4
	s_wait_alu 0xfffd
	v_cndmask_b32_e32 v4, v2, v4, vcc_lo
	s_delay_alu instid0(VALU_DEP_1)
	v_lshlrev_b32_e32 v4, 2, v4
	v_lshlrev_b32_e32 v3, 2, v3
	ds_bpermute_b32 v3, v3, v5
	s_wait_dscnt 0x0
	v_add_f32_e32 v3, v5, v3
	v_xor_b32_e32 v5, 4, v2
	ds_bpermute_b32 v4, v4, v3
	v_cmp_gt_i32_e32 vcc_lo, 32, v5
	s_wait_alu 0xfffd
	v_cndmask_b32_e32 v5, v2, v5, vcc_lo
	s_delay_alu instid0(VALU_DEP_1) | instskip(SKIP_4) | instid1(VALU_DEP_1)
	v_lshlrev_b32_e32 v5, 2, v5
	s_wait_dscnt 0x0
	v_add_f32_e32 v3, v3, v4
	ds_bpermute_b32 v4, v5, v3
	v_xor_b32_e32 v5, 2, v2
	v_cmp_gt_i32_e32 vcc_lo, 32, v5
	s_wait_alu 0xfffd
	v_cndmask_b32_e32 v5, v2, v5, vcc_lo
	s_delay_alu instid0(VALU_DEP_1) | instskip(SKIP_4) | instid1(VALU_DEP_1)
	v_lshlrev_b32_e32 v5, 2, v5
	s_wait_dscnt 0x0
	v_add_f32_e32 v3, v3, v4
	ds_bpermute_b32 v4, v5, v3
	v_xor_b32_e32 v5, 1, v2
	v_cmp_gt_i32_e32 vcc_lo, 32, v5
	s_wait_alu 0xfffd
	v_cndmask_b32_e32 v5, v2, v5, vcc_lo
	v_cmp_eq_u32_e32 vcc_lo, 0, v0
	s_wait_dscnt 0x0
	s_delay_alu instid0(VALU_DEP_2)
	v_dual_add_f32 v2, v3, v4 :: v_dual_lshlrev_b32 v3, 2, v5
	ds_bpermute_b32 v3, v3, v2
	s_and_b32 exec_lo, exec_lo, vcc_lo
	s_cbranch_execz .LBB253_7
; %bb.6:
	v_mad_co_u64_u32 v[0:1], null, s6, s10, v[1:2]
	s_wait_dscnt 0x0
	v_dual_mov_b32 v1, 0 :: v_dual_add_f32 v2, v2, v3
	s_delay_alu instid0(VALU_DEP_1) | instskip(SKIP_1) | instid1(VALU_DEP_1)
	v_lshlrev_b64_e32 v[0:1], 2, v[0:1]
	s_wait_kmcnt 0x0
	v_add_co_u32 v0, vcc_lo, s2, v0
	s_wait_alu 0xfffd
	s_delay_alu instid0(VALU_DEP_2)
	v_add_co_ci_u32_e64 v1, null, s3, v1, vcc_lo
	global_store_b32 v[0:1], v2, off
.LBB253_7:
	s_endpgm
	.section	.rodata,"a",@progbits
	.p2align	6, 0x0
	.amdhsa_kernel _ZL9moe_vec_qIfLi256ELi8E11block_iq2_sLi1EXadL_ZL18vec_dot_iq2_s_q8_1PKvPK10block_q8_1RKiEEEvS2_S2_PT_PS6_iiii
		.amdhsa_group_segment_fixed_size 0
		.amdhsa_private_segment_fixed_size 0
		.amdhsa_kernarg_size 304
		.amdhsa_user_sgpr_count 2
		.amdhsa_user_sgpr_dispatch_ptr 0
		.amdhsa_user_sgpr_queue_ptr 0
		.amdhsa_user_sgpr_kernarg_segment_ptr 1
		.amdhsa_user_sgpr_dispatch_id 0
		.amdhsa_user_sgpr_private_segment_size 0
		.amdhsa_wavefront_size32 1
		.amdhsa_uses_dynamic_stack 0
		.amdhsa_enable_private_segment 0
		.amdhsa_system_sgpr_workgroup_id_x 1
		.amdhsa_system_sgpr_workgroup_id_y 0
		.amdhsa_system_sgpr_workgroup_id_z 1
		.amdhsa_system_sgpr_workgroup_info 0
		.amdhsa_system_vgpr_workitem_id 1
		.amdhsa_next_free_vgpr 70
		.amdhsa_next_free_sgpr 20
		.amdhsa_reserve_vcc 1
		.amdhsa_float_round_mode_32 0
		.amdhsa_float_round_mode_16_64 0
		.amdhsa_float_denorm_mode_32 3
		.amdhsa_float_denorm_mode_16_64 3
		.amdhsa_fp16_overflow 0
		.amdhsa_workgroup_processor_mode 1
		.amdhsa_memory_ordered 1
		.amdhsa_forward_progress 1
		.amdhsa_inst_pref_size 26
		.amdhsa_round_robin_scheduling 0
		.amdhsa_exception_fp_ieee_invalid_op 0
		.amdhsa_exception_fp_denorm_src 0
		.amdhsa_exception_fp_ieee_div_zero 0
		.amdhsa_exception_fp_ieee_overflow 0
		.amdhsa_exception_fp_ieee_underflow 0
		.amdhsa_exception_fp_ieee_inexact 0
		.amdhsa_exception_int_div_zero 0
	.end_amdhsa_kernel
	.section	.text._ZL9moe_vec_qIfLi256ELi8E11block_iq2_sLi1EXadL_ZL18vec_dot_iq2_s_q8_1PKvPK10block_q8_1RKiEEEvS2_S2_PT_PS6_iiii,"axG",@progbits,_ZL9moe_vec_qIfLi256ELi8E11block_iq2_sLi1EXadL_ZL18vec_dot_iq2_s_q8_1PKvPK10block_q8_1RKiEEEvS2_S2_PT_PS6_iiii,comdat
.Lfunc_end253:
	.size	_ZL9moe_vec_qIfLi256ELi8E11block_iq2_sLi1EXadL_ZL18vec_dot_iq2_s_q8_1PKvPK10block_q8_1RKiEEEvS2_S2_PT_PS6_iiii, .Lfunc_end253-_ZL9moe_vec_qIfLi256ELi8E11block_iq2_sLi1EXadL_ZL18vec_dot_iq2_s_q8_1PKvPK10block_q8_1RKiEEEvS2_S2_PT_PS6_iiii
                                        ; -- End function
	.set _ZL9moe_vec_qIfLi256ELi8E11block_iq2_sLi1EXadL_ZL18vec_dot_iq2_s_q8_1PKvPK10block_q8_1RKiEEEvS2_S2_PT_PS6_iiii.num_vgpr, 70
	.set _ZL9moe_vec_qIfLi256ELi8E11block_iq2_sLi1EXadL_ZL18vec_dot_iq2_s_q8_1PKvPK10block_q8_1RKiEEEvS2_S2_PT_PS6_iiii.num_agpr, 0
	.set _ZL9moe_vec_qIfLi256ELi8E11block_iq2_sLi1EXadL_ZL18vec_dot_iq2_s_q8_1PKvPK10block_q8_1RKiEEEvS2_S2_PT_PS6_iiii.numbered_sgpr, 20
	.set _ZL9moe_vec_qIfLi256ELi8E11block_iq2_sLi1EXadL_ZL18vec_dot_iq2_s_q8_1PKvPK10block_q8_1RKiEEEvS2_S2_PT_PS6_iiii.num_named_barrier, 0
	.set _ZL9moe_vec_qIfLi256ELi8E11block_iq2_sLi1EXadL_ZL18vec_dot_iq2_s_q8_1PKvPK10block_q8_1RKiEEEvS2_S2_PT_PS6_iiii.private_seg_size, 0
	.set _ZL9moe_vec_qIfLi256ELi8E11block_iq2_sLi1EXadL_ZL18vec_dot_iq2_s_q8_1PKvPK10block_q8_1RKiEEEvS2_S2_PT_PS6_iiii.uses_vcc, 1
	.set _ZL9moe_vec_qIfLi256ELi8E11block_iq2_sLi1EXadL_ZL18vec_dot_iq2_s_q8_1PKvPK10block_q8_1RKiEEEvS2_S2_PT_PS6_iiii.uses_flat_scratch, 0
	.set _ZL9moe_vec_qIfLi256ELi8E11block_iq2_sLi1EXadL_ZL18vec_dot_iq2_s_q8_1PKvPK10block_q8_1RKiEEEvS2_S2_PT_PS6_iiii.has_dyn_sized_stack, 0
	.set _ZL9moe_vec_qIfLi256ELi8E11block_iq2_sLi1EXadL_ZL18vec_dot_iq2_s_q8_1PKvPK10block_q8_1RKiEEEvS2_S2_PT_PS6_iiii.has_recursion, 0
	.set _ZL9moe_vec_qIfLi256ELi8E11block_iq2_sLi1EXadL_ZL18vec_dot_iq2_s_q8_1PKvPK10block_q8_1RKiEEEvS2_S2_PT_PS6_iiii.has_indirect_call, 0
	.section	.AMDGPU.csdata,"",@progbits
; Kernel info:
; codeLenInByte = 3252
; TotalNumSgprs: 22
; NumVgprs: 70
; ScratchSize: 0
; MemoryBound: 0
; FloatMode: 240
; IeeeMode: 1
; LDSByteSize: 0 bytes/workgroup (compile time only)
; SGPRBlocks: 0
; VGPRBlocks: 8
; NumSGPRsForWavesPerEU: 22
; NumVGPRsForWavesPerEU: 70
; Occupancy: 16
; WaveLimiterHint : 1
; COMPUTE_PGM_RSRC2:SCRATCH_EN: 0
; COMPUTE_PGM_RSRC2:USER_SGPR: 2
; COMPUTE_PGM_RSRC2:TRAP_HANDLER: 0
; COMPUTE_PGM_RSRC2:TGID_X_EN: 1
; COMPUTE_PGM_RSRC2:TGID_Y_EN: 0
; COMPUTE_PGM_RSRC2:TGID_Z_EN: 1
; COMPUTE_PGM_RSRC2:TIDIG_COMP_CNT: 1
	.section	.text._ZL9moe_vec_qIfLi256ELi8E12block_iq4_xsLi1EXadL_ZL19vec_dot_iq4_xs_q8_1PKvPK10block_q8_1RKiEEEvS2_S2_PT_PS6_iiii,"axG",@progbits,_ZL9moe_vec_qIfLi256ELi8E12block_iq4_xsLi1EXadL_ZL19vec_dot_iq4_xs_q8_1PKvPK10block_q8_1RKiEEEvS2_S2_PT_PS6_iiii,comdat
	.globl	_ZL9moe_vec_qIfLi256ELi8E12block_iq4_xsLi1EXadL_ZL19vec_dot_iq4_xs_q8_1PKvPK10block_q8_1RKiEEEvS2_S2_PT_PS6_iiii ; -- Begin function _ZL9moe_vec_qIfLi256ELi8E12block_iq4_xsLi1EXadL_ZL19vec_dot_iq4_xs_q8_1PKvPK10block_q8_1RKiEEEvS2_S2_PT_PS6_iiii
	.p2align	8
	.type	_ZL9moe_vec_qIfLi256ELi8E12block_iq4_xsLi1EXadL_ZL19vec_dot_iq4_xs_q8_1PKvPK10block_q8_1RKiEEEvS2_S2_PT_PS6_iiii,@function
_ZL9moe_vec_qIfLi256ELi8E12block_iq4_xsLi1EXadL_ZL19vec_dot_iq4_xs_q8_1PKvPK10block_q8_1RKiEEEvS2_S2_PT_PS6_iiii: ; @_ZL9moe_vec_qIfLi256ELi8E12block_iq4_xsLi1EXadL_ZL19vec_dot_iq4_xs_q8_1PKvPK10block_q8_1RKiEEEvS2_S2_PT_PS6_iiii
; %bb.0:
	s_clause 0x1
	s_load_u16 s2, s[0:1], 0x3e
	s_load_b128 s[4:7], s[0:1], 0x20
	v_bfe_u32 v1, v0, 10, 10
	s_wait_kmcnt 0x0
	s_delay_alu instid0(VALU_DEP_1)
	v_mad_co_u64_u32 v[1:2], null, ttmp9, s2, v[1:2]
	s_mov_b32 s2, exec_lo
	v_cmpx_gt_u32_e64 s6, v1
	s_cbranch_execz .LBB254_7
; %bb.1:
	s_load_b64 s[8:9], s[0:1], 0x10
	s_ashr_i32 s2, s5, 31
	v_bfe_u32 v4, v0, 3, 7
	s_wait_alu 0xfffe
	s_lshr_b32 s2, s2, 24
	v_dual_mov_b32 v5, 0 :: v_dual_and_b32 v0, 0x3ff, v0
	s_wait_alu 0xfffe
	s_add_co_i32 s2, s5, s2
	s_lshr_b32 s10, ttmp7, 16
	s_wait_alu 0xfffe
	s_ashr_i32 s11, s2, 8
	s_mov_b32 s12, exec_lo
	v_cmpx_gt_u32_e64 s11, v4
	s_cbranch_execz .LBB254_5
; %bb.2:
	s_load_b64 s[2:3], s[0:1], 0x18
	s_cvt_f32_u32 s5, s4
	s_lshl_b32 s13, s10, 2
	s_mul_i32 s15, s11, s6
	v_and_b32_e32 v9, 7, v0
	v_rcp_iflag_f32_e32 v2, s5
	v_dual_mov_b32 v5, 0 :: v_dual_lshlrev_b32 v8, 2, v0
	v_mul_lo_u32 v6, v1, s11
	s_delay_alu instid0(VALU_DEP_3) | instskip(SKIP_3) | instid1(VALU_DEP_4)
	v_lshlrev_b32_e32 v11, 2, v9
	v_bfe_u32 v7, v0, 1, 2
	v_lshlrev_b32_e32 v10, 3, v4
	v_and_b32_e32 v8, 4, v8
	v_lshlrev_b32_e32 v11, 2, v11
	s_delay_alu instid0(TRANS32_DEP_1)
	v_readfirstlane_b32 s5, v2
	s_wait_kmcnt 0x0
	s_load_b32 s13, s[2:3], s13 offset:0x0
	s_mul_f32 s2, s5, 0x4f7ffffe
	s_sub_co_i32 s5, 0, s4
	s_wait_alu 0xfffe
	s_delay_alu instid0(SALU_CYCLE_1) | instskip(SKIP_1) | instid1(SALU_CYCLE_2)
	s_cvt_u32_f32 s14, s2
	s_load_b128 s[0:3], s[0:1], 0x0
	s_mul_i32 s5, s5, s14
	s_wait_alu 0xfffe
	s_mul_hi_u32 s16, s14, s5
	s_mov_b32 s5, 0
	s_add_co_i32 s14, s14, s16
	s_delay_alu instid0(SALU_CYCLE_1) | instskip(NEXT) | instid1(SALU_CYCLE_1)
	s_mul_hi_u32 s16, s10, s14
	s_mul_i32 s14, s16, s4
	s_add_co_i32 s17, s16, 1
	s_sub_co_i32 s18, s10, s14
	s_wait_kmcnt 0x0
	s_mul_i32 s14, s15, s13
	s_sub_co_i32 s13, s18, s4
	s_ashr_i32 s15, s14, 31
	s_cmp_ge_u32 s18, s4
	s_mul_u64 s[14:15], s[14:15], 0x88
	s_cselect_b32 s16, s17, s16
	s_cselect_b32 s13, s13, s18
	s_add_co_i32 s17, s16, 1
	s_cmp_ge_u32 s13, s4
	s_add_nc_u64 s[0:1], s[0:1], s[14:15]
	s_cselect_b32 s4, s17, s16
	s_wait_alu 0xfffe
	s_mul_i32 s4, s4, s7
	s_wait_alu 0xfffe
	s_lshl_b64 s[16:17], s[4:5], 2
	s_delay_alu instid0(SALU_CYCLE_1)
	s_add_nc_u64 s[2:3], s[2:3], s[16:17]
	s_wait_alu 0xfffe
	v_mad_co_u64_u32 v[2:3], null, v9, 36, s[2:3]
	v_lshlrev_b32_e32 v9, 1, v9
	s_getpc_b64 s[2:3]
	s_wait_alu 0xfffe
	s_sext_i32_i16 s3, s3
	s_add_co_u32 s2, s2, _ZL13kvalues_iq4nl@rel32@lo+12
	s_wait_alu 0xfffe
	s_add_co_ci_u32 s3, s3, _ZL13kvalues_iq4nl@rel32@hi+24
.LBB254_3:                              ; =>This Inner Loop Header: Depth=1
	v_add_nc_u32_e32 v12, v6, v4
	v_mad_co_i64_i32 v[20:21], null, v10, 36, v[2:3]
	v_add_nc_u32_e32 v4, 4, v4
	v_add_nc_u32_e32 v10, 32, v10
	s_delay_alu instid0(VALU_DEP_4) | instskip(NEXT) | instid1(VALU_DEP_1)
	v_mad_co_i64_i32 v[24:25], null, 0x88, v12, s[0:1]
	v_add_co_u32 v12, vcc_lo, v24, v11
	s_wait_alu 0xfffd
	s_delay_alu instid0(VALU_DEP_2)
	v_add_co_ci_u32_e64 v13, null, 0, v25, vcc_lo
	v_add_co_u32 v16, vcc_lo, v24, v7
	s_wait_alu 0xfffd
	v_add_co_ci_u32_e64 v17, null, 0, v25, vcc_lo
	s_clause 0x1
	global_load_b128 v[12:15], v[12:13], off offset:8
	global_load_u8 v26, v[16:17], off offset:4
	s_clause 0x2
	global_load_b32 v27, v[20:21], off
	global_load_b128 v[16:19], v[20:21], off offset:4
	global_load_b128 v[20:23], v[20:21], off offset:20
	global_load_b32 v24, v[24:25], off
	v_cmp_le_u32_e32 vcc_lo, s11, v4
	s_or_b32 s5, vcc_lo, s5
	s_wait_loadcnt 0x2
	v_perm_b32 v16, v16, v16, 0x3020001
	v_and_b32_e32 v28, 15, v12
	v_bfe_u32 v29, v12, 8, 4
	v_bfe_u32 v30, v12, 16, 4
	;; [unrolled: 1-line block ×5, first 2 shown]
	v_lshrrev_b32_e32 v32, 28, v12
	v_bfe_u32 v12, v12, 12, 4
	v_bfe_u32 v34, v13, 24, 4
	v_and_b32_e32 v35, 15, v13
	v_bfe_u32 v36, v13, 8, 4
	v_bfe_u32 v37, v13, 16, 4
	v_bfe_u32 v38, v13, 20, 4
	v_lshrrev_b32_e32 v39, 28, v13
	v_bfe_u32 v40, v13, 4, 4
	v_bfe_u32 v13, v13, 12, 4
	v_bfe_u32 v41, v14, 24, 4
	v_and_b32_e32 v42, 15, v14
	v_bfe_u32 v43, v14, 8, 4
	v_bfe_u32 v44, v14, 16, 4
	v_bfe_u32 v45, v14, 20, 4
	v_lshrrev_b32_e32 v46, 28, v14
	v_bfe_u32 v47, v14, 4, 4
	;; [unrolled: 8-line block ×3, first 2 shown]
	v_bfe_u32 v15, v15, 12, 4
	s_clause 0x1f
	global_load_i8 v28, v28, s[2:3]
	global_load_i8 v29, v29, s[2:3]
	;; [unrolled: 1-line block ×32, first 2 shown]
	s_wait_loadcnt 0x20
	v_lshrrev_b32_e32 v55, 16, v24
	v_perm_b32 v20, v20, v20, 0x3020001
	v_bfe_u32 v26, v26, v8, 4
	s_delay_alu instid0(VALU_DEP_3) | instskip(NEXT) | instid1(VALU_DEP_1)
	v_lshrrev_b32_e32 v55, v9, v55
	v_lshlrev_b32_e32 v55, 4, v55
	s_delay_alu instid0(VALU_DEP_1)
	v_and_or_b32 v26, v55, 48, v26
	s_wait_loadcnt 0x1e
	v_perm_b32 v28, v28, v29, 0xc0c0400
	s_wait_loadcnt 0x1b
	v_perm_b32 v12, v33, v12, 0xc0c0400
	;; [unrolled: 2-line block ×5, first 2 shown]
	v_or_b32_e32 v12, v29, v12
	s_wait_loadcnt 0x13
	v_perm_b32 v13, v13, v40, 0xc0c0400
	v_or_b32_e32 v25, v25, v28
	s_wait_loadcnt 0x11
	v_perm_b32 v32, v39, v38, 0x4000c0c
	s_wait_loadcnt 0x10
	v_perm_b32 v31, v34, v37, 0x4000c0c
	v_dot4_i32_iu8 v12, v20, v12, 0 neg_lo:[1,1,0]
	s_wait_loadcnt 0xe
	v_perm_b32 v33, v43, v42, 0xc0c0400
	v_dot4_i32_iu8 v16, v16, v25, 0 neg_lo:[1,1,0]
	v_or_b32_e32 v13, v32, v13
	s_wait_loadcnt 0xb
	v_perm_b32 v14, v14, v47, 0xc0c0400
	v_or_b32_e32 v28, v31, v30
	s_wait_loadcnt 0x9
	v_perm_b32 v35, v46, v45, 0x4000c0c
	s_wait_loadcnt 0x8
	v_perm_b32 v34, v41, v44, 0x4000c0c
	v_dot4_i32_iu8 v12, v21, v13, v12 neg_lo:[1,1,0]
	s_wait_loadcnt 0x6
	v_perm_b32 v36, v50, v49, 0xc0c0400
	v_dot4_i32_iu8 v16, v17, v28, v16 neg_lo:[1,1,0]
	v_or_b32_e32 v14, v35, v14
	v_or_b32_e32 v25, v34, v33
	s_wait_loadcnt 0x2
	v_perm_b32 v20, v53, v52, 0x4000c0c
	s_wait_loadcnt 0x1
	v_perm_b32 v37, v48, v51, 0x4000c0c
	;; [unrolled: 2-line block ×3, first 2 shown]
	v_subrev_nc_u32_e32 v13, 32, v26
	v_dot4_i32_iu8 v16, v18, v25, v16 neg_lo:[1,1,0]
	v_dot4_i32_iu8 v12, v22, v14, v12 neg_lo:[1,1,0]
	v_or_b32_e32 v17, v37, v36
	v_or_b32_e32 v15, v20, v15
	v_cvt_f32_f16_e32 v14, v24
	v_cvt_f32_i32_e32 v13, v13
	s_delay_alu instid0(VALU_DEP_4) | instskip(NEXT) | instid1(VALU_DEP_4)
	v_dot4_i32_iu8 v16, v19, v17, v16 neg_lo:[1,1,0]
	v_dot4_i32_iu8 v12, v23, v15, v12 neg_lo:[1,1,0]
	v_cvt_f32_f16_e32 v15, v27
	s_delay_alu instid0(VALU_DEP_2) | instskip(NEXT) | instid1(VALU_DEP_1)
	v_dual_mul_f32 v13, v14, v13 :: v_dual_add_nc_u32 v12, v12, v16
	v_mul_f32_e32 v13, v13, v15
	s_delay_alu instid0(VALU_DEP_2) | instskip(NEXT) | instid1(VALU_DEP_1)
	v_cvt_f32_i32_e32 v12, v12
	v_fmac_f32_e32 v5, v13, v12
	s_wait_alu 0xfffe
	s_and_not1_b32 exec_lo, exec_lo, s5
	s_cbranch_execnz .LBB254_3
; %bb.4:
	s_or_b32 exec_lo, exec_lo, s5
.LBB254_5:
	s_delay_alu instid0(SALU_CYCLE_1) | instskip(SKIP_1) | instid1(VALU_DEP_1)
	s_or_b32 exec_lo, exec_lo, s12
	v_mbcnt_lo_u32_b32 v2, -1, 0
	v_xor_b32_e32 v3, 16, v2
	v_xor_b32_e32 v4, 8, v2
	s_delay_alu instid0(VALU_DEP_2) | instskip(SKIP_2) | instid1(VALU_DEP_3)
	v_cmp_gt_i32_e32 vcc_lo, 32, v3
	s_wait_alu 0xfffd
	v_cndmask_b32_e32 v3, v2, v3, vcc_lo
	v_cmp_gt_i32_e32 vcc_lo, 32, v4
	s_wait_alu 0xfffd
	v_cndmask_b32_e32 v4, v2, v4, vcc_lo
	s_delay_alu instid0(VALU_DEP_1)
	v_lshlrev_b32_e32 v4, 2, v4
	v_lshlrev_b32_e32 v3, 2, v3
	ds_bpermute_b32 v3, v3, v5
	s_wait_dscnt 0x0
	v_add_f32_e32 v3, v5, v3
	v_xor_b32_e32 v5, 4, v2
	ds_bpermute_b32 v4, v4, v3
	v_cmp_gt_i32_e32 vcc_lo, 32, v5
	s_wait_alu 0xfffd
	v_cndmask_b32_e32 v5, v2, v5, vcc_lo
	s_delay_alu instid0(VALU_DEP_1) | instskip(SKIP_4) | instid1(VALU_DEP_1)
	v_lshlrev_b32_e32 v5, 2, v5
	s_wait_dscnt 0x0
	v_add_f32_e32 v3, v3, v4
	ds_bpermute_b32 v4, v5, v3
	v_xor_b32_e32 v5, 2, v2
	v_cmp_gt_i32_e32 vcc_lo, 32, v5
	s_wait_alu 0xfffd
	v_cndmask_b32_e32 v5, v2, v5, vcc_lo
	s_delay_alu instid0(VALU_DEP_1) | instskip(SKIP_4) | instid1(VALU_DEP_1)
	v_lshlrev_b32_e32 v5, 2, v5
	s_wait_dscnt 0x0
	v_add_f32_e32 v3, v3, v4
	ds_bpermute_b32 v4, v5, v3
	v_xor_b32_e32 v5, 1, v2
	v_cmp_gt_i32_e32 vcc_lo, 32, v5
	s_wait_alu 0xfffd
	v_cndmask_b32_e32 v5, v2, v5, vcc_lo
	v_cmp_eq_u32_e32 vcc_lo, 0, v0
	s_wait_dscnt 0x0
	s_delay_alu instid0(VALU_DEP_2)
	v_dual_add_f32 v2, v3, v4 :: v_dual_lshlrev_b32 v3, 2, v5
	ds_bpermute_b32 v3, v3, v2
	s_and_b32 exec_lo, exec_lo, vcc_lo
	s_cbranch_execz .LBB254_7
; %bb.6:
	v_mad_co_u64_u32 v[0:1], null, s6, s10, v[1:2]
	s_wait_dscnt 0x0
	v_dual_mov_b32 v1, 0 :: v_dual_add_f32 v2, v2, v3
	s_delay_alu instid0(VALU_DEP_1) | instskip(SKIP_1) | instid1(VALU_DEP_1)
	v_lshlrev_b64_e32 v[0:1], 2, v[0:1]
	s_wait_kmcnt 0x0
	v_add_co_u32 v0, vcc_lo, s8, v0
	s_wait_alu 0xfffd
	s_delay_alu instid0(VALU_DEP_2)
	v_add_co_ci_u32_e64 v1, null, s9, v1, vcc_lo
	global_store_b32 v[0:1], v2, off
.LBB254_7:
	s_endpgm
	.section	.rodata,"a",@progbits
	.p2align	6, 0x0
	.amdhsa_kernel _ZL9moe_vec_qIfLi256ELi8E12block_iq4_xsLi1EXadL_ZL19vec_dot_iq4_xs_q8_1PKvPK10block_q8_1RKiEEEvS2_S2_PT_PS6_iiii
		.amdhsa_group_segment_fixed_size 0
		.amdhsa_private_segment_fixed_size 0
		.amdhsa_kernarg_size 304
		.amdhsa_user_sgpr_count 2
		.amdhsa_user_sgpr_dispatch_ptr 0
		.amdhsa_user_sgpr_queue_ptr 0
		.amdhsa_user_sgpr_kernarg_segment_ptr 1
		.amdhsa_user_sgpr_dispatch_id 0
		.amdhsa_user_sgpr_private_segment_size 0
		.amdhsa_wavefront_size32 1
		.amdhsa_uses_dynamic_stack 0
		.amdhsa_enable_private_segment 0
		.amdhsa_system_sgpr_workgroup_id_x 1
		.amdhsa_system_sgpr_workgroup_id_y 0
		.amdhsa_system_sgpr_workgroup_id_z 1
		.amdhsa_system_sgpr_workgroup_info 0
		.amdhsa_system_vgpr_workitem_id 1
		.amdhsa_next_free_vgpr 56
		.amdhsa_next_free_sgpr 19
		.amdhsa_reserve_vcc 1
		.amdhsa_float_round_mode_32 0
		.amdhsa_float_round_mode_16_64 0
		.amdhsa_float_denorm_mode_32 3
		.amdhsa_float_denorm_mode_16_64 3
		.amdhsa_fp16_overflow 0
		.amdhsa_workgroup_processor_mode 1
		.amdhsa_memory_ordered 1
		.amdhsa_forward_progress 1
		.amdhsa_inst_pref_size 16
		.amdhsa_round_robin_scheduling 0
		.amdhsa_exception_fp_ieee_invalid_op 0
		.amdhsa_exception_fp_denorm_src 0
		.amdhsa_exception_fp_ieee_div_zero 0
		.amdhsa_exception_fp_ieee_overflow 0
		.amdhsa_exception_fp_ieee_underflow 0
		.amdhsa_exception_fp_ieee_inexact 0
		.amdhsa_exception_int_div_zero 0
	.end_amdhsa_kernel
	.section	.text._ZL9moe_vec_qIfLi256ELi8E12block_iq4_xsLi1EXadL_ZL19vec_dot_iq4_xs_q8_1PKvPK10block_q8_1RKiEEEvS2_S2_PT_PS6_iiii,"axG",@progbits,_ZL9moe_vec_qIfLi256ELi8E12block_iq4_xsLi1EXadL_ZL19vec_dot_iq4_xs_q8_1PKvPK10block_q8_1RKiEEEvS2_S2_PT_PS6_iiii,comdat
.Lfunc_end254:
	.size	_ZL9moe_vec_qIfLi256ELi8E12block_iq4_xsLi1EXadL_ZL19vec_dot_iq4_xs_q8_1PKvPK10block_q8_1RKiEEEvS2_S2_PT_PS6_iiii, .Lfunc_end254-_ZL9moe_vec_qIfLi256ELi8E12block_iq4_xsLi1EXadL_ZL19vec_dot_iq4_xs_q8_1PKvPK10block_q8_1RKiEEEvS2_S2_PT_PS6_iiii
                                        ; -- End function
	.set _ZL9moe_vec_qIfLi256ELi8E12block_iq4_xsLi1EXadL_ZL19vec_dot_iq4_xs_q8_1PKvPK10block_q8_1RKiEEEvS2_S2_PT_PS6_iiii.num_vgpr, 56
	.set _ZL9moe_vec_qIfLi256ELi8E12block_iq4_xsLi1EXadL_ZL19vec_dot_iq4_xs_q8_1PKvPK10block_q8_1RKiEEEvS2_S2_PT_PS6_iiii.num_agpr, 0
	.set _ZL9moe_vec_qIfLi256ELi8E12block_iq4_xsLi1EXadL_ZL19vec_dot_iq4_xs_q8_1PKvPK10block_q8_1RKiEEEvS2_S2_PT_PS6_iiii.numbered_sgpr, 19
	.set _ZL9moe_vec_qIfLi256ELi8E12block_iq4_xsLi1EXadL_ZL19vec_dot_iq4_xs_q8_1PKvPK10block_q8_1RKiEEEvS2_S2_PT_PS6_iiii.num_named_barrier, 0
	.set _ZL9moe_vec_qIfLi256ELi8E12block_iq4_xsLi1EXadL_ZL19vec_dot_iq4_xs_q8_1PKvPK10block_q8_1RKiEEEvS2_S2_PT_PS6_iiii.private_seg_size, 0
	.set _ZL9moe_vec_qIfLi256ELi8E12block_iq4_xsLi1EXadL_ZL19vec_dot_iq4_xs_q8_1PKvPK10block_q8_1RKiEEEvS2_S2_PT_PS6_iiii.uses_vcc, 1
	.set _ZL9moe_vec_qIfLi256ELi8E12block_iq4_xsLi1EXadL_ZL19vec_dot_iq4_xs_q8_1PKvPK10block_q8_1RKiEEEvS2_S2_PT_PS6_iiii.uses_flat_scratch, 0
	.set _ZL9moe_vec_qIfLi256ELi8E12block_iq4_xsLi1EXadL_ZL19vec_dot_iq4_xs_q8_1PKvPK10block_q8_1RKiEEEvS2_S2_PT_PS6_iiii.has_dyn_sized_stack, 0
	.set _ZL9moe_vec_qIfLi256ELi8E12block_iq4_xsLi1EXadL_ZL19vec_dot_iq4_xs_q8_1PKvPK10block_q8_1RKiEEEvS2_S2_PT_PS6_iiii.has_recursion, 0
	.set _ZL9moe_vec_qIfLi256ELi8E12block_iq4_xsLi1EXadL_ZL19vec_dot_iq4_xs_q8_1PKvPK10block_q8_1RKiEEEvS2_S2_PT_PS6_iiii.has_indirect_call, 0
	.section	.AMDGPU.csdata,"",@progbits
; Kernel info:
; codeLenInByte = 1980
; TotalNumSgprs: 21
; NumVgprs: 56
; ScratchSize: 0
; MemoryBound: 0
; FloatMode: 240
; IeeeMode: 1
; LDSByteSize: 0 bytes/workgroup (compile time only)
; SGPRBlocks: 0
; VGPRBlocks: 6
; NumSGPRsForWavesPerEU: 21
; NumVGPRsForWavesPerEU: 56
; Occupancy: 16
; WaveLimiterHint : 1
; COMPUTE_PGM_RSRC2:SCRATCH_EN: 0
; COMPUTE_PGM_RSRC2:USER_SGPR: 2
; COMPUTE_PGM_RSRC2:TRAP_HANDLER: 0
; COMPUTE_PGM_RSRC2:TGID_X_EN: 1
; COMPUTE_PGM_RSRC2:TGID_Y_EN: 0
; COMPUTE_PGM_RSRC2:TGID_Z_EN: 1
; COMPUTE_PGM_RSRC2:TIDIG_COMP_CNT: 1
	.section	.text._ZL9moe_vec_qIfLi256ELi8E11block_iq1_mLi1EXadL_ZL18vec_dot_iq1_m_q8_1PKvPK10block_q8_1RKiEEEvS2_S2_PT_PS6_iiii,"axG",@progbits,_ZL9moe_vec_qIfLi256ELi8E11block_iq1_mLi1EXadL_ZL18vec_dot_iq1_m_q8_1PKvPK10block_q8_1RKiEEEvS2_S2_PT_PS6_iiii,comdat
	.globl	_ZL9moe_vec_qIfLi256ELi8E11block_iq1_mLi1EXadL_ZL18vec_dot_iq1_m_q8_1PKvPK10block_q8_1RKiEEEvS2_S2_PT_PS6_iiii ; -- Begin function _ZL9moe_vec_qIfLi256ELi8E11block_iq1_mLi1EXadL_ZL18vec_dot_iq1_m_q8_1PKvPK10block_q8_1RKiEEEvS2_S2_PT_PS6_iiii
	.p2align	8
	.type	_ZL9moe_vec_qIfLi256ELi8E11block_iq1_mLi1EXadL_ZL18vec_dot_iq1_m_q8_1PKvPK10block_q8_1RKiEEEvS2_S2_PT_PS6_iiii,@function
_ZL9moe_vec_qIfLi256ELi8E11block_iq1_mLi1EXadL_ZL18vec_dot_iq1_m_q8_1PKvPK10block_q8_1RKiEEEvS2_S2_PT_PS6_iiii: ; @_ZL9moe_vec_qIfLi256ELi8E11block_iq1_mLi1EXadL_ZL18vec_dot_iq1_m_q8_1PKvPK10block_q8_1RKiEEEvS2_S2_PT_PS6_iiii
; %bb.0:
	s_clause 0x1
	s_load_u16 s2, s[0:1], 0x3e
	s_load_b128 s[4:7], s[0:1], 0x20
	v_bfe_u32 v1, v0, 10, 10
	s_wait_kmcnt 0x0
	s_delay_alu instid0(VALU_DEP_1)
	v_mad_co_u64_u32 v[1:2], null, ttmp9, s2, v[1:2]
	s_mov_b32 s2, exec_lo
	v_cmpx_gt_u32_e64 s6, v1
	s_cbranch_execz .LBB255_7
; %bb.1:
	s_load_b64 s[8:9], s[0:1], 0x10
	s_ashr_i32 s2, s5, 31
	v_bfe_u32 v4, v0, 3, 7
	s_wait_alu 0xfffe
	s_lshr_b32 s2, s2, 24
	v_dual_mov_b32 v5, 0 :: v_dual_and_b32 v0, 0x3ff, v0
	s_wait_alu 0xfffe
	s_add_co_i32 s2, s5, s2
	s_lshr_b32 s10, ttmp7, 16
	s_wait_alu 0xfffe
	s_ashr_i32 s11, s2, 8
	s_mov_b32 s12, exec_lo
	v_cmpx_gt_u32_e64 s11, v4
	s_cbranch_execz .LBB255_5
; %bb.2:
	s_load_b64 s[2:3], s[0:1], 0x18
	s_cvt_f32_u32 s5, s4
	s_lshl_b32 s13, s10, 2
	s_mul_i32 s15, s11, s6
	v_and_b32_e32 v8, 1, v0
	v_rcp_iflag_f32_e32 v2, s5
	v_dual_mov_b32 v5, 0 :: v_dual_and_b32 v10, 7, v0
	v_bfe_u32 v11, v0, 1, 2
	s_delay_alu instid0(VALU_DEP_3) | instskip(SKIP_1) | instid1(VALU_DEP_4)
	v_cmp_eq_u32_e32 vcc_lo, 1, v8
	v_mul_lo_u32 v6, v1, s11
	v_lshlrev_b32_e32 v7, 1, v10
	v_lshlrev_b32_e32 v9, 3, v4
	v_lshlrev_b32_e32 v11, 1, v11
	v_cndmask_b32_e64 v8, 0, 6, vcc_lo
	s_delay_alu instid0(TRANS32_DEP_1)
	v_readfirstlane_b32 s5, v2
	s_wait_kmcnt 0x0
	s_load_b32 s13, s[2:3], s13 offset:0x0
	s_mul_f32 s2, s5, 0x4f7ffffe
	s_sub_co_i32 s5, 0, s4
	s_wait_alu 0xfffe
	s_delay_alu instid0(SALU_CYCLE_1) | instskip(SKIP_1) | instid1(SALU_CYCLE_2)
	s_cvt_u32_f32 s14, s2
	s_load_b128 s[0:3], s[0:1], 0x0
	s_mul_i32 s5, s5, s14
	s_wait_alu 0xfffe
	s_mul_hi_u32 s16, s14, s5
	s_mov_b32 s5, 0
	s_add_co_i32 s14, s14, s16
	s_delay_alu instid0(SALU_CYCLE_1) | instskip(NEXT) | instid1(SALU_CYCLE_1)
	s_mul_hi_u32 s16, s10, s14
	s_mul_i32 s14, s16, s4
	s_add_co_i32 s17, s16, 1
	s_sub_co_i32 s18, s10, s14
	s_wait_kmcnt 0x0
	s_mul_i32 s14, s15, s13
	s_sub_co_i32 s13, s18, s4
	s_ashr_i32 s15, s14, 31
	s_cmp_ge_u32 s18, s4
	s_mul_u64 s[14:15], s[14:15], 56
	s_cselect_b32 s16, s17, s16
	s_cselect_b32 s13, s13, s18
	s_add_co_i32 s17, s16, 1
	s_cmp_ge_u32 s13, s4
	s_add_nc_u64 s[0:1], s[0:1], s[14:15]
	s_cselect_b32 s4, s17, s16
	s_wait_alu 0xfffe
	s_mul_i32 s4, s4, s7
	s_wait_alu 0xfffe
	s_lshl_b64 s[16:17], s[4:5], 2
	s_mov_b32 s4, 0xbd000000
	s_add_nc_u64 s[2:3], s[2:3], s[16:17]
	s_wait_alu 0xfffe
	v_mad_co_u64_u32 v[2:3], null, v10, 36, s[2:3]
	v_lshlrev_b32_e32 v10, 2, v10
	s_getpc_b64 s[2:3]
	s_wait_alu 0xfffe
	s_sext_i32_i16 s3, s3
	s_add_co_u32 s2, s2, _ZL13iq1s_grid_gpu@rel32@lo+12
	s_wait_alu 0xfffe
	s_add_co_ci_u32 s3, s3, _ZL13iq1s_grid_gpu@rel32@hi+24
.LBB255_3:                              ; =>This Inner Loop Header: Depth=1
	v_add_nc_u32_e32 v12, v6, v4
	v_mad_co_i64_i32 v[20:21], null, v9, 36, v[2:3]
	v_add_nc_u32_e32 v4, 4, v4
	v_add_nc_u32_e32 v9, 32, v9
	s_delay_alu instid0(VALU_DEP_4) | instskip(NEXT) | instid1(VALU_DEP_1)
	v_mad_co_i64_i32 v[16:17], null, v12, 56, s[0:1]
	v_add_co_u32 v12, vcc_lo, v16, v7
	s_wait_alu 0xfffd
	s_delay_alu instid0(VALU_DEP_2)
	v_add_co_ci_u32_e64 v13, null, 0, v17, vcc_lo
	v_add_co_u32 v14, vcc_lo, v16, v11
	s_wait_alu 0xfffd
	v_add_co_ci_u32_e64 v15, null, 0, v17, vcc_lo
	v_add_co_u32 v18, vcc_lo, v16, v10
	s_wait_alu 0xfffd
	v_add_co_ci_u32_e64 v19, null, 0, v17, vcc_lo
	s_clause 0x2
	global_load_u16 v24, v[14:15], off offset:48
	global_load_u16 v25, v[12:13], off offset:32
	global_load_b32 v18, v[18:19], off
	global_load_b128 v[12:15], v[20:21], off offset:20
	global_load_b64 v[22:23], v[16:17], off offset:48
	v_cmp_le_u32_e32 vcc_lo, s11, v4
	s_or_b32 s5, vcc_lo, s5
	s_wait_loadcnt 0x4
	v_lshrrev_b32_e32 v24, v8, v24
	s_wait_loadcnt 0x3
	v_lshrrev_b16 v29, 12, v25
	s_wait_loadcnt 0x1
	v_lshrrev_b16 v45, 8, v13
	v_lshrrev_b16 v47, 8, v15
	;; [unrolled: 1-line block ×3, first 2 shown]
	v_ashrrev_i32_e32 v48, 24, v12
	v_bfe_i32 v49, v12, 16, 8
	v_bfe_i32 v12, v12, 0, 8
	;; [unrolled: 1-line block ×5, first 2 shown]
	v_lshrrev_b16 v46, 8, v14
	v_ashrrev_i32_e32 v50, 24, v13
	v_bfe_i32 v51, v13, 16, 8
	v_bfe_i32 v13, v13, 0, 8
	v_ashrrev_i32_e32 v54, 24, v15
	v_bfe_i32 v55, v15, 16, 8
	v_bfe_i32 v15, v15, 0, 8
	v_add_nc_u32_e32 v57, v45, v12
	s_wait_loadcnt 0x0
	v_pk_lshrrev_b16 v22, 0x8000c, v22
	v_add_nc_u32_e32 v59, v47, v52
	v_bfe_i32 v44, v44, 0, 8
	v_bfe_i32 v46, v46, 0, 8
	v_add3_u32 v57, v57, v13, v51
	v_lshrrev_b32_e32 v60, 16, v22
	v_add3_u32 v59, v59, v15, v55
	v_ashrrev_i32_e32 v53, 24, v14
	v_bfe_i32 v14, v14, 16, 8
	v_pk_lshrrev_b16 v23, 4, v23
	v_and_b32_e32 v60, 0xf0, v60
	v_add3_u32 v57, v57, v50, v44
	v_add3_u32 v59, v59, v54, v46
	v_bfe_u32 v17, v18, 8, 8
	v_and_b32_e32 v23, 0xf0000f00, v23
	v_or_b32_e32 v22, v60, v22
	v_add3_u32 v57, v57, v49, v48
	v_add3_u32 v59, v59, v14, v53
	v_lshrrev_b16 v26, 4, v25
	v_bfe_u32 v19, v18, 16, 8
	v_lshrrev_b32_e32 v62, 16, v23
	v_or_b32_e32 v22, v22, v23
	v_cvt_f32_i32_e32 v23, v57
	v_cvt_f32_i32_e32 v57, v59
	v_and_b32_e32 v16, 0xff, v18
	v_alignbit_b32 v18, v29, v18, 24
	v_and_b32_e32 v29, 8, v29
	v_lshlrev_b32_e32 v27, 8, v25
	v_lshrrev_b16 v28, 8, v25
	v_lshlrev_b32_e32 v61, 1, v24
	v_and_b32_e32 v18, 0x7ff, v18
	v_cvt_f32_ubyte0_e32 v29, v29
	v_and_b32_e32 v30, 15, v26
	v_and_b32_e32 v26, 8, v26
	v_and_or_b32 v16, 0x700, v27, v16
	s_delay_alu instid0(VALU_DEP_4) | instskip(NEXT) | instid1(VALU_DEP_4)
	v_dual_fmaak_f32 v29, s4, v29, 0xbf600000 :: v_dual_lshlrev_b32 v18, 3, v18
	v_lshlrev_b32_e32 v30, 8, v30
	s_delay_alu instid0(VALU_DEP_4)
	v_cvt_f32_ubyte0_e32 v26, v26
	v_lshlrev_b32_e32 v27, 8, v28
	v_lshlrev_b32_e32 v16, 3, v16
	v_and_b32_e32 v61, 14, v61
	v_and_or_b32 v17, 0x700, v30, v17
	v_fmaak_f32 v26, s4, v26, 0xbf600000
	v_and_or_b32 v19, 0x700, v27, v19
	global_load_b32 v27, v16, s[2:3]
	v_or_b32_e32 v60, 1, v61
	v_lshlrev_b32_e32 v17, 3, v17
	v_and_b32_e32 v28, 8, v28
	v_lshlrev_b32_e32 v16, 3, v19
	s_clause 0x2
	global_load_b32 v30, v17, s[2:3]
	global_load_b32 v31, v16, s[2:3]
	;; [unrolled: 1-line block ×3, first 2 shown]
	s_clause 0x1
	global_load_b128 v[16:19], v[20:21], off offset:4
	global_load_b32 v20, v[20:21], off
	v_cvt_f32_ubyte0_e32 v28, v28
	v_lshrrev_b32_e32 v24, 2, v24
	s_delay_alu instid0(VALU_DEP_2) | instskip(NEXT) | instid1(VALU_DEP_2)
	v_fmaak_f32 v28, s4, v28, 0xbf600000
	v_and_b32_e32 v24, 14, v24
	s_delay_alu instid0(VALU_DEP_1)
	v_or_b32_e32 v24, 1, v24
	s_wait_loadcnt 0x5
	v_and_b32_e32 v61, 0xf0f0f0f, v27
	v_bfe_u32 v59, v27, 24, 4
	v_lshrrev_b32_e32 v63, 4, v27
	v_lshrrev_b32_e32 v64, 28, v27
	v_bfe_u32 v65, v27, 16, 4
	v_lshrrev_b16 v61, 8, v61
	v_and_b32_e32 v66, 15, v27
	s_wait_loadcnt 0x1
	v_lshrrev_b16 v21, 8, v16
	v_lshrrev_b16 v35, 8, v19
	v_ashrrev_i32_e32 v36, 24, v16
	v_bfe_i32 v37, v16, 16, 8
	v_bfe_i32 v16, v16, 0, 8
	;; [unrolled: 1-line block ×5, first 2 shown]
	v_lshrrev_b16 v33, 8, v17
	v_lshrrev_b16 v34, 8, v18
	v_ashrrev_i32_e32 v42, 24, v19
	v_bfe_i32 v43, v19, 16, 8
	v_bfe_i32 v19, v19, 0, 8
	v_add_nc_u32_e32 v56, v21, v16
	v_add_nc_u32_e32 v58, v35, v40
	v_ashrrev_i32_e32 v38, 24, v17
	v_bfe_i32 v39, v17, 16, 8
	v_bfe_i32 v17, v17, 0, 8
	;; [unrolled: 1-line block ×4, first 2 shown]
	v_add3_u32 v56, v56, v37, v36
	v_add3_u32 v58, v58, v19, v43
	v_ashrrev_i32_e32 v41, 24, v18
	v_bfe_i32 v18, v18, 16, 8
	v_bfe_u32 v67, v27, 20, 4
	v_add3_u32 v56, v56, v33, v17
	v_add3_u32 v58, v58, v42, v34
	v_bfe_u32 v27, v27, 4, 4
	v_lshrrev_b16 v63, 8, v63
	v_mul_i32_i24_e32 v36, v59, v36
	v_and_b32_e32 v59, 0xffff, v61
	v_bfe_u32 v61, v30, 24, 4
	v_lshrrev_b32_e32 v71, 4, v31
	v_add3_u32 v56, v56, v39, v38
	v_add3_u32 v58, v58, v18, v41
	v_mul_i32_i24_e32 v37, v65, v37
	v_mul_i32_i24_e32 v17, v27, v17
	;; [unrolled: 1-line block ×3, first 2 shown]
	v_and_b32_e32 v39, 15, v63
	v_and_b32_e32 v63, 0xf0f0f0f, v30
	v_lshrrev_b32_e32 v65, 28, v30
	v_bfe_u32 v76, v32, 24, 4
	v_and_b32_e32 v77, 0xf0f0f0f, v32
	v_lshrrev_b32_e32 v78, 4, v32
	v_lshrrev_b32_e32 v79, 28, v32
	v_and_b32_e32 v80, 15, v32
	v_bfe_u32 v81, v32, 16, 4
	v_bfe_u32 v82, v32, 20, 4
	;; [unrolled: 1-line block ×3, first 2 shown]
	v_mul_i32_i24_e32 v41, v41, v61
	v_lshrrev_b16 v61, 8, v71
	v_mul_i32_i24_e32 v16, v66, v16
	v_mul_i32_i24_e32 v38, v64, v38
	v_lshrrev_b32_e32 v64, 4, v30
	v_and_b32_e32 v66, 15, v30
	v_bfe_u32 v67, v30, 16, 4
	v_bfe_u32 v68, v30, 20, 4
	;; [unrolled: 1-line block ×3, first 2 shown]
	v_and_b32_e32 v70, 0xf0f0f0f, v31
	v_lshrrev_b16 v63, 8, v63
	v_mul_i32_i24_e32 v42, v65, v42
	v_lshrrev_b16 v65, 8, v78
	v_mul_i32_i24_e32 v15, v32, v15
	v_mul_i32_i24_e32 v32, v82, v55
	v_and_b32_e32 v55, 15, v61
	v_bfe_u32 v69, v31, 24, 4
	v_lshrrev_b32_e32 v72, 28, v31
	v_mul_i32_i24_e32 v19, v30, v19
	v_mul_i32_i24_e32 v30, v68, v43
	v_lshrrev_b16 v43, 8, v70
	v_and_b32_e32 v61, 0xffff, v63
	v_and_b32_e32 v63, 15, v65
	;; [unrolled: 1-line block ×3, first 2 shown]
	v_bfe_u32 v73, v31, 16, 4
	v_and_b32_e32 v74, 15, v31
	v_bfe_u32 v75, v31, 20, 4
	v_bfe_u32 v31, v31, 4, 4
	v_and_b32_e32 v39, 0xffff, v39
	v_lshrrev_b16 v64, 8, v64
	v_mul_i32_i24_e32 v48, v48, v69
	v_mul_i32_i24_e32 v50, v72, v50
	;; [unrolled: 1-line block ×3, first 2 shown]
	v_add3_u32 v27, v37, v27, v30
	v_add3_u32 v30, v36, v38, v42
	v_and_b32_e32 v36, 0xffff, v43
	v_and_b32_e32 v37, 0xffff, v63
	v_mul_i32_i24_e32 v38, v55, v45
	v_mul_i32_i24_e32 v12, v12, v74
	v_mul_i32_i24_e32 v49, v49, v73
	v_mul_i32_i24_e32 v13, v31, v13
	v_mul_i32_i24_e32 v31, v75, v51
	v_lshrrev_b16 v51, 8, v77
	v_mul_i32_i24_e32 v33, v39, v33
	v_and_b32_e32 v39, 15, v64
	v_add3_u32 v43, v48, v50, v54
	v_mul_i32_i24_e32 v37, v37, v47
	v_mad_i32_i24 v36, v44, v36, v38
	v_mul_i32_i24_e32 v14, v14, v81
	v_mul_i32_i24_e32 v53, v53, v76
	v_and_b32_e32 v42, 0xffff, v51
	v_and_b32_e32 v39, 0xffff, v39
	v_add3_u32 v31, v49, v31, v32
	v_add3_u32 v12, v12, v13, v15
	v_mad_i32_i24 v13, v59, v21, v33
	v_add3_u32 v21, v36, v37, v43
	v_mul_i32_i24_e32 v15, v39, v35
	v_add3_u32 v16, v16, v17, v19
	v_mad_i32_i24 v14, v52, v80, v14
	v_mad_i32_i24 v17, v46, v42, v53
	v_add3_u32 v12, v12, v31, v21
	v_add3_u32 v13, v13, v15, v30
	v_fma_f32 v15, v28, v23, 0
	v_mul_i32_i24_e32 v18, v18, v67
	v_cvt_f32_i32_e32 v56, v56
	v_add3_u32 v12, v14, v17, v12
	v_mad_i32_i24 v19, v34, v61, v41
	v_fmac_f32_e32 v15, v29, v57
	v_mad_i32_i24 v18, v40, v66, v18
	v_add3_u32 v13, v16, v27, v13
	v_cvt_f32_i32_e32 v12, v12
	v_and_b32_e32 v25, 8, v25
	v_cvt_f32_i32_e32 v14, v58
	v_cvt_f32_ubyte0_e32 v17, v24
	v_add3_u32 v13, v18, v19, v13
	v_add_f32_e32 v12, v15, v12
	v_cvt_f32_ubyte0_e32 v25, v25
	v_or_b32_e32 v18, v22, v62
	v_cvt_f32_ubyte0_e32 v15, v60
	v_cvt_f32_i32_e32 v13, v13
	v_mul_f32_e32 v12, v12, v17
	v_fmaak_f32 v25, s4, v25, 0xbf600000
	v_cvt_f32_f16_e32 v18, v18
	s_delay_alu instid0(VALU_DEP_2) | instskip(NEXT) | instid1(VALU_DEP_1)
	v_fma_f32 v16, v25, v56, 0
	v_fmac_f32_e32 v16, v26, v14
	s_wait_loadcnt 0x0
	v_cvt_f32_f16_e32 v14, v20
	s_delay_alu instid0(VALU_DEP_1) | instskip(NEXT) | instid1(VALU_DEP_1)
	v_dual_add_f32 v13, v16, v13 :: v_dual_mul_f32 v14, v14, v18
	v_fmac_f32_e32 v12, v13, v15
	s_delay_alu instid0(VALU_DEP_1)
	v_fmac_f32_e32 v5, v14, v12
	s_wait_alu 0xfffe
	s_and_not1_b32 exec_lo, exec_lo, s5
	s_cbranch_execnz .LBB255_3
; %bb.4:
	s_or_b32 exec_lo, exec_lo, s5
.LBB255_5:
	s_delay_alu instid0(SALU_CYCLE_1) | instskip(SKIP_1) | instid1(VALU_DEP_1)
	s_or_b32 exec_lo, exec_lo, s12
	v_mbcnt_lo_u32_b32 v2, -1, 0
	v_xor_b32_e32 v3, 16, v2
	v_xor_b32_e32 v4, 8, v2
	s_delay_alu instid0(VALU_DEP_2) | instskip(SKIP_2) | instid1(VALU_DEP_3)
	v_cmp_gt_i32_e32 vcc_lo, 32, v3
	s_wait_alu 0xfffd
	v_cndmask_b32_e32 v3, v2, v3, vcc_lo
	v_cmp_gt_i32_e32 vcc_lo, 32, v4
	s_wait_alu 0xfffd
	v_cndmask_b32_e32 v4, v2, v4, vcc_lo
	s_delay_alu instid0(VALU_DEP_1)
	v_lshlrev_b32_e32 v4, 2, v4
	v_lshlrev_b32_e32 v3, 2, v3
	ds_bpermute_b32 v3, v3, v5
	s_wait_dscnt 0x0
	v_add_f32_e32 v3, v5, v3
	v_xor_b32_e32 v5, 4, v2
	ds_bpermute_b32 v4, v4, v3
	v_cmp_gt_i32_e32 vcc_lo, 32, v5
	s_wait_alu 0xfffd
	v_cndmask_b32_e32 v5, v2, v5, vcc_lo
	s_delay_alu instid0(VALU_DEP_1) | instskip(SKIP_4) | instid1(VALU_DEP_1)
	v_lshlrev_b32_e32 v5, 2, v5
	s_wait_dscnt 0x0
	v_add_f32_e32 v3, v3, v4
	ds_bpermute_b32 v4, v5, v3
	v_xor_b32_e32 v5, 2, v2
	v_cmp_gt_i32_e32 vcc_lo, 32, v5
	s_wait_alu 0xfffd
	v_cndmask_b32_e32 v5, v2, v5, vcc_lo
	s_delay_alu instid0(VALU_DEP_1) | instskip(SKIP_4) | instid1(VALU_DEP_1)
	v_lshlrev_b32_e32 v5, 2, v5
	s_wait_dscnt 0x0
	v_add_f32_e32 v3, v3, v4
	ds_bpermute_b32 v4, v5, v3
	v_xor_b32_e32 v5, 1, v2
	v_cmp_gt_i32_e32 vcc_lo, 32, v5
	s_wait_alu 0xfffd
	v_cndmask_b32_e32 v5, v2, v5, vcc_lo
	v_cmp_eq_u32_e32 vcc_lo, 0, v0
	s_wait_dscnt 0x0
	s_delay_alu instid0(VALU_DEP_2)
	v_dual_add_f32 v2, v3, v4 :: v_dual_lshlrev_b32 v3, 2, v5
	ds_bpermute_b32 v3, v3, v2
	s_and_b32 exec_lo, exec_lo, vcc_lo
	s_cbranch_execz .LBB255_7
; %bb.6:
	v_mad_co_u64_u32 v[0:1], null, s6, s10, v[1:2]
	s_wait_dscnt 0x0
	v_dual_mov_b32 v1, 0 :: v_dual_add_f32 v2, v2, v3
	s_delay_alu instid0(VALU_DEP_1) | instskip(SKIP_1) | instid1(VALU_DEP_1)
	v_lshlrev_b64_e32 v[0:1], 2, v[0:1]
	s_wait_kmcnt 0x0
	v_add_co_u32 v0, vcc_lo, s8, v0
	s_wait_alu 0xfffd
	s_delay_alu instid0(VALU_DEP_2)
	v_add_co_ci_u32_e64 v1, null, s9, v1, vcc_lo
	global_store_b32 v[0:1], v2, off
.LBB255_7:
	s_endpgm
	.section	.rodata,"a",@progbits
	.p2align	6, 0x0
	.amdhsa_kernel _ZL9moe_vec_qIfLi256ELi8E11block_iq1_mLi1EXadL_ZL18vec_dot_iq1_m_q8_1PKvPK10block_q8_1RKiEEEvS2_S2_PT_PS6_iiii
		.amdhsa_group_segment_fixed_size 0
		.amdhsa_private_segment_fixed_size 0
		.amdhsa_kernarg_size 304
		.amdhsa_user_sgpr_count 2
		.amdhsa_user_sgpr_dispatch_ptr 0
		.amdhsa_user_sgpr_queue_ptr 0
		.amdhsa_user_sgpr_kernarg_segment_ptr 1
		.amdhsa_user_sgpr_dispatch_id 0
		.amdhsa_user_sgpr_private_segment_size 0
		.amdhsa_wavefront_size32 1
		.amdhsa_uses_dynamic_stack 0
		.amdhsa_enable_private_segment 0
		.amdhsa_system_sgpr_workgroup_id_x 1
		.amdhsa_system_sgpr_workgroup_id_y 0
		.amdhsa_system_sgpr_workgroup_id_z 1
		.amdhsa_system_sgpr_workgroup_info 0
		.amdhsa_system_vgpr_workitem_id 1
		.amdhsa_next_free_vgpr 83
		.amdhsa_next_free_sgpr 19
		.amdhsa_reserve_vcc 1
		.amdhsa_float_round_mode_32 0
		.amdhsa_float_round_mode_16_64 0
		.amdhsa_float_denorm_mode_32 3
		.amdhsa_float_denorm_mode_16_64 3
		.amdhsa_fp16_overflow 0
		.amdhsa_workgroup_processor_mode 1
		.amdhsa_memory_ordered 1
		.amdhsa_forward_progress 1
		.amdhsa_inst_pref_size 19
		.amdhsa_round_robin_scheduling 0
		.amdhsa_exception_fp_ieee_invalid_op 0
		.amdhsa_exception_fp_denorm_src 0
		.amdhsa_exception_fp_ieee_div_zero 0
		.amdhsa_exception_fp_ieee_overflow 0
		.amdhsa_exception_fp_ieee_underflow 0
		.amdhsa_exception_fp_ieee_inexact 0
		.amdhsa_exception_int_div_zero 0
	.end_amdhsa_kernel
	.section	.text._ZL9moe_vec_qIfLi256ELi8E11block_iq1_mLi1EXadL_ZL18vec_dot_iq1_m_q8_1PKvPK10block_q8_1RKiEEEvS2_S2_PT_PS6_iiii,"axG",@progbits,_ZL9moe_vec_qIfLi256ELi8E11block_iq1_mLi1EXadL_ZL18vec_dot_iq1_m_q8_1PKvPK10block_q8_1RKiEEEvS2_S2_PT_PS6_iiii,comdat
.Lfunc_end255:
	.size	_ZL9moe_vec_qIfLi256ELi8E11block_iq1_mLi1EXadL_ZL18vec_dot_iq1_m_q8_1PKvPK10block_q8_1RKiEEEvS2_S2_PT_PS6_iiii, .Lfunc_end255-_ZL9moe_vec_qIfLi256ELi8E11block_iq1_mLi1EXadL_ZL18vec_dot_iq1_m_q8_1PKvPK10block_q8_1RKiEEEvS2_S2_PT_PS6_iiii
                                        ; -- End function
	.set _ZL9moe_vec_qIfLi256ELi8E11block_iq1_mLi1EXadL_ZL18vec_dot_iq1_m_q8_1PKvPK10block_q8_1RKiEEEvS2_S2_PT_PS6_iiii.num_vgpr, 83
	.set _ZL9moe_vec_qIfLi256ELi8E11block_iq1_mLi1EXadL_ZL18vec_dot_iq1_m_q8_1PKvPK10block_q8_1RKiEEEvS2_S2_PT_PS6_iiii.num_agpr, 0
	.set _ZL9moe_vec_qIfLi256ELi8E11block_iq1_mLi1EXadL_ZL18vec_dot_iq1_m_q8_1PKvPK10block_q8_1RKiEEEvS2_S2_PT_PS6_iiii.numbered_sgpr, 19
	.set _ZL9moe_vec_qIfLi256ELi8E11block_iq1_mLi1EXadL_ZL18vec_dot_iq1_m_q8_1PKvPK10block_q8_1RKiEEEvS2_S2_PT_PS6_iiii.num_named_barrier, 0
	.set _ZL9moe_vec_qIfLi256ELi8E11block_iq1_mLi1EXadL_ZL18vec_dot_iq1_m_q8_1PKvPK10block_q8_1RKiEEEvS2_S2_PT_PS6_iiii.private_seg_size, 0
	.set _ZL9moe_vec_qIfLi256ELi8E11block_iq1_mLi1EXadL_ZL18vec_dot_iq1_m_q8_1PKvPK10block_q8_1RKiEEEvS2_S2_PT_PS6_iiii.uses_vcc, 1
	.set _ZL9moe_vec_qIfLi256ELi8E11block_iq1_mLi1EXadL_ZL18vec_dot_iq1_m_q8_1PKvPK10block_q8_1RKiEEEvS2_S2_PT_PS6_iiii.uses_flat_scratch, 0
	.set _ZL9moe_vec_qIfLi256ELi8E11block_iq1_mLi1EXadL_ZL18vec_dot_iq1_m_q8_1PKvPK10block_q8_1RKiEEEvS2_S2_PT_PS6_iiii.has_dyn_sized_stack, 0
	.set _ZL9moe_vec_qIfLi256ELi8E11block_iq1_mLi1EXadL_ZL18vec_dot_iq1_m_q8_1PKvPK10block_q8_1RKiEEEvS2_S2_PT_PS6_iiii.has_recursion, 0
	.set _ZL9moe_vec_qIfLi256ELi8E11block_iq1_mLi1EXadL_ZL18vec_dot_iq1_m_q8_1PKvPK10block_q8_1RKiEEEvS2_S2_PT_PS6_iiii.has_indirect_call, 0
	.section	.AMDGPU.csdata,"",@progbits
; Kernel info:
; codeLenInByte = 2412
; TotalNumSgprs: 21
; NumVgprs: 83
; ScratchSize: 0
; MemoryBound: 0
; FloatMode: 240
; IeeeMode: 1
; LDSByteSize: 0 bytes/workgroup (compile time only)
; SGPRBlocks: 0
; VGPRBlocks: 10
; NumSGPRsForWavesPerEU: 21
; NumVGPRsForWavesPerEU: 83
; Occupancy: 16
; WaveLimiterHint : 1
; COMPUTE_PGM_RSRC2:SCRATCH_EN: 0
; COMPUTE_PGM_RSRC2:USER_SGPR: 2
; COMPUTE_PGM_RSRC2:TRAP_HANDLER: 0
; COMPUTE_PGM_RSRC2:TGID_X_EN: 1
; COMPUTE_PGM_RSRC2:TGID_Y_EN: 0
; COMPUTE_PGM_RSRC2:TGID_Z_EN: 1
; COMPUTE_PGM_RSRC2:TIDIG_COMP_CNT: 1
	.section	.text._ZL9moe_vec_qIN3c104HalfELi32ELi4E10block_q4_0Li2EXadL_ZL17vec_dot_q4_0_q8_1PKvPK10block_q8_1RKiEEEvS4_S4_PT_PS8_iiii,"axG",@progbits,_ZL9moe_vec_qIN3c104HalfELi32ELi4E10block_q4_0Li2EXadL_ZL17vec_dot_q4_0_q8_1PKvPK10block_q8_1RKiEEEvS4_S4_PT_PS8_iiii,comdat
	.globl	_ZL9moe_vec_qIN3c104HalfELi32ELi4E10block_q4_0Li2EXadL_ZL17vec_dot_q4_0_q8_1PKvPK10block_q8_1RKiEEEvS4_S4_PT_PS8_iiii ; -- Begin function _ZL9moe_vec_qIN3c104HalfELi32ELi4E10block_q4_0Li2EXadL_ZL17vec_dot_q4_0_q8_1PKvPK10block_q8_1RKiEEEvS4_S4_PT_PS8_iiii
	.p2align	8
	.type	_ZL9moe_vec_qIN3c104HalfELi32ELi4E10block_q4_0Li2EXadL_ZL17vec_dot_q4_0_q8_1PKvPK10block_q8_1RKiEEEvS4_S4_PT_PS8_iiii,@function
_ZL9moe_vec_qIN3c104HalfELi32ELi4E10block_q4_0Li2EXadL_ZL17vec_dot_q4_0_q8_1PKvPK10block_q8_1RKiEEEvS4_S4_PT_PS8_iiii: ; @_ZL9moe_vec_qIN3c104HalfELi32ELi4E10block_q4_0Li2EXadL_ZL17vec_dot_q4_0_q8_1PKvPK10block_q8_1RKiEEEvS4_S4_PT_PS8_iiii
; %bb.0:
	s_clause 0x1
	s_load_u16 s2, s[0:1], 0x3e
	s_load_b128 s[4:7], s[0:1], 0x20
	v_bfe_u32 v1, v0, 10, 10
	s_wait_kmcnt 0x0
	s_delay_alu instid0(VALU_DEP_1)
	v_mad_co_u64_u32 v[1:2], null, ttmp9, s2, v[1:2]
	s_mov_b32 s2, exec_lo
	v_cmpx_gt_u32_e64 s6, v1
	s_cbranch_execz .LBB256_7
; %bb.1:
	s_load_b64 s[2:3], s[0:1], 0x10
	s_cvt_f32_u32 s8, s4
	v_bfe_u32 v2, v0, 1, 9
	v_and_b32_e32 v0, 0x3ff, v0
	s_mov_b32 s11, exec_lo
	v_rcp_iflag_f32_e32 v3, s8
	s_ashr_i32 s8, s5, 31
	s_wait_alu 0xfffe
	s_lshr_b32 s8, s8, 27
	s_wait_alu 0xfffe
	s_add_co_i32 s5, s5, s8
	s_lshr_b32 s8, ttmp7, 16
	s_ashr_i32 s10, s5, 5
	s_delay_alu instid0(TRANS32_DEP_1)
	v_readfirstlane_b32 s5, v3
	v_mov_b32_e32 v3, 0
	v_cmpx_gt_u32_e64 s10, v2
	s_cbranch_execz .LBB256_5
; %bb.2:
	s_load_b64 s[12:13], s[0:1], 0x18
	s_mul_f32 s5, s5, 0x4f7ffffe
	s_sub_co_i32 s14, 0, s4
	s_lshl_b32 s15, s8, 2
	s_mov_b32 s9, 0
	s_cvt_u32_f32 s5, s5
	v_lshlrev_b32_e32 v5, 3, v0
	v_mul_lo_u32 v4, v1, s10
	v_mov_b32_e32 v3, 0
	s_mul_i32 s14, s14, s5
	s_delay_alu instid0(SALU_CYCLE_1)
	s_mul_hi_u32 s14, s5, s14
	v_and_b32_e32 v5, 8, v5
	s_wait_kmcnt 0x0
	s_load_b32 s18, s[12:13], s15 offset:0x0
	s_mov_b32 s13, s9
	s_add_co_i32 s12, s5, s14
	s_delay_alu instid0(SALU_CYCLE_1)
	s_mul_u64 s[16:17], s[8:9], s[12:13]
	s_load_b128 s[12:15], s[0:1], 0x0
	s_mul_i32 s1, s17, s4
	s_add_co_i32 s5, s17, 1
	s_wait_alu 0xfffe
	s_sub_co_i32 s1, s8, s1
	s_mul_i32 s0, s10, s6
	s_wait_alu 0xfffe
	s_sub_co_i32 s16, s1, s4
	s_cmp_ge_u32 s1, s4
	s_cselect_b32 s5, s5, s17
	s_cselect_b32 s1, s16, s1
	s_add_co_i32 s16, s5, 1
	s_wait_alu 0xfffe
	s_cmp_ge_u32 s1, s4
	s_cselect_b32 s4, s16, s5
	s_mov_b32 s5, s9
	s_wait_kmcnt 0x0
	s_mul_i32 s0, s0, s18
	s_mul_i32 s4, s4, s7
	s_wait_alu 0xfffe
	s_ashr_i32 s1, s0, 31
	s_lshl_b64 s[4:5], s[4:5], 2
	s_wait_alu 0xfffe
	s_mul_u64 s[0:1], s[0:1], 18
	s_add_nc_u64 s[4:5], s[14:15], s[4:5]
	s_wait_alu 0xfffe
	s_add_nc_u64 s[0:1], s[12:13], s[0:1]
.LBB256_3:                              ; =>This Inner Loop Header: Depth=1
	v_add_nc_u32_e32 v8, v4, v2
	v_mad_co_i64_i32 v[6:7], null, v2, 36, s[4:5]
	v_add_nc_u32_e32 v2, 16, v2
	s_wait_alu 0xfffe
	s_delay_alu instid0(VALU_DEP_3) | instskip(NEXT) | instid1(VALU_DEP_3)
	v_mad_co_i64_i32 v[8:9], null, v8, 18, s[0:1]
	v_add_co_u32 v10, vcc_lo, v6, v5
	s_wait_alu 0xfffd
	s_delay_alu instid0(VALU_DEP_4) | instskip(NEXT) | instid1(VALU_DEP_3)
	v_add_co_ci_u32_e64 v11, null, 0, v7, vcc_lo
	v_add_co_u32 v12, vcc_lo, v8, v5
	s_wait_alu 0xfffd
	s_delay_alu instid0(VALU_DEP_4)
	v_add_co_ci_u32_e64 v13, null, 0, v9, vcc_lo
	v_cmp_le_u32_e32 vcc_lo, s10, v2
	global_load_b64 v[14:15], v[10:11], off offset:4
	global_load_b64 v[12:13], v[12:13], off offset:2
	s_clause 0x1
	global_load_b64 v[10:11], v[10:11], off offset:20
	global_load_b32 v6, v[6:7], off
	global_load_u16 v7, v[8:9], off
	s_or_b32 s9, vcc_lo, s9
	s_wait_loadcnt 0x4
	v_lshrrev_b16 v8, 8, v14
	s_wait_loadcnt 0x3
	v_lshrrev_b32_e32 v28, 4, v12
	s_wait_loadcnt 0x2
	v_lshrrev_b16 v9, 8, v10
	v_ashrrev_i32_e32 v18, 24, v10
	v_bfe_i32 v19, v10, 16, 8
	v_bfe_i32 v10, v10, 0, 8
	v_ashrrev_i32_e32 v23, 24, v11
	v_bfe_i32 v24, v11, 16, 8
	v_bfe_i32 v25, v11, 8, 8
	;; [unrolled: 1-line block ×3, first 2 shown]
	v_bfe_u32 v26, v12, 24, 4
	v_and_b32_e32 v27, 0xf0f0f0f, v12
	v_lshrrev_b32_e32 v29, 28, v12
	v_bfe_u32 v30, v12, 16, 4
	v_and_b32_e32 v31, 15, v12
	v_bfe_u32 v32, v12, 20, 4
	v_bfe_u32 v12, v12, 4, 4
	;; [unrolled: 1-line block ×3, first 2 shown]
	v_and_b32_e32 v34, 0xf0f0f0f, v13
	v_lshrrev_b32_e32 v35, 4, v13
	v_lshrrev_b32_e32 v36, 28, v13
	v_bfe_u32 v37, v13, 16, 4
	v_and_b32_e32 v38, 15, v13
	v_bfe_u32 v39, v13, 20, 4
	v_bfe_u32 v13, v13, 4, 4
	v_lshrrev_b16 v28, 8, v28
	v_lshrrev_b16 v27, 8, v27
	v_mul_i32_i24_e32 v10, v12, v10
	v_mul_i32_i24_e32 v12, v32, v19
	;; [unrolled: 1-line block ×3, first 2 shown]
	v_lshrrev_b16 v19, 8, v34
	v_lshrrev_b16 v29, 8, v35
	v_mul_i32_i24_e32 v11, v11, v13
	v_mul_i32_i24_e32 v13, v24, v39
	v_and_b32_e32 v24, 15, v28
	v_bfe_i32 v16, v14, 16, 8
	v_bfe_i32 v17, v14, 0, 8
	v_ashrrev_i32_e32 v14, 24, v14
	v_ashrrev_i32_e32 v20, 24, v15
	v_bfe_i32 v22, v15, 8, 8
	v_bfe_i32 v8, v8, 0, 8
	;; [unrolled: 1-line block ×3, first 2 shown]
	v_and_b32_e32 v27, 0xffff, v27
	v_and_b32_e32 v19, 0xffff, v19
	;; [unrolled: 1-line block ×4, first 2 shown]
	v_bfe_i32 v21, v15, 16, 8
	v_bfe_i32 v15, v15, 0, 8
	v_mul_i32_i24_e32 v20, v20, v33
	v_mul_i32_i24_e32 v23, v23, v36
	v_mad_i32_i24 v14, v26, v14, v18
	v_mul_i32_i24_e32 v8, v27, v8
	v_mul_i32_i24_e32 v18, v22, v19
	v_and_b32_e32 v19, 0xffff, v28
	v_mul_i32_i24_e32 v9, v24, v9
	v_mul_i32_i24_e32 v15, v15, v38
	;; [unrolled: 1-line block ×3, first 2 shown]
	v_mad_i32_i24 v10, v31, v17, v10
	v_mad_i32_i24 v12, v30, v16, v12
	v_add3_u32 v14, v14, v20, v23
	v_mul_i32_i24_e32 v16, v25, v19
	v_add3_u32 v8, v8, v9, v18
	s_wait_loadcnt 0x1
	v_lshrrev_b32_e32 v9, 16, v6
	v_add3_u32 v12, v12, v21, v13
	v_add3_u32 v10, v10, v15, v11
	v_add3_u32 v8, v8, v16, v14
	s_delay_alu instid0(VALU_DEP_4) | instskip(NEXT) | instid1(VALU_DEP_2)
	v_cvt_f32_f16_e32 v9, v9
	v_add3_u32 v8, v10, v12, v8
	s_delay_alu instid0(VALU_DEP_2) | instskip(NEXT) | instid1(VALU_DEP_2)
	v_mul_f32_e32 v9, -4.0, v9
	v_cvt_f32_i32_e32 v8, v8
	s_delay_alu instid0(VALU_DEP_1) | instskip(SKIP_1) | instid1(VALU_DEP_1)
	v_fma_mix_f32 v6, v6, v8, v9 op_sel_hi:[1,0,0]
	s_wait_loadcnt 0x0
	v_fma_mix_f32 v3, v6, v7, v3 op_sel_hi:[0,1,0]
	s_wait_alu 0xfffe
	s_and_not1_b32 exec_lo, exec_lo, s9
	s_cbranch_execnz .LBB256_3
; %bb.4:
	s_or_b32 exec_lo, exec_lo, s9
.LBB256_5:
	s_delay_alu instid0(SALU_CYCLE_1) | instskip(SKIP_1) | instid1(VALU_DEP_1)
	s_or_b32 exec_lo, exec_lo, s11
	v_mbcnt_lo_u32_b32 v2, -1, 0
	v_xor_b32_e32 v4, 16, v2
	v_xor_b32_e32 v5, 8, v2
	s_delay_alu instid0(VALU_DEP_2) | instskip(SKIP_2) | instid1(VALU_DEP_3)
	v_cmp_gt_i32_e32 vcc_lo, 32, v4
	s_wait_alu 0xfffd
	v_cndmask_b32_e32 v4, v2, v4, vcc_lo
	v_cmp_gt_i32_e32 vcc_lo, 32, v5
	s_wait_alu 0xfffd
	v_cndmask_b32_e32 v5, v2, v5, vcc_lo
	s_delay_alu instid0(VALU_DEP_1)
	v_lshlrev_b32_e32 v5, 2, v5
	v_lshlrev_b32_e32 v4, 2, v4
	ds_bpermute_b32 v4, v4, v3
	s_wait_dscnt 0x0
	v_add_f32_e32 v3, v3, v4
	ds_bpermute_b32 v4, v5, v3
	v_xor_b32_e32 v5, 4, v2
	s_delay_alu instid0(VALU_DEP_1) | instskip(SKIP_2) | instid1(VALU_DEP_1)
	v_cmp_gt_i32_e32 vcc_lo, 32, v5
	s_wait_alu 0xfffd
	v_cndmask_b32_e32 v5, v2, v5, vcc_lo
	v_lshlrev_b32_e32 v5, 2, v5
	s_wait_dscnt 0x0
	v_add_f32_e32 v3, v3, v4
	ds_bpermute_b32 v4, v5, v3
	v_xor_b32_e32 v5, 2, v2
	s_delay_alu instid0(VALU_DEP_1) | instskip(SKIP_2) | instid1(VALU_DEP_1)
	v_cmp_gt_i32_e32 vcc_lo, 32, v5
	s_wait_alu 0xfffd
	v_cndmask_b32_e32 v5, v2, v5, vcc_lo
	v_lshlrev_b32_e32 v5, 2, v5
	s_wait_dscnt 0x0
	v_add_f32_e32 v3, v3, v4
	ds_bpermute_b32 v4, v5, v3
	v_xor_b32_e32 v5, 1, v2
	s_delay_alu instid0(VALU_DEP_1) | instskip(SKIP_4) | instid1(VALU_DEP_2)
	v_cmp_gt_i32_e32 vcc_lo, 32, v5
	s_wait_alu 0xfffd
	v_cndmask_b32_e32 v5, v2, v5, vcc_lo
	v_cmp_eq_u32_e32 vcc_lo, 0, v0
	s_wait_dscnt 0x0
	v_dual_add_f32 v2, v3, v4 :: v_dual_lshlrev_b32 v3, 2, v5
	ds_bpermute_b32 v3, v3, v2
	s_and_b32 exec_lo, exec_lo, vcc_lo
	s_cbranch_execz .LBB256_7
; %bb.6:
	s_wait_alu 0xfffe
	v_mad_co_u64_u32 v[0:1], null, s6, s8, v[1:2]
	s_wait_dscnt 0x0
	v_dual_mov_b32 v1, 0 :: v_dual_add_f32 v2, v2, v3
	s_delay_alu instid0(VALU_DEP_1) | instskip(NEXT) | instid1(VALU_DEP_2)
	v_cvt_f16_f32_e32 v2, v2
	v_lshlrev_b64_e32 v[0:1], 1, v[0:1]
	s_wait_kmcnt 0x0
	s_delay_alu instid0(VALU_DEP_1) | instskip(SKIP_1) | instid1(VALU_DEP_2)
	v_add_co_u32 v0, vcc_lo, s2, v0
	s_wait_alu 0xfffd
	v_add_co_ci_u32_e64 v1, null, s3, v1, vcc_lo
	global_store_b16 v[0:1], v2, off
.LBB256_7:
	s_endpgm
	.section	.rodata,"a",@progbits
	.p2align	6, 0x0
	.amdhsa_kernel _ZL9moe_vec_qIN3c104HalfELi32ELi4E10block_q4_0Li2EXadL_ZL17vec_dot_q4_0_q8_1PKvPK10block_q8_1RKiEEEvS4_S4_PT_PS8_iiii
		.amdhsa_group_segment_fixed_size 0
		.amdhsa_private_segment_fixed_size 0
		.amdhsa_kernarg_size 304
		.amdhsa_user_sgpr_count 2
		.amdhsa_user_sgpr_dispatch_ptr 0
		.amdhsa_user_sgpr_queue_ptr 0
		.amdhsa_user_sgpr_kernarg_segment_ptr 1
		.amdhsa_user_sgpr_dispatch_id 0
		.amdhsa_user_sgpr_private_segment_size 0
		.amdhsa_wavefront_size32 1
		.amdhsa_uses_dynamic_stack 0
		.amdhsa_enable_private_segment 0
		.amdhsa_system_sgpr_workgroup_id_x 1
		.amdhsa_system_sgpr_workgroup_id_y 0
		.amdhsa_system_sgpr_workgroup_id_z 1
		.amdhsa_system_sgpr_workgroup_info 0
		.amdhsa_system_vgpr_workitem_id 1
		.amdhsa_next_free_vgpr 40
		.amdhsa_next_free_sgpr 19
		.amdhsa_reserve_vcc 1
		.amdhsa_float_round_mode_32 0
		.amdhsa_float_round_mode_16_64 0
		.amdhsa_float_denorm_mode_32 3
		.amdhsa_float_denorm_mode_16_64 3
		.amdhsa_fp16_overflow 0
		.amdhsa_workgroup_processor_mode 1
		.amdhsa_memory_ordered 1
		.amdhsa_forward_progress 1
		.amdhsa_inst_pref_size 11
		.amdhsa_round_robin_scheduling 0
		.amdhsa_exception_fp_ieee_invalid_op 0
		.amdhsa_exception_fp_denorm_src 0
		.amdhsa_exception_fp_ieee_div_zero 0
		.amdhsa_exception_fp_ieee_overflow 0
		.amdhsa_exception_fp_ieee_underflow 0
		.amdhsa_exception_fp_ieee_inexact 0
		.amdhsa_exception_int_div_zero 0
	.end_amdhsa_kernel
	.section	.text._ZL9moe_vec_qIN3c104HalfELi32ELi4E10block_q4_0Li2EXadL_ZL17vec_dot_q4_0_q8_1PKvPK10block_q8_1RKiEEEvS4_S4_PT_PS8_iiii,"axG",@progbits,_ZL9moe_vec_qIN3c104HalfELi32ELi4E10block_q4_0Li2EXadL_ZL17vec_dot_q4_0_q8_1PKvPK10block_q8_1RKiEEEvS4_S4_PT_PS8_iiii,comdat
.Lfunc_end256:
	.size	_ZL9moe_vec_qIN3c104HalfELi32ELi4E10block_q4_0Li2EXadL_ZL17vec_dot_q4_0_q8_1PKvPK10block_q8_1RKiEEEvS4_S4_PT_PS8_iiii, .Lfunc_end256-_ZL9moe_vec_qIN3c104HalfELi32ELi4E10block_q4_0Li2EXadL_ZL17vec_dot_q4_0_q8_1PKvPK10block_q8_1RKiEEEvS4_S4_PT_PS8_iiii
                                        ; -- End function
	.set _ZL9moe_vec_qIN3c104HalfELi32ELi4E10block_q4_0Li2EXadL_ZL17vec_dot_q4_0_q8_1PKvPK10block_q8_1RKiEEEvS4_S4_PT_PS8_iiii.num_vgpr, 40
	.set _ZL9moe_vec_qIN3c104HalfELi32ELi4E10block_q4_0Li2EXadL_ZL17vec_dot_q4_0_q8_1PKvPK10block_q8_1RKiEEEvS4_S4_PT_PS8_iiii.num_agpr, 0
	.set _ZL9moe_vec_qIN3c104HalfELi32ELi4E10block_q4_0Li2EXadL_ZL17vec_dot_q4_0_q8_1PKvPK10block_q8_1RKiEEEvS4_S4_PT_PS8_iiii.numbered_sgpr, 19
	.set _ZL9moe_vec_qIN3c104HalfELi32ELi4E10block_q4_0Li2EXadL_ZL17vec_dot_q4_0_q8_1PKvPK10block_q8_1RKiEEEvS4_S4_PT_PS8_iiii.num_named_barrier, 0
	.set _ZL9moe_vec_qIN3c104HalfELi32ELi4E10block_q4_0Li2EXadL_ZL17vec_dot_q4_0_q8_1PKvPK10block_q8_1RKiEEEvS4_S4_PT_PS8_iiii.private_seg_size, 0
	.set _ZL9moe_vec_qIN3c104HalfELi32ELi4E10block_q4_0Li2EXadL_ZL17vec_dot_q4_0_q8_1PKvPK10block_q8_1RKiEEEvS4_S4_PT_PS8_iiii.uses_vcc, 1
	.set _ZL9moe_vec_qIN3c104HalfELi32ELi4E10block_q4_0Li2EXadL_ZL17vec_dot_q4_0_q8_1PKvPK10block_q8_1RKiEEEvS4_S4_PT_PS8_iiii.uses_flat_scratch, 0
	.set _ZL9moe_vec_qIN3c104HalfELi32ELi4E10block_q4_0Li2EXadL_ZL17vec_dot_q4_0_q8_1PKvPK10block_q8_1RKiEEEvS4_S4_PT_PS8_iiii.has_dyn_sized_stack, 0
	.set _ZL9moe_vec_qIN3c104HalfELi32ELi4E10block_q4_0Li2EXadL_ZL17vec_dot_q4_0_q8_1PKvPK10block_q8_1RKiEEEvS4_S4_PT_PS8_iiii.has_recursion, 0
	.set _ZL9moe_vec_qIN3c104HalfELi32ELi4E10block_q4_0Li2EXadL_ZL17vec_dot_q4_0_q8_1PKvPK10block_q8_1RKiEEEvS4_S4_PT_PS8_iiii.has_indirect_call, 0
	.section	.AMDGPU.csdata,"",@progbits
; Kernel info:
; codeLenInByte = 1312
; TotalNumSgprs: 21
; NumVgprs: 40
; ScratchSize: 0
; MemoryBound: 0
; FloatMode: 240
; IeeeMode: 1
; LDSByteSize: 0 bytes/workgroup (compile time only)
; SGPRBlocks: 0
; VGPRBlocks: 4
; NumSGPRsForWavesPerEU: 21
; NumVGPRsForWavesPerEU: 40
; Occupancy: 16
; WaveLimiterHint : 1
; COMPUTE_PGM_RSRC2:SCRATCH_EN: 0
; COMPUTE_PGM_RSRC2:USER_SGPR: 2
; COMPUTE_PGM_RSRC2:TRAP_HANDLER: 0
; COMPUTE_PGM_RSRC2:TGID_X_EN: 1
; COMPUTE_PGM_RSRC2:TGID_Y_EN: 0
; COMPUTE_PGM_RSRC2:TGID_Z_EN: 1
; COMPUTE_PGM_RSRC2:TIDIG_COMP_CNT: 1
	.section	.text._ZL9moe_vec_qIN3c104HalfELi32ELi4E10block_q4_1Li2EXadL_ZL17vec_dot_q4_1_q8_1PKvPK10block_q8_1RKiEEEvS4_S4_PT_PS8_iiii,"axG",@progbits,_ZL9moe_vec_qIN3c104HalfELi32ELi4E10block_q4_1Li2EXadL_ZL17vec_dot_q4_1_q8_1PKvPK10block_q8_1RKiEEEvS4_S4_PT_PS8_iiii,comdat
	.globl	_ZL9moe_vec_qIN3c104HalfELi32ELi4E10block_q4_1Li2EXadL_ZL17vec_dot_q4_1_q8_1PKvPK10block_q8_1RKiEEEvS4_S4_PT_PS8_iiii ; -- Begin function _ZL9moe_vec_qIN3c104HalfELi32ELi4E10block_q4_1Li2EXadL_ZL17vec_dot_q4_1_q8_1PKvPK10block_q8_1RKiEEEvS4_S4_PT_PS8_iiii
	.p2align	8
	.type	_ZL9moe_vec_qIN3c104HalfELi32ELi4E10block_q4_1Li2EXadL_ZL17vec_dot_q4_1_q8_1PKvPK10block_q8_1RKiEEEvS4_S4_PT_PS8_iiii,@function
_ZL9moe_vec_qIN3c104HalfELi32ELi4E10block_q4_1Li2EXadL_ZL17vec_dot_q4_1_q8_1PKvPK10block_q8_1RKiEEEvS4_S4_PT_PS8_iiii: ; @_ZL9moe_vec_qIN3c104HalfELi32ELi4E10block_q4_1Li2EXadL_ZL17vec_dot_q4_1_q8_1PKvPK10block_q8_1RKiEEEvS4_S4_PT_PS8_iiii
; %bb.0:
	s_clause 0x1
	s_load_u16 s2, s[0:1], 0x3e
	s_load_b128 s[4:7], s[0:1], 0x20
	v_bfe_u32 v1, v0, 10, 10
	s_wait_kmcnt 0x0
	s_delay_alu instid0(VALU_DEP_1)
	v_mad_co_u64_u32 v[1:2], null, ttmp9, s2, v[1:2]
	s_mov_b32 s2, exec_lo
	v_cmpx_gt_u32_e64 s6, v1
	s_cbranch_execz .LBB257_7
; %bb.1:
	s_load_b64 s[2:3], s[0:1], 0x10
	s_cvt_f32_u32 s8, s4
	v_bfe_u32 v2, v0, 1, 9
	v_and_b32_e32 v0, 0x3ff, v0
	s_mov_b32 s11, exec_lo
	v_rcp_iflag_f32_e32 v3, s8
	s_ashr_i32 s8, s5, 31
	s_wait_alu 0xfffe
	s_lshr_b32 s8, s8, 27
	s_wait_alu 0xfffe
	s_add_co_i32 s5, s5, s8
	s_lshr_b32 s8, ttmp7, 16
	s_ashr_i32 s10, s5, 5
	s_delay_alu instid0(TRANS32_DEP_1)
	v_readfirstlane_b32 s5, v3
	v_mov_b32_e32 v3, 0
	v_cmpx_gt_u32_e64 s10, v2
	s_cbranch_execz .LBB257_5
; %bb.2:
	s_load_b64 s[12:13], s[0:1], 0x18
	s_mul_f32 s5, s5, 0x4f7ffffe
	s_sub_co_i32 s14, 0, s4
	s_lshl_b32 s15, s8, 2
	s_mov_b32 s9, 0
	s_cvt_u32_f32 s5, s5
	v_lshlrev_b32_e32 v5, 3, v0
	v_mul_lo_u32 v4, v1, s10
	v_mov_b32_e32 v3, 0
	s_mul_i32 s14, s14, s5
	s_delay_alu instid0(SALU_CYCLE_1)
	s_mul_hi_u32 s14, s5, s14
	v_and_b32_e32 v5, 8, v5
	s_wait_kmcnt 0x0
	s_load_b32 s18, s[12:13], s15 offset:0x0
	s_mov_b32 s13, s9
	s_add_co_i32 s12, s5, s14
	s_delay_alu instid0(SALU_CYCLE_1)
	s_mul_u64 s[16:17], s[8:9], s[12:13]
	s_load_b128 s[12:15], s[0:1], 0x0
	s_mul_i32 s1, s17, s4
	s_add_co_i32 s5, s17, 1
	s_wait_alu 0xfffe
	s_sub_co_i32 s1, s8, s1
	s_mul_i32 s0, s10, s6
	s_wait_alu 0xfffe
	s_sub_co_i32 s16, s1, s4
	s_cmp_ge_u32 s1, s4
	s_cselect_b32 s5, s5, s17
	s_cselect_b32 s1, s16, s1
	s_add_co_i32 s16, s5, 1
	s_wait_alu 0xfffe
	s_cmp_ge_u32 s1, s4
	s_cselect_b32 s4, s16, s5
	s_mov_b32 s5, s9
	s_wait_kmcnt 0x0
	s_mul_i32 s0, s0, s18
	s_mul_i32 s4, s4, s7
	s_wait_alu 0xfffe
	s_ashr_i32 s1, s0, 31
	s_lshl_b64 s[4:5], s[4:5], 2
	s_wait_alu 0xfffe
	s_mul_u64 s[0:1], s[0:1], 20
	s_add_nc_u64 s[4:5], s[14:15], s[4:5]
	s_wait_alu 0xfffe
	s_add_nc_u64 s[0:1], s[12:13], s[0:1]
.LBB257_3:                              ; =>This Inner Loop Header: Depth=1
	v_add_nc_u32_e32 v8, v4, v2
	v_mad_co_i64_i32 v[6:7], null, v2, 36, s[4:5]
	v_add_nc_u32_e32 v2, 16, v2
	s_wait_alu 0xfffe
	s_delay_alu instid0(VALU_DEP_3) | instskip(NEXT) | instid1(VALU_DEP_3)
	v_mad_co_i64_i32 v[8:9], null, v8, 20, s[0:1]
	v_add_co_u32 v10, vcc_lo, v6, v5
	s_wait_alu 0xfffd
	s_delay_alu instid0(VALU_DEP_4) | instskip(NEXT) | instid1(VALU_DEP_3)
	v_add_co_ci_u32_e64 v11, null, 0, v7, vcc_lo
	v_add_co_u32 v12, vcc_lo, v8, v5
	s_wait_alu 0xfffd
	s_delay_alu instid0(VALU_DEP_4)
	v_add_co_ci_u32_e64 v13, null, 0, v9, vcc_lo
	s_clause 0x2
	global_load_b32 v14, v[6:7], off
	global_load_b64 v[6:7], v[10:11], off offset:4
	global_load_b64 v[10:11], v[10:11], off offset:20
	v_cmp_le_u32_e32 vcc_lo, s10, v2
	s_clause 0x1
	global_load_b64 v[12:13], v[12:13], off offset:4
	global_load_b32 v8, v[8:9], off
	s_or_b32 s9, vcc_lo, s9
	s_wait_loadcnt 0x3
	v_lshrrev_b16 v9, 8, v6
	s_wait_loadcnt 0x2
	v_lshrrev_b16 v15, 8, v10
	v_ashrrev_i32_e32 v18, 24, v10
	s_wait_loadcnt 0x1
	v_lshrrev_b32_e32 v27, 4, v12
	v_bfe_i32 v19, v10, 16, 8
	v_bfe_i32 v10, v10, 0, 8
	v_ashrrev_i32_e32 v23, 24, v11
	v_bfe_i32 v24, v11, 16, 8
	v_bfe_i32 v25, v11, 8, 8
	;; [unrolled: 1-line block ×3, first 2 shown]
	s_wait_loadcnt 0x0
	v_pk_mul_f16 v8, v8, v14
	v_bfe_u32 v14, v12, 24, 4
	v_and_b32_e32 v26, 0xf0f0f0f, v12
	v_lshrrev_b32_e32 v28, 28, v12
	v_bfe_u32 v29, v12, 16, 4
	v_and_b32_e32 v30, 15, v12
	v_bfe_u32 v31, v12, 20, 4
	v_bfe_u32 v12, v12, 4, 4
	;; [unrolled: 1-line block ×3, first 2 shown]
	v_and_b32_e32 v33, 0xf0f0f0f, v13
	v_lshrrev_b32_e32 v34, 4, v13
	v_lshrrev_b32_e32 v35, 28, v13
	v_bfe_u32 v36, v13, 16, 4
	v_and_b32_e32 v37, 15, v13
	v_bfe_u32 v38, v13, 20, 4
	v_bfe_u32 v13, v13, 4, 4
	v_lshrrev_b16 v27, 8, v27
	v_lshrrev_b16 v26, 8, v26
	v_mul_i32_i24_e32 v10, v12, v10
	v_mul_i32_i24_e32 v12, v31, v19
	;; [unrolled: 1-line block ×3, first 2 shown]
	v_lshrrev_b16 v19, 8, v33
	v_lshrrev_b16 v28, 8, v34
	v_mul_i32_i24_e32 v11, v11, v13
	v_mul_i32_i24_e32 v13, v24, v38
	v_and_b32_e32 v24, 15, v27
	v_bfe_i32 v16, v6, 16, 8
	v_bfe_i32 v17, v6, 0, 8
	v_ashrrev_i32_e32 v6, 24, v6
	v_ashrrev_i32_e32 v20, 24, v7
	v_bfe_i32 v22, v7, 8, 8
	v_bfe_i32 v9, v9, 0, 8
	;; [unrolled: 1-line block ×3, first 2 shown]
	v_and_b32_e32 v26, 0xffff, v26
	v_and_b32_e32 v19, 0xffff, v19
	;; [unrolled: 1-line block ×4, first 2 shown]
	v_bfe_i32 v21, v7, 16, 8
	v_bfe_i32 v7, v7, 0, 8
	v_mul_i32_i24_e32 v20, v20, v32
	v_mul_i32_i24_e32 v23, v23, v35
	v_mad_i32_i24 v6, v14, v6, v18
	v_mul_i32_i24_e32 v9, v26, v9
	v_mul_i32_i24_e32 v14, v22, v19
	v_and_b32_e32 v18, 0xffff, v27
	v_mul_i32_i24_e32 v15, v24, v15
	v_mul_i32_i24_e32 v7, v7, v37
	;; [unrolled: 1-line block ×3, first 2 shown]
	v_mad_i32_i24 v10, v30, v17, v10
	v_mad_i32_i24 v12, v29, v16, v12
	v_add3_u32 v6, v6, v20, v23
	v_mul_i32_i24_e32 v16, v25, v18
	v_add3_u32 v9, v9, v15, v14
	v_lshrrev_b32_e32 v14, 16, v8
	v_add3_u32 v12, v12, v21, v13
	v_add3_u32 v7, v10, v7, v11
	s_delay_alu instid0(VALU_DEP_4) | instskip(NEXT) | instid1(VALU_DEP_4)
	v_add3_u32 v6, v9, v16, v6
	v_cvt_f32_f16_e32 v9, v14
	s_delay_alu instid0(VALU_DEP_2) | instskip(NEXT) | instid1(VALU_DEP_2)
	v_add3_u32 v6, v7, v12, v6
	v_mul_f32_e32 v7, 0.5, v9
	s_delay_alu instid0(VALU_DEP_2) | instskip(NEXT) | instid1(VALU_DEP_1)
	v_cvt_f32_i32_e32 v6, v6
	v_fma_mix_f32 v6, v6, v8, v7 op_sel_hi:[0,1,0]
	s_delay_alu instid0(VALU_DEP_1)
	v_add_f32_e32 v3, v3, v6
	s_wait_alu 0xfffe
	s_and_not1_b32 exec_lo, exec_lo, s9
	s_cbranch_execnz .LBB257_3
; %bb.4:
	s_or_b32 exec_lo, exec_lo, s9
.LBB257_5:
	s_delay_alu instid0(SALU_CYCLE_1) | instskip(SKIP_1) | instid1(VALU_DEP_1)
	s_or_b32 exec_lo, exec_lo, s11
	v_mbcnt_lo_u32_b32 v2, -1, 0
	v_xor_b32_e32 v4, 16, v2
	v_xor_b32_e32 v5, 8, v2
	s_delay_alu instid0(VALU_DEP_2) | instskip(SKIP_2) | instid1(VALU_DEP_3)
	v_cmp_gt_i32_e32 vcc_lo, 32, v4
	s_wait_alu 0xfffd
	v_cndmask_b32_e32 v4, v2, v4, vcc_lo
	v_cmp_gt_i32_e32 vcc_lo, 32, v5
	s_wait_alu 0xfffd
	v_cndmask_b32_e32 v5, v2, v5, vcc_lo
	s_delay_alu instid0(VALU_DEP_1)
	v_lshlrev_b32_e32 v5, 2, v5
	v_lshlrev_b32_e32 v4, 2, v4
	ds_bpermute_b32 v4, v4, v3
	s_wait_dscnt 0x0
	v_add_f32_e32 v3, v3, v4
	ds_bpermute_b32 v4, v5, v3
	v_xor_b32_e32 v5, 4, v2
	s_delay_alu instid0(VALU_DEP_1) | instskip(SKIP_2) | instid1(VALU_DEP_1)
	v_cmp_gt_i32_e32 vcc_lo, 32, v5
	s_wait_alu 0xfffd
	v_cndmask_b32_e32 v5, v2, v5, vcc_lo
	v_lshlrev_b32_e32 v5, 2, v5
	s_wait_dscnt 0x0
	v_add_f32_e32 v3, v3, v4
	ds_bpermute_b32 v4, v5, v3
	v_xor_b32_e32 v5, 2, v2
	s_delay_alu instid0(VALU_DEP_1) | instskip(SKIP_2) | instid1(VALU_DEP_1)
	v_cmp_gt_i32_e32 vcc_lo, 32, v5
	s_wait_alu 0xfffd
	v_cndmask_b32_e32 v5, v2, v5, vcc_lo
	v_lshlrev_b32_e32 v5, 2, v5
	s_wait_dscnt 0x0
	v_add_f32_e32 v3, v3, v4
	ds_bpermute_b32 v4, v5, v3
	v_xor_b32_e32 v5, 1, v2
	s_delay_alu instid0(VALU_DEP_1) | instskip(SKIP_4) | instid1(VALU_DEP_2)
	v_cmp_gt_i32_e32 vcc_lo, 32, v5
	s_wait_alu 0xfffd
	v_cndmask_b32_e32 v5, v2, v5, vcc_lo
	v_cmp_eq_u32_e32 vcc_lo, 0, v0
	s_wait_dscnt 0x0
	v_dual_add_f32 v2, v3, v4 :: v_dual_lshlrev_b32 v3, 2, v5
	ds_bpermute_b32 v3, v3, v2
	s_and_b32 exec_lo, exec_lo, vcc_lo
	s_cbranch_execz .LBB257_7
; %bb.6:
	s_wait_alu 0xfffe
	v_mad_co_u64_u32 v[0:1], null, s6, s8, v[1:2]
	s_wait_dscnt 0x0
	v_dual_mov_b32 v1, 0 :: v_dual_add_f32 v2, v2, v3
	s_delay_alu instid0(VALU_DEP_1) | instskip(NEXT) | instid1(VALU_DEP_2)
	v_cvt_f16_f32_e32 v2, v2
	v_lshlrev_b64_e32 v[0:1], 1, v[0:1]
	s_wait_kmcnt 0x0
	s_delay_alu instid0(VALU_DEP_1) | instskip(SKIP_1) | instid1(VALU_DEP_2)
	v_add_co_u32 v0, vcc_lo, s2, v0
	s_wait_alu 0xfffd
	v_add_co_ci_u32_e64 v1, null, s3, v1, vcc_lo
	global_store_b16 v[0:1], v2, off
.LBB257_7:
	s_endpgm
	.section	.rodata,"a",@progbits
	.p2align	6, 0x0
	.amdhsa_kernel _ZL9moe_vec_qIN3c104HalfELi32ELi4E10block_q4_1Li2EXadL_ZL17vec_dot_q4_1_q8_1PKvPK10block_q8_1RKiEEEvS4_S4_PT_PS8_iiii
		.amdhsa_group_segment_fixed_size 0
		.amdhsa_private_segment_fixed_size 0
		.amdhsa_kernarg_size 304
		.amdhsa_user_sgpr_count 2
		.amdhsa_user_sgpr_dispatch_ptr 0
		.amdhsa_user_sgpr_queue_ptr 0
		.amdhsa_user_sgpr_kernarg_segment_ptr 1
		.amdhsa_user_sgpr_dispatch_id 0
		.amdhsa_user_sgpr_private_segment_size 0
		.amdhsa_wavefront_size32 1
		.amdhsa_uses_dynamic_stack 0
		.amdhsa_enable_private_segment 0
		.amdhsa_system_sgpr_workgroup_id_x 1
		.amdhsa_system_sgpr_workgroup_id_y 0
		.amdhsa_system_sgpr_workgroup_id_z 1
		.amdhsa_system_sgpr_workgroup_info 0
		.amdhsa_system_vgpr_workitem_id 1
		.amdhsa_next_free_vgpr 39
		.amdhsa_next_free_sgpr 19
		.amdhsa_reserve_vcc 1
		.amdhsa_float_round_mode_32 0
		.amdhsa_float_round_mode_16_64 0
		.amdhsa_float_denorm_mode_32 3
		.amdhsa_float_denorm_mode_16_64 3
		.amdhsa_fp16_overflow 0
		.amdhsa_workgroup_processor_mode 1
		.amdhsa_memory_ordered 1
		.amdhsa_forward_progress 1
		.amdhsa_inst_pref_size 11
		.amdhsa_round_robin_scheduling 0
		.amdhsa_exception_fp_ieee_invalid_op 0
		.amdhsa_exception_fp_denorm_src 0
		.amdhsa_exception_fp_ieee_div_zero 0
		.amdhsa_exception_fp_ieee_overflow 0
		.amdhsa_exception_fp_ieee_underflow 0
		.amdhsa_exception_fp_ieee_inexact 0
		.amdhsa_exception_int_div_zero 0
	.end_amdhsa_kernel
	.section	.text._ZL9moe_vec_qIN3c104HalfELi32ELi4E10block_q4_1Li2EXadL_ZL17vec_dot_q4_1_q8_1PKvPK10block_q8_1RKiEEEvS4_S4_PT_PS8_iiii,"axG",@progbits,_ZL9moe_vec_qIN3c104HalfELi32ELi4E10block_q4_1Li2EXadL_ZL17vec_dot_q4_1_q8_1PKvPK10block_q8_1RKiEEEvS4_S4_PT_PS8_iiii,comdat
.Lfunc_end257:
	.size	_ZL9moe_vec_qIN3c104HalfELi32ELi4E10block_q4_1Li2EXadL_ZL17vec_dot_q4_1_q8_1PKvPK10block_q8_1RKiEEEvS4_S4_PT_PS8_iiii, .Lfunc_end257-_ZL9moe_vec_qIN3c104HalfELi32ELi4E10block_q4_1Li2EXadL_ZL17vec_dot_q4_1_q8_1PKvPK10block_q8_1RKiEEEvS4_S4_PT_PS8_iiii
                                        ; -- End function
	.set _ZL9moe_vec_qIN3c104HalfELi32ELi4E10block_q4_1Li2EXadL_ZL17vec_dot_q4_1_q8_1PKvPK10block_q8_1RKiEEEvS4_S4_PT_PS8_iiii.num_vgpr, 39
	.set _ZL9moe_vec_qIN3c104HalfELi32ELi4E10block_q4_1Li2EXadL_ZL17vec_dot_q4_1_q8_1PKvPK10block_q8_1RKiEEEvS4_S4_PT_PS8_iiii.num_agpr, 0
	.set _ZL9moe_vec_qIN3c104HalfELi32ELi4E10block_q4_1Li2EXadL_ZL17vec_dot_q4_1_q8_1PKvPK10block_q8_1RKiEEEvS4_S4_PT_PS8_iiii.numbered_sgpr, 19
	.set _ZL9moe_vec_qIN3c104HalfELi32ELi4E10block_q4_1Li2EXadL_ZL17vec_dot_q4_1_q8_1PKvPK10block_q8_1RKiEEEvS4_S4_PT_PS8_iiii.num_named_barrier, 0
	.set _ZL9moe_vec_qIN3c104HalfELi32ELi4E10block_q4_1Li2EXadL_ZL17vec_dot_q4_1_q8_1PKvPK10block_q8_1RKiEEEvS4_S4_PT_PS8_iiii.private_seg_size, 0
	.set _ZL9moe_vec_qIN3c104HalfELi32ELi4E10block_q4_1Li2EXadL_ZL17vec_dot_q4_1_q8_1PKvPK10block_q8_1RKiEEEvS4_S4_PT_PS8_iiii.uses_vcc, 1
	.set _ZL9moe_vec_qIN3c104HalfELi32ELi4E10block_q4_1Li2EXadL_ZL17vec_dot_q4_1_q8_1PKvPK10block_q8_1RKiEEEvS4_S4_PT_PS8_iiii.uses_flat_scratch, 0
	.set _ZL9moe_vec_qIN3c104HalfELi32ELi4E10block_q4_1Li2EXadL_ZL17vec_dot_q4_1_q8_1PKvPK10block_q8_1RKiEEEvS4_S4_PT_PS8_iiii.has_dyn_sized_stack, 0
	.set _ZL9moe_vec_qIN3c104HalfELi32ELi4E10block_q4_1Li2EXadL_ZL17vec_dot_q4_1_q8_1PKvPK10block_q8_1RKiEEEvS4_S4_PT_PS8_iiii.has_recursion, 0
	.set _ZL9moe_vec_qIN3c104HalfELi32ELi4E10block_q4_1Li2EXadL_ZL17vec_dot_q4_1_q8_1PKvPK10block_q8_1RKiEEEvS4_S4_PT_PS8_iiii.has_indirect_call, 0
	.section	.AMDGPU.csdata,"",@progbits
; Kernel info:
; codeLenInByte = 1320
; TotalNumSgprs: 21
; NumVgprs: 39
; ScratchSize: 0
; MemoryBound: 0
; FloatMode: 240
; IeeeMode: 1
; LDSByteSize: 0 bytes/workgroup (compile time only)
; SGPRBlocks: 0
; VGPRBlocks: 4
; NumSGPRsForWavesPerEU: 21
; NumVGPRsForWavesPerEU: 39
; Occupancy: 16
; WaveLimiterHint : 1
; COMPUTE_PGM_RSRC2:SCRATCH_EN: 0
; COMPUTE_PGM_RSRC2:USER_SGPR: 2
; COMPUTE_PGM_RSRC2:TRAP_HANDLER: 0
; COMPUTE_PGM_RSRC2:TGID_X_EN: 1
; COMPUTE_PGM_RSRC2:TGID_Y_EN: 0
; COMPUTE_PGM_RSRC2:TGID_Z_EN: 1
; COMPUTE_PGM_RSRC2:TIDIG_COMP_CNT: 1
	.section	.text._ZL9moe_vec_qIN3c104HalfELi32ELi4E10block_q5_0Li2EXadL_ZL17vec_dot_q5_0_q8_1PKvPK10block_q8_1RKiEEEvS4_S4_PT_PS8_iiii,"axG",@progbits,_ZL9moe_vec_qIN3c104HalfELi32ELi4E10block_q5_0Li2EXadL_ZL17vec_dot_q5_0_q8_1PKvPK10block_q8_1RKiEEEvS4_S4_PT_PS8_iiii,comdat
	.globl	_ZL9moe_vec_qIN3c104HalfELi32ELi4E10block_q5_0Li2EXadL_ZL17vec_dot_q5_0_q8_1PKvPK10block_q8_1RKiEEEvS4_S4_PT_PS8_iiii ; -- Begin function _ZL9moe_vec_qIN3c104HalfELi32ELi4E10block_q5_0Li2EXadL_ZL17vec_dot_q5_0_q8_1PKvPK10block_q8_1RKiEEEvS4_S4_PT_PS8_iiii
	.p2align	8
	.type	_ZL9moe_vec_qIN3c104HalfELi32ELi4E10block_q5_0Li2EXadL_ZL17vec_dot_q5_0_q8_1PKvPK10block_q8_1RKiEEEvS4_S4_PT_PS8_iiii,@function
_ZL9moe_vec_qIN3c104HalfELi32ELi4E10block_q5_0Li2EXadL_ZL17vec_dot_q5_0_q8_1PKvPK10block_q8_1RKiEEEvS4_S4_PT_PS8_iiii: ; @_ZL9moe_vec_qIN3c104HalfELi32ELi4E10block_q5_0Li2EXadL_ZL17vec_dot_q5_0_q8_1PKvPK10block_q8_1RKiEEEvS4_S4_PT_PS8_iiii
; %bb.0:
	s_clause 0x1
	s_load_u16 s2, s[0:1], 0x3e
	s_load_b128 s[4:7], s[0:1], 0x20
	v_bfe_u32 v1, v0, 10, 10
	s_wait_kmcnt 0x0
	s_delay_alu instid0(VALU_DEP_1)
	v_mad_co_u64_u32 v[1:2], null, ttmp9, s2, v[1:2]
	s_mov_b32 s2, exec_lo
	v_cmpx_gt_u32_e64 s6, v1
	s_cbranch_execz .LBB258_7
; %bb.1:
	s_load_b64 s[2:3], s[0:1], 0x10
	s_cvt_f32_u32 s8, s4
	v_bfe_u32 v2, v0, 1, 9
	v_and_b32_e32 v0, 0x3ff, v0
	s_mov_b32 s11, exec_lo
	v_rcp_iflag_f32_e32 v3, s8
	s_ashr_i32 s8, s5, 31
	s_wait_alu 0xfffe
	s_lshr_b32 s8, s8, 27
	s_wait_alu 0xfffe
	s_add_co_i32 s5, s5, s8
	s_lshr_b32 s8, ttmp7, 16
	s_ashr_i32 s10, s5, 5
	s_delay_alu instid0(TRANS32_DEP_1)
	v_readfirstlane_b32 s5, v3
	v_mov_b32_e32 v3, 0
	v_cmpx_gt_u32_e64 s10, v2
	s_cbranch_execz .LBB258_5
; %bb.2:
	s_load_b64 s[12:13], s[0:1], 0x18
	s_mul_f32 s5, s5, 0x4f7ffffe
	s_sub_co_i32 s14, 0, s4
	s_lshl_b32 s15, s8, 2
	s_mov_b32 s9, 0
	s_cvt_u32_f32 s5, s5
	v_lshlrev_b32_e32 v3, 3, v0
	v_mul_lo_u32 v4, v1, s10
	s_delay_alu instid0(SALU_CYCLE_1) | instskip(NEXT) | instid1(SALU_CYCLE_1)
	s_mul_i32 s14, s14, s5
	s_mul_hi_u32 s14, s5, s14
	s_delay_alu instid0(VALU_DEP_2) | instskip(SKIP_1) | instid1(VALU_DEP_2)
	v_and_b32_e32 v5, 8, v3
	v_mov_b32_e32 v3, 0
	v_or_b32_e32 v6, 4, v5
	s_wait_kmcnt 0x0
	s_load_b32 s18, s[12:13], s15 offset:0x0
	s_mov_b32 s13, s9
	s_add_co_i32 s12, s5, s14
	s_delay_alu instid0(SALU_CYCLE_1)
	s_mul_u64 s[16:17], s[8:9], s[12:13]
	s_load_b128 s[12:15], s[0:1], 0x0
	s_mul_i32 s1, s17, s4
	s_add_co_i32 s5, s17, 1
	s_wait_alu 0xfffe
	s_sub_co_i32 s1, s8, s1
	s_mul_i32 s0, s10, s6
	s_wait_alu 0xfffe
	s_sub_co_i32 s16, s1, s4
	s_cmp_ge_u32 s1, s4
	s_cselect_b32 s5, s5, s17
	s_cselect_b32 s1, s16, s1
	s_add_co_i32 s16, s5, 1
	s_wait_alu 0xfffe
	s_cmp_ge_u32 s1, s4
	s_cselect_b32 s4, s16, s5
	s_mov_b32 s5, s9
	s_wait_kmcnt 0x0
	s_mul_i32 s0, s0, s18
	s_mul_i32 s4, s4, s7
	s_wait_alu 0xfffe
	s_ashr_i32 s1, s0, 31
	s_lshl_b64 s[4:5], s[4:5], 2
	s_wait_alu 0xfffe
	s_mul_u64 s[0:1], s[0:1], 22
	s_add_nc_u64 s[4:5], s[14:15], s[4:5]
	s_wait_alu 0xfffe
	s_add_nc_u64 s[0:1], s[12:13], s[0:1]
.LBB258_3:                              ; =>This Inner Loop Header: Depth=1
	v_add_nc_u32_e32 v9, v4, v2
	v_mad_co_i64_i32 v[7:8], null, v2, 36, s[4:5]
	v_add_nc_u32_e32 v2, 16, v2
	s_wait_alu 0xfffe
	s_delay_alu instid0(VALU_DEP_3) | instskip(NEXT) | instid1(VALU_DEP_3)
	v_mad_co_i64_i32 v[9:10], null, v9, 22, s[0:1]
	v_add_co_u32 v11, vcc_lo, v7, v5
	s_wait_alu 0xfffd
	s_delay_alu instid0(VALU_DEP_4) | instskip(NEXT) | instid1(VALU_DEP_3)
	v_add_co_ci_u32_e64 v12, null, 0, v8, vcc_lo
	v_add_co_u32 v13, vcc_lo, v9, v5
	s_wait_alu 0xfffd
	s_delay_alu instid0(VALU_DEP_4)
	v_add_co_ci_u32_e64 v14, null, 0, v10, vcc_lo
	v_cmp_le_u32_e32 vcc_lo, s10, v2
	global_load_b32 v17, v[9:10], off offset:2
	global_load_b64 v[15:16], v[11:12], off offset:4
	global_load_b64 v[13:14], v[13:14], off offset:6
	s_clause 0x1
	global_load_b64 v[11:12], v[11:12], off offset:20
	global_load_b32 v7, v[7:8], off
	global_load_u16 v8, v[9:10], off
	s_or_b32 s9, vcc_lo, s9
	s_wait_loadcnt 0x5
	v_ashrrev_i32_e32 v9, v5, v17
	v_ashrrev_i32_e32 v17, v6, v17
	s_wait_loadcnt 0x3
	v_and_b32_e32 v29, 0xf0f0f0f, v13
	v_lshrrev_b32_e32 v13, 4, v13
	v_and_b32_e32 v37, 0xf0f0f0f, v14
	v_lshlrev_b32_e32 v30, 4, v9
	v_lshlrev_b32_e32 v31, 11, v9
	;; [unrolled: 1-line block ×3, first 2 shown]
	v_lshrrev_b32_e32 v34, 12, v9
	v_lshrrev_b32_e32 v35, 5, v9
	v_lshlrev_b32_e32 v36, 2, v9
	v_lshlrev_b32_e32 v38, 4, v17
	v_lshlrev_b32_e32 v39, 11, v17
	v_lshlrev_b32_e32 v40, 18, v17
	v_lshrrev_b32_e32 v42, 12, v17
	v_lshrrev_b32_e32 v43, 5, v17
	v_lshlrev_b32_e32 v44, 2, v17
	v_lshlrev_b32_e32 v32, 18, v9
	;; [unrolled: 1-line block ×4, first 2 shown]
	v_lshrrev_b32_e32 v14, 4, v14
	v_lshlrev_b32_e32 v17, 9, v17
	v_and_b32_e32 v30, 16, v30
	v_and_b32_e32 v31, 0x1000, v31
	v_and_or_b32 v33, 0x10000000, v33, v29
	v_and_b32_e32 v34, 16, v34
	v_and_b32_e32 v35, 0x1000, v35
	;; [unrolled: 1-line block ×14, first 2 shown]
	v_or3_b32 v29, v30, v29, v31
	v_lshrrev_b32_e32 v30, 24, v33
	v_or3_b32 v31, v35, v34, v36
	v_or3_b32 v33, v39, v38, v40
	v_or3_b32 v34, v43, v42, v44
	v_lshrrev_b16 v10, 8, v15
	v_and_or_b32 v32, 0x100000, v32, v29
	v_lshrrev_b16 v29, 8, v29
	v_or3_b32 v9, v31, v9, v13
	v_or3_b32 v13, v33, v41, v37
	;; [unrolled: 1-line block ×3, first 2 shown]
	s_wait_loadcnt 0x2
	v_lshrrev_b16 v18, 8, v11
	v_ashrrev_i32_e32 v21, 24, v11
	v_ashrrev_i32_e32 v23, 24, v16
	v_bfe_i32 v24, v16, 16, 8
	v_bfe_i32 v25, v16, 8, 8
	;; [unrolled: 1-line block ×4, first 2 shown]
	v_bfe_u32 v17, v32, 16, 5
	v_and_b32_e32 v31, 31, v32
	v_and_b32_e32 v29, 0xffff, v29
	v_lshrrev_b32_e32 v32, 24, v9
	v_lshrrev_b16 v33, 8, v9
	v_lshrrev_b32_e32 v35, 24, v13
	v_lshrrev_b16 v36, 8, v13
	v_bfe_u32 v37, v13, 16, 5
	v_and_b32_e32 v13, 31, v13
	v_lshrrev_b16 v39, 8, v14
	v_ashrrev_i32_e32 v19, 24, v15
	v_bfe_i32 v22, v11, 16, 8
	v_bfe_i32 v11, v11, 0, 8
	v_ashrrev_i32_e32 v26, 24, v12
	v_bfe_i32 v28, v12, 8, 8
	v_bfe_i32 v18, v18, 0, 8
	v_bfe_u32 v34, v9, 16, 5
	v_and_b32_e32 v9, 31, v9
	v_lshrrev_b32_e32 v38, 24, v14
	v_mul_i32_i24_e32 v10, v29, v10
	v_and_b32_e32 v29, 0xffff, v33
	v_mul_i32_i24_e32 v21, v32, v21
	v_mul_i32_i24_e32 v13, v16, v13
	;; [unrolled: 1-line block ×3, first 2 shown]
	v_and_b32_e32 v24, 0xffff, v39
	v_bfe_i32 v20, v15, 16, 8
	v_bfe_i32 v15, v15, 0, 8
	;; [unrolled: 1-line block ×4, first 2 shown]
	v_bfe_u32 v40, v14, 16, 5
	v_and_b32_e32 v14, 31, v14
	v_mul_i32_i24_e32 v9, v9, v11
	v_mul_i32_i24_e32 v11, v34, v22
	v_and_b32_e32 v22, 0xffff, v36
	v_mul_i32_i24_e32 v23, v23, v35
	v_mul_i32_i24_e32 v26, v26, v38
	;; [unrolled: 1-line block ×4, first 2 shown]
	v_mad_i32_i24 v19, v30, v19, v21
	v_mul_i32_i24_e32 v12, v12, v14
	v_mul_i32_i24_e32 v14, v27, v40
	;; [unrolled: 1-line block ×3, first 2 shown]
	v_mad_i32_i24 v9, v31, v15, v9
	v_mad_i32_i24 v11, v17, v20, v11
	v_add3_u32 v10, v10, v18, v24
	v_add3_u32 v15, v19, v26, v23
	s_wait_loadcnt 0x1
	v_lshrrev_b32_e32 v17, 16, v7
	v_add3_u32 v9, v9, v12, v13
	v_add3_u32 v11, v11, v14, v16
	;; [unrolled: 1-line block ×3, first 2 shown]
	s_delay_alu instid0(VALU_DEP_4) | instskip(NEXT) | instid1(VALU_DEP_2)
	v_cvt_f32_f16_e32 v12, v17
	v_add3_u32 v9, v9, v11, v10
	s_delay_alu instid0(VALU_DEP_2) | instskip(NEXT) | instid1(VALU_DEP_2)
	v_mul_f32_e32 v10, 0xc1000000, v12
	v_cvt_f32_i32_e32 v9, v9
	s_delay_alu instid0(VALU_DEP_1) | instskip(SKIP_1) | instid1(VALU_DEP_1)
	v_fma_mix_f32 v7, v7, v9, v10 op_sel_hi:[1,0,0]
	s_wait_loadcnt 0x0
	v_fma_mix_f32 v3, v7, v8, v3 op_sel_hi:[0,1,0]
	s_wait_alu 0xfffe
	s_and_not1_b32 exec_lo, exec_lo, s9
	s_cbranch_execnz .LBB258_3
; %bb.4:
	s_or_b32 exec_lo, exec_lo, s9
.LBB258_5:
	s_delay_alu instid0(SALU_CYCLE_1) | instskip(SKIP_1) | instid1(VALU_DEP_1)
	s_or_b32 exec_lo, exec_lo, s11
	v_mbcnt_lo_u32_b32 v2, -1, 0
	v_xor_b32_e32 v4, 16, v2
	v_xor_b32_e32 v5, 8, v2
	s_delay_alu instid0(VALU_DEP_2) | instskip(SKIP_2) | instid1(VALU_DEP_3)
	v_cmp_gt_i32_e32 vcc_lo, 32, v4
	s_wait_alu 0xfffd
	v_cndmask_b32_e32 v4, v2, v4, vcc_lo
	v_cmp_gt_i32_e32 vcc_lo, 32, v5
	s_wait_alu 0xfffd
	v_cndmask_b32_e32 v5, v2, v5, vcc_lo
	s_delay_alu instid0(VALU_DEP_1)
	v_lshlrev_b32_e32 v5, 2, v5
	v_lshlrev_b32_e32 v4, 2, v4
	ds_bpermute_b32 v4, v4, v3
	s_wait_dscnt 0x0
	v_add_f32_e32 v3, v3, v4
	ds_bpermute_b32 v4, v5, v3
	v_xor_b32_e32 v5, 4, v2
	s_delay_alu instid0(VALU_DEP_1) | instskip(SKIP_2) | instid1(VALU_DEP_1)
	v_cmp_gt_i32_e32 vcc_lo, 32, v5
	s_wait_alu 0xfffd
	v_cndmask_b32_e32 v5, v2, v5, vcc_lo
	v_lshlrev_b32_e32 v5, 2, v5
	s_wait_dscnt 0x0
	v_add_f32_e32 v3, v3, v4
	ds_bpermute_b32 v4, v5, v3
	v_xor_b32_e32 v5, 2, v2
	s_delay_alu instid0(VALU_DEP_1) | instskip(SKIP_2) | instid1(VALU_DEP_1)
	v_cmp_gt_i32_e32 vcc_lo, 32, v5
	s_wait_alu 0xfffd
	v_cndmask_b32_e32 v5, v2, v5, vcc_lo
	v_lshlrev_b32_e32 v5, 2, v5
	s_wait_dscnt 0x0
	v_add_f32_e32 v3, v3, v4
	ds_bpermute_b32 v4, v5, v3
	v_xor_b32_e32 v5, 1, v2
	s_delay_alu instid0(VALU_DEP_1) | instskip(SKIP_4) | instid1(VALU_DEP_2)
	v_cmp_gt_i32_e32 vcc_lo, 32, v5
	s_wait_alu 0xfffd
	v_cndmask_b32_e32 v5, v2, v5, vcc_lo
	v_cmp_eq_u32_e32 vcc_lo, 0, v0
	s_wait_dscnt 0x0
	v_dual_add_f32 v2, v3, v4 :: v_dual_lshlrev_b32 v3, 2, v5
	ds_bpermute_b32 v3, v3, v2
	s_and_b32 exec_lo, exec_lo, vcc_lo
	s_cbranch_execz .LBB258_7
; %bb.6:
	s_wait_alu 0xfffe
	v_mad_co_u64_u32 v[0:1], null, s6, s8, v[1:2]
	s_wait_dscnt 0x0
	v_dual_mov_b32 v1, 0 :: v_dual_add_f32 v2, v2, v3
	s_delay_alu instid0(VALU_DEP_1) | instskip(NEXT) | instid1(VALU_DEP_2)
	v_cvt_f16_f32_e32 v2, v2
	v_lshlrev_b64_e32 v[0:1], 1, v[0:1]
	s_wait_kmcnt 0x0
	s_delay_alu instid0(VALU_DEP_1) | instskip(SKIP_1) | instid1(VALU_DEP_2)
	v_add_co_u32 v0, vcc_lo, s2, v0
	s_wait_alu 0xfffd
	v_add_co_ci_u32_e64 v1, null, s3, v1, vcc_lo
	global_store_b16 v[0:1], v2, off
.LBB258_7:
	s_endpgm
	.section	.rodata,"a",@progbits
	.p2align	6, 0x0
	.amdhsa_kernel _ZL9moe_vec_qIN3c104HalfELi32ELi4E10block_q5_0Li2EXadL_ZL17vec_dot_q5_0_q8_1PKvPK10block_q8_1RKiEEEvS4_S4_PT_PS8_iiii
		.amdhsa_group_segment_fixed_size 0
		.amdhsa_private_segment_fixed_size 0
		.amdhsa_kernarg_size 304
		.amdhsa_user_sgpr_count 2
		.amdhsa_user_sgpr_dispatch_ptr 0
		.amdhsa_user_sgpr_queue_ptr 0
		.amdhsa_user_sgpr_kernarg_segment_ptr 1
		.amdhsa_user_sgpr_dispatch_id 0
		.amdhsa_user_sgpr_private_segment_size 0
		.amdhsa_wavefront_size32 1
		.amdhsa_uses_dynamic_stack 0
		.amdhsa_enable_private_segment 0
		.amdhsa_system_sgpr_workgroup_id_x 1
		.amdhsa_system_sgpr_workgroup_id_y 0
		.amdhsa_system_sgpr_workgroup_id_z 1
		.amdhsa_system_sgpr_workgroup_info 0
		.amdhsa_system_vgpr_workitem_id 1
		.amdhsa_next_free_vgpr 45
		.amdhsa_next_free_sgpr 19
		.amdhsa_reserve_vcc 1
		.amdhsa_float_round_mode_32 0
		.amdhsa_float_round_mode_16_64 0
		.amdhsa_float_denorm_mode_32 3
		.amdhsa_float_denorm_mode_16_64 3
		.amdhsa_fp16_overflow 0
		.amdhsa_workgroup_processor_mode 1
		.amdhsa_memory_ordered 1
		.amdhsa_forward_progress 1
		.amdhsa_inst_pref_size 13
		.amdhsa_round_robin_scheduling 0
		.amdhsa_exception_fp_ieee_invalid_op 0
		.amdhsa_exception_fp_denorm_src 0
		.amdhsa_exception_fp_ieee_div_zero 0
		.amdhsa_exception_fp_ieee_overflow 0
		.amdhsa_exception_fp_ieee_underflow 0
		.amdhsa_exception_fp_ieee_inexact 0
		.amdhsa_exception_int_div_zero 0
	.end_amdhsa_kernel
	.section	.text._ZL9moe_vec_qIN3c104HalfELi32ELi4E10block_q5_0Li2EXadL_ZL17vec_dot_q5_0_q8_1PKvPK10block_q8_1RKiEEEvS4_S4_PT_PS8_iiii,"axG",@progbits,_ZL9moe_vec_qIN3c104HalfELi32ELi4E10block_q5_0Li2EXadL_ZL17vec_dot_q5_0_q8_1PKvPK10block_q8_1RKiEEEvS4_S4_PT_PS8_iiii,comdat
.Lfunc_end258:
	.size	_ZL9moe_vec_qIN3c104HalfELi32ELi4E10block_q5_0Li2EXadL_ZL17vec_dot_q5_0_q8_1PKvPK10block_q8_1RKiEEEvS4_S4_PT_PS8_iiii, .Lfunc_end258-_ZL9moe_vec_qIN3c104HalfELi32ELi4E10block_q5_0Li2EXadL_ZL17vec_dot_q5_0_q8_1PKvPK10block_q8_1RKiEEEvS4_S4_PT_PS8_iiii
                                        ; -- End function
	.set _ZL9moe_vec_qIN3c104HalfELi32ELi4E10block_q5_0Li2EXadL_ZL17vec_dot_q5_0_q8_1PKvPK10block_q8_1RKiEEEvS4_S4_PT_PS8_iiii.num_vgpr, 45
	.set _ZL9moe_vec_qIN3c104HalfELi32ELi4E10block_q5_0Li2EXadL_ZL17vec_dot_q5_0_q8_1PKvPK10block_q8_1RKiEEEvS4_S4_PT_PS8_iiii.num_agpr, 0
	.set _ZL9moe_vec_qIN3c104HalfELi32ELi4E10block_q5_0Li2EXadL_ZL17vec_dot_q5_0_q8_1PKvPK10block_q8_1RKiEEEvS4_S4_PT_PS8_iiii.numbered_sgpr, 19
	.set _ZL9moe_vec_qIN3c104HalfELi32ELi4E10block_q5_0Li2EXadL_ZL17vec_dot_q5_0_q8_1PKvPK10block_q8_1RKiEEEvS4_S4_PT_PS8_iiii.num_named_barrier, 0
	.set _ZL9moe_vec_qIN3c104HalfELi32ELi4E10block_q5_0Li2EXadL_ZL17vec_dot_q5_0_q8_1PKvPK10block_q8_1RKiEEEvS4_S4_PT_PS8_iiii.private_seg_size, 0
	.set _ZL9moe_vec_qIN3c104HalfELi32ELi4E10block_q5_0Li2EXadL_ZL17vec_dot_q5_0_q8_1PKvPK10block_q8_1RKiEEEvS4_S4_PT_PS8_iiii.uses_vcc, 1
	.set _ZL9moe_vec_qIN3c104HalfELi32ELi4E10block_q5_0Li2EXadL_ZL17vec_dot_q5_0_q8_1PKvPK10block_q8_1RKiEEEvS4_S4_PT_PS8_iiii.uses_flat_scratch, 0
	.set _ZL9moe_vec_qIN3c104HalfELi32ELi4E10block_q5_0Li2EXadL_ZL17vec_dot_q5_0_q8_1PKvPK10block_q8_1RKiEEEvS4_S4_PT_PS8_iiii.has_dyn_sized_stack, 0
	.set _ZL9moe_vec_qIN3c104HalfELi32ELi4E10block_q5_0Li2EXadL_ZL17vec_dot_q5_0_q8_1PKvPK10block_q8_1RKiEEEvS4_S4_PT_PS8_iiii.has_recursion, 0
	.set _ZL9moe_vec_qIN3c104HalfELi32ELi4E10block_q5_0Li2EXadL_ZL17vec_dot_q5_0_q8_1PKvPK10block_q8_1RKiEEEvS4_S4_PT_PS8_iiii.has_indirect_call, 0
	.section	.AMDGPU.csdata,"",@progbits
; Kernel info:
; codeLenInByte = 1576
; TotalNumSgprs: 21
; NumVgprs: 45
; ScratchSize: 0
; MemoryBound: 0
; FloatMode: 240
; IeeeMode: 1
; LDSByteSize: 0 bytes/workgroup (compile time only)
; SGPRBlocks: 0
; VGPRBlocks: 5
; NumSGPRsForWavesPerEU: 21
; NumVGPRsForWavesPerEU: 45
; Occupancy: 16
; WaveLimiterHint : 1
; COMPUTE_PGM_RSRC2:SCRATCH_EN: 0
; COMPUTE_PGM_RSRC2:USER_SGPR: 2
; COMPUTE_PGM_RSRC2:TRAP_HANDLER: 0
; COMPUTE_PGM_RSRC2:TGID_X_EN: 1
; COMPUTE_PGM_RSRC2:TGID_Y_EN: 0
; COMPUTE_PGM_RSRC2:TGID_Z_EN: 1
; COMPUTE_PGM_RSRC2:TIDIG_COMP_CNT: 1
	.section	.text._ZL9moe_vec_qIN3c104HalfELi32ELi4E10block_q5_1Li2EXadL_ZL17vec_dot_q5_1_q8_1PKvPK10block_q8_1RKiEEEvS4_S4_PT_PS8_iiii,"axG",@progbits,_ZL9moe_vec_qIN3c104HalfELi32ELi4E10block_q5_1Li2EXadL_ZL17vec_dot_q5_1_q8_1PKvPK10block_q8_1RKiEEEvS4_S4_PT_PS8_iiii,comdat
	.globl	_ZL9moe_vec_qIN3c104HalfELi32ELi4E10block_q5_1Li2EXadL_ZL17vec_dot_q5_1_q8_1PKvPK10block_q8_1RKiEEEvS4_S4_PT_PS8_iiii ; -- Begin function _ZL9moe_vec_qIN3c104HalfELi32ELi4E10block_q5_1Li2EXadL_ZL17vec_dot_q5_1_q8_1PKvPK10block_q8_1RKiEEEvS4_S4_PT_PS8_iiii
	.p2align	8
	.type	_ZL9moe_vec_qIN3c104HalfELi32ELi4E10block_q5_1Li2EXadL_ZL17vec_dot_q5_1_q8_1PKvPK10block_q8_1RKiEEEvS4_S4_PT_PS8_iiii,@function
_ZL9moe_vec_qIN3c104HalfELi32ELi4E10block_q5_1Li2EXadL_ZL17vec_dot_q5_1_q8_1PKvPK10block_q8_1RKiEEEvS4_S4_PT_PS8_iiii: ; @_ZL9moe_vec_qIN3c104HalfELi32ELi4E10block_q5_1Li2EXadL_ZL17vec_dot_q5_1_q8_1PKvPK10block_q8_1RKiEEEvS4_S4_PT_PS8_iiii
; %bb.0:
	s_clause 0x1
	s_load_u16 s2, s[0:1], 0x3e
	s_load_b128 s[4:7], s[0:1], 0x20
	v_bfe_u32 v1, v0, 10, 10
	s_wait_kmcnt 0x0
	s_delay_alu instid0(VALU_DEP_1)
	v_mad_co_u64_u32 v[1:2], null, ttmp9, s2, v[1:2]
	s_mov_b32 s2, exec_lo
	v_cmpx_gt_u32_e64 s6, v1
	s_cbranch_execz .LBB259_7
; %bb.1:
	s_load_b64 s[2:3], s[0:1], 0x10
	s_cvt_f32_u32 s8, s4
	v_bfe_u32 v2, v0, 1, 9
	v_and_b32_e32 v0, 0x3ff, v0
	s_mov_b32 s11, exec_lo
	v_rcp_iflag_f32_e32 v3, s8
	s_ashr_i32 s8, s5, 31
	s_wait_alu 0xfffe
	s_lshr_b32 s8, s8, 27
	s_wait_alu 0xfffe
	s_add_co_i32 s5, s5, s8
	s_lshr_b32 s8, ttmp7, 16
	s_ashr_i32 s10, s5, 5
	s_delay_alu instid0(TRANS32_DEP_1)
	v_readfirstlane_b32 s5, v3
	v_mov_b32_e32 v3, 0
	v_cmpx_gt_u32_e64 s10, v2
	s_cbranch_execz .LBB259_5
; %bb.2:
	s_load_b64 s[12:13], s[0:1], 0x18
	s_mul_f32 s5, s5, 0x4f7ffffe
	s_sub_co_i32 s14, 0, s4
	s_lshl_b32 s15, s8, 2
	s_mov_b32 s9, 0
	s_cvt_u32_f32 s5, s5
	v_lshlrev_b32_e32 v3, 3, v0
	v_mul_lo_u32 v4, v1, s10
	s_delay_alu instid0(SALU_CYCLE_1) | instskip(NEXT) | instid1(SALU_CYCLE_1)
	s_mul_i32 s14, s14, s5
	s_mul_hi_u32 s14, s5, s14
	s_delay_alu instid0(VALU_DEP_2) | instskip(SKIP_1) | instid1(VALU_DEP_2)
	v_and_b32_e32 v5, 8, v3
	v_mov_b32_e32 v3, 0
	v_or_b32_e32 v6, 4, v5
	s_wait_kmcnt 0x0
	s_load_b32 s18, s[12:13], s15 offset:0x0
	s_mov_b32 s13, s9
	s_add_co_i32 s12, s5, s14
	s_delay_alu instid0(SALU_CYCLE_1)
	s_mul_u64 s[16:17], s[8:9], s[12:13]
	s_load_b128 s[12:15], s[0:1], 0x0
	s_mul_i32 s1, s17, s4
	s_add_co_i32 s5, s17, 1
	s_wait_alu 0xfffe
	s_sub_co_i32 s1, s8, s1
	s_mul_i32 s0, s10, s6
	s_wait_alu 0xfffe
	s_sub_co_i32 s16, s1, s4
	s_cmp_ge_u32 s1, s4
	s_cselect_b32 s5, s5, s17
	s_cselect_b32 s1, s16, s1
	s_add_co_i32 s16, s5, 1
	s_wait_alu 0xfffe
	s_cmp_ge_u32 s1, s4
	s_cselect_b32 s4, s16, s5
	s_mov_b32 s5, s9
	s_wait_kmcnt 0x0
	s_mul_i32 s0, s0, s18
	s_mul_i32 s4, s4, s7
	s_wait_alu 0xfffe
	s_ashr_i32 s1, s0, 31
	s_lshl_b64 s[4:5], s[4:5], 2
	s_wait_alu 0xfffe
	s_mul_u64 s[0:1], s[0:1], 24
	s_add_nc_u64 s[4:5], s[14:15], s[4:5]
	s_wait_alu 0xfffe
	s_add_nc_u64 s[0:1], s[12:13], s[0:1]
.LBB259_3:                              ; =>This Inner Loop Header: Depth=1
	v_mad_co_i64_i32 v[7:8], null, v2, 36, s[4:5]
	v_add_nc_u32_e32 v9, v4, v2
	v_add_nc_u32_e32 v2, 16, v2
	s_wait_alu 0xfffe
	s_delay_alu instid0(VALU_DEP_2) | instskip(NEXT) | instid1(VALU_DEP_4)
	v_mad_co_i64_i32 v[9:10], null, v9, 24, s[0:1]
	v_add_co_u32 v11, vcc_lo, v7, v5
	s_wait_alu 0xfffd
	v_add_co_ci_u32_e64 v12, null, 0, v8, vcc_lo
	global_load_b64 v[13:14], v[9:10], off
	s_clause 0x1
	global_load_b64 v[15:16], v[11:12], off offset:4
	global_load_b64 v[11:12], v[11:12], off offset:20
	v_add_co_u32 v9, vcc_lo, v9, v5
	s_wait_alu 0xfffd
	v_add_co_ci_u32_e64 v10, null, 0, v10, vcc_lo
	v_cmp_le_u32_e32 vcc_lo, s10, v2
	global_load_b64 v[9:10], v[9:10], off offset:8
	global_load_b32 v7, v[7:8], off
	s_or_b32 s9, vcc_lo, s9
	s_wait_loadcnt 0x4
	v_ashrrev_i32_e32 v8, v5, v14
	v_ashrrev_i32_e32 v14, v6, v14
	s_wait_loadcnt 0x3
	v_lshrrev_b16 v17, 8, v15
	s_wait_loadcnt 0x2
	v_lshrrev_b16 v18, 8, v11
	v_ashrrev_i32_e32 v21, 24, v11
	v_lshlrev_b32_e32 v29, 4, v8
	v_lshlrev_b32_e32 v30, 11, v8
	;; [unrolled: 1-line block ×3, first 2 shown]
	v_lshrrev_b32_e32 v33, 12, v8
	v_lshrrev_b32_e32 v34, 5, v8
	s_wait_loadcnt 0x0
	v_pk_mul_f16 v7, v13, v7
	v_and_b32_e32 v13, 0xf0f0f0f, v9
	v_lshlrev_b32_e32 v35, 2, v8
	v_lshlrev_b32_e32 v37, 4, v14
	;; [unrolled: 1-line block ×4, first 2 shown]
	v_lshrrev_b32_e32 v41, 12, v14
	v_lshrrev_b32_e32 v42, 5, v14
	v_lshlrev_b32_e32 v43, 2, v14
	v_lshlrev_b32_e32 v31, 18, v8
	v_lshrrev_b32_e32 v9, 4, v9
	v_lshlrev_b32_e32 v8, 9, v8
	v_and_b32_e32 v36, 0xf0f0f0f, v10
	v_lshlrev_b32_e32 v40, 25, v14
	v_lshrrev_b32_e32 v10, 4, v10
	v_lshlrev_b32_e32 v14, 9, v14
	v_and_b32_e32 v29, 16, v29
	v_and_b32_e32 v30, 0x1000, v30
	v_and_or_b32 v32, 0x10000000, v32, v13
	v_and_b32_e32 v33, 16, v33
	v_and_b32_e32 v34, 0x1000, v34
	;; [unrolled: 1-line block ×14, first 2 shown]
	v_or3_b32 v13, v29, v13, v30
	v_lshrrev_b32_e32 v29, 24, v32
	v_or3_b32 v30, v34, v33, v35
	v_or3_b32 v32, v38, v37, v39
	;; [unrolled: 1-line block ×3, first 2 shown]
	v_and_or_b32 v31, 0x100000, v31, v13
	v_lshrrev_b16 v13, 8, v13
	v_or3_b32 v8, v30, v8, v9
	v_or3_b32 v9, v32, v40, v36
	;; [unrolled: 1-line block ×3, first 2 shown]
	v_ashrrev_i32_e32 v23, 24, v16
	v_bfe_i32 v24, v16, 16, 8
	v_bfe_i32 v25, v16, 8, 8
	;; [unrolled: 1-line block ×4, first 2 shown]
	v_bfe_u32 v14, v31, 16, 5
	v_and_b32_e32 v30, 31, v31
	v_and_b32_e32 v13, 0xffff, v13
	v_lshrrev_b32_e32 v31, 24, v8
	v_lshrrev_b16 v32, 8, v8
	v_lshrrev_b32_e32 v34, 24, v9
	v_lshrrev_b16 v35, 8, v9
	v_bfe_u32 v36, v9, 16, 5
	v_and_b32_e32 v9, 31, v9
	v_lshrrev_b16 v38, 8, v10
	v_ashrrev_i32_e32 v19, 24, v15
	v_bfe_i32 v22, v11, 16, 8
	v_bfe_i32 v11, v11, 0, 8
	v_ashrrev_i32_e32 v26, 24, v12
	v_bfe_i32 v28, v12, 8, 8
	v_bfe_i32 v18, v18, 0, 8
	v_bfe_u32 v33, v8, 16, 5
	v_and_b32_e32 v8, 31, v8
	v_lshrrev_b32_e32 v37, 24, v10
	v_mul_i32_i24_e32 v13, v13, v17
	v_and_b32_e32 v17, 0xffff, v32
	v_mul_i32_i24_e32 v21, v31, v21
	v_mul_i32_i24_e32 v9, v16, v9
	;; [unrolled: 1-line block ×3, first 2 shown]
	v_and_b32_e32 v24, 0xffff, v38
	v_bfe_i32 v20, v15, 16, 8
	v_bfe_i32 v15, v15, 0, 8
	;; [unrolled: 1-line block ×4, first 2 shown]
	v_bfe_u32 v39, v10, 16, 5
	v_and_b32_e32 v10, 31, v10
	v_mul_i32_i24_e32 v8, v8, v11
	v_mul_i32_i24_e32 v11, v33, v22
	v_and_b32_e32 v22, 0xffff, v35
	v_mul_i32_i24_e32 v23, v23, v34
	v_mul_i32_i24_e32 v26, v26, v37
	;; [unrolled: 1-line block ×4, first 2 shown]
	v_mad_i32_i24 v19, v29, v19, v21
	v_mul_i32_i24_e32 v10, v12, v10
	v_mul_i32_i24_e32 v12, v27, v39
	;; [unrolled: 1-line block ×3, first 2 shown]
	v_mad_i32_i24 v8, v30, v15, v8
	v_mad_i32_i24 v11, v14, v20, v11
	v_add3_u32 v13, v13, v17, v18
	v_add3_u32 v14, v19, v26, v23
	v_lshrrev_b32_e32 v15, 16, v7
	v_add3_u32 v8, v8, v10, v9
	v_add3_u32 v11, v11, v12, v16
	s_delay_alu instid0(VALU_DEP_4) | instskip(NEXT) | instid1(VALU_DEP_4)
	v_add3_u32 v9, v13, v21, v14
	v_cvt_f32_f16_e32 v10, v15
	s_delay_alu instid0(VALU_DEP_2) | instskip(NEXT) | instid1(VALU_DEP_2)
	v_add3_u32 v8, v8, v11, v9
	v_mul_f32_e32 v9, 0.5, v10
	s_delay_alu instid0(VALU_DEP_2) | instskip(NEXT) | instid1(VALU_DEP_1)
	v_cvt_f32_i32_e32 v8, v8
	v_fma_mix_f32 v7, v8, v7, v9 op_sel_hi:[0,1,0]
	s_delay_alu instid0(VALU_DEP_1)
	v_add_f32_e32 v3, v3, v7
	s_wait_alu 0xfffe
	s_and_not1_b32 exec_lo, exec_lo, s9
	s_cbranch_execnz .LBB259_3
; %bb.4:
	s_or_b32 exec_lo, exec_lo, s9
.LBB259_5:
	s_delay_alu instid0(SALU_CYCLE_1) | instskip(SKIP_1) | instid1(VALU_DEP_1)
	s_or_b32 exec_lo, exec_lo, s11
	v_mbcnt_lo_u32_b32 v2, -1, 0
	v_xor_b32_e32 v4, 16, v2
	v_xor_b32_e32 v5, 8, v2
	s_delay_alu instid0(VALU_DEP_2) | instskip(SKIP_2) | instid1(VALU_DEP_3)
	v_cmp_gt_i32_e32 vcc_lo, 32, v4
	s_wait_alu 0xfffd
	v_cndmask_b32_e32 v4, v2, v4, vcc_lo
	v_cmp_gt_i32_e32 vcc_lo, 32, v5
	s_wait_alu 0xfffd
	v_cndmask_b32_e32 v5, v2, v5, vcc_lo
	s_delay_alu instid0(VALU_DEP_1)
	v_lshlrev_b32_e32 v5, 2, v5
	v_lshlrev_b32_e32 v4, 2, v4
	ds_bpermute_b32 v4, v4, v3
	s_wait_dscnt 0x0
	v_add_f32_e32 v3, v3, v4
	ds_bpermute_b32 v4, v5, v3
	v_xor_b32_e32 v5, 4, v2
	s_delay_alu instid0(VALU_DEP_1) | instskip(SKIP_2) | instid1(VALU_DEP_1)
	v_cmp_gt_i32_e32 vcc_lo, 32, v5
	s_wait_alu 0xfffd
	v_cndmask_b32_e32 v5, v2, v5, vcc_lo
	v_lshlrev_b32_e32 v5, 2, v5
	s_wait_dscnt 0x0
	v_add_f32_e32 v3, v3, v4
	ds_bpermute_b32 v4, v5, v3
	v_xor_b32_e32 v5, 2, v2
	s_delay_alu instid0(VALU_DEP_1) | instskip(SKIP_2) | instid1(VALU_DEP_1)
	v_cmp_gt_i32_e32 vcc_lo, 32, v5
	s_wait_alu 0xfffd
	v_cndmask_b32_e32 v5, v2, v5, vcc_lo
	v_lshlrev_b32_e32 v5, 2, v5
	s_wait_dscnt 0x0
	v_add_f32_e32 v3, v3, v4
	ds_bpermute_b32 v4, v5, v3
	v_xor_b32_e32 v5, 1, v2
	s_delay_alu instid0(VALU_DEP_1) | instskip(SKIP_4) | instid1(VALU_DEP_2)
	v_cmp_gt_i32_e32 vcc_lo, 32, v5
	s_wait_alu 0xfffd
	v_cndmask_b32_e32 v5, v2, v5, vcc_lo
	v_cmp_eq_u32_e32 vcc_lo, 0, v0
	s_wait_dscnt 0x0
	v_dual_add_f32 v2, v3, v4 :: v_dual_lshlrev_b32 v3, 2, v5
	ds_bpermute_b32 v3, v3, v2
	s_and_b32 exec_lo, exec_lo, vcc_lo
	s_cbranch_execz .LBB259_7
; %bb.6:
	s_wait_alu 0xfffe
	v_mad_co_u64_u32 v[0:1], null, s6, s8, v[1:2]
	s_wait_dscnt 0x0
	v_dual_mov_b32 v1, 0 :: v_dual_add_f32 v2, v2, v3
	s_delay_alu instid0(VALU_DEP_1) | instskip(NEXT) | instid1(VALU_DEP_2)
	v_cvt_f16_f32_e32 v2, v2
	v_lshlrev_b64_e32 v[0:1], 1, v[0:1]
	s_wait_kmcnt 0x0
	s_delay_alu instid0(VALU_DEP_1) | instskip(SKIP_1) | instid1(VALU_DEP_2)
	v_add_co_u32 v0, vcc_lo, s2, v0
	s_wait_alu 0xfffd
	v_add_co_ci_u32_e64 v1, null, s3, v1, vcc_lo
	global_store_b16 v[0:1], v2, off
.LBB259_7:
	s_endpgm
	.section	.rodata,"a",@progbits
	.p2align	6, 0x0
	.amdhsa_kernel _ZL9moe_vec_qIN3c104HalfELi32ELi4E10block_q5_1Li2EXadL_ZL17vec_dot_q5_1_q8_1PKvPK10block_q8_1RKiEEEvS4_S4_PT_PS8_iiii
		.amdhsa_group_segment_fixed_size 0
		.amdhsa_private_segment_fixed_size 0
		.amdhsa_kernarg_size 304
		.amdhsa_user_sgpr_count 2
		.amdhsa_user_sgpr_dispatch_ptr 0
		.amdhsa_user_sgpr_queue_ptr 0
		.amdhsa_user_sgpr_kernarg_segment_ptr 1
		.amdhsa_user_sgpr_dispatch_id 0
		.amdhsa_user_sgpr_private_segment_size 0
		.amdhsa_wavefront_size32 1
		.amdhsa_uses_dynamic_stack 0
		.amdhsa_enable_private_segment 0
		.amdhsa_system_sgpr_workgroup_id_x 1
		.amdhsa_system_sgpr_workgroup_id_y 0
		.amdhsa_system_sgpr_workgroup_id_z 1
		.amdhsa_system_sgpr_workgroup_info 0
		.amdhsa_system_vgpr_workitem_id 1
		.amdhsa_next_free_vgpr 44
		.amdhsa_next_free_sgpr 19
		.amdhsa_reserve_vcc 1
		.amdhsa_float_round_mode_32 0
		.amdhsa_float_round_mode_16_64 0
		.amdhsa_float_denorm_mode_32 3
		.amdhsa_float_denorm_mode_16_64 3
		.amdhsa_fp16_overflow 0
		.amdhsa_workgroup_processor_mode 1
		.amdhsa_memory_ordered 1
		.amdhsa_forward_progress 1
		.amdhsa_inst_pref_size 13
		.amdhsa_round_robin_scheduling 0
		.amdhsa_exception_fp_ieee_invalid_op 0
		.amdhsa_exception_fp_denorm_src 0
		.amdhsa_exception_fp_ieee_div_zero 0
		.amdhsa_exception_fp_ieee_overflow 0
		.amdhsa_exception_fp_ieee_underflow 0
		.amdhsa_exception_fp_ieee_inexact 0
		.amdhsa_exception_int_div_zero 0
	.end_amdhsa_kernel
	.section	.text._ZL9moe_vec_qIN3c104HalfELi32ELi4E10block_q5_1Li2EXadL_ZL17vec_dot_q5_1_q8_1PKvPK10block_q8_1RKiEEEvS4_S4_PT_PS8_iiii,"axG",@progbits,_ZL9moe_vec_qIN3c104HalfELi32ELi4E10block_q5_1Li2EXadL_ZL17vec_dot_q5_1_q8_1PKvPK10block_q8_1RKiEEEvS4_S4_PT_PS8_iiii,comdat
.Lfunc_end259:
	.size	_ZL9moe_vec_qIN3c104HalfELi32ELi4E10block_q5_1Li2EXadL_ZL17vec_dot_q5_1_q8_1PKvPK10block_q8_1RKiEEEvS4_S4_PT_PS8_iiii, .Lfunc_end259-_ZL9moe_vec_qIN3c104HalfELi32ELi4E10block_q5_1Li2EXadL_ZL17vec_dot_q5_1_q8_1PKvPK10block_q8_1RKiEEEvS4_S4_PT_PS8_iiii
                                        ; -- End function
	.set _ZL9moe_vec_qIN3c104HalfELi32ELi4E10block_q5_1Li2EXadL_ZL17vec_dot_q5_1_q8_1PKvPK10block_q8_1RKiEEEvS4_S4_PT_PS8_iiii.num_vgpr, 44
	.set _ZL9moe_vec_qIN3c104HalfELi32ELi4E10block_q5_1Li2EXadL_ZL17vec_dot_q5_1_q8_1PKvPK10block_q8_1RKiEEEvS4_S4_PT_PS8_iiii.num_agpr, 0
	.set _ZL9moe_vec_qIN3c104HalfELi32ELi4E10block_q5_1Li2EXadL_ZL17vec_dot_q5_1_q8_1PKvPK10block_q8_1RKiEEEvS4_S4_PT_PS8_iiii.numbered_sgpr, 19
	.set _ZL9moe_vec_qIN3c104HalfELi32ELi4E10block_q5_1Li2EXadL_ZL17vec_dot_q5_1_q8_1PKvPK10block_q8_1RKiEEEvS4_S4_PT_PS8_iiii.num_named_barrier, 0
	.set _ZL9moe_vec_qIN3c104HalfELi32ELi4E10block_q5_1Li2EXadL_ZL17vec_dot_q5_1_q8_1PKvPK10block_q8_1RKiEEEvS4_S4_PT_PS8_iiii.private_seg_size, 0
	.set _ZL9moe_vec_qIN3c104HalfELi32ELi4E10block_q5_1Li2EXadL_ZL17vec_dot_q5_1_q8_1PKvPK10block_q8_1RKiEEEvS4_S4_PT_PS8_iiii.uses_vcc, 1
	.set _ZL9moe_vec_qIN3c104HalfELi32ELi4E10block_q5_1Li2EXadL_ZL17vec_dot_q5_1_q8_1PKvPK10block_q8_1RKiEEEvS4_S4_PT_PS8_iiii.uses_flat_scratch, 0
	.set _ZL9moe_vec_qIN3c104HalfELi32ELi4E10block_q5_1Li2EXadL_ZL17vec_dot_q5_1_q8_1PKvPK10block_q8_1RKiEEEvS4_S4_PT_PS8_iiii.has_dyn_sized_stack, 0
	.set _ZL9moe_vec_qIN3c104HalfELi32ELi4E10block_q5_1Li2EXadL_ZL17vec_dot_q5_1_q8_1PKvPK10block_q8_1RKiEEEvS4_S4_PT_PS8_iiii.has_recursion, 0
	.set _ZL9moe_vec_qIN3c104HalfELi32ELi4E10block_q5_1Li2EXadL_ZL17vec_dot_q5_1_q8_1PKvPK10block_q8_1RKiEEEvS4_S4_PT_PS8_iiii.has_indirect_call, 0
	.section	.AMDGPU.csdata,"",@progbits
; Kernel info:
; codeLenInByte = 1556
; TotalNumSgprs: 21
; NumVgprs: 44
; ScratchSize: 0
; MemoryBound: 0
; FloatMode: 240
; IeeeMode: 1
; LDSByteSize: 0 bytes/workgroup (compile time only)
; SGPRBlocks: 0
; VGPRBlocks: 5
; NumSGPRsForWavesPerEU: 21
; NumVGPRsForWavesPerEU: 44
; Occupancy: 16
; WaveLimiterHint : 1
; COMPUTE_PGM_RSRC2:SCRATCH_EN: 0
; COMPUTE_PGM_RSRC2:USER_SGPR: 2
; COMPUTE_PGM_RSRC2:TRAP_HANDLER: 0
; COMPUTE_PGM_RSRC2:TGID_X_EN: 1
; COMPUTE_PGM_RSRC2:TGID_Y_EN: 0
; COMPUTE_PGM_RSRC2:TGID_Z_EN: 1
; COMPUTE_PGM_RSRC2:TIDIG_COMP_CNT: 1
	.section	.text._ZL9moe_vec_qIN3c104HalfELi32ELi8E10block_q8_0Li2EXadL_ZL17vec_dot_q8_0_q8_1PKvPK10block_q8_1RKiEEEvS4_S4_PT_PS8_iiii,"axG",@progbits,_ZL9moe_vec_qIN3c104HalfELi32ELi8E10block_q8_0Li2EXadL_ZL17vec_dot_q8_0_q8_1PKvPK10block_q8_1RKiEEEvS4_S4_PT_PS8_iiii,comdat
	.globl	_ZL9moe_vec_qIN3c104HalfELi32ELi8E10block_q8_0Li2EXadL_ZL17vec_dot_q8_0_q8_1PKvPK10block_q8_1RKiEEEvS4_S4_PT_PS8_iiii ; -- Begin function _ZL9moe_vec_qIN3c104HalfELi32ELi8E10block_q8_0Li2EXadL_ZL17vec_dot_q8_0_q8_1PKvPK10block_q8_1RKiEEEvS4_S4_PT_PS8_iiii
	.p2align	8
	.type	_ZL9moe_vec_qIN3c104HalfELi32ELi8E10block_q8_0Li2EXadL_ZL17vec_dot_q8_0_q8_1PKvPK10block_q8_1RKiEEEvS4_S4_PT_PS8_iiii,@function
_ZL9moe_vec_qIN3c104HalfELi32ELi8E10block_q8_0Li2EXadL_ZL17vec_dot_q8_0_q8_1PKvPK10block_q8_1RKiEEEvS4_S4_PT_PS8_iiii: ; @_ZL9moe_vec_qIN3c104HalfELi32ELi8E10block_q8_0Li2EXadL_ZL17vec_dot_q8_0_q8_1PKvPK10block_q8_1RKiEEEvS4_S4_PT_PS8_iiii
; %bb.0:
	s_clause 0x1
	s_load_u16 s2, s[0:1], 0x3e
	s_load_b128 s[4:7], s[0:1], 0x20
	v_bfe_u32 v1, v0, 10, 10
	s_wait_kmcnt 0x0
	s_delay_alu instid0(VALU_DEP_1)
	v_mad_co_u64_u32 v[1:2], null, ttmp9, s2, v[1:2]
	s_mov_b32 s2, exec_lo
	v_cmpx_gt_u32_e64 s6, v1
	s_cbranch_execz .LBB260_7
; %bb.1:
	s_load_b64 s[2:3], s[0:1], 0x10
	s_cvt_f32_u32 s8, s4
	v_bfe_u32 v2, v0, 2, 8
	v_and_b32_e32 v0, 0x3ff, v0
	s_mov_b32 s11, exec_lo
	v_rcp_iflag_f32_e32 v3, s8
	s_ashr_i32 s8, s5, 31
	s_wait_alu 0xfffe
	s_lshr_b32 s8, s8, 27
	s_wait_alu 0xfffe
	s_add_co_i32 s5, s5, s8
	s_lshr_b32 s8, ttmp7, 16
	s_ashr_i32 s10, s5, 5
	s_delay_alu instid0(TRANS32_DEP_1)
	v_readfirstlane_b32 s5, v3
	v_mov_b32_e32 v3, 0
	v_cmpx_gt_u32_e64 s10, v2
	s_cbranch_execz .LBB260_5
; %bb.2:
	s_load_b64 s[12:13], s[0:1], 0x18
	s_mul_f32 s5, s5, 0x4f7ffffe
	s_sub_co_i32 s14, 0, s4
	s_lshl_b32 s15, s8, 2
	s_mov_b32 s9, 0
	s_cvt_u32_f32 s5, s5
	v_lshlrev_b32_e32 v5, 3, v0
	v_mul_lo_u32 v4, v1, s10
	v_mov_b32_e32 v3, 0
	s_mul_i32 s14, s14, s5
	s_delay_alu instid0(SALU_CYCLE_1)
	s_mul_hi_u32 s14, s5, s14
	v_and_b32_e32 v5, 24, v5
	s_wait_kmcnt 0x0
	s_load_b32 s18, s[12:13], s15 offset:0x0
	s_mov_b32 s13, s9
	s_add_co_i32 s12, s5, s14
	s_delay_alu instid0(SALU_CYCLE_1)
	s_mul_u64 s[16:17], s[8:9], s[12:13]
	s_load_b128 s[12:15], s[0:1], 0x0
	s_mul_i32 s1, s17, s4
	s_add_co_i32 s5, s17, 1
	s_wait_alu 0xfffe
	s_sub_co_i32 s1, s8, s1
	s_mul_i32 s0, s10, s6
	s_wait_alu 0xfffe
	s_sub_co_i32 s16, s1, s4
	s_cmp_ge_u32 s1, s4
	s_cselect_b32 s5, s5, s17
	s_cselect_b32 s1, s16, s1
	s_add_co_i32 s16, s5, 1
	s_wait_alu 0xfffe
	s_cmp_ge_u32 s1, s4
	s_cselect_b32 s4, s16, s5
	s_mov_b32 s5, s9
	s_wait_kmcnt 0x0
	s_mul_i32 s0, s0, s18
	s_mul_i32 s4, s4, s7
	s_wait_alu 0xfffe
	s_ashr_i32 s1, s0, 31
	s_lshl_b64 s[4:5], s[4:5], 2
	s_wait_alu 0xfffe
	s_mul_u64 s[0:1], s[0:1], 34
	s_add_nc_u64 s[4:5], s[14:15], s[4:5]
	s_wait_alu 0xfffe
	s_add_nc_u64 s[0:1], s[12:13], s[0:1]
.LBB260_3:                              ; =>This Inner Loop Header: Depth=1
	v_add_nc_u32_e32 v8, v4, v2
	v_mad_co_i64_i32 v[6:7], null, v2, 36, s[4:5]
	v_add_nc_u32_e32 v2, 8, v2
	s_wait_alu 0xfffe
	s_delay_alu instid0(VALU_DEP_3) | instskip(NEXT) | instid1(VALU_DEP_3)
	v_mad_co_i64_i32 v[8:9], null, v8, 34, s[0:1]
	v_add_co_u32 v10, vcc_lo, v6, v5
	s_wait_alu 0xfffd
	s_delay_alu instid0(VALU_DEP_4) | instskip(NEXT) | instid1(VALU_DEP_3)
	v_add_co_ci_u32_e64 v11, null, 0, v7, vcc_lo
	v_add_co_u32 v12, vcc_lo, v8, v5
	s_wait_alu 0xfffd
	s_delay_alu instid0(VALU_DEP_4)
	v_add_co_ci_u32_e64 v13, null, 0, v9, vcc_lo
	global_load_b64 v[10:11], v[10:11], off offset:4
	v_cmp_le_u32_e32 vcc_lo, s10, v2
	s_clause 0x1
	global_load_b32 v14, v[12:13], off offset:2
	global_load_b32 v12, v[12:13], off offset:6
	global_load_b32 v6, v[6:7], off
	global_load_u16 v7, v[8:9], off
	s_or_b32 s9, vcc_lo, s9
	s_wait_loadcnt 0x4
	v_lshrrev_b16 v8, 8, v10
	v_bfe_i32 v9, v10, 0, 8
	v_ashrrev_i32_e32 v13, 24, v10
	v_bfe_i32 v10, v10, 16, 8
	s_wait_loadcnt 0x3
	v_lshrrev_b16 v18, 8, v14
	v_bfe_i32 v19, v14, 0, 8
	v_ashrrev_i32_e32 v20, 24, v14
	v_bfe_i32 v14, v14, 16, 8
	v_bfe_i32 v15, v11, 0, 8
	;; [unrolled: 1-line block ×4, first 2 shown]
	v_ashrrev_i32_e32 v11, 24, v11
	v_bfe_i32 v8, v8, 0, 8
	s_wait_loadcnt 0x2
	v_bfe_i32 v22, v12, 8, 8
	v_ashrrev_i32_e32 v23, 24, v12
	v_bfe_i32 v18, v18, 0, 8
	v_mul_i32_i24_e32 v10, v10, v14
	v_mul_i32_i24_e32 v13, v13, v20
	v_bfe_i32 v21, v12, 0, 8
	v_bfe_i32 v12, v12, 16, 8
	v_mul_i32_i24_e32 v14, v16, v22
	v_mul_i32_i24_e32 v11, v11, v23
	v_mad_i32_i24 v9, v9, v19, v10
	v_mad_i32_i24 v8, v8, v18, v13
	v_mul_i32_i24_e32 v10, v17, v12
	v_mad_i32_i24 v12, v15, v21, v14
	s_wait_loadcnt 0x1
	v_cvt_f32_f16_e32 v6, v6
	s_wait_loadcnt 0x0
	v_cvt_f32_f16_e32 v7, v7
	v_add3_u32 v8, v9, v8, v11
	s_delay_alu instid0(VALU_DEP_2) | instskip(NEXT) | instid1(VALU_DEP_2)
	v_mul_f32_e32 v6, v7, v6
	v_add3_u32 v8, v8, v12, v10
	s_delay_alu instid0(VALU_DEP_1) | instskip(NEXT) | instid1(VALU_DEP_1)
	v_cvt_f32_i32_e32 v7, v8
	v_fmac_f32_e32 v3, v6, v7
	s_wait_alu 0xfffe
	s_and_not1_b32 exec_lo, exec_lo, s9
	s_cbranch_execnz .LBB260_3
; %bb.4:
	s_or_b32 exec_lo, exec_lo, s9
.LBB260_5:
	s_delay_alu instid0(SALU_CYCLE_1) | instskip(SKIP_1) | instid1(VALU_DEP_1)
	s_or_b32 exec_lo, exec_lo, s11
	v_mbcnt_lo_u32_b32 v2, -1, 0
	v_xor_b32_e32 v4, 16, v2
	v_xor_b32_e32 v5, 8, v2
	s_delay_alu instid0(VALU_DEP_2) | instskip(SKIP_2) | instid1(VALU_DEP_3)
	v_cmp_gt_i32_e32 vcc_lo, 32, v4
	s_wait_alu 0xfffd
	v_cndmask_b32_e32 v4, v2, v4, vcc_lo
	v_cmp_gt_i32_e32 vcc_lo, 32, v5
	s_wait_alu 0xfffd
	v_cndmask_b32_e32 v5, v2, v5, vcc_lo
	s_delay_alu instid0(VALU_DEP_1)
	v_lshlrev_b32_e32 v5, 2, v5
	v_lshlrev_b32_e32 v4, 2, v4
	ds_bpermute_b32 v4, v4, v3
	s_wait_dscnt 0x0
	v_add_f32_e32 v3, v3, v4
	ds_bpermute_b32 v4, v5, v3
	v_xor_b32_e32 v5, 4, v2
	s_delay_alu instid0(VALU_DEP_1) | instskip(SKIP_2) | instid1(VALU_DEP_1)
	v_cmp_gt_i32_e32 vcc_lo, 32, v5
	s_wait_alu 0xfffd
	v_cndmask_b32_e32 v5, v2, v5, vcc_lo
	v_lshlrev_b32_e32 v5, 2, v5
	s_wait_dscnt 0x0
	v_add_f32_e32 v3, v3, v4
	ds_bpermute_b32 v4, v5, v3
	v_xor_b32_e32 v5, 2, v2
	s_delay_alu instid0(VALU_DEP_1) | instskip(SKIP_2) | instid1(VALU_DEP_1)
	v_cmp_gt_i32_e32 vcc_lo, 32, v5
	s_wait_alu 0xfffd
	v_cndmask_b32_e32 v5, v2, v5, vcc_lo
	v_lshlrev_b32_e32 v5, 2, v5
	s_wait_dscnt 0x0
	v_add_f32_e32 v3, v3, v4
	ds_bpermute_b32 v4, v5, v3
	v_xor_b32_e32 v5, 1, v2
	s_delay_alu instid0(VALU_DEP_1) | instskip(SKIP_4) | instid1(VALU_DEP_2)
	v_cmp_gt_i32_e32 vcc_lo, 32, v5
	s_wait_alu 0xfffd
	v_cndmask_b32_e32 v5, v2, v5, vcc_lo
	v_cmp_eq_u32_e32 vcc_lo, 0, v0
	s_wait_dscnt 0x0
	v_dual_add_f32 v2, v3, v4 :: v_dual_lshlrev_b32 v3, 2, v5
	ds_bpermute_b32 v3, v3, v2
	s_and_b32 exec_lo, exec_lo, vcc_lo
	s_cbranch_execz .LBB260_7
; %bb.6:
	s_wait_alu 0xfffe
	v_mad_co_u64_u32 v[0:1], null, s6, s8, v[1:2]
	s_wait_dscnt 0x0
	v_dual_mov_b32 v1, 0 :: v_dual_add_f32 v2, v2, v3
	s_delay_alu instid0(VALU_DEP_1) | instskip(NEXT) | instid1(VALU_DEP_2)
	v_cvt_f16_f32_e32 v2, v2
	v_lshlrev_b64_e32 v[0:1], 1, v[0:1]
	s_wait_kmcnt 0x0
	s_delay_alu instid0(VALU_DEP_1) | instskip(SKIP_1) | instid1(VALU_DEP_2)
	v_add_co_u32 v0, vcc_lo, s2, v0
	s_wait_alu 0xfffd
	v_add_co_ci_u32_e64 v1, null, s3, v1, vcc_lo
	global_store_b16 v[0:1], v2, off
.LBB260_7:
	s_endpgm
	.section	.rodata,"a",@progbits
	.p2align	6, 0x0
	.amdhsa_kernel _ZL9moe_vec_qIN3c104HalfELi32ELi8E10block_q8_0Li2EXadL_ZL17vec_dot_q8_0_q8_1PKvPK10block_q8_1RKiEEEvS4_S4_PT_PS8_iiii
		.amdhsa_group_segment_fixed_size 0
		.amdhsa_private_segment_fixed_size 0
		.amdhsa_kernarg_size 304
		.amdhsa_user_sgpr_count 2
		.amdhsa_user_sgpr_dispatch_ptr 0
		.amdhsa_user_sgpr_queue_ptr 0
		.amdhsa_user_sgpr_kernarg_segment_ptr 1
		.amdhsa_user_sgpr_dispatch_id 0
		.amdhsa_user_sgpr_private_segment_size 0
		.amdhsa_wavefront_size32 1
		.amdhsa_uses_dynamic_stack 0
		.amdhsa_enable_private_segment 0
		.amdhsa_system_sgpr_workgroup_id_x 1
		.amdhsa_system_sgpr_workgroup_id_y 0
		.amdhsa_system_sgpr_workgroup_id_z 1
		.amdhsa_system_sgpr_workgroup_info 0
		.amdhsa_system_vgpr_workitem_id 1
		.amdhsa_next_free_vgpr 24
		.amdhsa_next_free_sgpr 19
		.amdhsa_reserve_vcc 1
		.amdhsa_float_round_mode_32 0
		.amdhsa_float_round_mode_16_64 0
		.amdhsa_float_denorm_mode_32 3
		.amdhsa_float_denorm_mode_16_64 3
		.amdhsa_fp16_overflow 0
		.amdhsa_workgroup_processor_mode 1
		.amdhsa_memory_ordered 1
		.amdhsa_forward_progress 1
		.amdhsa_inst_pref_size 9
		.amdhsa_round_robin_scheduling 0
		.amdhsa_exception_fp_ieee_invalid_op 0
		.amdhsa_exception_fp_denorm_src 0
		.amdhsa_exception_fp_ieee_div_zero 0
		.amdhsa_exception_fp_ieee_overflow 0
		.amdhsa_exception_fp_ieee_underflow 0
		.amdhsa_exception_fp_ieee_inexact 0
		.amdhsa_exception_int_div_zero 0
	.end_amdhsa_kernel
	.section	.text._ZL9moe_vec_qIN3c104HalfELi32ELi8E10block_q8_0Li2EXadL_ZL17vec_dot_q8_0_q8_1PKvPK10block_q8_1RKiEEEvS4_S4_PT_PS8_iiii,"axG",@progbits,_ZL9moe_vec_qIN3c104HalfELi32ELi8E10block_q8_0Li2EXadL_ZL17vec_dot_q8_0_q8_1PKvPK10block_q8_1RKiEEEvS4_S4_PT_PS8_iiii,comdat
.Lfunc_end260:
	.size	_ZL9moe_vec_qIN3c104HalfELi32ELi8E10block_q8_0Li2EXadL_ZL17vec_dot_q8_0_q8_1PKvPK10block_q8_1RKiEEEvS4_S4_PT_PS8_iiii, .Lfunc_end260-_ZL9moe_vec_qIN3c104HalfELi32ELi8E10block_q8_0Li2EXadL_ZL17vec_dot_q8_0_q8_1PKvPK10block_q8_1RKiEEEvS4_S4_PT_PS8_iiii
                                        ; -- End function
	.set _ZL9moe_vec_qIN3c104HalfELi32ELi8E10block_q8_0Li2EXadL_ZL17vec_dot_q8_0_q8_1PKvPK10block_q8_1RKiEEEvS4_S4_PT_PS8_iiii.num_vgpr, 24
	.set _ZL9moe_vec_qIN3c104HalfELi32ELi8E10block_q8_0Li2EXadL_ZL17vec_dot_q8_0_q8_1PKvPK10block_q8_1RKiEEEvS4_S4_PT_PS8_iiii.num_agpr, 0
	.set _ZL9moe_vec_qIN3c104HalfELi32ELi8E10block_q8_0Li2EXadL_ZL17vec_dot_q8_0_q8_1PKvPK10block_q8_1RKiEEEvS4_S4_PT_PS8_iiii.numbered_sgpr, 19
	.set _ZL9moe_vec_qIN3c104HalfELi32ELi8E10block_q8_0Li2EXadL_ZL17vec_dot_q8_0_q8_1PKvPK10block_q8_1RKiEEEvS4_S4_PT_PS8_iiii.num_named_barrier, 0
	.set _ZL9moe_vec_qIN3c104HalfELi32ELi8E10block_q8_0Li2EXadL_ZL17vec_dot_q8_0_q8_1PKvPK10block_q8_1RKiEEEvS4_S4_PT_PS8_iiii.private_seg_size, 0
	.set _ZL9moe_vec_qIN3c104HalfELi32ELi8E10block_q8_0Li2EXadL_ZL17vec_dot_q8_0_q8_1PKvPK10block_q8_1RKiEEEvS4_S4_PT_PS8_iiii.uses_vcc, 1
	.set _ZL9moe_vec_qIN3c104HalfELi32ELi8E10block_q8_0Li2EXadL_ZL17vec_dot_q8_0_q8_1PKvPK10block_q8_1RKiEEEvS4_S4_PT_PS8_iiii.uses_flat_scratch, 0
	.set _ZL9moe_vec_qIN3c104HalfELi32ELi8E10block_q8_0Li2EXadL_ZL17vec_dot_q8_0_q8_1PKvPK10block_q8_1RKiEEEvS4_S4_PT_PS8_iiii.has_dyn_sized_stack, 0
	.set _ZL9moe_vec_qIN3c104HalfELi32ELi8E10block_q8_0Li2EXadL_ZL17vec_dot_q8_0_q8_1PKvPK10block_q8_1RKiEEEvS4_S4_PT_PS8_iiii.has_recursion, 0
	.set _ZL9moe_vec_qIN3c104HalfELi32ELi8E10block_q8_0Li2EXadL_ZL17vec_dot_q8_0_q8_1PKvPK10block_q8_1RKiEEEvS4_S4_PT_PS8_iiii.has_indirect_call, 0
	.section	.AMDGPU.csdata,"",@progbits
; Kernel info:
; codeLenInByte = 1056
; TotalNumSgprs: 21
; NumVgprs: 24
; ScratchSize: 0
; MemoryBound: 0
; FloatMode: 240
; IeeeMode: 1
; LDSByteSize: 0 bytes/workgroup (compile time only)
; SGPRBlocks: 0
; VGPRBlocks: 2
; NumSGPRsForWavesPerEU: 21
; NumVGPRsForWavesPerEU: 24
; Occupancy: 16
; WaveLimiterHint : 1
; COMPUTE_PGM_RSRC2:SCRATCH_EN: 0
; COMPUTE_PGM_RSRC2:USER_SGPR: 2
; COMPUTE_PGM_RSRC2:TRAP_HANDLER: 0
; COMPUTE_PGM_RSRC2:TGID_X_EN: 1
; COMPUTE_PGM_RSRC2:TGID_Y_EN: 0
; COMPUTE_PGM_RSRC2:TGID_Z_EN: 1
; COMPUTE_PGM_RSRC2:TIDIG_COMP_CNT: 1
	.section	.text._ZL9moe_vec_qIN3c104HalfELi256ELi16E10block_q2_KLi1EXadL_ZL17vec_dot_q2_K_q8_1PKvPK10block_q8_1RKiEEEvS4_S4_PT_PS8_iiii,"axG",@progbits,_ZL9moe_vec_qIN3c104HalfELi256ELi16E10block_q2_KLi1EXadL_ZL17vec_dot_q2_K_q8_1PKvPK10block_q8_1RKiEEEvS4_S4_PT_PS8_iiii,comdat
	.globl	_ZL9moe_vec_qIN3c104HalfELi256ELi16E10block_q2_KLi1EXadL_ZL17vec_dot_q2_K_q8_1PKvPK10block_q8_1RKiEEEvS4_S4_PT_PS8_iiii ; -- Begin function _ZL9moe_vec_qIN3c104HalfELi256ELi16E10block_q2_KLi1EXadL_ZL17vec_dot_q2_K_q8_1PKvPK10block_q8_1RKiEEEvS4_S4_PT_PS8_iiii
	.p2align	8
	.type	_ZL9moe_vec_qIN3c104HalfELi256ELi16E10block_q2_KLi1EXadL_ZL17vec_dot_q2_K_q8_1PKvPK10block_q8_1RKiEEEvS4_S4_PT_PS8_iiii,@function
_ZL9moe_vec_qIN3c104HalfELi256ELi16E10block_q2_KLi1EXadL_ZL17vec_dot_q2_K_q8_1PKvPK10block_q8_1RKiEEEvS4_S4_PT_PS8_iiii: ; @_ZL9moe_vec_qIN3c104HalfELi256ELi16E10block_q2_KLi1EXadL_ZL17vec_dot_q2_K_q8_1PKvPK10block_q8_1RKiEEEvS4_S4_PT_PS8_iiii
; %bb.0:
	s_clause 0x1
	s_load_u16 s2, s[0:1], 0x3e
	s_load_b128 s[4:7], s[0:1], 0x20
	v_bfe_u32 v1, v0, 10, 10
	s_wait_kmcnt 0x0
	s_delay_alu instid0(VALU_DEP_1)
	v_mad_co_u64_u32 v[1:2], null, ttmp9, s2, v[1:2]
	s_mov_b32 s2, exec_lo
	v_cmpx_gt_u32_e64 s6, v1
	s_cbranch_execz .LBB261_7
; %bb.1:
	s_load_b64 s[8:9], s[0:1], 0x10
	s_ashr_i32 s2, s5, 31
	v_bfe_u32 v8, v0, 4, 6
	s_wait_alu 0xfffe
	s_lshr_b32 s2, s2, 24
	v_dual_mov_b32 v3, 0 :: v_dual_and_b32 v0, 0x3ff, v0
	s_wait_alu 0xfffe
	s_add_co_i32 s2, s5, s2
	s_lshr_b32 s10, ttmp7, 16
	s_wait_alu 0xfffe
	s_ashr_i32 s11, s2, 8
	s_mov_b32 s12, exec_lo
	v_cmpx_gt_u32_e64 s11, v8
	s_cbranch_execz .LBB261_5
; %bb.2:
	s_load_b64 s[2:3], s[0:1], 0x18
	s_cvt_f32_u32 s5, s4
	s_lshl_b32 s13, s10, 2
	s_sub_co_i32 s16, 0, s4
	v_dual_mov_b32 v3, 0 :: v_dual_and_b32 v4, 15, v0
	v_rcp_iflag_f32_e32 v2, s5
	s_mul_i32 s15, s11, s6
	v_lshrrev_b32_e32 v5, 1, v0
	v_mul_lo_u32 v9, v1, s11
	v_lshlrev_b32_e32 v11, 2, v4
	v_lshlrev_b32_e32 v12, 3, v8
	s_delay_alu instid0(VALU_DEP_4) | instskip(NEXT) | instid1(TRANS32_DEP_1)
	v_and_b32_e32 v5, 4, v5
	v_readfirstlane_b32 s5, v2
	v_sub_co_u32 v2, vcc_lo, v4, 8
	s_wait_kmcnt 0x0
	s_load_b32 s13, s[2:3], s13 offset:0x0
	s_delay_alu instid0(VALU_DEP_2) | instskip(SKIP_2) | instid1(SALU_CYCLE_1)
	s_mul_f32 s5, s5, 0x4f7ffffe
	s_load_b128 s[0:3], s[0:1], 0x0
	v_cndmask_b32_e32 v2, v2, v4, vcc_lo
	s_cvt_u32_f32 s14, s5
	s_mov_b32 s5, 0
	s_delay_alu instid0(VALU_DEP_1) | instskip(NEXT) | instid1(SALU_CYCLE_1)
	v_sub_nc_u32_e32 v6, v4, v2
	s_mul_i32 s16, s16, s14
	v_cmp_lt_u32_e32 vcc_lo, 3, v2
	s_mul_hi_u32 s16, s14, s16
	s_delay_alu instid0(SALU_CYCLE_1) | instskip(NEXT) | instid1(SALU_CYCLE_1)
	s_add_co_i32 s14, s14, s16
	s_mul_hi_u32 s16, s10, s14
	s_wait_alu 0xfffd
	v_add_co_ci_u32_e64 v10, null, 0, v6, vcc_lo
	s_mul_i32 s14, s16, s4
	s_add_co_i32 s17, s16, 1
	s_sub_co_i32 s18, s10, s14
	s_wait_kmcnt 0x0
	s_mul_i32 s14, s15, s13
	s_sub_co_i32 s13, s18, s4
	s_ashr_i32 s15, s14, 31
	s_cmp_ge_u32 s18, s4
	v_lshlrev_b64_e32 v[6:7], 2, v[2:3]
	s_cselect_b32 s16, s17, s16
	s_cselect_b32 s13, s13, s18
	s_add_co_i32 s17, s16, 1
	s_cmp_ge_u32 s13, s4
	v_ashrrev_i32_e32 v2, 31, v10
	s_cselect_b32 s4, s17, s16
	s_mul_u64 s[14:15], s[14:15], 0x54
	s_wait_alu 0xfffe
	s_mul_i32 s4, s4, s7
	s_add_nc_u64 s[0:1], s[0:1], s[14:15]
	s_wait_alu 0xfffe
	s_lshl_b64 s[16:17], s[4:5], 2
	s_delay_alu instid0(SALU_CYCLE_1)
	s_add_nc_u64 s[2:3], s[2:3], s[16:17]
	s_wait_alu 0xfffe
	v_mad_co_u64_u32 v[4:5], null, v5, 36, s[2:3]
.LBB261_3:                              ; =>This Inner Loop Header: Depth=1
	v_add_nc_u32_e32 v15, v9, v8
	s_delay_alu instid0(VALU_DEP_2) | instskip(SKIP_2) | instid1(VALU_DEP_4)
	v_mad_co_i64_i32 v[13:14], null, v12, 36, v[4:5]
	v_add_nc_u32_e32 v8, 2, v8
	v_add_nc_u32_e32 v12, 16, v12
	v_mad_co_i64_i32 v[15:16], null, 0x54, v15, s[0:1]
	s_delay_alu instid0(VALU_DEP_4)
	v_add_co_u32 v17, vcc_lo, v13, v6
	s_wait_alu 0xfffd
	v_add_co_ci_u32_e64 v18, null, v14, v7, vcc_lo
	s_clause 0x6
	global_load_b32 v21, v[13:14], off
	global_load_b32 v22, v[13:14], off offset:36
	global_load_b32 v23, v[13:14], off offset:72
	;; [unrolled: 1-line block ×6, first 2 shown]
	v_add_co_u32 v17, vcc_lo, v15, v11
	s_wait_alu 0xfffd
	v_add_co_ci_u32_e64 v18, null, 0, v16, vcc_lo
	v_add_co_u32 v19, vcc_lo, v15, v10
	s_wait_alu 0xfffd
	v_add_co_ci_u32_e64 v20, null, v16, v2, vcc_lo
	s_clause 0x5
	global_load_b32 v17, v[17:18], off offset:16
	global_load_u8 v18, v[19:20], off
	global_load_u8 v28, v[19:20], off offset:2
	global_load_u8 v29, v[19:20], off offset:4
	;; [unrolled: 1-line block ×3, first 2 shown]
	global_load_b32 v15, v[15:16], off offset:80
	global_load_b32 v13, v[13:14], off offset:108
	v_cmp_le_u32_e32 vcc_lo, s11, v8
	s_or_b32 s5, vcc_lo, s5
	s_wait_loadcnt 0xa
	v_lshrrev_b16 v14, 8, v24
	v_ashrrev_i32_e32 v16, 24, v24
	v_bfe_i32 v20, v24, 16, 8
	v_bfe_i32 v24, v24, 0, 8
	s_wait_loadcnt 0x9
	v_bfe_i32 v30, v25, 0, 8
	s_wait_loadcnt 0x8
	v_lshlrev_b32_e32 v36, 16, v26
	v_lshlrev_b32_e32 v38, 8, v26
	v_lshlrev_b32_e32 v31, 16, v25
	s_wait_loadcnt 0x6
	v_and_b32_e32 v45, 3, v17
	s_wait_loadcnt 0x5
	v_and_b32_e32 v49, 15, v18
	v_lshrrev_b32_e32 v18, 4, v18
	v_bfe_u32 v50, v17, 2, 2
	s_wait_loadcnt 0x4
	v_and_b32_e32 v54, 15, v28
	v_lshrrev_b32_e32 v28, 4, v28
	v_bfe_i32 v32, v25, 8, 8
	v_mul_lo_u32 v18, 0x1010101, v18
	v_lshlrev_b32_e32 v33, 8, v25
	v_bfe_i32 v34, v25, 16, 8
	v_ashrrev_i32_e32 v25, 24, v25
	v_bfe_i32 v44, v27, 16, 8
	v_bfe_u32 v46, v17, 8, 2
	v_bfe_i32 v14, v14, 0, 8
	v_bfe_u32 v51, v17, 10, 2
	v_bfe_u32 v52, v17, 18, 2
	;; [unrolled: 1-line block ×3, first 2 shown]
	v_perm_b32 v36, v38, v36, 0xc0c0703
	v_bfe_u32 v38, v17, 22, 2
	v_mul_i32_i24_e32 v45, v24, v45
	v_mul_i32_i24_e32 v50, v30, v50
	s_wait_loadcnt 0x3
	v_and_b32_e32 v58, 15, v29
	v_lshrrev_b32_e32 v29, 4, v29
	v_mul_lo_u32 v28, 0x1010101, v28
	v_bfe_i32 v35, v26, 0, 8
	v_bfe_i32 v37, v26, 8, 8
	;; [unrolled: 1-line block ×3, first 2 shown]
	v_ashrrev_i32_e32 v26, 24, v26
	v_bfe_u32 v48, v17, 24, 2
	v_bfe_u32 v57, v17, 28, 2
	v_mul_i32_i24_e32 v34, v34, v52
	v_mul_i32_i24_e32 v52, v25, v53
	;; [unrolled: 1-line block ×3, first 2 shown]
	v_mad_i32_i24 v44, v14, v46, v45
	v_mad_i32_i24 v32, v32, v51, v50
	v_lshrrev_b32_e32 v45, 24, v18
	v_lshrrev_b16 v46, 8, v18
	v_bfe_u32 v47, v17, 16, 2
	s_wait_loadcnt 0x2
	v_and_b32_e32 v61, 15, v19
	v_lshrrev_b32_e32 v19, 4, v19
	v_mul_lo_u32 v29, 0x1010101, v29
	v_perm_b32 v31, v33, v31, 0xc0c0703
	v_bfe_u32 v33, v17, 4, 2
	v_bfe_u32 v55, v17, 12, 2
	v_mul_i32_i24_e32 v48, v16, v48
	v_mul_i32_i24_e32 v53, v26, v57
	v_bfe_i32 v50, v18, 16, 8
	v_bfe_i32 v18, v18, 0, 8
	;; [unrolled: 1-line block ×3, first 2 shown]
	v_add3_u32 v32, v32, v34, v52
	v_bfe_i32 v34, v46, 0, 8
	v_mul_i32_i24_e32 v16, v45, v16
	v_bfe_u32 v56, v17, 20, 2
	v_mul_i32_i24_e32 v47, v20, v47
	v_mul_lo_u32 v19, 0x1010101, v19
	v_bfe_i32 v40, v27, 0, 8
	v_lshlrev_b32_e32 v41, 16, v27
	v_bfe_i32 v42, v27, 8, 8
	v_lshlrev_b32_e32 v43, 8, v27
	v_ashrrev_i32_e32 v27, 24, v27
	v_bfe_u32 v59, v17, 6, 2
	v_bfe_u32 v60, v17, 14, 2
	v_lshrrev_b32_e32 v17, 30, v17
	v_mul_i32_i24_e32 v37, v37, v55
	v_mad_i32_i24 v33, v35, v33, v53
	v_lshrrev_b32_e32 v53, 24, v28
	v_perm_b32 v28, v28, v28, 0xc0c0201
	v_bfe_i32 v55, v29, 0, 8
	v_mul_i32_i24_e32 v18, v18, v24
	v_mul_i32_i24_e32 v20, v50, v20
	;; [unrolled: 1-line block ×3, first 2 shown]
	v_mad_i32_i24 v14, v34, v14, v16
	v_mul_i32_i24_e32 v39, v39, v56
	v_add3_u32 v44, v44, v47, v48
	v_mul_i32_i24_e32 v17, v27, v17
	v_lshrrev_b32_e32 v56, 24, v29
	v_perm_b32 v29, v29, v29, 0xc0c0201
	v_bfe_i32 v57, v19, 0, 8
	v_mul_i32_i24_e32 v30, v35, v55
	v_dot4_i32_iu8 v24, v31, v28, v24 neg_lo:[1,1,0]
	v_add3_u32 v14, v18, v20, v14
	v_add3_u32 v33, v33, v37, v39
	v_mul_lo_u32 v37, v49, v44
	v_perm_b32 v41, v43, v41, 0xc0c0703
	v_mad_i32_i24 v17, v40, v59, v17
	v_lshrrev_b32_e32 v59, 24, v19
	v_perm_b32 v19, v19, v19, 0xc0c0201
	v_mul_i32_i24_e32 v35, v40, v57
	v_dot4_i32_iu8 v28, v36, v29, v30 neg_lo:[1,1,0]
	v_mad_i32_i24 v20, v25, v53, v24
	v_cvt_f32_i32_e32 v14, v14
	v_mul_i32_i24_e32 v42, v42, v60
	v_mul_lo_u32 v32, v54, v32
	v_dot4_i32_iu8 v18, v41, v19, v35 neg_lo:[1,1,0]
	v_cvt_f32_i32_e32 v19, v37
	v_mad_i32_i24 v25, v26, v56, v28
	v_cvt_f32_i32_e32 v20, v20
	v_fma_mix_f32 v14, v21, v14, 0 op_sel_hi:[1,0,0]
	v_add3_u32 v17, v17, v42, v38
	v_mul_lo_u32 v16, v58, v33
	v_cvt_f32_i32_e32 v24, v32
	v_mad_i32_i24 v18, v27, v59, v18
	v_fma_mix_f32 v19, v21, v19, 0 op_sel_hi:[1,0,0]
	v_cvt_f32_i32_e32 v21, v25
	v_fma_mix_f32 v14, v22, v20, v14 op_sel_hi:[1,0,0]
	v_mul_lo_u32 v17, v61, v17
	s_wait_loadcnt 0x1
	v_lshrrev_b32_e32 v43, 16, v15
	v_cvt_f32_i32_e32 v16, v16
	v_cvt_f32_i32_e32 v18, v18
	v_fma_mix_f32 v19, v22, v24, v19 op_sel_hi:[1,0,0]
	v_fma_mix_f32 v14, v23, v21, v14 op_sel_hi:[1,0,0]
	v_cvt_f32_f16_e32 v20, v43
	v_cvt_f32_i32_e32 v17, v17
	s_delay_alu instid0(VALU_DEP_4) | instskip(SKIP_2) | instid1(VALU_DEP_2)
	v_fma_mix_f32 v16, v23, v16, v19 op_sel_hi:[1,0,0]
	s_wait_loadcnt 0x0
	v_fma_mix_f32 v14, v13, v18, v14 op_sel_hi:[1,0,0]
	v_fma_mix_f32 v13, v13, v17, v16 op_sel_hi:[1,0,0]
	s_delay_alu instid0(VALU_DEP_2) | instskip(NEXT) | instid1(VALU_DEP_1)
	v_mul_f32_e32 v14, v14, v20
	v_fma_mix_f32 v13, v13, v15, -v14 op_sel_hi:[0,1,0]
	s_delay_alu instid0(VALU_DEP_1)
	v_add_f32_e32 v3, v3, v13
	s_wait_alu 0xfffe
	s_and_not1_b32 exec_lo, exec_lo, s5
	s_cbranch_execnz .LBB261_3
; %bb.4:
	s_or_b32 exec_lo, exec_lo, s5
.LBB261_5:
	s_delay_alu instid0(SALU_CYCLE_1) | instskip(SKIP_1) | instid1(VALU_DEP_1)
	s_or_b32 exec_lo, exec_lo, s12
	v_mbcnt_lo_u32_b32 v2, -1, 0
	v_xor_b32_e32 v4, 16, v2
	v_xor_b32_e32 v5, 8, v2
	s_delay_alu instid0(VALU_DEP_2) | instskip(SKIP_2) | instid1(VALU_DEP_3)
	v_cmp_gt_i32_e32 vcc_lo, 32, v4
	s_wait_alu 0xfffd
	v_cndmask_b32_e32 v4, v2, v4, vcc_lo
	v_cmp_gt_i32_e32 vcc_lo, 32, v5
	s_wait_alu 0xfffd
	v_cndmask_b32_e32 v5, v2, v5, vcc_lo
	s_delay_alu instid0(VALU_DEP_1)
	v_lshlrev_b32_e32 v5, 2, v5
	v_lshlrev_b32_e32 v4, 2, v4
	ds_bpermute_b32 v4, v4, v3
	s_wait_dscnt 0x0
	v_add_f32_e32 v3, v3, v4
	ds_bpermute_b32 v4, v5, v3
	v_xor_b32_e32 v5, 4, v2
	s_delay_alu instid0(VALU_DEP_1) | instskip(SKIP_2) | instid1(VALU_DEP_1)
	v_cmp_gt_i32_e32 vcc_lo, 32, v5
	s_wait_alu 0xfffd
	v_cndmask_b32_e32 v5, v2, v5, vcc_lo
	v_lshlrev_b32_e32 v5, 2, v5
	s_wait_dscnt 0x0
	v_add_f32_e32 v3, v3, v4
	ds_bpermute_b32 v4, v5, v3
	v_xor_b32_e32 v5, 2, v2
	s_delay_alu instid0(VALU_DEP_1) | instskip(SKIP_2) | instid1(VALU_DEP_1)
	v_cmp_gt_i32_e32 vcc_lo, 32, v5
	s_wait_alu 0xfffd
	v_cndmask_b32_e32 v5, v2, v5, vcc_lo
	v_lshlrev_b32_e32 v5, 2, v5
	s_wait_dscnt 0x0
	v_add_f32_e32 v3, v3, v4
	ds_bpermute_b32 v4, v5, v3
	v_xor_b32_e32 v5, 1, v2
	s_delay_alu instid0(VALU_DEP_1) | instskip(SKIP_4) | instid1(VALU_DEP_2)
	v_cmp_gt_i32_e32 vcc_lo, 32, v5
	s_wait_alu 0xfffd
	v_cndmask_b32_e32 v5, v2, v5, vcc_lo
	v_cmp_eq_u32_e32 vcc_lo, 0, v0
	s_wait_dscnt 0x0
	v_dual_add_f32 v2, v3, v4 :: v_dual_lshlrev_b32 v3, 2, v5
	ds_bpermute_b32 v3, v3, v2
	s_and_b32 exec_lo, exec_lo, vcc_lo
	s_cbranch_execz .LBB261_7
; %bb.6:
	v_mad_co_u64_u32 v[0:1], null, s6, s10, v[1:2]
	s_wait_dscnt 0x0
	v_dual_mov_b32 v1, 0 :: v_dual_add_f32 v2, v2, v3
	s_delay_alu instid0(VALU_DEP_1) | instskip(NEXT) | instid1(VALU_DEP_2)
	v_cvt_f16_f32_e32 v2, v2
	v_lshlrev_b64_e32 v[0:1], 1, v[0:1]
	s_wait_kmcnt 0x0
	s_delay_alu instid0(VALU_DEP_1) | instskip(SKIP_1) | instid1(VALU_DEP_2)
	v_add_co_u32 v0, vcc_lo, s8, v0
	s_wait_alu 0xfffd
	v_add_co_ci_u32_e64 v1, null, s9, v1, vcc_lo
	global_store_b16 v[0:1], v2, off
.LBB261_7:
	s_endpgm
	.section	.rodata,"a",@progbits
	.p2align	6, 0x0
	.amdhsa_kernel _ZL9moe_vec_qIN3c104HalfELi256ELi16E10block_q2_KLi1EXadL_ZL17vec_dot_q2_K_q8_1PKvPK10block_q8_1RKiEEEvS4_S4_PT_PS8_iiii
		.amdhsa_group_segment_fixed_size 0
		.amdhsa_private_segment_fixed_size 0
		.amdhsa_kernarg_size 304
		.amdhsa_user_sgpr_count 2
		.amdhsa_user_sgpr_dispatch_ptr 0
		.amdhsa_user_sgpr_queue_ptr 0
		.amdhsa_user_sgpr_kernarg_segment_ptr 1
		.amdhsa_user_sgpr_dispatch_id 0
		.amdhsa_user_sgpr_private_segment_size 0
		.amdhsa_wavefront_size32 1
		.amdhsa_uses_dynamic_stack 0
		.amdhsa_enable_private_segment 0
		.amdhsa_system_sgpr_workgroup_id_x 1
		.amdhsa_system_sgpr_workgroup_id_y 0
		.amdhsa_system_sgpr_workgroup_id_z 1
		.amdhsa_system_sgpr_workgroup_info 0
		.amdhsa_system_vgpr_workitem_id 1
		.amdhsa_next_free_vgpr 62
		.amdhsa_next_free_sgpr 19
		.amdhsa_reserve_vcc 1
		.amdhsa_float_round_mode_32 0
		.amdhsa_float_round_mode_16_64 0
		.amdhsa_float_denorm_mode_32 3
		.amdhsa_float_denorm_mode_16_64 3
		.amdhsa_fp16_overflow 0
		.amdhsa_workgroup_processor_mode 1
		.amdhsa_memory_ordered 1
		.amdhsa_forward_progress 1
		.amdhsa_inst_pref_size 15
		.amdhsa_round_robin_scheduling 0
		.amdhsa_exception_fp_ieee_invalid_op 0
		.amdhsa_exception_fp_denorm_src 0
		.amdhsa_exception_fp_ieee_div_zero 0
		.amdhsa_exception_fp_ieee_overflow 0
		.amdhsa_exception_fp_ieee_underflow 0
		.amdhsa_exception_fp_ieee_inexact 0
		.amdhsa_exception_int_div_zero 0
	.end_amdhsa_kernel
	.section	.text._ZL9moe_vec_qIN3c104HalfELi256ELi16E10block_q2_KLi1EXadL_ZL17vec_dot_q2_K_q8_1PKvPK10block_q8_1RKiEEEvS4_S4_PT_PS8_iiii,"axG",@progbits,_ZL9moe_vec_qIN3c104HalfELi256ELi16E10block_q2_KLi1EXadL_ZL17vec_dot_q2_K_q8_1PKvPK10block_q8_1RKiEEEvS4_S4_PT_PS8_iiii,comdat
.Lfunc_end261:
	.size	_ZL9moe_vec_qIN3c104HalfELi256ELi16E10block_q2_KLi1EXadL_ZL17vec_dot_q2_K_q8_1PKvPK10block_q8_1RKiEEEvS4_S4_PT_PS8_iiii, .Lfunc_end261-_ZL9moe_vec_qIN3c104HalfELi256ELi16E10block_q2_KLi1EXadL_ZL17vec_dot_q2_K_q8_1PKvPK10block_q8_1RKiEEEvS4_S4_PT_PS8_iiii
                                        ; -- End function
	.set _ZL9moe_vec_qIN3c104HalfELi256ELi16E10block_q2_KLi1EXadL_ZL17vec_dot_q2_K_q8_1PKvPK10block_q8_1RKiEEEvS4_S4_PT_PS8_iiii.num_vgpr, 62
	.set _ZL9moe_vec_qIN3c104HalfELi256ELi16E10block_q2_KLi1EXadL_ZL17vec_dot_q2_K_q8_1PKvPK10block_q8_1RKiEEEvS4_S4_PT_PS8_iiii.num_agpr, 0
	.set _ZL9moe_vec_qIN3c104HalfELi256ELi16E10block_q2_KLi1EXadL_ZL17vec_dot_q2_K_q8_1PKvPK10block_q8_1RKiEEEvS4_S4_PT_PS8_iiii.numbered_sgpr, 19
	.set _ZL9moe_vec_qIN3c104HalfELi256ELi16E10block_q2_KLi1EXadL_ZL17vec_dot_q2_K_q8_1PKvPK10block_q8_1RKiEEEvS4_S4_PT_PS8_iiii.num_named_barrier, 0
	.set _ZL9moe_vec_qIN3c104HalfELi256ELi16E10block_q2_KLi1EXadL_ZL17vec_dot_q2_K_q8_1PKvPK10block_q8_1RKiEEEvS4_S4_PT_PS8_iiii.private_seg_size, 0
	.set _ZL9moe_vec_qIN3c104HalfELi256ELi16E10block_q2_KLi1EXadL_ZL17vec_dot_q2_K_q8_1PKvPK10block_q8_1RKiEEEvS4_S4_PT_PS8_iiii.uses_vcc, 1
	.set _ZL9moe_vec_qIN3c104HalfELi256ELi16E10block_q2_KLi1EXadL_ZL17vec_dot_q2_K_q8_1PKvPK10block_q8_1RKiEEEvS4_S4_PT_PS8_iiii.uses_flat_scratch, 0
	.set _ZL9moe_vec_qIN3c104HalfELi256ELi16E10block_q2_KLi1EXadL_ZL17vec_dot_q2_K_q8_1PKvPK10block_q8_1RKiEEEvS4_S4_PT_PS8_iiii.has_dyn_sized_stack, 0
	.set _ZL9moe_vec_qIN3c104HalfELi256ELi16E10block_q2_KLi1EXadL_ZL17vec_dot_q2_K_q8_1PKvPK10block_q8_1RKiEEEvS4_S4_PT_PS8_iiii.has_recursion, 0
	.set _ZL9moe_vec_qIN3c104HalfELi256ELi16E10block_q2_KLi1EXadL_ZL17vec_dot_q2_K_q8_1PKvPK10block_q8_1RKiEEEvS4_S4_PT_PS8_iiii.has_indirect_call, 0
	.section	.AMDGPU.csdata,"",@progbits
; Kernel info:
; codeLenInByte = 1896
; TotalNumSgprs: 21
; NumVgprs: 62
; ScratchSize: 0
; MemoryBound: 0
; FloatMode: 240
; IeeeMode: 1
; LDSByteSize: 0 bytes/workgroup (compile time only)
; SGPRBlocks: 0
; VGPRBlocks: 7
; NumSGPRsForWavesPerEU: 21
; NumVGPRsForWavesPerEU: 62
; Occupancy: 16
; WaveLimiterHint : 1
; COMPUTE_PGM_RSRC2:SCRATCH_EN: 0
; COMPUTE_PGM_RSRC2:USER_SGPR: 2
; COMPUTE_PGM_RSRC2:TRAP_HANDLER: 0
; COMPUTE_PGM_RSRC2:TGID_X_EN: 1
; COMPUTE_PGM_RSRC2:TGID_Y_EN: 0
; COMPUTE_PGM_RSRC2:TGID_Z_EN: 1
; COMPUTE_PGM_RSRC2:TIDIG_COMP_CNT: 1
	.section	.text._ZL9moe_vec_qIN3c104HalfELi256ELi16E10block_q3_KLi1EXadL_ZL17vec_dot_q3_K_q8_1PKvPK10block_q8_1RKiEEEvS4_S4_PT_PS8_iiii,"axG",@progbits,_ZL9moe_vec_qIN3c104HalfELi256ELi16E10block_q3_KLi1EXadL_ZL17vec_dot_q3_K_q8_1PKvPK10block_q8_1RKiEEEvS4_S4_PT_PS8_iiii,comdat
	.globl	_ZL9moe_vec_qIN3c104HalfELi256ELi16E10block_q3_KLi1EXadL_ZL17vec_dot_q3_K_q8_1PKvPK10block_q8_1RKiEEEvS4_S4_PT_PS8_iiii ; -- Begin function _ZL9moe_vec_qIN3c104HalfELi256ELi16E10block_q3_KLi1EXadL_ZL17vec_dot_q3_K_q8_1PKvPK10block_q8_1RKiEEEvS4_S4_PT_PS8_iiii
	.p2align	8
	.type	_ZL9moe_vec_qIN3c104HalfELi256ELi16E10block_q3_KLi1EXadL_ZL17vec_dot_q3_K_q8_1PKvPK10block_q8_1RKiEEEvS4_S4_PT_PS8_iiii,@function
_ZL9moe_vec_qIN3c104HalfELi256ELi16E10block_q3_KLi1EXadL_ZL17vec_dot_q3_K_q8_1PKvPK10block_q8_1RKiEEEvS4_S4_PT_PS8_iiii: ; @_ZL9moe_vec_qIN3c104HalfELi256ELi16E10block_q3_KLi1EXadL_ZL17vec_dot_q3_K_q8_1PKvPK10block_q8_1RKiEEEvS4_S4_PT_PS8_iiii
; %bb.0:
	s_clause 0x1
	s_load_u16 s2, s[0:1], 0x3e
	s_load_b128 s[4:7], s[0:1], 0x20
	v_bfe_u32 v1, v0, 10, 10
	s_wait_kmcnt 0x0
	s_delay_alu instid0(VALU_DEP_1)
	v_mad_co_u64_u32 v[1:2], null, ttmp9, s2, v[1:2]
	s_mov_b32 s2, exec_lo
	v_cmpx_gt_u32_e64 s6, v1
	s_cbranch_execz .LBB262_7
; %bb.1:
	s_load_b64 s[8:9], s[0:1], 0x10
	s_ashr_i32 s2, s5, 31
	v_bfe_u32 v8, v0, 4, 6
	s_wait_alu 0xfffe
	s_lshr_b32 s2, s2, 24
	v_dual_mov_b32 v3, 0 :: v_dual_and_b32 v0, 0x3ff, v0
	s_wait_alu 0xfffe
	s_add_co_i32 s2, s5, s2
	s_lshr_b32 s12, ttmp7, 16
	s_wait_alu 0xfffe
	s_ashr_i32 s13, s2, 8
	s_mov_b32 s14, exec_lo
	v_cmpx_gt_u32_e64 s13, v8
	s_cbranch_execz .LBB262_5
; %bb.2:
	s_cvt_f32_u32 s5, s4
	v_and_b32_e32 v4, 15, v0
	s_load_b64 s[10:11], s[0:1], 0x18
	s_lshl_b32 s15, s12, 2
	v_rcp_iflag_f32_e32 v3, s5
	s_sub_co_i32 s17, 0, s4
	s_load_b128 s[0:3], s[0:1], 0x0
	s_mul_i32 s16, s13, s6
	s_mov_b32 s5, 0
	v_mul_lo_u32 v9, v1, s13
	v_lshlrev_b32_e32 v35, 3, v8
	s_delay_alu instid0(TRANS32_DEP_1) | instskip(SKIP_3) | instid1(VALU_DEP_4)
	v_readfirstlane_b32 s18, v3
	v_mov_b32_e32 v3, 0
	v_sub_co_u32 v2, vcc_lo, v4, 8
	v_lshlrev_b32_e32 v11, 2, v4
	s_mul_f32 s18, s18, 0x4f7ffffe
	s_delay_alu instid0(VALU_DEP_2) | instskip(SKIP_3) | instid1(VALU_DEP_1)
	v_cndmask_b32_e32 v2, v2, v4, vcc_lo
	s_wait_kmcnt 0x0
	s_load_b32 s10, s[10:11], s15 offset:0x0
	s_cvt_u32_f32 s11, s18
	v_sub_nc_u32_e32 v5, v4, v2
	v_cmp_lt_u32_e32 vcc_lo, 3, v2
	s_delay_alu instid0(SALU_CYCLE_1) | instskip(NEXT) | instid1(SALU_CYCLE_1)
	s_mul_i32 s17, s17, s11
	s_mul_hi_u32 s15, s11, s17
	s_wait_alu 0xfffd
	v_add_co_ci_u32_e64 v19, null, 0, v5, vcc_lo
	v_lshrrev_b32_e32 v5, 1, v0
	s_add_co_i32 s11, s11, s15
	s_delay_alu instid0(VALU_DEP_2) | instskip(SKIP_1) | instid1(VALU_DEP_3)
	v_bfe_i32 v6, v19, 0, 8
	v_add_nc_u16 v20, v19, 2
	v_and_b32_e32 v10, 4, v5
	v_lshlrev_b64_e32 v[4:5], 2, v[2:3]
	v_add_nc_u16 v26, v19, 4
	v_lshrrev_b16 v6, 7, v6
	v_bfe_i32 v7, v20, 0, 8
	v_add_nc_u16 v27, v19, 6
	s_mul_hi_u32 s15, s12, s11
	v_bfe_i32 v18, v26, 0, 8
	v_and_b32_e32 v2, 0xff, v6
	v_lshrrev_b16 v6, 7, v7
	v_bfe_i32 v28, v27, 0, 8
	s_mul_i32 s11, s15, s4
	v_lshrrev_b16 v18, 7, v18
	v_lshrrev_b16 v7, 5, v2
	;; [unrolled: 1-line block ×3, first 2 shown]
	v_and_b32_e32 v15, 0xff, v6
	s_sub_co_i32 s18, s12, s11
	v_and_b32_e32 v23, 0xff, v18
	s_wait_kmcnt 0x0
	s_mul_i32 s10, s16, s10
	v_add_nc_u16 v14, v19, v2
	v_lshrrev_b16 v17, 5, v15
	v_lshrrev_b16 v15, 6, v15
	;; [unrolled: 1-line block ×4, first 2 shown]
	v_bfe_i32 v16, v14, 0, 8
	v_add_nc_u16 v17, v20, v17
	v_and_b32_e32 v14, 0xfc, v14
	v_add_nc_u16 v24, v26, v24
	v_add_nc_u16 v29, v26, v23
	v_ashrrev_i16 v16, 2, v16
	v_bfe_i32 v21, v17, 0, 8
	v_sub_nc_u16 v22, v19, v14
	v_and_b32_e32 v17, 0xf8, v17
	v_add_nc_u16 v7, v19, v7
	v_bfe_i32 v16, v16, 0, 16
	s_add_co_i32 s17, s15, 1
	s_sub_co_i32 s16, s18, s4
	v_sub_nc_u16 v25, v20, v17
	s_ashr_i32 s11, s10, 31
	v_lshlrev_b32_e32 v14, 1, v16
	v_lshrrev_b16 v16, 3, v21
	v_add_nc_u16 v21, v20, v15
	v_bfe_i32 v15, v22, 0, 8
	s_cmp_ge_u32 s18, s4
	v_bfe_i32 v12, v7, 0, 8
	v_and_b32_e32 v18, 0xff, v16
	v_bfe_i32 v22, v21, 0, 8
	v_and_b32_e32 v21, 0xfc, v21
	s_cselect_b32 s15, s17, s15
	s_cselect_b32 s16, s16, s18
	v_lshlrev_b32_e32 v17, 2, v18
	v_ashrrev_i16 v22, 2, v22
	v_bfe_i32 v18, v25, 0, 8
	v_bfe_i32 v25, v24, 0, 8
	v_sub_nc_u16 v21, v20, v21
	v_and_b32_e32 v24, 0xf8, v24
	v_bfe_i32 v22, v22, 0, 16
	v_and_b32_e32 v7, 0xf8, v7
	s_add_co_i32 s17, s15, 1
	s_cmp_ge_u32 s16, s4
	v_sub_nc_u16 v24, v26, v24
	v_lshlrev_b32_e32 v20, 1, v22
	v_lshrrev_b16 v22, 3, v25
	v_lshrrev_b16 v25, 7, v28
	s_cselect_b32 s4, s17, s15
	v_lshrrev_b16 v12, 3, v12
	v_sub_nc_u16 v13, v19, v7
	v_and_b32_e32 v28, 0xff, v22
	v_and_b32_e32 v25, 0xff, v25
	s_wait_alu 0xfffe
	s_mul_i32 s4, s4, s7
	v_and_b32_e32 v12, 0xff, v12
	s_wait_alu 0xfffe
	s_lshl_b64 s[16:17], s[4:5], 2
	v_lshlrev_b32_e32 v23, 2, v28
	v_bfe_i32 v28, v29, 0, 8
	v_lshrrev_b16 v30, 5, v25
	v_lshrrev_b16 v31, 6, v25
	v_and_b32_e32 v29, 0xfc, v29
	s_add_nc_u64 s[2:3], s[2:3], s[16:17]
	v_lshrrev_b16 v28, 2, v28
	v_add_nc_u16 v30, v27, v30
	v_add_nc_u16 v31, v27, v31
	v_sub_nc_u16 v29, v26, v29
	v_bfe_i32 v2, v13, 0, 8
	v_and_b32_e32 v26, 0xff, v28
	v_bfe_i32 v28, v30, 0, 8
	v_and_b32_e32 v30, 0xf8, v30
	;; [unrolled: 2-line block ×3, first 2 shown]
	v_bfe_i32 v21, v21, 0, 8
	v_lshrrev_b16 v28, 3, v28
	v_sub_nc_u16 v30, v27, v30
	v_lshrrev_b16 v32, 2, v32
	v_sub_nc_u16 v31, v27, v31
	v_bfe_i32 v24, v24, 0, 8
	v_bfe_i32 v27, v29, 0, 8
	v_and_b32_e32 v33, 0xff, v28
	v_bfe_i32 v28, v30, 0, 8
	v_and_b32_e32 v34, 0xff, v32
	v_bfe_i32 v29, v31, 0, 8
	s_wait_alu 0xfffe
	v_mad_co_u64_u32 v[6:7], null, v10, 36, s[2:3]
	v_lshlrev_b32_e32 v12, 2, v12
	v_ashrrev_i32_e32 v13, 31, v2
	v_ashrrev_i32_e32 v16, 31, v15
	;; [unrolled: 1-line block ×5, first 2 shown]
	v_lshlrev_b32_e32 v26, 1, v26
	v_ashrrev_i32_e32 v30, 31, v27
	v_lshlrev_b32_e32 v31, 2, v33
	v_ashrrev_i32_e32 v32, 31, v28
	;; [unrolled: 2-line block ×3, first 2 shown]
	s_mul_u64 s[10:11], s[10:11], 0x6e
	s_delay_alu instid0(SALU_CYCLE_1)
	s_add_nc_u64 s[0:1], s[0:1], s[10:11]
.LBB262_3:                              ; =>This Inner Loop Header: Depth=1
	v_add_nc_u32_e32 v38, v9, v8
	v_mad_co_i64_i32 v[36:37], null, v35, 36, v[6:7]
	v_add_nc_u32_e32 v8, 2, v8
	v_add_nc_u32_e32 v35, 16, v35
	s_wait_alu 0xfffe
	v_mad_co_i64_i32 v[38:39], null, 0x6e, v38, s[0:1]
	s_delay_alu instid0(VALU_DEP_4) | instskip(SKIP_2) | instid1(VALU_DEP_3)
	v_add_co_u32 v40, vcc_lo, v36, v4
	s_wait_alu 0xfffd
	v_add_co_ci_u32_e64 v41, null, v37, v5, vcc_lo
	v_add_co_u32 v42, vcc_lo, v38, v11
	s_wait_alu 0xfffd
	s_delay_alu instid0(VALU_DEP_4)
	v_add_co_ci_u32_e64 v43, null, 0, v39, vcc_lo
	v_add_co_u32 v44, vcc_lo, v38, v4
	s_wait_alu 0xfffd
	v_add_co_ci_u32_e64 v45, null, v39, v5, vcc_lo
	s_clause 0x3
	global_load_b32 v60, v[40:41], off offset:4
	global_load_b32 v61, v[40:41], off offset:40
	;; [unrolled: 1-line block ×4, first 2 shown]
	v_add_co_u32 v40, vcc_lo, v38, v2
	s_wait_alu 0xfffd
	v_add_co_ci_u32_e64 v41, null, v39, v13, vcc_lo
	v_add_co_u32 v46, vcc_lo, v38, v15
	s_wait_alu 0xfffd
	v_add_co_ci_u32_e64 v47, null, v39, v16, vcc_lo
	;; [unrolled: 3-line block ×8, first 2 shown]
	s_clause 0xa
	global_load_u16 v38, v[38:39], off offset:108
	global_load_b32 v39, v[44:45], off
	global_load_u8 v40, v[40:41], off offset:96
	global_load_u8 v41, v[46:47], off offset:104
	global_load_b32 v42, v[42:43], off offset:32
	global_load_u8 v43, v[48:49], off offset:96
	global_load_u8 v44, v[50:51], off offset:104
	;; [unrolled: 1-line block ×6, first 2 shown]
	s_clause 0x3
	global_load_b32 v49, v[36:37], off
	global_load_b32 v50, v[36:37], off offset:36
	global_load_b32 v51, v[36:37], off offset:72
	global_load_b32 v36, v[36:37], off offset:108
	v_cmp_le_u32_e32 vcc_lo, s13, v8
	s_or_b32 s5, vcc_lo, s5
	s_wait_loadcnt 0x12
	v_lshrrev_b16 v37, 8, v60
	s_wait_loadcnt 0x11
	v_lshlrev_b32_e32 v57, 8, v61
	v_ashrrev_i32_e32 v52, 24, v60
	v_bfe_i32 v53, v60, 16, 8
	v_bfe_i32 v54, v60, 0, 8
	;; [unrolled: 1-line block ×4, first 2 shown]
	s_wait_loadcnt 0x10
	v_lshlrev_b32_e32 v59, 16, v62
	v_lshlrev_b32_e32 v60, 8, v62
	v_perm_b32 v57, v61, v57, 0xc0c0703
	s_wait_loadcnt 0xf
	v_lshlrev_b32_e32 v65, 16, v63
	v_lshlrev_b32_e32 v66, 8, v63
	v_bfe_i32 v37, v37, 0, 8
	v_perm_b32 v59, v60, v59, 0xc0c0703
	v_bfe_i32 v58, v62, 0, 8
	v_ashrrev_i32_e32 v62, 24, v62
	v_perm_b32 v65, v66, v65, 0xc0c0703
	v_bfe_i32 v64, v63, 0, 8
	v_ashrrev_i32_e32 v63, 24, v63
	s_wait_loadcnt 0xd
	v_ashrrev_i32_e32 v39, v10, v39
	s_wait_loadcnt 0xc
	v_bfe_u32 v40, v40, v12, 4
	s_wait_loadcnt 0xb
	v_lshrrev_b32_e32 v41, v14, v41
	s_wait_loadcnt 0xa
	v_lshrrev_b32_e32 v69, 2, v42
	v_lshrrev_b32_e32 v61, 4, v42
	v_not_b32_e32 v39, v39
	s_wait_loadcnt 0x8
	v_lshrrev_b32_e32 v44, v20, v44
	v_lshlrev_b32_e32 v41, 4, v41
	s_wait_loadcnt 0x6
	v_lshrrev_b32_e32 v46, v26, v46
	v_and_b32_e32 v67, 0x3030303, v42
	v_lshlrev_b32_e32 v74, 1, v39
	v_bfe_u32 v68, v42, 24, 2
	v_and_or_b32 v40, v41, 48, v40
	v_lshlrev_b32_e32 v41, 2, v39
	v_bfe_u32 v43, v43, v17, 4
	v_bfe_u32 v45, v45, v23, 4
	s_wait_loadcnt 0x4
	v_lshrrev_b32_e32 v48, v33, v48
	v_lshrrev_b32_e32 v60, 6, v42
	v_and_b32_e32 v41, 0x4040404, v41
	v_lshlrev_b32_e32 v44, 4, v44
	v_and_b32_e32 v71, 0x3030303, v69
	v_lshlrev_b32_e32 v46, 4, v46
	v_bfe_u32 v72, v61, 24, 2
	v_and_b32_e32 v61, 0x3030303, v61
	v_and_b32_e32 v76, 0x4040404, v39
	v_lshrrev_b32_e32 v39, 1, v39
	v_and_b32_e32 v74, 0x4040404, v74
	v_lshrrev_b32_e32 v81, 24, v41
	v_bfe_u32 v47, v47, v31, 4
	v_lshrrev_b16 v66, 8, v67
	v_lshrrev_b32_e32 v70, 16, v67
	v_bfe_u32 v69, v69, 24, 2
	v_lshlrev_b32_e32 v48, 4, v48
	v_and_b32_e32 v60, 0x3030303, v60
	v_and_or_b32 v43, v44, 48, v43
	v_lshrrev_b16 v44, 8, v71
	v_lshrrev_b32_e32 v73, 16, v71
	v_and_or_b32 v45, v46, 48, v45
	v_lshrrev_b32_e32 v46, 16, v61
	v_lshrrev_b16 v75, 8, v61
	v_lshrrev_b32_e32 v78, 24, v76
	v_lshrrev_b32_e32 v79, 16, v76
	v_lshrrev_b16 v80, 8, v76
	v_sub_nc_u16 v61, v61, v76
	v_and_b32_e32 v39, 0x4040404, v39
	v_lshrrev_b16 v76, 8, v41
	v_lshrrev_b32_e32 v82, 16, v41
	v_sub_nc_u16 v41, v67, v41
	v_lshrrev_b16 v67, 8, v74
	v_lshrrev_b32_e32 v83, 16, v74
	v_lshrrev_b32_e32 v84, 24, v74
	v_sub_nc_u16 v68, v68, v81
	v_lshrrev_b32_e32 v42, 30, v42
	v_and_or_b32 v47, v48, 48, v47
	v_lshrrev_b32_e32 v48, 16, v60
	v_lshrrev_b16 v77, 8, v60
	v_sub_nc_u16 v71, v71, v74
	v_sub_nc_u16 v74, v75, v80
	;; [unrolled: 1-line block ×4, first 2 shown]
	v_lshrrev_b32_e32 v75, 24, v39
	v_lshrrev_b32_e32 v78, 16, v39
	v_lshrrev_b16 v79, 8, v39
	v_sub_nc_u16 v39, v60, v39
	v_sub_nc_u16 v60, v70, v82
	;; [unrolled: 1-line block ×3, first 2 shown]
	v_bfe_i32 v41, v41, 0, 8
	v_sub_nc_u16 v69, v69, v84
	v_sub_nc_u16 v70, v73, v83
	;; [unrolled: 1-line block ×3, first 2 shown]
	v_bfe_i32 v68, v68, 0, 16
	v_bfe_i32 v67, v71, 0, 8
	v_lshlrev_b16 v72, 8, v72
	v_sub_nc_u16 v42, v42, v75
	v_bfe_i32 v66, v66, 0, 16
	v_bfe_i32 v60, v60, 0, 8
	v_mul_i32_i24_e32 v41, v41, v54
	v_lshlrev_b16 v54, 8, v69
	v_and_b32_e32 v69, 0xff, v70
	v_lshlrev_b16 v44, 8, v44
	v_mul_i32_i24_e32 v52, v68, v52
	v_mul_i32_i24_e32 v55, v55, v67
	v_bfe_i32 v67, v72, 8, 8
	v_lshlrev_b16 v42, 8, v42
	v_mul_i32_i24_e32 v53, v60, v53
	v_bfe_i32 v44, v44, 8, 8
	v_or_b32_e32 v54, v69, v54
	v_mad_i32_i24 v37, v66, v37, v52
	v_subrev_nc_u32_e32 v40, 32, v40
	v_bfe_i32 v61, v61, 0, 8
	v_lshlrev_b16 v71, 8, v74
	v_sub_nc_u16 v73, v77, v79
	v_mul_i32_i24_e32 v52, v62, v67
	v_bfe_i32 v42, v42, 8, 8
	v_mad_i32_i24 v44, v56, v44, v55
	v_perm_b32 v54, v54, v70, 0xc0c0500
	v_add3_u32 v37, v41, v53, v37
	v_subrev_nc_u32_e32 v43, 32, v43
	v_sub_nc_u16 v48, v48, v78
	v_bfe_i32 v39, v39, 0, 8
	v_perm_b32 v46, v46, v71, 0xc0c0401
	v_lshlrev_b16 v41, 8, v73
	v_mad_i32_i24 v52, v58, v61, v52
	v_mul_i32_i24_e32 v42, v63, v42
	v_dot4_i32_iu8 v44, v57, v54, v44 neg_lo:[1,1,0]
	v_mul_lo_u32 v37, v40, v37
	v_subrev_nc_u32_e32 v45, 32, v45
	v_perm_b32 v40, v48, v41, 0xc0c0401
	v_dot4_i32_iu8 v41, v59, v46, v52 neg_lo:[1,1,0]
	v_mad_i32_i24 v39, v64, v39, v42
	v_mul_lo_u32 v42, v43, v44
	v_subrev_nc_u32_e32 v43, 32, v47
	v_cvt_f32_i32_e32 v37, v37
	v_mul_lo_u32 v41, v45, v41
	v_dot4_i32_iu8 v39, v65, v40, v39 neg_lo:[1,1,0]
	v_cvt_f32_i32_e32 v40, v42
	s_wait_loadcnt 0x3
	v_fma_mix_f32 v37, v49, v37, 0 op_sel_hi:[1,0,0]
	s_delay_alu instid0(VALU_DEP_3) | instskip(SKIP_2) | instid1(VALU_DEP_3)
	v_mul_lo_u32 v39, v43, v39
	v_cvt_f32_i32_e32 v41, v41
	s_wait_loadcnt 0x2
	v_fma_mix_f32 v37, v50, v40, v37 op_sel_hi:[1,0,0]
	s_delay_alu instid0(VALU_DEP_3) | instskip(SKIP_1) | instid1(VALU_DEP_2)
	v_cvt_f32_i32_e32 v39, v39
	s_wait_loadcnt 0x1
	v_fma_mix_f32 v37, v51, v41, v37 op_sel_hi:[1,0,0]
	s_wait_loadcnt 0x0
	s_delay_alu instid0(VALU_DEP_1) | instskip(NEXT) | instid1(VALU_DEP_1)
	v_fma_mix_f32 v36, v36, v39, v37 op_sel_hi:[1,0,0]
	v_fma_mix_f32 v3, v36, v38, v3 op_sel_hi:[0,1,0]
	s_wait_alu 0xfffe
	s_and_not1_b32 exec_lo, exec_lo, s5
	s_cbranch_execnz .LBB262_3
; %bb.4:
	s_or_b32 exec_lo, exec_lo, s5
.LBB262_5:
	s_delay_alu instid0(SALU_CYCLE_1) | instskip(SKIP_1) | instid1(VALU_DEP_1)
	s_or_b32 exec_lo, exec_lo, s14
	v_mbcnt_lo_u32_b32 v2, -1, 0
	v_xor_b32_e32 v4, 16, v2
	v_xor_b32_e32 v5, 8, v2
	s_delay_alu instid0(VALU_DEP_2) | instskip(SKIP_2) | instid1(VALU_DEP_3)
	v_cmp_gt_i32_e32 vcc_lo, 32, v4
	s_wait_alu 0xfffd
	v_cndmask_b32_e32 v4, v2, v4, vcc_lo
	v_cmp_gt_i32_e32 vcc_lo, 32, v5
	s_wait_alu 0xfffd
	v_cndmask_b32_e32 v5, v2, v5, vcc_lo
	s_delay_alu instid0(VALU_DEP_1)
	v_lshlrev_b32_e32 v5, 2, v5
	v_lshlrev_b32_e32 v4, 2, v4
	ds_bpermute_b32 v4, v4, v3
	s_wait_dscnt 0x0
	v_add_f32_e32 v3, v3, v4
	ds_bpermute_b32 v4, v5, v3
	v_xor_b32_e32 v5, 4, v2
	s_delay_alu instid0(VALU_DEP_1) | instskip(SKIP_2) | instid1(VALU_DEP_1)
	v_cmp_gt_i32_e32 vcc_lo, 32, v5
	s_wait_alu 0xfffd
	v_cndmask_b32_e32 v5, v2, v5, vcc_lo
	v_lshlrev_b32_e32 v5, 2, v5
	s_wait_dscnt 0x0
	v_add_f32_e32 v3, v3, v4
	ds_bpermute_b32 v4, v5, v3
	v_xor_b32_e32 v5, 2, v2
	s_delay_alu instid0(VALU_DEP_1) | instskip(SKIP_2) | instid1(VALU_DEP_1)
	v_cmp_gt_i32_e32 vcc_lo, 32, v5
	s_wait_alu 0xfffd
	v_cndmask_b32_e32 v5, v2, v5, vcc_lo
	v_lshlrev_b32_e32 v5, 2, v5
	s_wait_dscnt 0x0
	v_add_f32_e32 v3, v3, v4
	ds_bpermute_b32 v4, v5, v3
	v_xor_b32_e32 v5, 1, v2
	s_delay_alu instid0(VALU_DEP_1) | instskip(SKIP_4) | instid1(VALU_DEP_2)
	v_cmp_gt_i32_e32 vcc_lo, 32, v5
	s_wait_alu 0xfffd
	v_cndmask_b32_e32 v5, v2, v5, vcc_lo
	v_cmp_eq_u32_e32 vcc_lo, 0, v0
	s_wait_dscnt 0x0
	v_dual_add_f32 v2, v3, v4 :: v_dual_lshlrev_b32 v3, 2, v5
	ds_bpermute_b32 v3, v3, v2
	s_and_b32 exec_lo, exec_lo, vcc_lo
	s_cbranch_execz .LBB262_7
; %bb.6:
	v_mad_co_u64_u32 v[0:1], null, s6, s12, v[1:2]
	s_wait_dscnt 0x0
	v_dual_mov_b32 v1, 0 :: v_dual_add_f32 v2, v2, v3
	s_delay_alu instid0(VALU_DEP_1) | instskip(NEXT) | instid1(VALU_DEP_2)
	v_cvt_f16_f32_e32 v2, v2
	v_lshlrev_b64_e32 v[0:1], 1, v[0:1]
	s_wait_kmcnt 0x0
	s_delay_alu instid0(VALU_DEP_1) | instskip(SKIP_1) | instid1(VALU_DEP_2)
	v_add_co_u32 v0, vcc_lo, s8, v0
	s_wait_alu 0xfffd
	v_add_co_ci_u32_e64 v1, null, s9, v1, vcc_lo
	global_store_b16 v[0:1], v2, off
.LBB262_7:
	s_endpgm
	.section	.rodata,"a",@progbits
	.p2align	6, 0x0
	.amdhsa_kernel _ZL9moe_vec_qIN3c104HalfELi256ELi16E10block_q3_KLi1EXadL_ZL17vec_dot_q3_K_q8_1PKvPK10block_q8_1RKiEEEvS4_S4_PT_PS8_iiii
		.amdhsa_group_segment_fixed_size 0
		.amdhsa_private_segment_fixed_size 0
		.amdhsa_kernarg_size 304
		.amdhsa_user_sgpr_count 2
		.amdhsa_user_sgpr_dispatch_ptr 0
		.amdhsa_user_sgpr_queue_ptr 0
		.amdhsa_user_sgpr_kernarg_segment_ptr 1
		.amdhsa_user_sgpr_dispatch_id 0
		.amdhsa_user_sgpr_private_segment_size 0
		.amdhsa_wavefront_size32 1
		.amdhsa_uses_dynamic_stack 0
		.amdhsa_enable_private_segment 0
		.amdhsa_system_sgpr_workgroup_id_x 1
		.amdhsa_system_sgpr_workgroup_id_y 0
		.amdhsa_system_sgpr_workgroup_id_z 1
		.amdhsa_system_sgpr_workgroup_info 0
		.amdhsa_system_vgpr_workitem_id 1
		.amdhsa_next_free_vgpr 85
		.amdhsa_next_free_sgpr 19
		.amdhsa_reserve_vcc 1
		.amdhsa_float_round_mode_32 0
		.amdhsa_float_round_mode_16_64 0
		.amdhsa_float_denorm_mode_32 3
		.amdhsa_float_denorm_mode_16_64 3
		.amdhsa_fp16_overflow 0
		.amdhsa_workgroup_processor_mode 1
		.amdhsa_memory_ordered 1
		.amdhsa_forward_progress 1
		.amdhsa_inst_pref_size 24
		.amdhsa_round_robin_scheduling 0
		.amdhsa_exception_fp_ieee_invalid_op 0
		.amdhsa_exception_fp_denorm_src 0
		.amdhsa_exception_fp_ieee_div_zero 0
		.amdhsa_exception_fp_ieee_overflow 0
		.amdhsa_exception_fp_ieee_underflow 0
		.amdhsa_exception_fp_ieee_inexact 0
		.amdhsa_exception_int_div_zero 0
	.end_amdhsa_kernel
	.section	.text._ZL9moe_vec_qIN3c104HalfELi256ELi16E10block_q3_KLi1EXadL_ZL17vec_dot_q3_K_q8_1PKvPK10block_q8_1RKiEEEvS4_S4_PT_PS8_iiii,"axG",@progbits,_ZL9moe_vec_qIN3c104HalfELi256ELi16E10block_q3_KLi1EXadL_ZL17vec_dot_q3_K_q8_1PKvPK10block_q8_1RKiEEEvS4_S4_PT_PS8_iiii,comdat
.Lfunc_end262:
	.size	_ZL9moe_vec_qIN3c104HalfELi256ELi16E10block_q3_KLi1EXadL_ZL17vec_dot_q3_K_q8_1PKvPK10block_q8_1RKiEEEvS4_S4_PT_PS8_iiii, .Lfunc_end262-_ZL9moe_vec_qIN3c104HalfELi256ELi16E10block_q3_KLi1EXadL_ZL17vec_dot_q3_K_q8_1PKvPK10block_q8_1RKiEEEvS4_S4_PT_PS8_iiii
                                        ; -- End function
	.set _ZL9moe_vec_qIN3c104HalfELi256ELi16E10block_q3_KLi1EXadL_ZL17vec_dot_q3_K_q8_1PKvPK10block_q8_1RKiEEEvS4_S4_PT_PS8_iiii.num_vgpr, 85
	.set _ZL9moe_vec_qIN3c104HalfELi256ELi16E10block_q3_KLi1EXadL_ZL17vec_dot_q3_K_q8_1PKvPK10block_q8_1RKiEEEvS4_S4_PT_PS8_iiii.num_agpr, 0
	.set _ZL9moe_vec_qIN3c104HalfELi256ELi16E10block_q3_KLi1EXadL_ZL17vec_dot_q3_K_q8_1PKvPK10block_q8_1RKiEEEvS4_S4_PT_PS8_iiii.numbered_sgpr, 19
	.set _ZL9moe_vec_qIN3c104HalfELi256ELi16E10block_q3_KLi1EXadL_ZL17vec_dot_q3_K_q8_1PKvPK10block_q8_1RKiEEEvS4_S4_PT_PS8_iiii.num_named_barrier, 0
	.set _ZL9moe_vec_qIN3c104HalfELi256ELi16E10block_q3_KLi1EXadL_ZL17vec_dot_q3_K_q8_1PKvPK10block_q8_1RKiEEEvS4_S4_PT_PS8_iiii.private_seg_size, 0
	.set _ZL9moe_vec_qIN3c104HalfELi256ELi16E10block_q3_KLi1EXadL_ZL17vec_dot_q3_K_q8_1PKvPK10block_q8_1RKiEEEvS4_S4_PT_PS8_iiii.uses_vcc, 1
	.set _ZL9moe_vec_qIN3c104HalfELi256ELi16E10block_q3_KLi1EXadL_ZL17vec_dot_q3_K_q8_1PKvPK10block_q8_1RKiEEEvS4_S4_PT_PS8_iiii.uses_flat_scratch, 0
	.set _ZL9moe_vec_qIN3c104HalfELi256ELi16E10block_q3_KLi1EXadL_ZL17vec_dot_q3_K_q8_1PKvPK10block_q8_1RKiEEEvS4_S4_PT_PS8_iiii.has_dyn_sized_stack, 0
	.set _ZL9moe_vec_qIN3c104HalfELi256ELi16E10block_q3_KLi1EXadL_ZL17vec_dot_q3_K_q8_1PKvPK10block_q8_1RKiEEEvS4_S4_PT_PS8_iiii.has_recursion, 0
	.set _ZL9moe_vec_qIN3c104HalfELi256ELi16E10block_q3_KLi1EXadL_ZL17vec_dot_q3_K_q8_1PKvPK10block_q8_1RKiEEEvS4_S4_PT_PS8_iiii.has_indirect_call, 0
	.section	.AMDGPU.csdata,"",@progbits
; Kernel info:
; codeLenInByte = 2956
; TotalNumSgprs: 21
; NumVgprs: 85
; ScratchSize: 0
; MemoryBound: 0
; FloatMode: 240
; IeeeMode: 1
; LDSByteSize: 0 bytes/workgroup (compile time only)
; SGPRBlocks: 0
; VGPRBlocks: 10
; NumSGPRsForWavesPerEU: 21
; NumVGPRsForWavesPerEU: 85
; Occupancy: 16
; WaveLimiterHint : 1
; COMPUTE_PGM_RSRC2:SCRATCH_EN: 0
; COMPUTE_PGM_RSRC2:USER_SGPR: 2
; COMPUTE_PGM_RSRC2:TRAP_HANDLER: 0
; COMPUTE_PGM_RSRC2:TGID_X_EN: 1
; COMPUTE_PGM_RSRC2:TGID_Y_EN: 0
; COMPUTE_PGM_RSRC2:TGID_Z_EN: 1
; COMPUTE_PGM_RSRC2:TIDIG_COMP_CNT: 1
	.section	.text._ZL9moe_vec_qIN3c104HalfELi256ELi32E10block_q4_KLi2EXadL_ZL17vec_dot_q4_K_q8_1PKvPK10block_q8_1RKiEEEvS4_S4_PT_PS8_iiii,"axG",@progbits,_ZL9moe_vec_qIN3c104HalfELi256ELi32E10block_q4_KLi2EXadL_ZL17vec_dot_q4_K_q8_1PKvPK10block_q8_1RKiEEEvS4_S4_PT_PS8_iiii,comdat
	.globl	_ZL9moe_vec_qIN3c104HalfELi256ELi32E10block_q4_KLi2EXadL_ZL17vec_dot_q4_K_q8_1PKvPK10block_q8_1RKiEEEvS4_S4_PT_PS8_iiii ; -- Begin function _ZL9moe_vec_qIN3c104HalfELi256ELi32E10block_q4_KLi2EXadL_ZL17vec_dot_q4_K_q8_1PKvPK10block_q8_1RKiEEEvS4_S4_PT_PS8_iiii
	.p2align	8
	.type	_ZL9moe_vec_qIN3c104HalfELi256ELi32E10block_q4_KLi2EXadL_ZL17vec_dot_q4_K_q8_1PKvPK10block_q8_1RKiEEEvS4_S4_PT_PS8_iiii,@function
_ZL9moe_vec_qIN3c104HalfELi256ELi32E10block_q4_KLi2EXadL_ZL17vec_dot_q4_K_q8_1PKvPK10block_q8_1RKiEEEvS4_S4_PT_PS8_iiii: ; @_ZL9moe_vec_qIN3c104HalfELi256ELi32E10block_q4_KLi2EXadL_ZL17vec_dot_q4_K_q8_1PKvPK10block_q8_1RKiEEEvS4_S4_PT_PS8_iiii
; %bb.0:
	s_clause 0x1
	s_load_u16 s2, s[0:1], 0x3e
	s_load_b128 s[4:7], s[0:1], 0x20
	v_bfe_u32 v1, v0, 10, 10
	s_wait_kmcnt 0x0
	s_delay_alu instid0(VALU_DEP_1)
	v_mad_co_u64_u32 v[1:2], null, ttmp9, s2, v[1:2]
	s_mov_b32 s2, exec_lo
	v_cmpx_gt_u32_e64 s6, v1
	s_cbranch_execz .LBB263_11
; %bb.1:
	s_load_b64 s[8:9], s[0:1], 0x10
	s_ashr_i32 s2, s5, 31
	v_bfe_u32 v8, v0, 4, 6
	s_wait_alu 0xfffe
	s_lshr_b32 s2, s2, 24
	v_dual_mov_b32 v9, 0 :: v_dual_and_b32 v0, 0x3ff, v0
	s_wait_alu 0xfffe
	s_add_co_i32 s2, s5, s2
	s_lshr_b32 s10, ttmp7, 16
	s_wait_alu 0xfffe
	s_ashr_i32 s11, s2, 8
	s_mov_b32 s12, exec_lo
	v_cmpx_gt_u32_e64 s11, v8
	s_cbranch_execz .LBB263_9
; %bb.2:
	s_load_b64 s[2:3], s[0:1], 0x18
	s_cvt_f32_u32 s5, s4
	s_lshl_b32 s13, s10, 2
	s_sub_co_i32 s16, 0, s4
	s_mul_i32 s14, s11, s6
	v_rcp_iflag_f32_e32 v2, s5
	v_and_b32_e32 v4, 3, v0
	v_mul_lo_u32 v10, v1, s11
	v_lshlrev_b32_e32 v13, 3, v8
	v_mov_b32_e32 v9, 0
	s_delay_alu instid0(VALU_DEP_4) | instskip(SKIP_1) | instid1(TRANS32_DEP_1)
	v_lshlrev_b32_e32 v11, 2, v4
	v_lshlrev_b32_e32 v15, 2, v4
	v_readfirstlane_b32 s5, v2
	v_lshlrev_b32_e32 v2, 1, v0
	s_mul_f32 s5, s5, 0x4f7ffffe
	s_wait_kmcnt 0x0
	s_load_b32 s13, s[2:3], s13 offset:0x0
	s_load_b128 s[0:3], s[0:1], 0x0
	v_bfe_u32 v5, v2, 3, 2
	s_cvt_u32_f32 s15, s5
	s_mov_b32 s5, 0
	v_and_b32_e32 v3, 30, v2
	s_delay_alu instid0(SALU_CYCLE_1) | instskip(SKIP_2) | instid1(VALU_DEP_2)
	s_mul_i32 s16, s16, s15
	v_lshlrev_b32_e32 v2, 1, v5
	s_mul_hi_u32 s16, s15, s16
	v_cmp_lt_u32_e32 vcc_lo, 15, v3
	s_add_co_i32 s15, s15, s16
	v_lshlrev_b32_e32 v12, 5, v5
	s_mul_hi_u32 s16, s10, s15
	v_lshlrev_b32_e32 v14, 1, v5
	s_mul_i32 s15, s16, s4
	s_add_co_i32 s17, s16, 1
	s_sub_co_i32 s18, s10, s15
	s_wait_kmcnt 0x0
	s_mul_i32 s14, s14, s13
	s_sub_co_i32 s13, s18, s4
	s_ashr_i32 s15, s14, 31
	s_cmp_ge_u32 s18, s4
	s_mul_u64 s[14:15], s[14:15], 0x90
	s_cselect_b32 s16, s17, s16
	s_cselect_b32 s13, s13, s18
	s_add_co_i32 s17, s16, 1
	s_cmp_ge_u32 s13, s4
	s_cselect_b32 s4, s17, s16
	s_wait_alu 0xfffe
	s_mul_i32 s4, s4, s7
	s_wait_alu 0xfffe
	s_lshl_b64 s[16:17], s[4:5], 2
	s_delay_alu instid0(SALU_CYCLE_1)
	s_add_nc_u64 s[2:3], s[2:3], s[16:17]
	s_wait_alu 0xfffe
	v_mad_co_u64_u32 v[2:3], null, v2, 36, s[2:3]
	s_add_nc_u64 s[2:3], s[0:1], s[14:15]
	s_branch .LBB263_4
.LBB263_3:                              ;   in Loop: Header=BB263_4 Depth=1
	s_wait_alu 0xfffe
	s_or_b32 exec_lo, exec_lo, s0
	v_mad_co_i64_i32 v[6:7], null, v13, 36, v[2:3]
	s_wait_loadcnt 0x1
	v_and_b32_e32 v25, 0xf0f0f0f, v17
	s_wait_loadcnt 0x0
	v_and_b32_e32 v27, 0xf0f0f0f, v16
	v_lshrrev_b32_e32 v34, 4, v16
	v_bfe_u32 v28, v16, 24, 4
	v_bfe_u32 v36, v17, 4, 4
	v_lshrrev_b16 v25, 8, v25
	v_add_co_u32 v20, s0, v6, v15
	s_wait_alu 0xf1ff
	v_add_co_ci_u32_e64 v21, null, 0, v7, s0
	v_lshrrev_b16 v34, 8, v34
	v_lshrrev_b16 v27, 8, v27
	v_and_b32_e32 v25, 0xffff, v25
	s_clause 0x3
	global_load_b32 v22, v[20:21], off offset:4
	global_load_b32 v23, v[20:21], off offset:20
	;; [unrolled: 1-line block ×4, first 2 shown]
	global_load_b32 v4, v[4:5], off
	s_clause 0x1
	global_load_b32 v5, v[6:7], off
	global_load_b32 v6, v[6:7], off offset:36
	v_bfe_u32 v26, v17, 24, 4
	v_and_b32_e32 v31, 15, v16
	v_bfe_u32 v32, v16, 16, 4
	v_lshrrev_b32_e32 v35, 28, v16
	v_bfe_u32 v38, v16, 4, 4
	v_bfe_u32 v16, v16, 20, 4
	v_and_b32_e32 v34, 15, v34
	v_and_b32_e32 v27, 0xffff, v27
	v_lshrrev_b16 v7, 8, v19
	v_and_b32_e32 v29, 15, v17
	v_bfe_u32 v30, v17, 16, 4
	v_and_b32_e32 v19, 0xff, v19
	v_bfe_u32 v37, v17, 12, 4
	v_and_b32_e32 v34, 0xffff, v34
	v_lshrrev_b16 v21, 8, v18
	v_and_b32_e32 v18, 0xff, v18
	v_bfe_u32 v33, v17, 20, 4
	v_lshrrev_b32_e32 v17, 28, v17
	v_and_b32_e32 v19, 0xffff, v19
	v_and_b32_e32 v7, 0xffff, v7
	;; [unrolled: 1-line block ×4, first 2 shown]
	v_add_nc_u32_e32 v8, 2, v8
	v_add_nc_u32_e32 v13, 16, v13
	s_delay_alu instid0(VALU_DEP_2)
	v_cmp_le_u32_e64 s0, s11, v8
	s_or_b32 s5, s0, s5
	s_wait_loadcnt 0x6
	v_lshrrev_b16 v39, 8, v22
	v_bfe_i32 v43, v22, 0, 8
	s_wait_loadcnt 0x5
	v_lshrrev_b16 v40, 8, v23
	v_ashrrev_i32_e32 v42, 24, v22
	v_bfe_i32 v22, v22, 16, 8
	v_bfe_i32 v39, v39, 0, 8
	v_ashrrev_i32_e32 v44, 24, v23
	s_wait_loadcnt 0x3
	v_bfe_i32 v46, v20, 0, 8
	v_bfe_i32 v47, v20, 8, 8
	;; [unrolled: 1-line block ×3, first 2 shown]
	v_ashrrev_i32_e32 v20, 24, v20
	v_add_nc_u32_e32 v51, v39, v43
	v_lshrrev_b16 v41, 8, v24
	v_bfe_i32 v45, v23, 16, 8
	v_bfe_i32 v23, v23, 0, 8
	;; [unrolled: 1-line block ×3, first 2 shown]
	v_ashrrev_i32_e32 v50, 24, v24
	v_bfe_i32 v24, v24, 16, 8
	v_bfe_i32 v40, v40, 0, 8
	v_mul_i32_i24_e32 v28, v44, v28
	v_mul_i32_i24_e32 v36, v46, v36
	v_add_nc_u32_e32 v46, v46, v20
	v_mul_i32_i24_e32 v25, v39, v25
	v_add3_u32 v39, v51, v22, v42
	v_mul_i32_i24_e32 v31, v23, v31
	v_mul_i32_i24_e32 v32, v45, v32
	v_bfe_i32 v41, v41, 0, 8
	v_mul_i32_i24_e32 v16, v24, v16
	v_mul_i32_i24_e32 v35, v50, v35
	;; [unrolled: 1-line block ×3, first 2 shown]
	v_mad_i32_i24 v26, v42, v26, v28
	v_add3_u32 v28, v46, v47, v48
	v_add3_u32 v23, v39, v40, v23
	v_mul_i32_i24_e32 v37, v47, v37
	v_mad_i32_i24 v22, v22, v30, v32
	v_mad_i32_i24 v29, v43, v29, v31
	;; [unrolled: 1-line block ×4, first 2 shown]
	v_add3_u32 v25, v25, v27, v26
	v_add3_u32 v26, v28, v41, v49
	;; [unrolled: 1-line block ×3, first 2 shown]
	v_mul_i32_i24_e32 v33, v48, v33
	v_mad_i32_i24 v17, v20, v17, v37
	v_add3_u32 v16, v16, v30, v36
	v_add3_u32 v20, v29, v22, v25
	;; [unrolled: 1-line block ×3, first 2 shown]
	v_mul_lo_u32 v19, v23, v19
	s_delay_alu instid0(VALU_DEP_4) | instskip(NEXT) | instid1(VALU_DEP_4)
	v_add3_u32 v16, v16, v17, v33
	v_mul_lo_u32 v17, v20, v18
	s_delay_alu instid0(VALU_DEP_4) | instskip(NEXT) | instid1(VALU_DEP_3)
	v_mul_lo_u32 v7, v22, v7
	v_mul_lo_u32 v16, v16, v21
	v_cvt_f32_i32_e32 v18, v19
	s_wait_loadcnt 0x2
	v_lshrrev_b32_e32 v19, 16, v4
	v_cvt_f32_i32_e32 v17, v17
	v_cvt_f32_i32_e32 v7, v7
	s_wait_loadcnt 0x1
	v_fma_mix_f32 v18, v5, v18, 0 op_sel_hi:[1,0,0]
	v_cvt_f32_f16_e32 v19, v19
	v_cvt_f32_i32_e32 v16, v16
	v_fma_mix_f32 v5, v5, v17, 0 op_sel_hi:[1,0,0]
	s_wait_loadcnt 0x0
	v_fma_mix_f32 v7, v6, v7, v18 op_sel_hi:[1,0,0]
	s_delay_alu instid0(VALU_DEP_2) | instskip(NEXT) | instid1(VALU_DEP_2)
	v_fma_mix_f32 v5, v6, v16, v5 op_sel_hi:[1,0,0]
	v_mul_f32_e32 v6, v7, v19
	s_delay_alu instid0(VALU_DEP_1) | instskip(NEXT) | instid1(VALU_DEP_1)
	v_fma_mix_f32 v4, v5, v4, -v6 op_sel_hi:[0,1,0]
	v_add_f32_e32 v9, v9, v4
	s_wait_alu 0xfffe
	s_and_not1_b32 exec_lo, exec_lo, s5
	s_cbranch_execz .LBB263_8
.LBB263_4:                              ; =>This Inner Loop Header: Depth=1
	v_add_nc_u32_e32 v4, v10, v8
                                        ; implicit-def: $vgpr18
                                        ; implicit-def: $vgpr19
	s_wait_alu 0xfffe
	s_delay_alu instid0(VALU_DEP_1) | instskip(NEXT) | instid1(VALU_DEP_1)
	v_mad_co_i64_i32 v[4:5], null, 0x90, v4, s[2:3]
	v_add_co_u32 v6, s0, v4, v12
	s_wait_alu 0xf1ff
	s_delay_alu instid0(VALU_DEP_2) | instskip(NEXT) | instid1(VALU_DEP_2)
	v_add_co_ci_u32_e64 v7, null, 0, v5, s0
	v_add_co_u32 v6, s0, v6, v11
	s_wait_alu 0xf1ff
	s_delay_alu instid0(VALU_DEP_2)
	v_add_co_ci_u32_e64 v7, null, 0, v7, s0
	s_clause 0x1
	global_load_b32 v17, v[6:7], off offset:16
	global_load_b32 v16, v[6:7], off offset:32
	v_add_co_u32 v6, s0, v4, v14
	s_wait_alu 0xf1ff
	v_add_co_ci_u32_e64 v7, null, 0, v5, s0
	s_and_saveexec_b32 s0, vcc_lo
	s_wait_alu 0xfffe
	s_xor_b32 s0, exec_lo, s0
	s_cbranch_execz .LBB263_6
; %bb.5:                                ;   in Loop: Header=BB263_4 Depth=1
	s_clause 0x2
	global_load_u16 v18, v[6:7], off
	global_load_u16 v19, v[6:7], off offset:8
	global_load_u16 v6, v[6:7], off offset:4
	s_wait_loadcnt 0x2
	v_lshrrev_b16 v7, 2, v18
	s_wait_loadcnt 0x1
	v_lshrrev_b16 v18, 4, v19
	;; [unrolled: 2-line block ×3, first 2 shown]
	v_and_b32_e32 v19, 0xf0f, v19
	v_and_b32_e32 v7, 0x3030, v7
	;; [unrolled: 1-line block ×3, first 2 shown]
	s_delay_alu instid0(VALU_DEP_4) | instskip(NEXT) | instid1(VALU_DEP_3)
	v_and_b32_e32 v6, 0x3030, v6
	v_or_b32_e32 v18, v7, v19
	s_delay_alu instid0(VALU_DEP_2)
	v_or_b32_e32 v19, v6, v20
                                        ; implicit-def: $vgpr6_vgpr7
.LBB263_6:                              ;   in Loop: Header=BB263_4 Depth=1
	s_wait_alu 0xfffe
	s_and_not1_saveexec_b32 s0, s0
	s_cbranch_execz .LBB263_3
; %bb.7:                                ;   in Loop: Header=BB263_4 Depth=1
	s_clause 0x1
	global_load_u16 v18, v[6:7], off offset:4
	global_load_u16 v6, v[6:7], off offset:8
	s_wait_loadcnt 0x1
	v_and_b32_e32 v18, 0x3f3f, v18
	s_wait_loadcnt 0x0
	v_and_b32_e32 v19, 0x3f3f, v6
	s_branch .LBB263_3
.LBB263_8:
	s_or_b32 exec_lo, exec_lo, s5
.LBB263_9:
	s_delay_alu instid0(SALU_CYCLE_1) | instskip(SKIP_1) | instid1(VALU_DEP_1)
	s_or_b32 exec_lo, exec_lo, s12
	v_mbcnt_lo_u32_b32 v2, -1, 0
	v_xor_b32_e32 v3, 16, v2
	v_xor_b32_e32 v4, 8, v2
	;; [unrolled: 1-line block ×3, first 2 shown]
	s_delay_alu instid0(VALU_DEP_3) | instskip(SKIP_1) | instid1(VALU_DEP_4)
	v_cmp_gt_i32_e32 vcc_lo, 32, v3
	v_cndmask_b32_e32 v3, v2, v3, vcc_lo
	v_cmp_gt_i32_e32 vcc_lo, 32, v4
	s_wait_alu 0xfffd
	v_cndmask_b32_e32 v4, v2, v4, vcc_lo
	v_cmp_gt_i32_e32 vcc_lo, 32, v5
	s_delay_alu instid0(VALU_DEP_2)
	v_lshlrev_b32_e32 v4, 2, v4
	v_lshlrev_b32_e32 v3, 2, v3
	s_wait_alu 0xfffd
	v_cndmask_b32_e32 v5, v2, v5, vcc_lo
	ds_bpermute_b32 v3, v3, v9
	v_lshlrev_b32_e32 v5, 2, v5
	s_wait_dscnt 0x0
	v_add_f32_e32 v3, v9, v3
	ds_bpermute_b32 v4, v4, v3
	s_wait_dscnt 0x0
	v_add_f32_e32 v3, v3, v4
	ds_bpermute_b32 v4, v5, v3
	v_xor_b32_e32 v5, 2, v2
	s_delay_alu instid0(VALU_DEP_1) | instskip(SKIP_2) | instid1(VALU_DEP_1)
	v_cmp_gt_i32_e32 vcc_lo, 32, v5
	s_wait_alu 0xfffd
	v_cndmask_b32_e32 v5, v2, v5, vcc_lo
	v_lshlrev_b32_e32 v5, 2, v5
	s_wait_dscnt 0x0
	v_add_f32_e32 v3, v3, v4
	ds_bpermute_b32 v4, v5, v3
	v_xor_b32_e32 v5, 1, v2
	s_delay_alu instid0(VALU_DEP_1) | instskip(SKIP_4) | instid1(VALU_DEP_2)
	v_cmp_gt_i32_e32 vcc_lo, 32, v5
	s_wait_alu 0xfffd
	v_cndmask_b32_e32 v5, v2, v5, vcc_lo
	v_cmp_eq_u32_e32 vcc_lo, 0, v0
	s_wait_dscnt 0x0
	v_dual_add_f32 v2, v3, v4 :: v_dual_lshlrev_b32 v3, 2, v5
	ds_bpermute_b32 v3, v3, v2
	s_and_b32 exec_lo, exec_lo, vcc_lo
	s_cbranch_execz .LBB263_11
; %bb.10:
	v_mad_co_u64_u32 v[0:1], null, s6, s10, v[1:2]
	s_wait_dscnt 0x0
	v_dual_mov_b32 v1, 0 :: v_dual_add_f32 v2, v2, v3
	s_delay_alu instid0(VALU_DEP_1) | instskip(NEXT) | instid1(VALU_DEP_2)
	v_cvt_f16_f32_e32 v2, v2
	v_lshlrev_b64_e32 v[0:1], 1, v[0:1]
	s_wait_kmcnt 0x0
	s_delay_alu instid0(VALU_DEP_1) | instskip(SKIP_1) | instid1(VALU_DEP_2)
	v_add_co_u32 v0, vcc_lo, s8, v0
	s_wait_alu 0xfffd
	v_add_co_ci_u32_e64 v1, null, s9, v1, vcc_lo
	global_store_b16 v[0:1], v2, off
.LBB263_11:
	s_endpgm
	.section	.rodata,"a",@progbits
	.p2align	6, 0x0
	.amdhsa_kernel _ZL9moe_vec_qIN3c104HalfELi256ELi32E10block_q4_KLi2EXadL_ZL17vec_dot_q4_K_q8_1PKvPK10block_q8_1RKiEEEvS4_S4_PT_PS8_iiii
		.amdhsa_group_segment_fixed_size 0
		.amdhsa_private_segment_fixed_size 0
		.amdhsa_kernarg_size 304
		.amdhsa_user_sgpr_count 2
		.amdhsa_user_sgpr_dispatch_ptr 0
		.amdhsa_user_sgpr_queue_ptr 0
		.amdhsa_user_sgpr_kernarg_segment_ptr 1
		.amdhsa_user_sgpr_dispatch_id 0
		.amdhsa_user_sgpr_private_segment_size 0
		.amdhsa_wavefront_size32 1
		.amdhsa_uses_dynamic_stack 0
		.amdhsa_enable_private_segment 0
		.amdhsa_system_sgpr_workgroup_id_x 1
		.amdhsa_system_sgpr_workgroup_id_y 0
		.amdhsa_system_sgpr_workgroup_id_z 1
		.amdhsa_system_sgpr_workgroup_info 0
		.amdhsa_system_vgpr_workitem_id 1
		.amdhsa_next_free_vgpr 52
		.amdhsa_next_free_sgpr 19
		.amdhsa_reserve_vcc 1
		.amdhsa_float_round_mode_32 0
		.amdhsa_float_round_mode_16_64 0
		.amdhsa_float_denorm_mode_32 3
		.amdhsa_float_denorm_mode_16_64 3
		.amdhsa_fp16_overflow 0
		.amdhsa_workgroup_processor_mode 1
		.amdhsa_memory_ordered 1
		.amdhsa_forward_progress 1
		.amdhsa_inst_pref_size 15
		.amdhsa_round_robin_scheduling 0
		.amdhsa_exception_fp_ieee_invalid_op 0
		.amdhsa_exception_fp_denorm_src 0
		.amdhsa_exception_fp_ieee_div_zero 0
		.amdhsa_exception_fp_ieee_overflow 0
		.amdhsa_exception_fp_ieee_underflow 0
		.amdhsa_exception_fp_ieee_inexact 0
		.amdhsa_exception_int_div_zero 0
	.end_amdhsa_kernel
	.section	.text._ZL9moe_vec_qIN3c104HalfELi256ELi32E10block_q4_KLi2EXadL_ZL17vec_dot_q4_K_q8_1PKvPK10block_q8_1RKiEEEvS4_S4_PT_PS8_iiii,"axG",@progbits,_ZL9moe_vec_qIN3c104HalfELi256ELi32E10block_q4_KLi2EXadL_ZL17vec_dot_q4_K_q8_1PKvPK10block_q8_1RKiEEEvS4_S4_PT_PS8_iiii,comdat
.Lfunc_end263:
	.size	_ZL9moe_vec_qIN3c104HalfELi256ELi32E10block_q4_KLi2EXadL_ZL17vec_dot_q4_K_q8_1PKvPK10block_q8_1RKiEEEvS4_S4_PT_PS8_iiii, .Lfunc_end263-_ZL9moe_vec_qIN3c104HalfELi256ELi32E10block_q4_KLi2EXadL_ZL17vec_dot_q4_K_q8_1PKvPK10block_q8_1RKiEEEvS4_S4_PT_PS8_iiii
                                        ; -- End function
	.set _ZL9moe_vec_qIN3c104HalfELi256ELi32E10block_q4_KLi2EXadL_ZL17vec_dot_q4_K_q8_1PKvPK10block_q8_1RKiEEEvS4_S4_PT_PS8_iiii.num_vgpr, 52
	.set _ZL9moe_vec_qIN3c104HalfELi256ELi32E10block_q4_KLi2EXadL_ZL17vec_dot_q4_K_q8_1PKvPK10block_q8_1RKiEEEvS4_S4_PT_PS8_iiii.num_agpr, 0
	.set _ZL9moe_vec_qIN3c104HalfELi256ELi32E10block_q4_KLi2EXadL_ZL17vec_dot_q4_K_q8_1PKvPK10block_q8_1RKiEEEvS4_S4_PT_PS8_iiii.numbered_sgpr, 19
	.set _ZL9moe_vec_qIN3c104HalfELi256ELi32E10block_q4_KLi2EXadL_ZL17vec_dot_q4_K_q8_1PKvPK10block_q8_1RKiEEEvS4_S4_PT_PS8_iiii.num_named_barrier, 0
	.set _ZL9moe_vec_qIN3c104HalfELi256ELi32E10block_q4_KLi2EXadL_ZL17vec_dot_q4_K_q8_1PKvPK10block_q8_1RKiEEEvS4_S4_PT_PS8_iiii.private_seg_size, 0
	.set _ZL9moe_vec_qIN3c104HalfELi256ELi32E10block_q4_KLi2EXadL_ZL17vec_dot_q4_K_q8_1PKvPK10block_q8_1RKiEEEvS4_S4_PT_PS8_iiii.uses_vcc, 1
	.set _ZL9moe_vec_qIN3c104HalfELi256ELi32E10block_q4_KLi2EXadL_ZL17vec_dot_q4_K_q8_1PKvPK10block_q8_1RKiEEEvS4_S4_PT_PS8_iiii.uses_flat_scratch, 0
	.set _ZL9moe_vec_qIN3c104HalfELi256ELi32E10block_q4_KLi2EXadL_ZL17vec_dot_q4_K_q8_1PKvPK10block_q8_1RKiEEEvS4_S4_PT_PS8_iiii.has_dyn_sized_stack, 0
	.set _ZL9moe_vec_qIN3c104HalfELi256ELi32E10block_q4_KLi2EXadL_ZL17vec_dot_q4_K_q8_1PKvPK10block_q8_1RKiEEEvS4_S4_PT_PS8_iiii.has_recursion, 0
	.set _ZL9moe_vec_qIN3c104HalfELi256ELi32E10block_q4_KLi2EXadL_ZL17vec_dot_q4_K_q8_1PKvPK10block_q8_1RKiEEEvS4_S4_PT_PS8_iiii.has_indirect_call, 0
	.section	.AMDGPU.csdata,"",@progbits
; Kernel info:
; codeLenInByte = 1864
; TotalNumSgprs: 21
; NumVgprs: 52
; ScratchSize: 0
; MemoryBound: 0
; FloatMode: 240
; IeeeMode: 1
; LDSByteSize: 0 bytes/workgroup (compile time only)
; SGPRBlocks: 0
; VGPRBlocks: 6
; NumSGPRsForWavesPerEU: 21
; NumVGPRsForWavesPerEU: 52
; Occupancy: 16
; WaveLimiterHint : 1
; COMPUTE_PGM_RSRC2:SCRATCH_EN: 0
; COMPUTE_PGM_RSRC2:USER_SGPR: 2
; COMPUTE_PGM_RSRC2:TRAP_HANDLER: 0
; COMPUTE_PGM_RSRC2:TGID_X_EN: 1
; COMPUTE_PGM_RSRC2:TGID_Y_EN: 0
; COMPUTE_PGM_RSRC2:TGID_Z_EN: 1
; COMPUTE_PGM_RSRC2:TIDIG_COMP_CNT: 1
	.section	.text._ZL9moe_vec_qIN3c104HalfELi256ELi32E10block_q5_KLi2EXadL_ZL17vec_dot_q5_K_q8_1PKvPK10block_q8_1RKiEEEvS4_S4_PT_PS8_iiii,"axG",@progbits,_ZL9moe_vec_qIN3c104HalfELi256ELi32E10block_q5_KLi2EXadL_ZL17vec_dot_q5_K_q8_1PKvPK10block_q8_1RKiEEEvS4_S4_PT_PS8_iiii,comdat
	.globl	_ZL9moe_vec_qIN3c104HalfELi256ELi32E10block_q5_KLi2EXadL_ZL17vec_dot_q5_K_q8_1PKvPK10block_q8_1RKiEEEvS4_S4_PT_PS8_iiii ; -- Begin function _ZL9moe_vec_qIN3c104HalfELi256ELi32E10block_q5_KLi2EXadL_ZL17vec_dot_q5_K_q8_1PKvPK10block_q8_1RKiEEEvS4_S4_PT_PS8_iiii
	.p2align	8
	.type	_ZL9moe_vec_qIN3c104HalfELi256ELi32E10block_q5_KLi2EXadL_ZL17vec_dot_q5_K_q8_1PKvPK10block_q8_1RKiEEEvS4_S4_PT_PS8_iiii,@function
_ZL9moe_vec_qIN3c104HalfELi256ELi32E10block_q5_KLi2EXadL_ZL17vec_dot_q5_K_q8_1PKvPK10block_q8_1RKiEEEvS4_S4_PT_PS8_iiii: ; @_ZL9moe_vec_qIN3c104HalfELi256ELi32E10block_q5_KLi2EXadL_ZL17vec_dot_q5_K_q8_1PKvPK10block_q8_1RKiEEEvS4_S4_PT_PS8_iiii
; %bb.0:
	s_clause 0x1
	s_load_u16 s2, s[0:1], 0x3e
	s_load_b128 s[4:7], s[0:1], 0x20
	v_bfe_u32 v1, v0, 10, 10
	s_wait_kmcnt 0x0
	s_delay_alu instid0(VALU_DEP_1)
	v_mad_co_u64_u32 v[1:2], null, ttmp9, s2, v[1:2]
	s_mov_b32 s2, exec_lo
	v_cmpx_gt_u32_e64 s6, v1
	s_cbranch_execz .LBB264_11
; %bb.1:
	s_load_b64 s[8:9], s[0:1], 0x10
	s_ashr_i32 s2, s5, 31
	v_bfe_u32 v8, v0, 4, 6
	s_wait_alu 0xfffe
	s_lshr_b32 s2, s2, 24
	v_dual_mov_b32 v9, 0 :: v_dual_and_b32 v0, 0x3ff, v0
	s_wait_alu 0xfffe
	s_add_co_i32 s2, s5, s2
	s_lshr_b32 s10, ttmp7, 16
	s_wait_alu 0xfffe
	s_ashr_i32 s11, s2, 8
	s_mov_b32 s12, exec_lo
	v_cmpx_gt_u32_e64 s11, v8
	s_cbranch_execz .LBB264_9
; %bb.2:
	s_load_b64 s[2:3], s[0:1], 0x18
	s_cvt_f32_u32 s5, s4
	s_lshl_b32 s13, s10, 2
	s_sub_co_i32 s16, 0, s4
	s_mul_i32 s14, s11, s6
	v_rcp_iflag_f32_e32 v2, s5
	v_and_b32_e32 v4, 3, v0
	v_mul_lo_u32 v10, v1, s11
	v_dual_mov_b32 v9, 0 :: v_dual_lshlrev_b32 v14, 3, v8
	s_delay_alu instid0(VALU_DEP_3) | instskip(SKIP_1) | instid1(TRANS32_DEP_1)
	v_lshlrev_b32_e32 v11, 2, v4
	v_lshlrev_b32_e32 v16, 2, v4
	v_readfirstlane_b32 s5, v2
	v_lshlrev_b32_e32 v2, 1, v0
	s_mul_f32 s5, s5, 0x4f7ffffe
	s_wait_kmcnt 0x0
	s_load_b32 s13, s[2:3], s13 offset:0x0
	s_load_b128 s[0:3], s[0:1], 0x0
	v_bfe_u32 v5, v2, 3, 2
	s_cvt_u32_f32 s15, s5
	s_mov_b32 s5, 0
	v_and_b32_e32 v3, 30, v2
	s_delay_alu instid0(SALU_CYCLE_1) | instskip(SKIP_2) | instid1(VALU_DEP_2)
	s_mul_i32 s16, s16, s15
	v_lshlrev_b32_e32 v13, 1, v5
	s_mul_hi_u32 s16, s15, s16
	v_cmp_lt_u32_e32 vcc_lo, 15, v3
	s_add_co_i32 s15, s15, s16
	v_lshlrev_b32_e32 v12, 5, v5
	s_mul_hi_u32 s16, s10, s15
	v_lshlrev_b32_e32 v15, 1, v5
	s_mul_i32 s15, s16, s4
	s_add_co_i32 s17, s16, 1
	s_sub_co_i32 s18, s10, s15
	s_wait_kmcnt 0x0
	s_mul_i32 s14, s14, s13
	s_sub_co_i32 s13, s18, s4
	s_ashr_i32 s15, s14, 31
	s_cmp_ge_u32 s18, s4
	s_mul_u64 s[14:15], s[14:15], 0xb0
	s_cselect_b32 s16, s17, s16
	s_cselect_b32 s13, s13, s18
	s_add_co_i32 s17, s16, 1
	s_cmp_ge_u32 s13, s4
	s_cselect_b32 s4, s17, s16
	s_wait_alu 0xfffe
	s_mul_i32 s4, s4, s7
	s_wait_alu 0xfffe
	s_lshl_b64 s[16:17], s[4:5], 2
	s_delay_alu instid0(SALU_CYCLE_1)
	s_add_nc_u64 s[2:3], s[2:3], s[16:17]
	s_wait_alu 0xfffe
	v_mad_co_u64_u32 v[2:3], null, v13, 36, s[2:3]
	s_add_nc_u64 s[2:3], s[0:1], s[14:15]
	s_branch .LBB264_4
.LBB264_3:                              ;   in Loop: Header=BB264_4 Depth=1
	s_wait_alu 0xfffe
	s_or_b32 exec_lo, exec_lo, s0
	v_mad_co_i64_i32 v[6:7], null, v14, 36, v[2:3]
	s_wait_loadcnt 0x0
	v_ashrrev_i32_e32 v22, v13, v22
	v_ashrrev_i32_e32 v21, v13, v21
	v_and_b32_e32 v29, 0xf0f0f0f, v17
	v_and_b32_e32 v28, 0xf0f0f0f, v18
	v_lshrrev_b32_e32 v18, 4, v18
	v_lshlrev_b32_e32 v31, 4, v22
	v_add_co_u32 v23, s0, v6, v16
	s_wait_alu 0xf1ff
	v_add_co_ci_u32_e64 v24, null, 0, v7, s0
	v_lshrrev_b32_e32 v17, 4, v17
	v_lshlrev_b32_e32 v30, 4, v21
	v_and_or_b32 v29, 0x10101010, v31, v29
	s_clause 0x3
	global_load_b32 v25, v[23:24], off offset:4
	global_load_b32 v26, v[23:24], off offset:20
	;; [unrolled: 1-line block ×4, first 2 shown]
	global_load_b32 v4, v[4:5], off
	s_clause 0x1
	global_load_b32 v5, v[6:7], off
	global_load_b32 v6, v[6:7], off offset:36
	v_and_b32_e32 v18, 0xf0f0f0f, v18
	v_and_b32_e32 v17, 0xf0f0f0f, v17
	v_lshlrev_b32_e32 v21, 3, v21
	v_lshlrev_b32_e32 v22, 3, v22
	v_and_or_b32 v28, 0x10101010, v30, v28
	v_bfe_u32 v32, v29, 16, 5
	v_lshrrev_b32_e32 v30, 24, v29
	v_and_or_b32 v18, 0x10101010, v21, v18
	v_and_or_b32 v17, 0x10101010, v22, v17
	v_lshrrev_b32_e32 v21, 24, v28
	v_lshrrev_b16 v22, 8, v28
	v_lshrrev_b16 v31, 8, v29
	v_and_b32_e32 v33, 31, v28
	v_bfe_u32 v28, v28, 16, 5
	v_and_b32_e32 v29, 31, v29
	v_lshrrev_b16 v35, 8, v18
	v_lshrrev_b32_e32 v36, 24, v17
	v_lshrrev_b16 v37, 8, v17
	v_and_b32_e32 v31, 0xffff, v31
	v_and_b32_e32 v22, 0xffff, v22
	v_lshrrev_b16 v7, 8, v20
	v_and_b32_e32 v20, 0xff, v20
	v_lshrrev_b32_e32 v34, 24, v18
	v_bfe_u32 v38, v17, 16, 5
	v_and_b32_e32 v17, 31, v17
	v_and_b32_e32 v37, 0xffff, v37
	;; [unrolled: 1-line block ×3, first 2 shown]
	v_lshrrev_b16 v24, 8, v19
	v_and_b32_e32 v19, 0xff, v19
	v_and_b32_e32 v20, 0xffff, v20
	;; [unrolled: 1-line block ×3, first 2 shown]
	v_bfe_u32 v18, v18, 16, 5
	v_and_b32_e32 v7, 0xffff, v7
	v_and_b32_e32 v19, 0xffff, v19
	v_add_nc_u32_e32 v8, 2, v8
	v_add_nc_u32_e32 v14, 16, v14
	s_delay_alu instid0(VALU_DEP_2)
	v_cmp_le_u32_e64 s0, s11, v8
	s_or_b32 s5, s0, s5
	s_wait_loadcnt 0x6
	v_lshrrev_b16 v40, 8, v25
	s_wait_loadcnt 0x5
	v_bfe_i32 v44, v26, 16, 8
	s_wait_loadcnt 0x4
	v_lshrrev_b16 v42, 8, v27
	v_bfe_i32 v46, v25, 0, 8
	v_lshrrev_b16 v41, 8, v26
	v_bfe_i32 v40, v40, 0, 8
	v_ashrrev_i32_e32 v43, 24, v26
	v_ashrrev_i32_e32 v45, 24, v25
	v_bfe_i32 v25, v25, 16, 8
	v_bfe_i32 v51, v27, 0, 8
	v_mul_i32_i24_e32 v32, v44, v32
	v_bfe_i32 v42, v42, 0, 8
	v_add_nc_u32_e32 v52, v46, v40
	v_bfe_i32 v26, v26, 0, 8
	s_wait_loadcnt 0x3
	v_ashrrev_i32_e32 v47, 24, v23
	v_ashrrev_i32_e32 v50, 24, v27
	v_bfe_i32 v27, v27, 16, 8
	v_bfe_i32 v41, v41, 0, 8
	v_mul_i32_i24_e32 v30, v43, v30
	v_mad_i32_i24 v28, v25, v28, v32
	v_add_nc_u32_e32 v32, v51, v42
	v_add3_u32 v25, v52, v25, v45
	v_bfe_i32 v48, v23, 16, 8
	v_bfe_i32 v49, v23, 8, 8
	;; [unrolled: 1-line block ×3, first 2 shown]
	v_mul_i32_i24_e32 v29, v26, v29
	v_mul_i32_i24_e32 v36, v47, v36
	;; [unrolled: 1-line block ×4, first 2 shown]
	v_mad_i32_i24 v21, v45, v21, v30
	v_add3_u32 v32, v32, v27, v50
	v_add3_u32 v25, v25, v26, v41
	v_mul_i32_i24_e32 v17, v23, v17
	v_mul_i32_i24_e32 v37, v49, v37
	;; [unrolled: 1-line block ×3, first 2 shown]
	v_mad_i32_i24 v29, v46, v33, v29
	v_mul_i32_i24_e32 v30, v42, v35
	v_mad_i32_i24 v26, v50, v34, v36
	v_add3_u32 v21, v22, v31, v21
	v_add3_u32 v22, v32, v47, v23
	;; [unrolled: 1-line block ×3, first 2 shown]
	v_mad_i32_i24 v18, v27, v18, v38
	v_mad_i32_i24 v17, v51, v39, v17
	v_add3_u32 v25, v30, v37, v26
	v_add3_u32 v21, v29, v28, v21
	;; [unrolled: 1-line block ×3, first 2 shown]
	v_mul_lo_u32 v20, v23, v20
	v_and_b32_e32 v23, 0xffff, v24
	v_add3_u32 v17, v17, v18, v25
	v_mul_lo_u32 v18, v21, v19
	v_mul_lo_u32 v7, v22, v7
	s_delay_alu instid0(VALU_DEP_3)
	v_mul_lo_u32 v17, v17, v23
	v_cvt_f32_i32_e32 v19, v20
	s_wait_loadcnt 0x2
	v_lshrrev_b32_e32 v20, 16, v4
	v_cvt_f32_i32_e32 v18, v18
	v_cvt_f32_i32_e32 v7, v7
	s_wait_loadcnt 0x1
	v_fma_mix_f32 v19, v5, v19, 0 op_sel_hi:[1,0,0]
	v_cvt_f32_f16_e32 v20, v20
	v_cvt_f32_i32_e32 v17, v17
	v_fma_mix_f32 v5, v5, v18, 0 op_sel_hi:[1,0,0]
	s_wait_loadcnt 0x0
	v_fma_mix_f32 v7, v6, v7, v19 op_sel_hi:[1,0,0]
	s_delay_alu instid0(VALU_DEP_2) | instskip(NEXT) | instid1(VALU_DEP_2)
	v_fma_mix_f32 v5, v6, v17, v5 op_sel_hi:[1,0,0]
	v_mul_f32_e32 v6, v7, v20
	s_delay_alu instid0(VALU_DEP_1) | instskip(NEXT) | instid1(VALU_DEP_1)
	v_fma_mix_f32 v4, v5, v4, -v6 op_sel_hi:[0,1,0]
	v_add_f32_e32 v9, v9, v4
	s_wait_alu 0xfffe
	s_and_not1_b32 exec_lo, exec_lo, s5
	s_cbranch_execz .LBB264_8
.LBB264_4:                              ; =>This Inner Loop Header: Depth=1
	v_add_nc_u32_e32 v4, v10, v8
	s_wait_alu 0xfffe
	s_delay_alu instid0(VALU_DEP_1) | instskip(NEXT) | instid1(VALU_DEP_1)
	v_mad_co_i64_i32 v[4:5], null, 0xb0, v4, s[2:3]
	v_add_co_u32 v6, s0, v4, v12
	s_wait_alu 0xf1ff
	s_delay_alu instid0(VALU_DEP_2) | instskip(NEXT) | instid1(VALU_DEP_2)
	v_add_co_ci_u32_e64 v7, null, 0, v5, s0
	v_add_co_u32 v6, s0, v6, v11
	s_wait_alu 0xf1ff
	s_delay_alu instid0(VALU_DEP_2)
	v_add_co_ci_u32_e64 v7, null, 0, v7, s0
	v_add_co_u32 v19, s0, v4, v11
	s_wait_alu 0xf1ff
	v_add_co_ci_u32_e64 v20, null, 0, v5, s0
	s_clause 0x3
	global_load_b32 v18, v[6:7], off offset:48
	global_load_b32 v17, v[6:7], off offset:64
	;; [unrolled: 1-line block ×4, first 2 shown]
	v_add_co_u32 v6, s0, v4, v15
	s_wait_alu 0xf1ff
	v_add_co_ci_u32_e64 v7, null, 0, v5, s0
                                        ; implicit-def: $vgpr19
                                        ; implicit-def: $vgpr20
	s_and_saveexec_b32 s0, vcc_lo
	s_wait_alu 0xfffe
	s_xor_b32 s0, exec_lo, s0
	s_cbranch_execz .LBB264_6
; %bb.5:                                ;   in Loop: Header=BB264_4 Depth=1
	s_clause 0x2
	global_load_u16 v19, v[6:7], off
	global_load_u16 v20, v[6:7], off offset:8
	global_load_u16 v6, v[6:7], off offset:4
	s_wait_loadcnt 0x2
	v_lshrrev_b16 v7, 2, v19
	s_wait_loadcnt 0x1
	v_lshrrev_b16 v19, 4, v20
	;; [unrolled: 2-line block ×3, first 2 shown]
	v_and_b32_e32 v20, 0xf0f, v20
	v_and_b32_e32 v7, 0x3030, v7
	v_and_b32_e32 v23, 0xf0f, v19
	s_delay_alu instid0(VALU_DEP_4) | instskip(NEXT) | instid1(VALU_DEP_3)
	v_and_b32_e32 v6, 0x3030, v6
	v_or_b32_e32 v19, v7, v20
	s_delay_alu instid0(VALU_DEP_2)
	v_or_b32_e32 v20, v6, v23
                                        ; implicit-def: $vgpr6_vgpr7
.LBB264_6:                              ;   in Loop: Header=BB264_4 Depth=1
	s_wait_alu 0xfffe
	s_and_not1_saveexec_b32 s0, s0
	s_cbranch_execz .LBB264_3
; %bb.7:                                ;   in Loop: Header=BB264_4 Depth=1
	s_clause 0x1
	global_load_u16 v19, v[6:7], off offset:4
	global_load_u16 v6, v[6:7], off offset:8
	s_wait_loadcnt 0x1
	v_and_b32_e32 v19, 0x3f3f, v19
	s_wait_loadcnt 0x0
	v_and_b32_e32 v20, 0x3f3f, v6
	s_branch .LBB264_3
.LBB264_8:
	s_or_b32 exec_lo, exec_lo, s5
.LBB264_9:
	s_delay_alu instid0(SALU_CYCLE_1) | instskip(SKIP_1) | instid1(VALU_DEP_1)
	s_or_b32 exec_lo, exec_lo, s12
	v_mbcnt_lo_u32_b32 v2, -1, 0
	v_xor_b32_e32 v3, 16, v2
	v_xor_b32_e32 v4, 8, v2
	;; [unrolled: 1-line block ×3, first 2 shown]
	s_delay_alu instid0(VALU_DEP_3) | instskip(SKIP_1) | instid1(VALU_DEP_4)
	v_cmp_gt_i32_e32 vcc_lo, 32, v3
	v_cndmask_b32_e32 v3, v2, v3, vcc_lo
	v_cmp_gt_i32_e32 vcc_lo, 32, v4
	s_wait_alu 0xfffd
	v_cndmask_b32_e32 v4, v2, v4, vcc_lo
	v_cmp_gt_i32_e32 vcc_lo, 32, v5
	s_delay_alu instid0(VALU_DEP_2)
	v_lshlrev_b32_e32 v4, 2, v4
	v_lshlrev_b32_e32 v3, 2, v3
	s_wait_alu 0xfffd
	v_cndmask_b32_e32 v5, v2, v5, vcc_lo
	ds_bpermute_b32 v3, v3, v9
	v_lshlrev_b32_e32 v5, 2, v5
	s_wait_dscnt 0x0
	v_add_f32_e32 v3, v9, v3
	ds_bpermute_b32 v4, v4, v3
	s_wait_dscnt 0x0
	v_add_f32_e32 v3, v3, v4
	ds_bpermute_b32 v4, v5, v3
	v_xor_b32_e32 v5, 2, v2
	s_delay_alu instid0(VALU_DEP_1) | instskip(SKIP_2) | instid1(VALU_DEP_1)
	v_cmp_gt_i32_e32 vcc_lo, 32, v5
	s_wait_alu 0xfffd
	v_cndmask_b32_e32 v5, v2, v5, vcc_lo
	v_lshlrev_b32_e32 v5, 2, v5
	s_wait_dscnt 0x0
	v_add_f32_e32 v3, v3, v4
	ds_bpermute_b32 v4, v5, v3
	v_xor_b32_e32 v5, 1, v2
	s_delay_alu instid0(VALU_DEP_1) | instskip(SKIP_4) | instid1(VALU_DEP_2)
	v_cmp_gt_i32_e32 vcc_lo, 32, v5
	s_wait_alu 0xfffd
	v_cndmask_b32_e32 v5, v2, v5, vcc_lo
	v_cmp_eq_u32_e32 vcc_lo, 0, v0
	s_wait_dscnt 0x0
	v_dual_add_f32 v2, v3, v4 :: v_dual_lshlrev_b32 v3, 2, v5
	ds_bpermute_b32 v3, v3, v2
	s_and_b32 exec_lo, exec_lo, vcc_lo
	s_cbranch_execz .LBB264_11
; %bb.10:
	v_mad_co_u64_u32 v[0:1], null, s6, s10, v[1:2]
	s_wait_dscnt 0x0
	v_dual_mov_b32 v1, 0 :: v_dual_add_f32 v2, v2, v3
	s_delay_alu instid0(VALU_DEP_1) | instskip(NEXT) | instid1(VALU_DEP_2)
	v_cvt_f16_f32_e32 v2, v2
	v_lshlrev_b64_e32 v[0:1], 1, v[0:1]
	s_wait_kmcnt 0x0
	s_delay_alu instid0(VALU_DEP_1) | instskip(SKIP_1) | instid1(VALU_DEP_2)
	v_add_co_u32 v0, vcc_lo, s8, v0
	s_wait_alu 0xfffd
	v_add_co_ci_u32_e64 v1, null, s9, v1, vcc_lo
	global_store_b16 v[0:1], v2, off
.LBB264_11:
	s_endpgm
	.section	.rodata,"a",@progbits
	.p2align	6, 0x0
	.amdhsa_kernel _ZL9moe_vec_qIN3c104HalfELi256ELi32E10block_q5_KLi2EXadL_ZL17vec_dot_q5_K_q8_1PKvPK10block_q8_1RKiEEEvS4_S4_PT_PS8_iiii
		.amdhsa_group_segment_fixed_size 0
		.amdhsa_private_segment_fixed_size 0
		.amdhsa_kernarg_size 304
		.amdhsa_user_sgpr_count 2
		.amdhsa_user_sgpr_dispatch_ptr 0
		.amdhsa_user_sgpr_queue_ptr 0
		.amdhsa_user_sgpr_kernarg_segment_ptr 1
		.amdhsa_user_sgpr_dispatch_id 0
		.amdhsa_user_sgpr_private_segment_size 0
		.amdhsa_wavefront_size32 1
		.amdhsa_uses_dynamic_stack 0
		.amdhsa_enable_private_segment 0
		.amdhsa_system_sgpr_workgroup_id_x 1
		.amdhsa_system_sgpr_workgroup_id_y 0
		.amdhsa_system_sgpr_workgroup_id_z 1
		.amdhsa_system_sgpr_workgroup_info 0
		.amdhsa_system_vgpr_workitem_id 1
		.amdhsa_next_free_vgpr 53
		.amdhsa_next_free_sgpr 19
		.amdhsa_reserve_vcc 1
		.amdhsa_float_round_mode_32 0
		.amdhsa_float_round_mode_16_64 0
		.amdhsa_float_denorm_mode_32 3
		.amdhsa_float_denorm_mode_16_64 3
		.amdhsa_fp16_overflow 0
		.amdhsa_workgroup_processor_mode 1
		.amdhsa_memory_ordered 1
		.amdhsa_forward_progress 1
		.amdhsa_inst_pref_size 16
		.amdhsa_round_robin_scheduling 0
		.amdhsa_exception_fp_ieee_invalid_op 0
		.amdhsa_exception_fp_denorm_src 0
		.amdhsa_exception_fp_ieee_div_zero 0
		.amdhsa_exception_fp_ieee_overflow 0
		.amdhsa_exception_fp_ieee_underflow 0
		.amdhsa_exception_fp_ieee_inexact 0
		.amdhsa_exception_int_div_zero 0
	.end_amdhsa_kernel
	.section	.text._ZL9moe_vec_qIN3c104HalfELi256ELi32E10block_q5_KLi2EXadL_ZL17vec_dot_q5_K_q8_1PKvPK10block_q8_1RKiEEEvS4_S4_PT_PS8_iiii,"axG",@progbits,_ZL9moe_vec_qIN3c104HalfELi256ELi32E10block_q5_KLi2EXadL_ZL17vec_dot_q5_K_q8_1PKvPK10block_q8_1RKiEEEvS4_S4_PT_PS8_iiii,comdat
.Lfunc_end264:
	.size	_ZL9moe_vec_qIN3c104HalfELi256ELi32E10block_q5_KLi2EXadL_ZL17vec_dot_q5_K_q8_1PKvPK10block_q8_1RKiEEEvS4_S4_PT_PS8_iiii, .Lfunc_end264-_ZL9moe_vec_qIN3c104HalfELi256ELi32E10block_q5_KLi2EXadL_ZL17vec_dot_q5_K_q8_1PKvPK10block_q8_1RKiEEEvS4_S4_PT_PS8_iiii
                                        ; -- End function
	.set _ZL9moe_vec_qIN3c104HalfELi256ELi32E10block_q5_KLi2EXadL_ZL17vec_dot_q5_K_q8_1PKvPK10block_q8_1RKiEEEvS4_S4_PT_PS8_iiii.num_vgpr, 53
	.set _ZL9moe_vec_qIN3c104HalfELi256ELi32E10block_q5_KLi2EXadL_ZL17vec_dot_q5_K_q8_1PKvPK10block_q8_1RKiEEEvS4_S4_PT_PS8_iiii.num_agpr, 0
	.set _ZL9moe_vec_qIN3c104HalfELi256ELi32E10block_q5_KLi2EXadL_ZL17vec_dot_q5_K_q8_1PKvPK10block_q8_1RKiEEEvS4_S4_PT_PS8_iiii.numbered_sgpr, 19
	.set _ZL9moe_vec_qIN3c104HalfELi256ELi32E10block_q5_KLi2EXadL_ZL17vec_dot_q5_K_q8_1PKvPK10block_q8_1RKiEEEvS4_S4_PT_PS8_iiii.num_named_barrier, 0
	.set _ZL9moe_vec_qIN3c104HalfELi256ELi32E10block_q5_KLi2EXadL_ZL17vec_dot_q5_K_q8_1PKvPK10block_q8_1RKiEEEvS4_S4_PT_PS8_iiii.private_seg_size, 0
	.set _ZL9moe_vec_qIN3c104HalfELi256ELi32E10block_q5_KLi2EXadL_ZL17vec_dot_q5_K_q8_1PKvPK10block_q8_1RKiEEEvS4_S4_PT_PS8_iiii.uses_vcc, 1
	.set _ZL9moe_vec_qIN3c104HalfELi256ELi32E10block_q5_KLi2EXadL_ZL17vec_dot_q5_K_q8_1PKvPK10block_q8_1RKiEEEvS4_S4_PT_PS8_iiii.uses_flat_scratch, 0
	.set _ZL9moe_vec_qIN3c104HalfELi256ELi32E10block_q5_KLi2EXadL_ZL17vec_dot_q5_K_q8_1PKvPK10block_q8_1RKiEEEvS4_S4_PT_PS8_iiii.has_dyn_sized_stack, 0
	.set _ZL9moe_vec_qIN3c104HalfELi256ELi32E10block_q5_KLi2EXadL_ZL17vec_dot_q5_K_q8_1PKvPK10block_q8_1RKiEEEvS4_S4_PT_PS8_iiii.has_recursion, 0
	.set _ZL9moe_vec_qIN3c104HalfELi256ELi32E10block_q5_KLi2EXadL_ZL17vec_dot_q5_K_q8_1PKvPK10block_q8_1RKiEEEvS4_S4_PT_PS8_iiii.has_indirect_call, 0
	.section	.AMDGPU.csdata,"",@progbits
; Kernel info:
; codeLenInByte = 1984
; TotalNumSgprs: 21
; NumVgprs: 53
; ScratchSize: 0
; MemoryBound: 0
; FloatMode: 240
; IeeeMode: 1
; LDSByteSize: 0 bytes/workgroup (compile time only)
; SGPRBlocks: 0
; VGPRBlocks: 6
; NumSGPRsForWavesPerEU: 21
; NumVGPRsForWavesPerEU: 53
; Occupancy: 16
; WaveLimiterHint : 1
; COMPUTE_PGM_RSRC2:SCRATCH_EN: 0
; COMPUTE_PGM_RSRC2:USER_SGPR: 2
; COMPUTE_PGM_RSRC2:TRAP_HANDLER: 0
; COMPUTE_PGM_RSRC2:TGID_X_EN: 1
; COMPUTE_PGM_RSRC2:TGID_Y_EN: 0
; COMPUTE_PGM_RSRC2:TGID_Z_EN: 1
; COMPUTE_PGM_RSRC2:TIDIG_COMP_CNT: 1
	.section	.text._ZL9moe_vec_qIN3c104HalfELi256ELi32E10block_q6_KLi1EXadL_ZL17vec_dot_q6_K_q8_1PKvPK10block_q8_1RKiEEEvS4_S4_PT_PS8_iiii,"axG",@progbits,_ZL9moe_vec_qIN3c104HalfELi256ELi32E10block_q6_KLi1EXadL_ZL17vec_dot_q6_K_q8_1PKvPK10block_q8_1RKiEEEvS4_S4_PT_PS8_iiii,comdat
	.globl	_ZL9moe_vec_qIN3c104HalfELi256ELi32E10block_q6_KLi1EXadL_ZL17vec_dot_q6_K_q8_1PKvPK10block_q8_1RKiEEEvS4_S4_PT_PS8_iiii ; -- Begin function _ZL9moe_vec_qIN3c104HalfELi256ELi32E10block_q6_KLi1EXadL_ZL17vec_dot_q6_K_q8_1PKvPK10block_q8_1RKiEEEvS4_S4_PT_PS8_iiii
	.p2align	8
	.type	_ZL9moe_vec_qIN3c104HalfELi256ELi32E10block_q6_KLi1EXadL_ZL17vec_dot_q6_K_q8_1PKvPK10block_q8_1RKiEEEvS4_S4_PT_PS8_iiii,@function
_ZL9moe_vec_qIN3c104HalfELi256ELi32E10block_q6_KLi1EXadL_ZL17vec_dot_q6_K_q8_1PKvPK10block_q8_1RKiEEEvS4_S4_PT_PS8_iiii: ; @_ZL9moe_vec_qIN3c104HalfELi256ELi32E10block_q6_KLi1EXadL_ZL17vec_dot_q6_K_q8_1PKvPK10block_q8_1RKiEEEvS4_S4_PT_PS8_iiii
; %bb.0:
	s_clause 0x1
	s_load_u16 s2, s[0:1], 0x3e
	s_load_b128 s[4:7], s[0:1], 0x20
	v_bfe_u32 v1, v0, 10, 10
	s_wait_kmcnt 0x0
	s_delay_alu instid0(VALU_DEP_1)
	v_mad_co_u64_u32 v[1:2], null, ttmp9, s2, v[1:2]
	s_mov_b32 s2, exec_lo
	v_cmpx_gt_u32_e64 s6, v1
	s_cbranch_execz .LBB265_7
; %bb.1:
	s_load_b64 s[2:3], s[0:1], 0x10
	s_ashr_i32 s8, s5, 31
	v_bfe_u32 v4, v0, 5, 5
	s_lshr_b32 s8, s8, 24
	v_dual_mov_b32 v7, 0 :: v_dual_and_b32 v0, 0x3ff, v0
	s_add_co_i32 s5, s5, s8
	s_lshr_b32 s12, ttmp7, 16
	s_ashr_i32 s13, s5, 8
	s_mov_b32 s14, exec_lo
	v_cmpx_gt_u32_e64 s13, v4
	s_cbranch_execz .LBB265_5
; %bb.2:
	s_load_b64 s[8:9], s[0:1], 0x18
	s_cvt_f32_u32 s5, s4
	s_lshl_b32 s10, s12, 2
	s_sub_co_i32 s16, 0, s4
	v_and_b32_e32 v9, 7, v0
	v_rcp_iflag_f32_e32 v2, s5
	v_mul_lo_u32 v5, v1, s13
	v_mov_b32_e32 v7, 0
	s_delay_alu instid0(TRANS32_DEP_1)
	v_readfirstlane_b32 s5, v2
	v_and_b32_e32 v2, 31, v0
	s_mul_f32 s5, s5, 0x4f7ffffe
	s_wait_kmcnt 0x0
	s_load_b32 s15, s[8:9], s10 offset:0x0
	s_load_b128 s[8:11], s[0:1], 0x0
	s_mul_i32 s0, s13, s6
	s_cvt_u32_f32 s5, s5
	v_add_nc_u32_e32 v3, 0xf0, v2
	v_cmp_lt_u32_e32 vcc_lo, 15, v2
	s_mov_b32 s1, 0
	s_wait_alu 0xfffe
	s_mul_i32 s16, s16, s5
	v_lshlrev_b32_e32 v6, 2, v2
	s_mul_hi_u32 s16, s5, s16
	v_cndmask_b32_e64 v11, 0, 8, vcc_lo
	s_add_co_i32 s5, s5, s16
	s_wait_alu 0xfffe
	s_mul_hi_u32 s5, s12, s5
	s_wait_alu 0xfffe
	s_mul_i32 s16, s5, s4
	s_add_co_i32 s18, s5, 1
	s_sub_co_i32 s19, s12, s16
	v_or_b32_e32 v12, v11, v9
	v_lshlrev_b32_e32 v9, 2, v9
	s_wait_kmcnt 0x0
	s_mul_i32 s16, s0, s15
	v_cmp_gt_u32_e64 s0, 16, v2
	s_sub_co_i32 s15, s19, s4
	s_ashr_i32 s17, s16, 31
	s_cmp_ge_u32 s19, s4
	s_mul_u64 s[16:17], s[16:17], 0xd2
	v_cndmask_b32_e64 v10, v3, v2, s0
	s_cselect_b32 s0, s18, s5
	s_cselect_b32 s5, s15, s19
	s_wait_alu 0xfffe
	s_add_co_i32 s15, s0, 1
	s_cmp_ge_u32 s5, s4
	v_and_b32_e32 v8, 0xf8, v10
	s_cselect_b32 s0, s15, s0
	v_cndmask_b32_e64 v2, 0, 4, vcc_lo
	s_wait_alu 0xfffe
	s_mul_i32 s0, s0, s7
	s_wait_alu 0xfffe
	s_lshl_b64 s[4:5], s[0:1], 2
	v_cmp_ne_u32_e32 vcc_lo, 0, v8
	s_wait_alu 0xfffe
	s_add_nc_u64 s[4:5], s[10:11], s[4:5]
	v_lshlrev_b32_e32 v8, 2, v12
	s_wait_alu 0xfffe
	v_mad_co_u64_u32 v[2:3], null, v2, 36, s[4:5]
	s_wait_alu 0xfffd
	v_cndmask_b32_e64 v13, 0, 1, vcc_lo
	v_bfe_u32 v12, v10, 2, 6
	v_cndmask_b32_e64 v10, 0, 2, vcc_lo
	s_add_nc_u64 s[4:5], s[8:9], s[16:17]
	s_delay_alu instid0(VALU_DEP_3) | instskip(NEXT) | instid1(VALU_DEP_3)
	v_mad_co_u64_u32 v[2:3], null, v13, 36, v[2:3]
	v_add_nc_u32_e32 v11, v12, v11
	v_lshlrev_b32_e32 v12, 3, v4
.LBB265_3:                              ; =>This Inner Loop Header: Depth=1
	v_add_nc_u32_e32 v15, v5, v4
	s_delay_alu instid0(VALU_DEP_2) | instskip(SKIP_4) | instid1(VALU_DEP_4)
	v_mad_co_i64_i32 v[13:14], null, v12, 36, v[2:3]
	v_add_nc_u32_e32 v4, 1, v4
	v_add_nc_u32_e32 v12, 8, v12
	s_wait_alu 0xfffe
	v_mad_co_i64_i32 v[15:16], null, 0xd2, v15, s[4:5]
	v_add_co_u32 v17, vcc_lo, v13, v9
	s_wait_alu 0xfffd
	v_add_co_ci_u32_e64 v18, null, 0, v14, vcc_lo
	s_delay_alu instid0(VALU_DEP_3) | instskip(SKIP_1) | instid1(VALU_DEP_4)
	v_add_co_u32 v19, vcc_lo, v15, v6
	s_wait_alu 0xfffd
	v_add_co_ci_u32_e64 v20, null, 0, v16, vcc_lo
	v_add_co_u32 v21, vcc_lo, v15, v8
	s_wait_alu 0xfffd
	v_add_co_ci_u32_e64 v22, null, 0, v16, vcc_lo
	global_load_b32 v23, v[17:18], off offset:4
	s_clause 0x1
	global_load_b32 v19, v[19:20], off
	global_load_b32 v20, v[21:22], off offset:128
	global_load_b32 v21, v[17:18], off offset:76
	v_add_co_u32 v17, vcc_lo, v15, v11
	s_wait_alu 0xfffd
	v_add_co_ci_u32_e64 v18, null, 0, v16, vcc_lo
	s_clause 0x1
	global_load_i8 v22, v[17:18], off offset:192
	global_load_i8 v17, v[17:18], off offset:196
	s_clause 0x1
	global_load_b32 v18, v[13:14], off
	global_load_b32 v13, v[13:14], off offset:72
	global_load_u16 v14, v[15:16], off offset:208
	v_cmp_le_u32_e32 vcc_lo, s13, v4
	s_or_b32 s1, vcc_lo, s1
	s_wait_loadcnt 0x8
	v_lshrrev_b16 v15, 8, v23
	s_wait_loadcnt 0x7
	v_and_b32_e32 v28, 0xf0f0f0f, v19
	s_wait_loadcnt 0x6
	v_ashrrev_i32_e32 v20, v10, v20
	v_lshrrev_b32_e32 v19, 4, v19
	v_ashrrev_i32_e32 v16, 24, v23
	v_bfe_i32 v24, v23, 16, 8
	v_bfe_i32 v23, v23, 0, 8
	v_lshlrev_b32_e32 v29, 4, v20
	v_and_b32_e32 v19, 0xf0f0f0f, v19
	s_wait_loadcnt 0x5
	v_bfe_i32 v25, v21, 0, 8
	v_bfe_i32 v15, v15, 0, 8
	;; [unrolled: 1-line block ×3, first 2 shown]
	v_and_or_b32 v28, 0x30303030, v29, v28
	v_and_or_b32 v19, 0x30303030, v20, v19
	v_bfe_i32 v27, v21, 16, 8
	v_ashrrev_i32_e32 v21, 24, v21
	s_delay_alu instid0(VALU_DEP_4) | instskip(NEXT) | instid1(VALU_DEP_4)
	v_lshrrev_b32_e32 v20, 16, v28
	v_lshrrev_b32_e32 v30, 16, v19
	v_and_b32_e32 v31, 0x3f00, v19
	v_lshlrev_b16 v19, 8, v19
	v_lshlrev_b16 v29, 8, v28
	;; [unrolled: 1-line block ×3, first 2 shown]
	v_and_b32_e32 v20, 0x3f00, v20
	v_and_b32_e32 v33, 0x3f00, v30
	v_lshlrev_b16 v30, 8, v30
	v_add_nc_u16 v19, 0xe000, v19
	v_and_b32_e32 v28, 0x3f00, v28
	v_add_nc_u16 v29, 0xe000, v29
	v_add_nc_u16 v20, 0xe000, v20
	;; [unrolled: 1-line block ×3, first 2 shown]
	v_lshrrev_b16 v19, 8, v19
	v_add_nc_u16 v28, 0xe000, v28
	v_ashrrev_i16 v29, 8, v29
	v_add_nc_u16 v32, 0xe000, v32
	v_ashrrev_i16 v20, 8, v20
	v_lshrrev_b16 v30, 8, v30
	v_or_b32_e32 v19, v31, v19
	v_ashrrev_i16 v28, 8, v28
	v_ashrrev_i16 v32, 8, v32
	v_bfe_i32 v29, v29, 0, 16
	v_bfe_i32 v20, v20, 0, 16
	v_or_b32_e32 v30, v33, v30
	v_add_nc_u16 v19, 0xe000, v19
	v_bfe_i32 v28, v28, 0, 16
	v_bfe_i32 v31, v32, 0, 16
	v_mul_i32_i24_e32 v23, v29, v23
	v_mul_i32_i24_e32 v16, v20, v16
	v_add_nc_u16 v20, 0xe000, v30
	v_bfe_i32 v29, v19, 0, 8
	v_mul_i32_i24_e32 v24, v31, v24
	v_bfe_i32 v19, v19, 8, 8
	v_mad_i32_i24 v15, v28, v15, v16
	v_bfe_i32 v16, v20, 0, 8
	v_bfe_i32 v20, v20, 8, 8
	v_mul_i32_i24_e32 v25, v25, v29
	s_delay_alu instid0(VALU_DEP_4) | instskip(NEXT) | instid1(VALU_DEP_4)
	v_add3_u32 v15, v23, v24, v15
	v_mul_i32_i24_e32 v16, v27, v16
	s_delay_alu instid0(VALU_DEP_4) | instskip(NEXT) | instid1(VALU_DEP_4)
	v_mul_i32_i24_e32 v20, v21, v20
	v_mad_i32_i24 v19, v26, v19, v25
	s_wait_loadcnt 0x4
	v_mul_lo_u32 v15, v15, v22
	s_delay_alu instid0(VALU_DEP_2) | instskip(SKIP_1) | instid1(VALU_DEP_1)
	v_add3_u32 v16, v19, v16, v20
	s_wait_loadcnt 0x3
	v_mul_lo_u32 v16, v16, v17
	s_delay_alu instid0(VALU_DEP_3) | instskip(SKIP_1) | instid1(VALU_DEP_1)
	v_cvt_f32_i32_e32 v15, v15
	s_wait_loadcnt 0x2
	v_fma_mix_f32 v15, v18, v15, 0 op_sel_hi:[1,0,0]
	s_delay_alu instid0(VALU_DEP_3) | instskip(SKIP_1) | instid1(VALU_DEP_1)
	v_cvt_f32_i32_e32 v16, v16
	s_wait_loadcnt 0x1
	v_fma_mix_f32 v13, v13, v16, v15 op_sel_hi:[1,0,0]
	s_wait_loadcnt 0x0
	s_delay_alu instid0(VALU_DEP_1)
	v_fma_mix_f32 v7, v13, v14, v7 op_sel_hi:[0,1,0]
	s_wait_alu 0xfffe
	s_and_not1_b32 exec_lo, exec_lo, s1
	s_cbranch_execnz .LBB265_3
; %bb.4:
	s_or_b32 exec_lo, exec_lo, s1
.LBB265_5:
	s_delay_alu instid0(SALU_CYCLE_1) | instskip(SKIP_1) | instid1(VALU_DEP_1)
	s_or_b32 exec_lo, exec_lo, s14
	v_mbcnt_lo_u32_b32 v2, -1, 0
	v_xor_b32_e32 v3, 16, v2
	v_xor_b32_e32 v4, 8, v2
	;; [unrolled: 1-line block ×3, first 2 shown]
	s_delay_alu instid0(VALU_DEP_3)
	v_cmp_gt_i32_e32 vcc_lo, 32, v3
	s_wait_alu 0xfffd
	v_cndmask_b32_e32 v3, v2, v3, vcc_lo
	v_cmp_gt_i32_e32 vcc_lo, 32, v4
	s_wait_alu 0xfffd
	v_cndmask_b32_e32 v4, v2, v4, vcc_lo
	v_cmp_gt_i32_e32 vcc_lo, 32, v5
	s_delay_alu instid0(VALU_DEP_2)
	v_lshlrev_b32_e32 v4, 2, v4
	v_lshlrev_b32_e32 v3, 2, v3
	s_wait_alu 0xfffd
	v_cndmask_b32_e32 v5, v2, v5, vcc_lo
	ds_bpermute_b32 v3, v3, v7
	v_lshlrev_b32_e32 v5, 2, v5
	s_wait_dscnt 0x0
	v_add_f32_e32 v3, v7, v3
	ds_bpermute_b32 v4, v4, v3
	s_wait_dscnt 0x0
	v_add_f32_e32 v3, v3, v4
	ds_bpermute_b32 v4, v5, v3
	v_xor_b32_e32 v5, 2, v2
	s_delay_alu instid0(VALU_DEP_1) | instskip(SKIP_2) | instid1(VALU_DEP_1)
	v_cmp_gt_i32_e32 vcc_lo, 32, v5
	s_wait_alu 0xfffd
	v_cndmask_b32_e32 v5, v2, v5, vcc_lo
	v_lshlrev_b32_e32 v5, 2, v5
	s_wait_dscnt 0x0
	v_add_f32_e32 v3, v3, v4
	ds_bpermute_b32 v4, v5, v3
	v_xor_b32_e32 v5, 1, v2
	s_delay_alu instid0(VALU_DEP_1) | instskip(SKIP_4) | instid1(VALU_DEP_2)
	v_cmp_gt_i32_e32 vcc_lo, 32, v5
	s_wait_alu 0xfffd
	v_cndmask_b32_e32 v5, v2, v5, vcc_lo
	v_cmp_eq_u32_e32 vcc_lo, 0, v0
	s_wait_dscnt 0x0
	v_dual_add_f32 v2, v3, v4 :: v_dual_lshlrev_b32 v3, 2, v5
	ds_bpermute_b32 v3, v3, v2
	s_and_b32 exec_lo, exec_lo, vcc_lo
	s_cbranch_execz .LBB265_7
; %bb.6:
	v_mad_co_u64_u32 v[0:1], null, s6, s12, v[1:2]
	s_wait_dscnt 0x0
	v_dual_mov_b32 v1, 0 :: v_dual_add_f32 v2, v2, v3
	s_delay_alu instid0(VALU_DEP_1) | instskip(NEXT) | instid1(VALU_DEP_2)
	v_cvt_f16_f32_e32 v2, v2
	v_lshlrev_b64_e32 v[0:1], 1, v[0:1]
	s_wait_kmcnt 0x0
	s_delay_alu instid0(VALU_DEP_1) | instskip(SKIP_1) | instid1(VALU_DEP_2)
	v_add_co_u32 v0, vcc_lo, s2, v0
	s_wait_alu 0xfffd
	v_add_co_ci_u32_e64 v1, null, s3, v1, vcc_lo
	global_store_b16 v[0:1], v2, off
.LBB265_7:
	s_endpgm
	.section	.rodata,"a",@progbits
	.p2align	6, 0x0
	.amdhsa_kernel _ZL9moe_vec_qIN3c104HalfELi256ELi32E10block_q6_KLi1EXadL_ZL17vec_dot_q6_K_q8_1PKvPK10block_q8_1RKiEEEvS4_S4_PT_PS8_iiii
		.amdhsa_group_segment_fixed_size 0
		.amdhsa_private_segment_fixed_size 0
		.amdhsa_kernarg_size 304
		.amdhsa_user_sgpr_count 2
		.amdhsa_user_sgpr_dispatch_ptr 0
		.amdhsa_user_sgpr_queue_ptr 0
		.amdhsa_user_sgpr_kernarg_segment_ptr 1
		.amdhsa_user_sgpr_dispatch_id 0
		.amdhsa_user_sgpr_private_segment_size 0
		.amdhsa_wavefront_size32 1
		.amdhsa_uses_dynamic_stack 0
		.amdhsa_enable_private_segment 0
		.amdhsa_system_sgpr_workgroup_id_x 1
		.amdhsa_system_sgpr_workgroup_id_y 0
		.amdhsa_system_sgpr_workgroup_id_z 1
		.amdhsa_system_sgpr_workgroup_info 0
		.amdhsa_system_vgpr_workitem_id 1
		.amdhsa_next_free_vgpr 34
		.amdhsa_next_free_sgpr 20
		.amdhsa_reserve_vcc 1
		.amdhsa_float_round_mode_32 0
		.amdhsa_float_round_mode_16_64 0
		.amdhsa_float_denorm_mode_32 3
		.amdhsa_float_denorm_mode_16_64 3
		.amdhsa_fp16_overflow 0
		.amdhsa_workgroup_processor_mode 1
		.amdhsa_memory_ordered 1
		.amdhsa_forward_progress 1
		.amdhsa_inst_pref_size 13
		.amdhsa_round_robin_scheduling 0
		.amdhsa_exception_fp_ieee_invalid_op 0
		.amdhsa_exception_fp_denorm_src 0
		.amdhsa_exception_fp_ieee_div_zero 0
		.amdhsa_exception_fp_ieee_overflow 0
		.amdhsa_exception_fp_ieee_underflow 0
		.amdhsa_exception_fp_ieee_inexact 0
		.amdhsa_exception_int_div_zero 0
	.end_amdhsa_kernel
	.section	.text._ZL9moe_vec_qIN3c104HalfELi256ELi32E10block_q6_KLi1EXadL_ZL17vec_dot_q6_K_q8_1PKvPK10block_q8_1RKiEEEvS4_S4_PT_PS8_iiii,"axG",@progbits,_ZL9moe_vec_qIN3c104HalfELi256ELi32E10block_q6_KLi1EXadL_ZL17vec_dot_q6_K_q8_1PKvPK10block_q8_1RKiEEEvS4_S4_PT_PS8_iiii,comdat
.Lfunc_end265:
	.size	_ZL9moe_vec_qIN3c104HalfELi256ELi32E10block_q6_KLi1EXadL_ZL17vec_dot_q6_K_q8_1PKvPK10block_q8_1RKiEEEvS4_S4_PT_PS8_iiii, .Lfunc_end265-_ZL9moe_vec_qIN3c104HalfELi256ELi32E10block_q6_KLi1EXadL_ZL17vec_dot_q6_K_q8_1PKvPK10block_q8_1RKiEEEvS4_S4_PT_PS8_iiii
                                        ; -- End function
	.set _ZL9moe_vec_qIN3c104HalfELi256ELi32E10block_q6_KLi1EXadL_ZL17vec_dot_q6_K_q8_1PKvPK10block_q8_1RKiEEEvS4_S4_PT_PS8_iiii.num_vgpr, 34
	.set _ZL9moe_vec_qIN3c104HalfELi256ELi32E10block_q6_KLi1EXadL_ZL17vec_dot_q6_K_q8_1PKvPK10block_q8_1RKiEEEvS4_S4_PT_PS8_iiii.num_agpr, 0
	.set _ZL9moe_vec_qIN3c104HalfELi256ELi32E10block_q6_KLi1EXadL_ZL17vec_dot_q6_K_q8_1PKvPK10block_q8_1RKiEEEvS4_S4_PT_PS8_iiii.numbered_sgpr, 20
	.set _ZL9moe_vec_qIN3c104HalfELi256ELi32E10block_q6_KLi1EXadL_ZL17vec_dot_q6_K_q8_1PKvPK10block_q8_1RKiEEEvS4_S4_PT_PS8_iiii.num_named_barrier, 0
	.set _ZL9moe_vec_qIN3c104HalfELi256ELi32E10block_q6_KLi1EXadL_ZL17vec_dot_q6_K_q8_1PKvPK10block_q8_1RKiEEEvS4_S4_PT_PS8_iiii.private_seg_size, 0
	.set _ZL9moe_vec_qIN3c104HalfELi256ELi32E10block_q6_KLi1EXadL_ZL17vec_dot_q6_K_q8_1PKvPK10block_q8_1RKiEEEvS4_S4_PT_PS8_iiii.uses_vcc, 1
	.set _ZL9moe_vec_qIN3c104HalfELi256ELi32E10block_q6_KLi1EXadL_ZL17vec_dot_q6_K_q8_1PKvPK10block_q8_1RKiEEEvS4_S4_PT_PS8_iiii.uses_flat_scratch, 0
	.set _ZL9moe_vec_qIN3c104HalfELi256ELi32E10block_q6_KLi1EXadL_ZL17vec_dot_q6_K_q8_1PKvPK10block_q8_1RKiEEEvS4_S4_PT_PS8_iiii.has_dyn_sized_stack, 0
	.set _ZL9moe_vec_qIN3c104HalfELi256ELi32E10block_q6_KLi1EXadL_ZL17vec_dot_q6_K_q8_1PKvPK10block_q8_1RKiEEEvS4_S4_PT_PS8_iiii.has_recursion, 0
	.set _ZL9moe_vec_qIN3c104HalfELi256ELi32E10block_q6_KLi1EXadL_ZL17vec_dot_q6_K_q8_1PKvPK10block_q8_1RKiEEEvS4_S4_PT_PS8_iiii.has_indirect_call, 0
	.section	.AMDGPU.csdata,"",@progbits
; Kernel info:
; codeLenInByte = 1600
; TotalNumSgprs: 22
; NumVgprs: 34
; ScratchSize: 0
; MemoryBound: 0
; FloatMode: 240
; IeeeMode: 1
; LDSByteSize: 0 bytes/workgroup (compile time only)
; SGPRBlocks: 0
; VGPRBlocks: 4
; NumSGPRsForWavesPerEU: 22
; NumVGPRsForWavesPerEU: 34
; Occupancy: 16
; WaveLimiterHint : 1
; COMPUTE_PGM_RSRC2:SCRATCH_EN: 0
; COMPUTE_PGM_RSRC2:USER_SGPR: 2
; COMPUTE_PGM_RSRC2:TRAP_HANDLER: 0
; COMPUTE_PGM_RSRC2:TGID_X_EN: 1
; COMPUTE_PGM_RSRC2:TGID_Y_EN: 0
; COMPUTE_PGM_RSRC2:TGID_Z_EN: 1
; COMPUTE_PGM_RSRC2:TIDIG_COMP_CNT: 1
	.section	.text._ZL9moe_vec_qIN3c104HalfELi256ELi8E13block_iq2_xxsLi1EXadL_ZL20vec_dot_iq2_xxs_q8_1PKvPK10block_q8_1RKiEEEvS4_S4_PT_PS8_iiii,"axG",@progbits,_ZL9moe_vec_qIN3c104HalfELi256ELi8E13block_iq2_xxsLi1EXadL_ZL20vec_dot_iq2_xxs_q8_1PKvPK10block_q8_1RKiEEEvS4_S4_PT_PS8_iiii,comdat
	.globl	_ZL9moe_vec_qIN3c104HalfELi256ELi8E13block_iq2_xxsLi1EXadL_ZL20vec_dot_iq2_xxs_q8_1PKvPK10block_q8_1RKiEEEvS4_S4_PT_PS8_iiii ; -- Begin function _ZL9moe_vec_qIN3c104HalfELi256ELi8E13block_iq2_xxsLi1EXadL_ZL20vec_dot_iq2_xxs_q8_1PKvPK10block_q8_1RKiEEEvS4_S4_PT_PS8_iiii
	.p2align	8
	.type	_ZL9moe_vec_qIN3c104HalfELi256ELi8E13block_iq2_xxsLi1EXadL_ZL20vec_dot_iq2_xxs_q8_1PKvPK10block_q8_1RKiEEEvS4_S4_PT_PS8_iiii,@function
_ZL9moe_vec_qIN3c104HalfELi256ELi8E13block_iq2_xxsLi1EXadL_ZL20vec_dot_iq2_xxs_q8_1PKvPK10block_q8_1RKiEEEvS4_S4_PT_PS8_iiii: ; @_ZL9moe_vec_qIN3c104HalfELi256ELi8E13block_iq2_xxsLi1EXadL_ZL20vec_dot_iq2_xxs_q8_1PKvPK10block_q8_1RKiEEEvS4_S4_PT_PS8_iiii
; %bb.0:
	s_clause 0x1
	s_load_u16 s2, s[0:1], 0x3e
	s_load_b128 s[12:15], s[0:1], 0x20
	v_bfe_u32 v1, v0, 10, 10
	s_wait_kmcnt 0x0
	s_delay_alu instid0(VALU_DEP_1)
	v_mad_co_u64_u32 v[1:2], null, ttmp9, s2, v[1:2]
	s_mov_b32 s2, exec_lo
	v_cmpx_gt_u32_e64 s14, v1
	s_cbranch_execz .LBB266_7
; %bb.1:
	s_load_b64 s[16:17], s[0:1], 0x10
	s_ashr_i32 s2, s13, 31
	v_bfe_u32 v4, v0, 3, 7
	s_wait_alu 0xfffe
	s_lshr_b32 s2, s2, 24
	v_dual_mov_b32 v5, 0 :: v_dual_and_b32 v0, 0x3ff, v0
	s_wait_alu 0xfffe
	s_add_co_i32 s2, s13, s2
	s_lshr_b32 s18, ttmp7, 16
	s_wait_alu 0xfffe
	s_ashr_i32 s19, s2, 8
	s_mov_b32 s20, exec_lo
	v_cmpx_gt_u32_e64 s19, v4
	s_cbranch_execz .LBB266_5
; %bb.2:
	s_load_b64 s[2:3], s[0:1], 0x18
	s_cvt_f32_u32 s4, s12
	s_lshl_b32 s5, s18, 2
	s_mov_b32 s11, 0
	v_mul_lo_u32 v6, v1, s19
	v_rcp_iflag_f32_e32 v2, s4
	v_lshlrev_b32_e32 v7, 3, v4
	v_mov_b32_e32 v5, 0
	s_delay_alu instid0(TRANS32_DEP_1)
	v_readfirstlane_b32 s4, v2
	v_and_b32_e32 v2, 7, v0
	s_wait_kmcnt 0x0
	s_load_b32 s5, s[2:3], s5 offset:0x0
	s_mul_f32 s2, s4, 0x4f7ffffe
	s_sub_co_i32 s3, 0, s12
	v_lshlrev_b32_e32 v8, 2, v2
	s_wait_alu 0xfffe
	s_cvt_u32_f32 s2, s2
	s_delay_alu instid0(VALU_DEP_1) | instskip(SKIP_1) | instid1(SALU_CYCLE_1)
	v_lshlrev_b32_e32 v8, 1, v8
	s_wait_alu 0xfffe
	s_mul_i32 s3, s3, s2
	s_wait_alu 0xfffe
	s_mul_hi_u32 s3, s2, s3
	s_wait_alu 0xfffe
	s_add_co_i32 s4, s2, s3
	s_load_b128 s[0:3], s[0:1], 0x0
	s_mul_hi_u32 s6, s18, s4
	s_mul_i32 s4, s19, s14
	s_mul_i32 s7, s6, s12
	s_add_co_i32 s8, s6, 1
	s_sub_co_i32 s7, s18, s7
	s_wait_kmcnt 0x0
	s_wait_alu 0xfffe
	s_mul_i32 s4, s4, s5
	s_sub_co_i32 s9, s7, s12
	s_wait_alu 0xfffe
	s_ashr_i32 s5, s4, 31
	s_cmp_ge_u32 s7, s12
	s_wait_alu 0xfffe
	s_mul_u64 s[4:5], s[4:5], 0x42
	s_cselect_b32 s6, s8, s6
	s_cselect_b32 s7, s9, s7
	s_add_co_i32 s8, s6, 1
	s_cmp_ge_u32 s7, s12
	s_cselect_b32 s6, s8, s6
	s_delay_alu instid0(SALU_CYCLE_1) | instskip(SKIP_3) | instid1(SALU_CYCLE_1)
	s_mul_i32 s10, s6, s15
	s_wait_alu 0xfffe
	s_add_nc_u64 s[12:13], s[0:1], s[4:5]
	s_lshl_b64 s[6:7], s[10:11], 2
	s_add_nc_u64 s[2:3], s[2:3], s[6:7]
	s_wait_alu 0xfffe
	v_mad_co_u64_u32 v[2:3], null, v2, 36, s[2:3]
.LBB266_3:                              ; =>This Inner Loop Header: Depth=1
	v_add_nc_u32_e32 v9, v6, v4
	s_delay_alu instid0(VALU_DEP_2)
	v_mad_co_i64_i32 v[19:20], null, v7, 36, v[2:3]
	s_getpc_b64 s[0:1]
	s_wait_alu 0xfffe
	s_sext_i32_i16 s1, s1
	s_add_co_u32 s0, s0, _ZL11iq2xxs_grid@rel32@lo+12
	s_wait_alu 0xfffe
	s_add_co_ci_u32 s1, s1, _ZL11iq2xxs_grid@rel32@hi+24
	s_getpc_b64 s[2:3]
	s_wait_alu 0xfffe
	s_sext_i32_i16 s3, s3
	s_add_co_u32 s2, s2, _ZL12ksigns_iq2xs@rel32@lo+12
	s_wait_alu 0xfffe
	s_add_co_ci_u32 s3, s3, _ZL12ksigns_iq2xs@rel32@hi+24
	v_mad_co_i64_i32 v[17:18], null, 0x42, v9, s[12:13]
	v_add_nc_u32_e32 v4, 4, v4
	v_add_nc_u32_e32 v7, 32, v7
	s_delay_alu instid0(VALU_DEP_3) | instskip(SKIP_1) | instid1(VALU_DEP_4)
	v_add_co_u32 v9, vcc_lo, v17, v8
	s_wait_alu 0xfffd
	v_add_co_ci_u32_e64 v10, null, 0, v18, vcc_lo
	s_clause 0x1
	global_load_b32 v21, v[9:10], off offset:2
	global_load_b32 v27, v[9:10], off offset:6
	s_clause 0x1
	global_load_b128 v[9:12], v[19:20], off offset:4
	global_load_b128 v[13:16], v[19:20], off offset:20
	global_load_u16 v28, v[17:18], off
	s_wait_loadcnt 0x2
	v_bfe_i32 v39, v10, 0, 8
	v_and_b32_e32 v29, 0x7f, v27
	v_bfe_u32 v30, v27, 7, 7
	v_bfe_u32 v31, v27, 14, 7
	;; [unrolled: 1-line block ×3, first 2 shown]
	v_lshrrev_b32_e32 v27, 28, v27
	s_clause 0x2
	global_load_i8 v33, v29, s[2:3]
	global_load_i8 v34, v30, s[2:3]
	;; [unrolled: 1-line block ×3, first 2 shown]
	v_lshrrev_b32_e32 v22, 13, v21
	v_cvt_f32_ubyte0_e32 v27, v27
	v_and_b32_e32 v17, 0xff, v21
	v_lshrrev_b32_e32 v18, 5, v21
	s_wait_loadcnt 0x3
	v_cvt_f32_f16_e32 v28, v28
	v_dual_add_f32 v27, 0.5, v27 :: v_dual_and_b32 v24, 0x7f8, v22
	v_lshrrev_b32_e32 v21, 21, v21
	v_lshlrev_b32_e32 v17, 3, v17
	v_bfe_i32 v37, v9, 8, 8
	v_bfe_i32 v59, v16, 16, 8
	v_mul_f32_e32 v27, v27, v28
	v_and_b32_e32 v25, 0x7f8, v21
	v_bfe_i32 v38, v9, 16, 8
	v_bfe_i32 v50, v13, 16, 8
	;; [unrolled: 1-line block ×15, first 2 shown]
	v_ashrrev_i32_e32 v10, 24, v10
	v_bfe_i32 v42, v11, 0, 8
	v_bfe_i32 v43, v11, 8, 8
	;; [unrolled: 1-line block ×3, first 2 shown]
	v_ashrrev_i32_e32 v11, 24, v11
	v_bfe_i32 v45, v12, 0, 8
	v_bfe_i32 v46, v12, 8, 8
	v_ashrrev_i32_e32 v12, 24, v12
	v_ashrrev_i32_e32 v13, 24, v13
	;; [unrolled: 1-line block ×5, first 2 shown]
	s_wait_loadcnt 0x2
	v_and_b32_e32 v28, 1, v33
	v_and_b32_e32 v23, 0x7f8, v18
	;; [unrolled: 1-line block ×3, first 2 shown]
	global_load_i8 v36, v32, s[2:3]
	s_clause 0x3
	global_load_b64 v[17:18], v17, s[0:1]
	global_load_b64 v[21:22], v23, s[0:1]
	;; [unrolled: 1-line block ×4, first 2 shown]
	global_load_u16 v19, v[19:20], off
	v_bfe_i32 v20, v9, 0, 8
	v_ashrrev_i32_e32 v9, 24, v9
	v_and_b32_e32 v62, 8, v33
	v_cmp_eq_u16_e64 s10, 0, v28
	v_and_b32_e32 v63, 16, v33
	v_and_b32_e32 v64, 32, v33
	s_wait_loadcnt 0x7
	v_and_b32_e32 v65, 1, v34
	v_cmp_eq_u16_e64 s0, 0, v62
	v_cmp_gt_i16_e64 s2, 0, v33
	v_and_b32_e32 v67, 4, v34
	v_cmp_eq_u16_e64 s1, 0, v64
	v_and_b32_e32 v68, 8, v34
	v_and_b32_e32 v93, 16, v34
	v_cmp_gt_i16_e64 s6, 0, v34
	s_delay_alu instid0(VALU_DEP_3)
	v_cmp_eq_u16_e64 s4, 0, v68
	s_wait_loadcnt 0x4
	v_and_b32_e32 v73, 0xff, v18
	v_and_b32_e32 v71, 0xff, v17
	v_bfe_u32 v72, v17, 8, 8
	s_wait_loadcnt 0x1
	v_lshrrev_b32_e32 v88, 24, v26
	v_and_b32_e32 v91, 0xff, v26
	v_bfe_u32 v92, v26, 8, 8
	v_bfe_u32 v26, v26, 16, 8
	v_mul_i32_i24_e32 v39, v73, v39
	v_lshrrev_b32_e32 v69, 24, v17
	v_bfe_u32 v17, v17, 16, 8
	v_lshrrev_b32_e32 v81, 24, v23
	v_and_b32_e32 v83, 0xff, v23
	v_bfe_u32 v84, v23, 8, 8
	v_bfe_u32 v23, v23, 16, 8
	;; [unrolled: 1-line block ×3, first 2 shown]
	v_lshrrev_b32_e32 v87, 24, v25
	v_and_b32_e32 v89, 0xff, v25
	v_bfe_u32 v90, v25, 8, 8
	v_bfe_u32 v25, v25, 16, 8
	v_mul_i32_i24_e32 v20, v71, v20
	v_mul_i32_i24_e32 v37, v72, v37
	;; [unrolled: 1-line block ×3, first 2 shown]
	v_sub_nc_u32_e32 v59, 0, v39
	v_and_b32_e32 v60, 2, v33
	v_bfe_u32 v74, v18, 8, 8
	v_lshrrev_b32_e32 v76, 24, v22
	v_and_b32_e32 v79, 0xff, v22
	v_bfe_u32 v80, v22, 8, 8
	v_bfe_u32 v22, v22, 16, 8
	v_lshrrev_b32_e32 v82, 24, v24
	v_and_b32_e32 v85, 0xff, v24
	v_bfe_u32 v24, v24, 16, 8
	v_mul_i32_i24_e32 v17, v17, v38
	v_mul_i32_i24_e32 v9, v69, v9
	v_mul_i32_i24_e32 v23, v23, v50
	v_mul_i32_i24_e32 v50, v86, v52
	v_mul_i32_i24_e32 v52, v90, v55
	v_mul_i32_i24_e32 v25, v25, v56
	v_sub_nc_u32_e32 v55, 0, v20
	v_sub_nc_u32_e32 v56, 0, v37
	v_cmp_eq_u16_e32 vcc_lo, 0, v60
	v_lshrrev_b32_e32 v70, 24, v18
	v_bfe_u32 v18, v18, 16, 8
	v_mul_i32_i24_e32 v40, v74, v40
	v_mul_i32_i24_e32 v22, v22, v47
	;; [unrolled: 1-line block ×9, first 2 shown]
	v_sub_nc_u32_e32 v57, 0, v17
	v_sub_nc_u32_e32 v58, 0, v9
	s_wait_alu 0xf1ff
	v_cndmask_b32_e64 v20, v55, v20, s10
	s_wait_alu 0xfffd
	v_cndmask_b32_e32 v28, v56, v37, vcc_lo
	v_cmp_eq_u16_e32 vcc_lo, 0, v61
	v_and_b32_e32 v66, 2, v34
	v_and_b32_e32 v77, 0xff, v21
	v_bfe_u32 v78, v21, 8, 8
	v_mul_i32_i24_e32 v18, v18, v41
	v_mul_i32_i24_e32 v10, v70, v10
	v_sub_nc_u32_e32 v60, 0, v40
	s_wait_alu 0xfffd
	v_cndmask_b32_e32 v17, v57, v17, vcc_lo
	v_cndmask_b32_e64 v9, v58, v9, s0
	v_add_nc_u32_e32 v20, v28, v20
	v_cmp_eq_u16_e32 vcc_lo, 0, v63
	v_lshrrev_b32_e32 v75, 24, v21
	v_bfe_u32 v21, v21, 16, 8
	v_mul_i32_i24_e32 v42, v77, v42
	v_mul_i32_i24_e32 v43, v78, v43
	v_sub_nc_u32_e32 v62, 0, v18
	v_sub_nc_u32_e32 v64, 0, v10
	s_wait_alu 0xfffd
	v_cndmask_b32_e32 v39, v59, v39, vcc_lo
	v_cndmask_b32_e64 v40, v60, v40, s1
	v_add3_u32 v9, v20, v17, v9
	v_cmp_gt_u32_e64 s0, 64, v29
	v_mul_i32_i24_e32 v21, v21, v44
	v_mul_i32_i24_e32 v11, v75, v11
	;; [unrolled: 1-line block ×3, first 2 shown]
	v_sub_nc_u32_e32 v33, 0, v42
	v_sub_nc_u32_e32 v76, 0, v43
	v_cmp_eq_u16_e64 s3, 0, v66
	s_wait_alu 0xf1ff
	v_cndmask_b32_e64 v17, v62, v18, s0
	v_cndmask_b32_e64 v10, v10, v64, s2
	v_add3_u32 v9, v9, v39, v40
	v_cmp_eq_u16_e64 s0, 0, v65
	v_and_b32_e32 v71, 32, v34
	v_mul_i32_i24_e32 v45, v79, v45
	v_mul_i32_i24_e32 v46, v80, v46
	v_sub_nc_u32_e32 v66, 0, v21
	v_sub_nc_u32_e32 v80, 0, v11
	s_wait_alu 0xf1ff
	v_cndmask_b32_e64 v20, v33, v42, s0
	s_wait_alu 0xfffe
	v_cndmask_b32_e64 v29, v76, v43, s3
	v_add3_u32 v9, v9, v17, v10
	v_cmp_eq_u16_e64 s0, 0, v67
	v_mul_i32_i24_e32 v13, v81, v13
	v_sub_nc_u32_e32 v68, 0, v45
	v_sub_nc_u32_e32 v81, 0, v46
	v_cmp_eq_u16_e64 s5, 0, v71
	s_wait_alu 0xf1ff
	v_cndmask_b32_e64 v17, v66, v21, s0
	v_cndmask_b32_e64 v11, v80, v11, s4
	v_add3_u32 v9, v9, v20, v29
	v_cmp_eq_u16_e64 s1, 0, v93
	v_and_b32_e32 v72, 1, v35
	v_and_b32_e32 v38, 2, v35
	v_mul_i32_i24_e32 v14, v82, v14
	v_sub_nc_u32_e32 v71, 0, v22
	v_sub_nc_u32_e32 v82, 0, v12
	s_wait_alu 0xf1ff
	v_cndmask_b32_e64 v20, v68, v45, s1
	v_cndmask_b32_e64 v21, v81, v46, s5
	v_add3_u32 v9, v9, v17, v11
	v_cmp_gt_u32_e64 s1, 64, v30
	v_and_b32_e32 v69, 4, v35
	v_and_b32_e32 v73, 8, v35
	v_sub_nc_u32_e32 v34, 0, v47
	v_sub_nc_u32_e32 v83, 0, v48
	v_cmp_eq_u16_e64 s7, 0, v38
	s_wait_alu 0xf1ff
	v_cndmask_b32_e64 v17, v71, v22, s1
	v_cndmask_b32_e64 v12, v12, v82, s6
	v_add3_u32 v9, v9, v20, v21
	v_cmp_eq_u16_e64 s1, 0, v72
	v_and_b32_e32 v74, 16, v35
	v_and_b32_e32 v41, 32, v35
	v_sub_nc_u32_e32 v38, 0, v23
	v_sub_nc_u32_e32 v84, 0, v13
	v_cmp_eq_u16_e64 s8, 0, v73
	s_wait_alu 0xf1ff
	v_cndmask_b32_e64 v21, v34, v47, s1
	v_cndmask_b32_e64 v22, v83, v48, s7
	v_add3_u32 v9, v9, v17, v12
	v_cmp_eq_u16_e64 s2, 0, v69
	v_sub_nc_u32_e32 v73, 0, v49
	v_sub_nc_u32_e32 v85, 0, v50
	v_cmp_eq_u16_e64 s9, 0, v41
	v_cndmask_b32_e64 v13, v84, v13, s8
	s_wait_alu 0xf1ff
	v_cndmask_b32_e64 v12, v38, v23, s2
	v_add3_u32 v9, v9, v21, v22
	v_cmp_eq_u16_e64 s2, 0, v74
	v_and_b32_e32 v70, 1, v36
	v_and_b32_e32 v77, 2, v36
	v_sub_nc_u32_e32 v37, 0, v24
	v_sub_nc_u32_e32 v28, 0, v14
	v_cmp_gt_i16_e32 vcc_lo, 0, v35
	s_wait_alu 0xf1ff
	v_cndmask_b32_e64 v21, v73, v49, s2
	v_cndmask_b32_e64 v22, v85, v50, s9
	v_add3_u32 v9, v9, v12, v13
	v_cmp_gt_u32_e64 s2, 64, v31
	v_and_b32_e32 v78, 4, v36
	v_and_b32_e32 v44, 8, v36
	v_mul_i32_i24_e32 v15, v87, v15
	v_sub_nc_u32_e32 v18, 0, v51
	v_sub_nc_u32_e32 v10, 0, v52
	v_cmp_eq_u16_e64 s0, 0, v77
	s_wait_alu 0xf1ff
	v_cndmask_b32_e64 v13, v37, v24, s2
	s_wait_alu 0xfffd
	v_cndmask_b32_e32 v14, v14, v28, vcc_lo
	v_add3_u32 v9, v9, v21, v22
	v_cmp_eq_u16_e64 s2, 0, v70
	v_and_b32_e32 v75, 16, v36
	v_and_b32_e32 v79, 32, v36
	v_sub_nc_u32_e32 v11, 0, v25
	v_sub_nc_u32_e32 v20, 0, v15
	v_cmp_eq_u16_e64 s1, 0, v44
	s_wait_alu 0xf1ff
	v_cndmask_b32_e64 v18, v18, v51, s2
	v_cndmask_b32_e64 v10, v10, v52, s0
	v_add3_u32 v9, v9, v13, v14
	v_cmp_eq_u16_e64 s0, 0, v78
	v_mul_i32_i24_e32 v16, v88, v16
	v_sub_nc_u32_e32 v17, 0, v53
	v_sub_nc_u32_e32 v12, 0, v54
	v_cmp_eq_u16_e32 vcc_lo, 0, v79
	s_wait_alu 0xf1ff
	v_cndmask_b32_e64 v11, v11, v25, s0
	v_cndmask_b32_e64 v14, v20, v15, s1
	v_add3_u32 v9, v9, v18, v10
	v_cmp_eq_u16_e64 s0, 0, v75
	v_sub_nc_u32_e32 v13, 0, v26
	v_sub_nc_u32_e32 v10, 0, v16
	s_wait_alu 0xfffd
	v_cndmask_b32_e32 v12, v12, v54, vcc_lo
	v_add3_u32 v9, v9, v11, v14
	s_wait_alu 0xf1ff
	v_cndmask_b32_e64 v15, v17, v53, s0
	v_cmp_gt_i16_e32 vcc_lo, 0, v36
	v_cmp_gt_u32_e64 s0, 64, v32
	s_wait_loadcnt 0x0
	v_cvt_f32_f16_e32 v19, v19
	v_add3_u32 v9, v9, v15, v12
	s_wait_alu 0xfffd
	v_cndmask_b32_e32 v10, v16, v10, vcc_lo
	s_wait_alu 0xf1ff
	v_cndmask_b32_e64 v11, v13, v26, s0
	v_mul_f32_e32 v12, v27, v19
	v_cmp_le_u32_e32 vcc_lo, s19, v4
	s_delay_alu instid0(VALU_DEP_3) | instskip(NEXT) | instid1(VALU_DEP_3)
	v_add3_u32 v9, v9, v11, v10
	v_mul_f32_e32 v10, 0x3e800000, v12
	s_or_b32 s11, vcc_lo, s11
	s_delay_alu instid0(VALU_DEP_2) | instskip(NEXT) | instid1(VALU_DEP_1)
	v_cvt_f32_i32_e32 v9, v9
	v_fmac_f32_e32 v5, v10, v9
	s_wait_alu 0xfffe
	s_and_not1_b32 exec_lo, exec_lo, s11
	s_cbranch_execnz .LBB266_3
; %bb.4:
	s_or_b32 exec_lo, exec_lo, s11
.LBB266_5:
	s_delay_alu instid0(SALU_CYCLE_1) | instskip(SKIP_1) | instid1(VALU_DEP_1)
	s_or_b32 exec_lo, exec_lo, s20
	v_mbcnt_lo_u32_b32 v2, -1, 0
	v_xor_b32_e32 v3, 16, v2
	v_xor_b32_e32 v4, 8, v2
	s_delay_alu instid0(VALU_DEP_2) | instskip(SKIP_2) | instid1(VALU_DEP_3)
	v_cmp_gt_i32_e32 vcc_lo, 32, v3
	s_wait_alu 0xfffd
	v_cndmask_b32_e32 v3, v2, v3, vcc_lo
	v_cmp_gt_i32_e32 vcc_lo, 32, v4
	s_wait_alu 0xfffd
	v_cndmask_b32_e32 v4, v2, v4, vcc_lo
	s_delay_alu instid0(VALU_DEP_1)
	v_lshlrev_b32_e32 v4, 2, v4
	v_lshlrev_b32_e32 v3, 2, v3
	ds_bpermute_b32 v3, v3, v5
	s_wait_dscnt 0x0
	v_add_f32_e32 v3, v5, v3
	v_xor_b32_e32 v5, 4, v2
	ds_bpermute_b32 v4, v4, v3
	v_cmp_gt_i32_e32 vcc_lo, 32, v5
	s_wait_alu 0xfffd
	v_cndmask_b32_e32 v5, v2, v5, vcc_lo
	s_delay_alu instid0(VALU_DEP_1) | instskip(SKIP_4) | instid1(VALU_DEP_1)
	v_lshlrev_b32_e32 v5, 2, v5
	s_wait_dscnt 0x0
	v_add_f32_e32 v3, v3, v4
	ds_bpermute_b32 v4, v5, v3
	v_xor_b32_e32 v5, 2, v2
	v_cmp_gt_i32_e32 vcc_lo, 32, v5
	s_wait_alu 0xfffd
	v_cndmask_b32_e32 v5, v2, v5, vcc_lo
	s_delay_alu instid0(VALU_DEP_1) | instskip(SKIP_4) | instid1(VALU_DEP_1)
	v_lshlrev_b32_e32 v5, 2, v5
	s_wait_dscnt 0x0
	v_add_f32_e32 v3, v3, v4
	ds_bpermute_b32 v4, v5, v3
	v_xor_b32_e32 v5, 1, v2
	v_cmp_gt_i32_e32 vcc_lo, 32, v5
	s_wait_alu 0xfffd
	v_cndmask_b32_e32 v5, v2, v5, vcc_lo
	v_cmp_eq_u32_e32 vcc_lo, 0, v0
	s_wait_dscnt 0x0
	s_delay_alu instid0(VALU_DEP_2)
	v_dual_add_f32 v2, v3, v4 :: v_dual_lshlrev_b32 v3, 2, v5
	ds_bpermute_b32 v3, v3, v2
	s_and_b32 exec_lo, exec_lo, vcc_lo
	s_cbranch_execz .LBB266_7
; %bb.6:
	v_mad_co_u64_u32 v[0:1], null, s14, s18, v[1:2]
	s_wait_dscnt 0x0
	v_dual_mov_b32 v1, 0 :: v_dual_add_f32 v2, v2, v3
	s_delay_alu instid0(VALU_DEP_1) | instskip(NEXT) | instid1(VALU_DEP_2)
	v_cvt_f16_f32_e32 v2, v2
	v_lshlrev_b64_e32 v[0:1], 1, v[0:1]
	s_wait_kmcnt 0x0
	s_delay_alu instid0(VALU_DEP_1) | instskip(SKIP_1) | instid1(VALU_DEP_2)
	v_add_co_u32 v0, vcc_lo, s16, v0
	s_wait_alu 0xfffd
	v_add_co_ci_u32_e64 v1, null, s17, v1, vcc_lo
	global_store_b16 v[0:1], v2, off
.LBB266_7:
	s_endpgm
	.section	.rodata,"a",@progbits
	.p2align	6, 0x0
	.amdhsa_kernel _ZL9moe_vec_qIN3c104HalfELi256ELi8E13block_iq2_xxsLi1EXadL_ZL20vec_dot_iq2_xxs_q8_1PKvPK10block_q8_1RKiEEEvS4_S4_PT_PS8_iiii
		.amdhsa_group_segment_fixed_size 0
		.amdhsa_private_segment_fixed_size 0
		.amdhsa_kernarg_size 304
		.amdhsa_user_sgpr_count 2
		.amdhsa_user_sgpr_dispatch_ptr 0
		.amdhsa_user_sgpr_queue_ptr 0
		.amdhsa_user_sgpr_kernarg_segment_ptr 1
		.amdhsa_user_sgpr_dispatch_id 0
		.amdhsa_user_sgpr_private_segment_size 0
		.amdhsa_wavefront_size32 1
		.amdhsa_uses_dynamic_stack 0
		.amdhsa_enable_private_segment 0
		.amdhsa_system_sgpr_workgroup_id_x 1
		.amdhsa_system_sgpr_workgroup_id_y 0
		.amdhsa_system_sgpr_workgroup_id_z 1
		.amdhsa_system_sgpr_workgroup_info 0
		.amdhsa_system_vgpr_workitem_id 1
		.amdhsa_next_free_vgpr 94
		.amdhsa_next_free_sgpr 21
		.amdhsa_reserve_vcc 1
		.amdhsa_float_round_mode_32 0
		.amdhsa_float_round_mode_16_64 0
		.amdhsa_float_denorm_mode_32 3
		.amdhsa_float_denorm_mode_16_64 3
		.amdhsa_fp16_overflow 0
		.amdhsa_workgroup_processor_mode 1
		.amdhsa_memory_ordered 1
		.amdhsa_forward_progress 1
		.amdhsa_inst_pref_size 21
		.amdhsa_round_robin_scheduling 0
		.amdhsa_exception_fp_ieee_invalid_op 0
		.amdhsa_exception_fp_denorm_src 0
		.amdhsa_exception_fp_ieee_div_zero 0
		.amdhsa_exception_fp_ieee_overflow 0
		.amdhsa_exception_fp_ieee_underflow 0
		.amdhsa_exception_fp_ieee_inexact 0
		.amdhsa_exception_int_div_zero 0
	.end_amdhsa_kernel
	.section	.text._ZL9moe_vec_qIN3c104HalfELi256ELi8E13block_iq2_xxsLi1EXadL_ZL20vec_dot_iq2_xxs_q8_1PKvPK10block_q8_1RKiEEEvS4_S4_PT_PS8_iiii,"axG",@progbits,_ZL9moe_vec_qIN3c104HalfELi256ELi8E13block_iq2_xxsLi1EXadL_ZL20vec_dot_iq2_xxs_q8_1PKvPK10block_q8_1RKiEEEvS4_S4_PT_PS8_iiii,comdat
.Lfunc_end266:
	.size	_ZL9moe_vec_qIN3c104HalfELi256ELi8E13block_iq2_xxsLi1EXadL_ZL20vec_dot_iq2_xxs_q8_1PKvPK10block_q8_1RKiEEEvS4_S4_PT_PS8_iiii, .Lfunc_end266-_ZL9moe_vec_qIN3c104HalfELi256ELi8E13block_iq2_xxsLi1EXadL_ZL20vec_dot_iq2_xxs_q8_1PKvPK10block_q8_1RKiEEEvS4_S4_PT_PS8_iiii
                                        ; -- End function
	.set _ZL9moe_vec_qIN3c104HalfELi256ELi8E13block_iq2_xxsLi1EXadL_ZL20vec_dot_iq2_xxs_q8_1PKvPK10block_q8_1RKiEEEvS4_S4_PT_PS8_iiii.num_vgpr, 94
	.set _ZL9moe_vec_qIN3c104HalfELi256ELi8E13block_iq2_xxsLi1EXadL_ZL20vec_dot_iq2_xxs_q8_1PKvPK10block_q8_1RKiEEEvS4_S4_PT_PS8_iiii.num_agpr, 0
	.set _ZL9moe_vec_qIN3c104HalfELi256ELi8E13block_iq2_xxsLi1EXadL_ZL20vec_dot_iq2_xxs_q8_1PKvPK10block_q8_1RKiEEEvS4_S4_PT_PS8_iiii.numbered_sgpr, 21
	.set _ZL9moe_vec_qIN3c104HalfELi256ELi8E13block_iq2_xxsLi1EXadL_ZL20vec_dot_iq2_xxs_q8_1PKvPK10block_q8_1RKiEEEvS4_S4_PT_PS8_iiii.num_named_barrier, 0
	.set _ZL9moe_vec_qIN3c104HalfELi256ELi8E13block_iq2_xxsLi1EXadL_ZL20vec_dot_iq2_xxs_q8_1PKvPK10block_q8_1RKiEEEvS4_S4_PT_PS8_iiii.private_seg_size, 0
	.set _ZL9moe_vec_qIN3c104HalfELi256ELi8E13block_iq2_xxsLi1EXadL_ZL20vec_dot_iq2_xxs_q8_1PKvPK10block_q8_1RKiEEEvS4_S4_PT_PS8_iiii.uses_vcc, 1
	.set _ZL9moe_vec_qIN3c104HalfELi256ELi8E13block_iq2_xxsLi1EXadL_ZL20vec_dot_iq2_xxs_q8_1PKvPK10block_q8_1RKiEEEvS4_S4_PT_PS8_iiii.uses_flat_scratch, 0
	.set _ZL9moe_vec_qIN3c104HalfELi256ELi8E13block_iq2_xxsLi1EXadL_ZL20vec_dot_iq2_xxs_q8_1PKvPK10block_q8_1RKiEEEvS4_S4_PT_PS8_iiii.has_dyn_sized_stack, 0
	.set _ZL9moe_vec_qIN3c104HalfELi256ELi8E13block_iq2_xxsLi1EXadL_ZL20vec_dot_iq2_xxs_q8_1PKvPK10block_q8_1RKiEEEvS4_S4_PT_PS8_iiii.has_recursion, 0
	.set _ZL9moe_vec_qIN3c104HalfELi256ELi8E13block_iq2_xxsLi1EXadL_ZL20vec_dot_iq2_xxs_q8_1PKvPK10block_q8_1RKiEEEvS4_S4_PT_PS8_iiii.has_indirect_call, 0
	.section	.AMDGPU.csdata,"",@progbits
; Kernel info:
; codeLenInByte = 2644
; TotalNumSgprs: 23
; NumVgprs: 94
; ScratchSize: 0
; MemoryBound: 0
; FloatMode: 240
; IeeeMode: 1
; LDSByteSize: 0 bytes/workgroup (compile time only)
; SGPRBlocks: 0
; VGPRBlocks: 11
; NumSGPRsForWavesPerEU: 23
; NumVGPRsForWavesPerEU: 94
; Occupancy: 16
; WaveLimiterHint : 1
; COMPUTE_PGM_RSRC2:SCRATCH_EN: 0
; COMPUTE_PGM_RSRC2:USER_SGPR: 2
; COMPUTE_PGM_RSRC2:TRAP_HANDLER: 0
; COMPUTE_PGM_RSRC2:TGID_X_EN: 1
; COMPUTE_PGM_RSRC2:TGID_Y_EN: 0
; COMPUTE_PGM_RSRC2:TGID_Z_EN: 1
; COMPUTE_PGM_RSRC2:TIDIG_COMP_CNT: 1
	.section	.text._ZL9moe_vec_qIN3c104HalfELi256ELi8E12block_iq2_xsLi1EXadL_ZL19vec_dot_iq2_xs_q8_1PKvPK10block_q8_1RKiEEEvS4_S4_PT_PS8_iiii,"axG",@progbits,_ZL9moe_vec_qIN3c104HalfELi256ELi8E12block_iq2_xsLi1EXadL_ZL19vec_dot_iq2_xs_q8_1PKvPK10block_q8_1RKiEEEvS4_S4_PT_PS8_iiii,comdat
	.globl	_ZL9moe_vec_qIN3c104HalfELi256ELi8E12block_iq2_xsLi1EXadL_ZL19vec_dot_iq2_xs_q8_1PKvPK10block_q8_1RKiEEEvS4_S4_PT_PS8_iiii ; -- Begin function _ZL9moe_vec_qIN3c104HalfELi256ELi8E12block_iq2_xsLi1EXadL_ZL19vec_dot_iq2_xs_q8_1PKvPK10block_q8_1RKiEEEvS4_S4_PT_PS8_iiii
	.p2align	8
	.type	_ZL9moe_vec_qIN3c104HalfELi256ELi8E12block_iq2_xsLi1EXadL_ZL19vec_dot_iq2_xs_q8_1PKvPK10block_q8_1RKiEEEvS4_S4_PT_PS8_iiii,@function
_ZL9moe_vec_qIN3c104HalfELi256ELi8E12block_iq2_xsLi1EXadL_ZL19vec_dot_iq2_xs_q8_1PKvPK10block_q8_1RKiEEEvS4_S4_PT_PS8_iiii: ; @_ZL9moe_vec_qIN3c104HalfELi256ELi8E12block_iq2_xsLi1EXadL_ZL19vec_dot_iq2_xs_q8_1PKvPK10block_q8_1RKiEEEvS4_S4_PT_PS8_iiii
; %bb.0:
	s_clause 0x1
	s_load_u16 s2, s[0:1], 0x3e
	s_load_b128 s[28:31], s[0:1], 0x20
	v_bfe_u32 v1, v0, 10, 10
	s_wait_kmcnt 0x0
	s_delay_alu instid0(VALU_DEP_1)
	v_mad_co_u64_u32 v[1:2], null, ttmp9, s2, v[1:2]
	s_mov_b32 s2, exec_lo
	v_cmpx_gt_u32_e64 s30, v1
	s_cbranch_execz .LBB267_7
; %bb.1:
	s_load_b64 s[34:35], s[0:1], 0x10
	s_ashr_i32 s2, s29, 31
	v_bfe_u32 v6, v0, 3, 7
	s_wait_alu 0xfffe
	s_lshr_b32 s2, s2, 24
	v_dual_mov_b32 v7, 0 :: v_dual_and_b32 v0, 0x3ff, v0
	s_wait_alu 0xfffe
	s_add_co_i32 s2, s29, s2
	s_lshr_b32 s33, ttmp7, 16
	s_wait_alu 0xfffe
	s_ashr_i32 s40, s2, 8
	s_mov_b32 s41, exec_lo
	v_cmpx_gt_u32_e64 s40, v6
	s_cbranch_execz .LBB267_5
; %bb.2:
	s_load_b64 s[2:3], s[0:1], 0x18
	s_cvt_f32_u32 s4, s28
	s_lshl_b32 s5, s33, 2
	v_dual_mov_b32 v7, 0 :: v_dual_and_b32 v8, 7, v0
	s_delay_alu instid0(SALU_CYCLE_1) | instskip(SKIP_2) | instid1(VALU_DEP_2)
	v_rcp_iflag_f32_e32 v2, s4
	s_mov_b32 s37, 0
	v_mul_lo_u32 v9, v1, s40
	v_lshlrev_b32_e32 v4, 2, v8
	v_lshlrev_b32_e32 v10, 3, v6
	s_delay_alu instid0(VALU_DEP_2) | instskip(NEXT) | instid1(TRANS32_DEP_1)
	v_lshlrev_b32_e32 v11, 1, v4
	v_readfirstlane_b32 s4, v2
	s_wait_kmcnt 0x0
	s_load_b32 s5, s[2:3], s5 offset:0x0
	s_mul_f32 s2, s4, 0x4f7ffffe
	s_sub_co_i32 s3, 0, s28
	s_wait_alu 0xfffe
	s_delay_alu instid0(SALU_CYCLE_1) | instskip(SKIP_1) | instid1(SALU_CYCLE_2)
	s_cvt_u32_f32 s2, s2
	s_wait_alu 0xfffe
	s_mul_i32 s3, s3, s2
	s_wait_alu 0xfffe
	s_mul_hi_u32 s3, s2, s3
	s_wait_alu 0xfffe
	s_add_co_i32 s4, s2, s3
	s_load_b128 s[0:3], s[0:1], 0x0
	s_mul_hi_u32 s6, s33, s4
	s_mul_i32 s4, s40, s30
	s_mul_i32 s7, s6, s28
	s_add_co_i32 s8, s6, 1
	s_sub_co_i32 s7, s33, s7
	s_wait_kmcnt 0x0
	s_wait_alu 0xfffe
	s_mul_i32 s4, s4, s5
	s_sub_co_i32 s9, s7, s28
	s_wait_alu 0xfffe
	s_ashr_i32 s5, s4, 31
	s_cmp_ge_u32 s7, s28
	s_wait_alu 0xfffe
	s_mul_u64 s[4:5], s[4:5], 0x4a
	s_cselect_b32 s6, s8, s6
	s_cselect_b32 s7, s9, s7
	s_add_co_i32 s8, s6, 1
	s_cmp_ge_u32 s7, s28
	s_cselect_b32 s6, s8, s6
	s_delay_alu instid0(SALU_CYCLE_1) | instskip(SKIP_3) | instid1(SALU_CYCLE_1)
	s_mul_i32 s36, s6, s31
	s_wait_alu 0xfffe
	s_add_nc_u64 s[38:39], s[0:1], s[4:5]
	s_lshl_b64 s[6:7], s[36:37], 2
	s_add_nc_u64 s[2:3], s[2:3], s[6:7]
	s_wait_alu 0xfffe
	v_mad_co_u64_u32 v[2:3], null, v8, 36, s[2:3]
.LBB267_3:                              ; =>This Inner Loop Header: Depth=1
	v_add_nc_u32_e32 v4, v9, v6
	s_delay_alu instid0(VALU_DEP_2)
	v_mad_co_i64_i32 v[22:23], null, v10, 36, v[2:3]
	s_getpc_b64 s[0:1]
	s_wait_alu 0xfffe
	s_sext_i32_i16 s1, s1
	s_add_co_u32 s0, s0, _ZL10iq2xs_grid@rel32@lo+12
	s_wait_alu 0xfffe
	s_add_co_ci_u32 s1, s1, _ZL10iq2xs_grid@rel32@hi+24
	s_getpc_b64 s[2:3]
	s_wait_alu 0xfffe
	s_sext_i32_i16 s3, s3
	s_add_co_u32 s2, s2, _ZL12ksigns_iq2xs@rel32@lo+12
	s_wait_alu 0xfffe
	s_add_co_ci_u32 s3, s3, _ZL12ksigns_iq2xs@rel32@hi+24
	v_mad_co_i64_i32 v[20:21], null, 0x4a, v4, s[38:39]
	v_add_nc_u32_e32 v6, 4, v6
	v_add_nc_u32_e32 v10, 32, v10
	s_delay_alu instid0(VALU_DEP_3) | instskip(SKIP_1) | instid1(VALU_DEP_4)
	v_add_co_u32 v4, vcc_lo, v20, v11
	s_wait_alu 0xfffd
	v_add_co_ci_u32_e64 v5, null, 0, v21, vcc_lo
	v_add_co_u32 v24, vcc_lo, v20, v8
	s_wait_alu 0xfffd
	v_add_co_ci_u32_e64 v25, null, 0, v21, vcc_lo
	global_load_b64 v[4:5], v[4:5], off offset:2
	s_clause 0x1
	global_load_b128 v[12:15], v[22:23], off offset:4
	global_load_b128 v[16:19], v[22:23], off offset:20
	s_clause 0x1
	global_load_u8 v30, v[24:25], off offset:66
	global_load_u16 v31, v[20:21], off
	s_wait_loadcnt 0x3
	v_bfe_i32 v36, v12, 8, 8
	v_and_b32_e32 v20, 0x1ff, v4
	v_lshrrev_b32_e32 v24, 13, v4
	v_and_b32_e32 v26, 0x1ff, v5
	v_lshrrev_b32_e32 v28, 13, v5
	v_bfe_u32 v21, v4, 9, 7
	v_lshrrev_b32_e32 v25, 25, v4
	v_bfe_u32 v27, v5, 9, 7
	v_lshrrev_b32_e32 v29, 25, v5
	v_lshlrev_b32_e32 v20, 3, v20
	v_and_b32_e32 v24, 0xff8, v24
	v_lshlrev_b32_e32 v26, 3, v26
	v_and_b32_e32 v28, 0xff8, v28
	s_clause 0x3
	global_load_i8 v32, v21, s[2:3]
	global_load_i8 v33, v25, s[2:3]
	;; [unrolled: 1-line block ×4, first 2 shown]
	s_clause 0x3
	global_load_b64 v[20:21], v20, s[0:1]
	global_load_b64 v[24:25], v24, s[0:1]
	;; [unrolled: 1-line block ×4, first 2 shown]
	global_load_u16 v22, v[22:23], off
	v_bfe_i32 v38, v13, 0, 8
	v_bfe_i32 v39, v13, 8, 8
	s_wait_loadcnt 0xb
	v_bfe_i32 v47, v16, 0, 8
	v_bfe_i32 v48, v16, 8, 8
	s_wait_loadcnt 0xa
	v_lshrrev_b16 v59, 4, v30
	v_bfe_i32 v23, v12, 0, 8
	v_bfe_i32 v37, v12, 16, 8
	v_ashrrev_i32_e32 v12, 24, v12
	v_bfe_i32 v40, v13, 16, 8
	v_ashrrev_i32_e32 v13, 24, v13
	;; [unrolled: 2-line block ×3, first 2 shown]
	v_bfe_i32 v50, v17, 0, 8
	v_bfe_i32 v51, v17, 8, 8
	;; [unrolled: 1-line block ×4, first 2 shown]
	v_cvt_f32_ubyte0_e32 v59, v59
	v_bfe_i32 v41, v14, 0, 8
	v_bfe_i32 v42, v14, 8, 8
	v_bfe_i32 v43, v14, 16, 8
	v_ashrrev_i32_e32 v14, 24, v14
	v_bfe_i32 v44, v15, 0, 8
	v_bfe_i32 v45, v15, 8, 8
	;; [unrolled: 1-line block ×3, first 2 shown]
	v_ashrrev_i32_e32 v15, 24, v15
	v_bfe_i32 v55, v18, 16, 8
	v_bfe_i32 v52, v17, 16, 8
	v_ashrrev_i32_e32 v17, 24, v17
	v_bfe_i32 v54, v18, 8, 8
	v_bfe_i32 v57, v19, 8, 8
	;; [unrolled: 1-line block ×3, first 2 shown]
	v_lshrrev_b32_e32 v60, 16, v4
	v_cmp_gt_i16_e64 s4, 0, v4
	v_ashrrev_i32_e32 v18, 24, v18
	v_lshrrev_b32_e32 v61, 16, v5
	v_cmp_gt_i16_e64 s19, 0, v5
	v_ashrrev_i32_e32 v19, 24, v19
	v_and_b32_e32 v30, 15, v30
	s_delay_alu instid0(VALU_DEP_4)
	v_cmp_gt_i16_e64 s27, 0, v61
	s_wait_loadcnt 0x5
	v_cmp_gt_i16_e64 s28, 0, v35
	s_wait_loadcnt 0x4
	v_bfe_u32 v72, v20, 8, 8
	v_and_b32_e32 v73, 0xff, v21
	v_bfe_u32 v74, v21, 8, 8
	s_wait_loadcnt 0x2
	v_and_b32_e32 v83, 0xff, v26
	v_bfe_u32 v84, v26, 8, 8
	v_and_b32_e32 v63, 2, v32
	v_and_b32_e32 v64, 4, v32
	;; [unrolled: 1-line block ×4, first 2 shown]
	v_lshrrev_b32_e32 v69, 24, v20
	v_lshrrev_b32_e32 v70, 24, v21
	v_and_b32_e32 v71, 0xff, v20
	v_bfe_u32 v20, v20, 16, 8
	v_bfe_u32 v21, v21, 16, 8
	v_lshrrev_b32_e32 v81, 24, v26
	v_bfe_u32 v26, v26, 16, 8
	v_and_b32_e32 v85, 0xff, v27
	v_bfe_u32 v86, v27, 8, 8
	s_wait_loadcnt 0x1
	v_and_b32_e32 v89, 0xff, v28
	v_and_b32_e32 v91, 0xff, v29
	v_mul_i32_i24_e32 v36, v72, v36
	v_mul_i32_i24_e32 v38, v73, v38
	v_and_b32_e32 v73, 1, v34
	v_mul_i32_i24_e32 v39, v74, v39
	v_and_b32_e32 v74, 2, v34
	v_mul_i32_i24_e32 v47, v83, v47
	v_mul_i32_i24_e32 v48, v84, v48
	v_and_b32_e32 v62, 1, v32
	v_and_b32_e32 v68, 1, v33
	v_lshrrev_b32_e32 v75, 24, v24
	v_lshrrev_b32_e32 v76, 24, v25
	v_and_b32_e32 v77, 0xff, v24
	v_bfe_u32 v78, v24, 8, 8
	v_bfe_u32 v24, v24, 16, 8
	v_and_b32_e32 v79, 0xff, v25
	v_bfe_u32 v80, v25, 8, 8
	v_bfe_u32 v25, v25, 16, 8
	v_lshrrev_b32_e32 v87, 24, v28
	v_bfe_u32 v90, v28, 8, 8
	v_bfe_u32 v28, v28, 16, 8
	v_and_b32_e32 v93, 2, v33
	v_mul_i32_i24_e32 v23, v71, v23
	v_and_b32_e32 v71, 4, v33
	v_and_b32_e32 v72, 8, v33
	v_mul_i32_i24_e32 v20, v20, v37
	v_and_b32_e32 v37, 16, v33
	v_mul_i32_i24_e32 v12, v69, v12
	;; [unrolled: 2-line block ×5, first 2 shown]
	v_mul_i32_i24_e32 v16, v81, v16
	v_mul_i32_i24_e32 v49, v85, v50
	;; [unrolled: 1-line block ×5, first 2 shown]
	v_sub_nc_u32_e32 v56, 0, v36
	v_cmp_eq_u16_e32 vcc_lo, 0, v63
	v_cmp_eq_u16_e64 s0, 0, v64
	v_sub_nc_u32_e32 v63, 0, v38
	v_cmp_eq_u16_e64 s2, 0, v66
	v_sub_nc_u32_e32 v64, 0, v39
	v_cmp_eq_u16_e64 s3, 0, v67
	v_cmp_gt_i16_e64 s12, 0, v33
	v_sub_nc_u32_e32 v33, 0, v47
	v_cmp_eq_u16_e64 s13, 0, v73
	v_sub_nc_u32_e32 v73, 0, v48
	v_cmp_eq_u16_e64 s14, 0, v74
	s_wait_loadcnt 0x0
	v_cvt_f32_f16_e32 v22, v22
	v_and_b32_e32 v65, 8, v32
	v_lshrrev_b32_e32 v82, 24, v27
	v_bfe_u32 v27, v27, 16, 8
	v_lshrrev_b32_e32 v88, 24, v29
	v_bfe_u32 v92, v29, 8, 8
	v_bfe_u32 v29, v29, 16, 8
	v_mul_i32_i24_e32 v41, v77, v41
	v_and_b32_e32 v77, 16, v34
	v_mul_i32_i24_e32 v42, v78, v42
	v_and_b32_e32 v78, 32, v34
	;; [unrolled: 2-line block ×8, first 2 shown]
	v_mul_i32_i24_e32 v28, v28, v55
	v_sub_nc_u32_e32 v55, 0, v23
	v_sub_nc_u32_e32 v4, 0, v13
	v_cmp_gt_i16_e64 s5, 0, v32
	v_sub_nc_u32_e32 v74, 0, v26
	v_cmp_eq_u16_e64 s15, 0, v40
	v_sub_nc_u32_e32 v40, 0, v16
	v_cmp_eq_u16_e64 s16, 0, v70
	v_cmp_eq_u16_e64 s29, 0, v62
	s_wait_alu 0xfffd
	v_cndmask_b32_e32 v35, v56, v36, vcc_lo
	s_wait_alu 0xf1ff
	v_cndmask_b32_e64 v36, v63, v38, s2
	s_wait_alu 0xfffe
	v_cndmask_b32_e64 v38, v64, v39, s3
	v_cndmask_b32_e64 v33, v33, v47, s13
	;; [unrolled: 1-line block ×3, first 2 shown]
	v_mul_i32_i24_e32 v27, v27, v52
	v_mul_i32_i24_e32 v17, v82, v17
	;; [unrolled: 1-line block ×5, first 2 shown]
	v_sub_nc_u32_e32 v57, 0, v20
	v_sub_nc_u32_e32 v58, 0, v12
	v_cmp_eq_u16_e64 s1, 0, v65
	v_sub_nc_u32_e32 v70, 0, v49
	v_cmp_eq_u16_e64 s17, 0, v77
	;; [unrolled: 2-line block ×3, first 2 shown]
	v_cndmask_b32_e64 v23, v55, v23, s29
	v_cndmask_b32_e64 v4, v13, v4, s5
	;; [unrolled: 1-line block ×4, first 2 shown]
	v_add_nc_u32_e32 v26, v39, v33
	v_sub_nc_u32_e32 v78, 0, v27
	v_sub_nc_u32_e32 v5, 0, v17
	v_cmp_gt_i16_e64 s20, 0, v34
	v_cndmask_b32_e64 v20, v57, v20, s0
	s_wait_alu 0xf1ff
	v_cndmask_b32_e64 v12, v58, v12, s1
	v_cndmask_b32_e64 v33, v70, v49, s17
	;; [unrolled: 1-line block ×3, first 2 shown]
	v_add_nc_u32_e32 v23, v35, v23
	v_add3_u32 v13, v26, v13, v16
	v_mul_i32_i24_e32 v18, v87, v18
	v_sub_nc_u32_e32 v65, 0, v21
	v_sub_nc_u32_e32 v34, 0, v51
	v_cmp_eq_u16_e64 s21, 0, v43
	v_sub_nc_u32_e32 v43, 0, v52
	v_cmp_eq_u16_e64 s22, 0, v75
	v_cndmask_b32_e64 v26, v27, v78, s19
	v_cndmask_b32_e64 v5, v17, v5, s20
	v_add3_u32 v12, v23, v20, v12
	v_add3_u32 v13, v13, v33, v39
	v_sub_nc_u32_e32 v32, 0, v41
	v_cmp_eq_u16_e64 s6, 0, v68
	v_sub_nc_u32_e32 v66, 0, v42
	v_cmp_eq_u16_e64 s7, 0, v93
	;; [unrolled: 2-line block ×5, first 2 shown]
	v_cndmask_b32_e64 v21, v21, v65, s4
	s_wait_alu 0xf1ff
	v_cndmask_b32_e64 v20, v34, v51, s21
	v_cndmask_b32_e64 v23, v43, v52, s22
	v_add3_u32 v12, v12, v36, v38
	v_add3_u32 v5, v13, v26, v5
	v_mul_i32_i24_e32 v19, v88, v19
	v_sub_nc_u32_e32 v67, 0, v24
	v_cmp_eq_u16_e64 s8, 0, v71
	v_sub_nc_u32_e32 v80, 0, v53
	v_cmp_eq_u16_e64 s25, 0, v46
	;; [unrolled: 2-line block ×3, first 2 shown]
	v_cndmask_b32_e64 v32, v32, v41, s6
	v_cndmask_b32_e64 v16, v66, v42, s7
	;; [unrolled: 1-line block ×5, first 2 shown]
	v_add3_u32 v4, v12, v21, v4
	v_add3_u32 v5, v5, v20, v23
	v_sub_nc_u32_e32 v71, 0, v44
	v_cmp_eq_u16_e64 s10, 0, v37
	v_sub_nc_u32_e32 v37, 0, v45
	v_cmp_eq_u16_e64 s11, 0, v69
	v_sub_nc_u32_e32 v76, 0, v29
	v_sub_nc_u32_e32 v61, 0, v19
	s_wait_alu 0xf1ff
	v_cndmask_b32_e64 v17, v67, v24, s8
	v_cndmask_b32_e64 v20, v80, v53, s25
	;; [unrolled: 1-line block ×3, first 2 shown]
	v_add3_u32 v4, v4, v32, v16
	v_add3_u32 v5, v5, v14, v18
	v_sub_nc_u32_e32 v69, 0, v25
	v_sub_nc_u32_e32 v72, 0, v15
	v_cndmask_b32_e64 v12, v71, v44, s10
	v_cndmask_b32_e64 v14, v37, v45, s11
	;; [unrolled: 1-line block ×4, first 2 shown]
	v_add3_u32 v4, v4, v17, v13
	v_add3_u32 v5, v5, v20, v21
	v_cmp_gt_i16_e32 vcc_lo, 0, v60
	v_cndmask_b32_e64 v15, v15, v72, s12
	s_delay_alu instid0(VALU_DEP_4) | instskip(NEXT) | instid1(VALU_DEP_4)
	v_add3_u32 v4, v4, v12, v14
	v_add3_u32 v5, v5, v16, v18
	s_wait_alu 0xfffd
	v_cndmask_b32_e32 v13, v25, v69, vcc_lo
	v_cvt_f32_f16_e32 v12, v31
	v_cvt_f32_ubyte0_e32 v14, v30
	v_add_f32_e32 v16, 0.5, v59
	v_cvt_f32_i32_e32 v5, v5
	v_add3_u32 v4, v4, v13, v15
	v_mul_f32_e32 v12, v12, v22
	v_add_f32_e32 v13, 0.5, v14
	v_cmp_le_u32_e32 vcc_lo, s40, v6
	v_mul_f32_e32 v5, v16, v5
	v_cvt_f32_i32_e32 v4, v4
	v_mul_f32_e32 v12, 0x3e800000, v12
	s_or_b32 s37, vcc_lo, s37
	s_delay_alu instid0(VALU_DEP_2) | instskip(NEXT) | instid1(VALU_DEP_1)
	v_fmac_f32_e32 v5, v13, v4
	v_fmac_f32_e32 v7, v12, v5
	s_and_not1_b32 exec_lo, exec_lo, s37
	s_cbranch_execnz .LBB267_3
; %bb.4:
	s_or_b32 exec_lo, exec_lo, s37
.LBB267_5:
	s_delay_alu instid0(SALU_CYCLE_1) | instskip(SKIP_1) | instid1(VALU_DEP_1)
	s_or_b32 exec_lo, exec_lo, s41
	v_mbcnt_lo_u32_b32 v2, -1, 0
	v_xor_b32_e32 v3, 16, v2
	v_xor_b32_e32 v4, 8, v2
	;; [unrolled: 1-line block ×3, first 2 shown]
	s_delay_alu instid0(VALU_DEP_3)
	v_cmp_gt_i32_e32 vcc_lo, 32, v3
	s_wait_alu 0xfffd
	v_cndmask_b32_e32 v3, v2, v3, vcc_lo
	v_cmp_gt_i32_e32 vcc_lo, 32, v4
	s_wait_alu 0xfffd
	v_cndmask_b32_e32 v4, v2, v4, vcc_lo
	v_cmp_gt_i32_e32 vcc_lo, 32, v5
	s_delay_alu instid0(VALU_DEP_2)
	v_lshlrev_b32_e32 v4, 2, v4
	v_lshlrev_b32_e32 v3, 2, v3
	s_wait_alu 0xfffd
	v_cndmask_b32_e32 v5, v2, v5, vcc_lo
	ds_bpermute_b32 v3, v3, v7
	v_lshlrev_b32_e32 v5, 2, v5
	s_wait_dscnt 0x0
	v_add_f32_e32 v3, v7, v3
	ds_bpermute_b32 v4, v4, v3
	s_wait_dscnt 0x0
	v_add_f32_e32 v3, v3, v4
	ds_bpermute_b32 v4, v5, v3
	v_xor_b32_e32 v5, 2, v2
	s_delay_alu instid0(VALU_DEP_1) | instskip(SKIP_2) | instid1(VALU_DEP_1)
	v_cmp_gt_i32_e32 vcc_lo, 32, v5
	s_wait_alu 0xfffd
	v_cndmask_b32_e32 v5, v2, v5, vcc_lo
	v_lshlrev_b32_e32 v5, 2, v5
	s_wait_dscnt 0x0
	v_add_f32_e32 v3, v3, v4
	ds_bpermute_b32 v4, v5, v3
	v_xor_b32_e32 v5, 1, v2
	s_delay_alu instid0(VALU_DEP_1) | instskip(SKIP_4) | instid1(VALU_DEP_2)
	v_cmp_gt_i32_e32 vcc_lo, 32, v5
	s_wait_alu 0xfffd
	v_cndmask_b32_e32 v5, v2, v5, vcc_lo
	v_cmp_eq_u32_e32 vcc_lo, 0, v0
	s_wait_dscnt 0x0
	v_dual_add_f32 v2, v3, v4 :: v_dual_lshlrev_b32 v3, 2, v5
	ds_bpermute_b32 v3, v3, v2
	s_and_b32 exec_lo, exec_lo, vcc_lo
	s_cbranch_execz .LBB267_7
; %bb.6:
	v_mad_co_u64_u32 v[0:1], null, s30, s33, v[1:2]
	s_wait_dscnt 0x0
	v_dual_mov_b32 v1, 0 :: v_dual_add_f32 v2, v2, v3
	s_delay_alu instid0(VALU_DEP_1) | instskip(NEXT) | instid1(VALU_DEP_2)
	v_cvt_f16_f32_e32 v2, v2
	v_lshlrev_b64_e32 v[0:1], 1, v[0:1]
	s_wait_kmcnt 0x0
	s_delay_alu instid0(VALU_DEP_1) | instskip(SKIP_1) | instid1(VALU_DEP_2)
	v_add_co_u32 v0, vcc_lo, s34, v0
	s_wait_alu 0xfffd
	v_add_co_ci_u32_e64 v1, null, s35, v1, vcc_lo
	global_store_b16 v[0:1], v2, off
.LBB267_7:
	s_endpgm
	.section	.rodata,"a",@progbits
	.p2align	6, 0x0
	.amdhsa_kernel _ZL9moe_vec_qIN3c104HalfELi256ELi8E12block_iq2_xsLi1EXadL_ZL19vec_dot_iq2_xs_q8_1PKvPK10block_q8_1RKiEEEvS4_S4_PT_PS8_iiii
		.amdhsa_group_segment_fixed_size 0
		.amdhsa_private_segment_fixed_size 0
		.amdhsa_kernarg_size 304
		.amdhsa_user_sgpr_count 2
		.amdhsa_user_sgpr_dispatch_ptr 0
		.amdhsa_user_sgpr_queue_ptr 0
		.amdhsa_user_sgpr_kernarg_segment_ptr 1
		.amdhsa_user_sgpr_dispatch_id 0
		.amdhsa_user_sgpr_private_segment_size 0
		.amdhsa_wavefront_size32 1
		.amdhsa_uses_dynamic_stack 0
		.amdhsa_enable_private_segment 0
		.amdhsa_system_sgpr_workgroup_id_x 1
		.amdhsa_system_sgpr_workgroup_id_y 0
		.amdhsa_system_sgpr_workgroup_id_z 1
		.amdhsa_system_sgpr_workgroup_info 0
		.amdhsa_system_vgpr_workitem_id 1
		.amdhsa_next_free_vgpr 94
		.amdhsa_next_free_sgpr 42
		.amdhsa_reserve_vcc 1
		.amdhsa_float_round_mode_32 0
		.amdhsa_float_round_mode_16_64 0
		.amdhsa_float_denorm_mode_32 3
		.amdhsa_float_denorm_mode_16_64 3
		.amdhsa_fp16_overflow 0
		.amdhsa_workgroup_processor_mode 1
		.amdhsa_memory_ordered 1
		.amdhsa_forward_progress 1
		.amdhsa_inst_pref_size 21
		.amdhsa_round_robin_scheduling 0
		.amdhsa_exception_fp_ieee_invalid_op 0
		.amdhsa_exception_fp_denorm_src 0
		.amdhsa_exception_fp_ieee_div_zero 0
		.amdhsa_exception_fp_ieee_overflow 0
		.amdhsa_exception_fp_ieee_underflow 0
		.amdhsa_exception_fp_ieee_inexact 0
		.amdhsa_exception_int_div_zero 0
	.end_amdhsa_kernel
	.section	.text._ZL9moe_vec_qIN3c104HalfELi256ELi8E12block_iq2_xsLi1EXadL_ZL19vec_dot_iq2_xs_q8_1PKvPK10block_q8_1RKiEEEvS4_S4_PT_PS8_iiii,"axG",@progbits,_ZL9moe_vec_qIN3c104HalfELi256ELi8E12block_iq2_xsLi1EXadL_ZL19vec_dot_iq2_xs_q8_1PKvPK10block_q8_1RKiEEEvS4_S4_PT_PS8_iiii,comdat
.Lfunc_end267:
	.size	_ZL9moe_vec_qIN3c104HalfELi256ELi8E12block_iq2_xsLi1EXadL_ZL19vec_dot_iq2_xs_q8_1PKvPK10block_q8_1RKiEEEvS4_S4_PT_PS8_iiii, .Lfunc_end267-_ZL9moe_vec_qIN3c104HalfELi256ELi8E12block_iq2_xsLi1EXadL_ZL19vec_dot_iq2_xs_q8_1PKvPK10block_q8_1RKiEEEvS4_S4_PT_PS8_iiii
                                        ; -- End function
	.set _ZL9moe_vec_qIN3c104HalfELi256ELi8E12block_iq2_xsLi1EXadL_ZL19vec_dot_iq2_xs_q8_1PKvPK10block_q8_1RKiEEEvS4_S4_PT_PS8_iiii.num_vgpr, 94
	.set _ZL9moe_vec_qIN3c104HalfELi256ELi8E12block_iq2_xsLi1EXadL_ZL19vec_dot_iq2_xs_q8_1PKvPK10block_q8_1RKiEEEvS4_S4_PT_PS8_iiii.num_agpr, 0
	.set _ZL9moe_vec_qIN3c104HalfELi256ELi8E12block_iq2_xsLi1EXadL_ZL19vec_dot_iq2_xs_q8_1PKvPK10block_q8_1RKiEEEvS4_S4_PT_PS8_iiii.numbered_sgpr, 42
	.set _ZL9moe_vec_qIN3c104HalfELi256ELi8E12block_iq2_xsLi1EXadL_ZL19vec_dot_iq2_xs_q8_1PKvPK10block_q8_1RKiEEEvS4_S4_PT_PS8_iiii.num_named_barrier, 0
	.set _ZL9moe_vec_qIN3c104HalfELi256ELi8E12block_iq2_xsLi1EXadL_ZL19vec_dot_iq2_xs_q8_1PKvPK10block_q8_1RKiEEEvS4_S4_PT_PS8_iiii.private_seg_size, 0
	.set _ZL9moe_vec_qIN3c104HalfELi256ELi8E12block_iq2_xsLi1EXadL_ZL19vec_dot_iq2_xs_q8_1PKvPK10block_q8_1RKiEEEvS4_S4_PT_PS8_iiii.uses_vcc, 1
	.set _ZL9moe_vec_qIN3c104HalfELi256ELi8E12block_iq2_xsLi1EXadL_ZL19vec_dot_iq2_xs_q8_1PKvPK10block_q8_1RKiEEEvS4_S4_PT_PS8_iiii.uses_flat_scratch, 0
	.set _ZL9moe_vec_qIN3c104HalfELi256ELi8E12block_iq2_xsLi1EXadL_ZL19vec_dot_iq2_xs_q8_1PKvPK10block_q8_1RKiEEEvS4_S4_PT_PS8_iiii.has_dyn_sized_stack, 0
	.set _ZL9moe_vec_qIN3c104HalfELi256ELi8E12block_iq2_xsLi1EXadL_ZL19vec_dot_iq2_xs_q8_1PKvPK10block_q8_1RKiEEEvS4_S4_PT_PS8_iiii.has_recursion, 0
	.set _ZL9moe_vec_qIN3c104HalfELi256ELi8E12block_iq2_xsLi1EXadL_ZL19vec_dot_iq2_xs_q8_1PKvPK10block_q8_1RKiEEEvS4_S4_PT_PS8_iiii.has_indirect_call, 0
	.section	.AMDGPU.csdata,"",@progbits
; Kernel info:
; codeLenInByte = 2660
; TotalNumSgprs: 44
; NumVgprs: 94
; ScratchSize: 0
; MemoryBound: 0
; FloatMode: 240
; IeeeMode: 1
; LDSByteSize: 0 bytes/workgroup (compile time only)
; SGPRBlocks: 0
; VGPRBlocks: 11
; NumSGPRsForWavesPerEU: 44
; NumVGPRsForWavesPerEU: 94
; Occupancy: 16
; WaveLimiterHint : 1
; COMPUTE_PGM_RSRC2:SCRATCH_EN: 0
; COMPUTE_PGM_RSRC2:USER_SGPR: 2
; COMPUTE_PGM_RSRC2:TRAP_HANDLER: 0
; COMPUTE_PGM_RSRC2:TGID_X_EN: 1
; COMPUTE_PGM_RSRC2:TGID_Y_EN: 0
; COMPUTE_PGM_RSRC2:TGID_Z_EN: 1
; COMPUTE_PGM_RSRC2:TIDIG_COMP_CNT: 1
	.section	.text._ZL9moe_vec_qIN3c104HalfELi256ELi8E13block_iq3_xxsLi1EXadL_ZL20vec_dot_iq3_xxs_q8_1PKvPK10block_q8_1RKiEEEvS4_S4_PT_PS8_iiii,"axG",@progbits,_ZL9moe_vec_qIN3c104HalfELi256ELi8E13block_iq3_xxsLi1EXadL_ZL20vec_dot_iq3_xxs_q8_1PKvPK10block_q8_1RKiEEEvS4_S4_PT_PS8_iiii,comdat
	.globl	_ZL9moe_vec_qIN3c104HalfELi256ELi8E13block_iq3_xxsLi1EXadL_ZL20vec_dot_iq3_xxs_q8_1PKvPK10block_q8_1RKiEEEvS4_S4_PT_PS8_iiii ; -- Begin function _ZL9moe_vec_qIN3c104HalfELi256ELi8E13block_iq3_xxsLi1EXadL_ZL20vec_dot_iq3_xxs_q8_1PKvPK10block_q8_1RKiEEEvS4_S4_PT_PS8_iiii
	.p2align	8
	.type	_ZL9moe_vec_qIN3c104HalfELi256ELi8E13block_iq3_xxsLi1EXadL_ZL20vec_dot_iq3_xxs_q8_1PKvPK10block_q8_1RKiEEEvS4_S4_PT_PS8_iiii,@function
_ZL9moe_vec_qIN3c104HalfELi256ELi8E13block_iq3_xxsLi1EXadL_ZL20vec_dot_iq3_xxs_q8_1PKvPK10block_q8_1RKiEEEvS4_S4_PT_PS8_iiii: ; @_ZL9moe_vec_qIN3c104HalfELi256ELi8E13block_iq3_xxsLi1EXadL_ZL20vec_dot_iq3_xxs_q8_1PKvPK10block_q8_1RKiEEEvS4_S4_PT_PS8_iiii
; %bb.0:
	s_clause 0x1
	s_load_u16 s2, s[0:1], 0x3e
	s_load_b128 s[4:7], s[0:1], 0x20
	v_bfe_u32 v1, v0, 10, 10
	s_wait_kmcnt 0x0
	s_delay_alu instid0(VALU_DEP_1)
	v_mad_co_u64_u32 v[1:2], null, ttmp9, s2, v[1:2]
	s_mov_b32 s2, exec_lo
	v_cmpx_gt_u32_e64 s6, v1
	s_cbranch_execz .LBB268_9
; %bb.1:
	s_load_b64 s[8:9], s[0:1], 0x10
	s_ashr_i32 s2, s5, 31
	v_bfe_u32 v14, v0, 3, 7
	s_wait_alu 0xfffe
	s_lshr_b32 s2, s2, 24
	v_dual_mov_b32 v15, 0 :: v_dual_and_b32 v0, 0x3ff, v0
	s_wait_alu 0xfffe
	s_add_co_i32 s2, s5, s2
	s_lshr_b32 s10, ttmp7, 16
	s_wait_alu 0xfffe
	s_ashr_i32 s11, s2, 8
	s_mov_b32 s12, exec_lo
	v_cmpx_gt_u32_e64 s11, v14
	s_cbranch_execz .LBB268_7
; %bb.2:
	s_load_b64 s[2:3], s[0:1], 0x18
	s_cvt_f32_u32 s5, s4
	s_lshl_b32 s13, s10, 2
	s_mul_i32 s15, s11, s6
	v_mul_lo_u32 v16, v1, s11
	v_rcp_iflag_f32_e32 v2, s5
	v_lshlrev_b32_e32 v17, 3, v14
	s_delay_alu instid0(VALU_DEP_2) | instskip(NEXT) | instid1(TRANS32_DEP_1)
	v_dual_mov_b32 v15, 0 :: v_dual_add_nc_u32 v18, v14, v16
	v_readfirstlane_b32 s5, v2
	v_and_b32_e32 v2, 7, v0
	s_wait_kmcnt 0x0
	s_load_b32 s13, s[2:3], s13 offset:0x0
	s_mul_f32 s2, s5, 0x4f7ffffe
	s_sub_co_i32 s5, 0, s4
	v_lshlrev_b32_e32 v4, 3, v2
	v_lshlrev_b32_e32 v8, 1, v2
	s_wait_alu 0xfffe
	s_cvt_u32_f32 s14, s2
	s_load_b128 s[0:3], s[0:1], 0x0
	s_delay_alu instid0(VALU_DEP_1) | instskip(NEXT) | instid1(SALU_CYCLE_1)
	v_lshlrev_b32_e32 v19, 1, v8
	s_mul_i32 s16, s5, s14
	s_mov_b32 s5, 0
	s_mul_hi_u32 s16, s14, s16
	s_delay_alu instid0(SALU_CYCLE_1) | instskip(NEXT) | instid1(SALU_CYCLE_1)
	s_add_co_i32 s14, s14, s16
	s_mul_hi_u32 s16, s10, s14
	s_delay_alu instid0(SALU_CYCLE_1)
	s_mul_i32 s14, s16, s4
	s_add_co_i32 s17, s16, 1
	s_sub_co_i32 s18, s10, s14
	s_wait_kmcnt 0x0
	s_mul_i32 s14, s15, s13
	s_sub_co_i32 s13, s18, s4
	s_ashr_i32 s15, s14, 31
	s_cmp_ge_u32 s18, s4
	s_mul_u64 s[14:15], s[14:15], 0x62
	s_cselect_b32 s16, s17, s16
	s_cselect_b32 s13, s13, s18
	s_add_co_i32 s17, s16, 1
	s_cmp_ge_u32 s13, s4
	s_add_nc_u64 s[0:1], s[0:1], s[14:15]
	s_cselect_b32 s4, s17, s16
	s_wait_alu 0xfffe
	s_mul_i32 s4, s4, s7
	s_wait_alu 0xfffe
	s_lshl_b64 s[16:17], s[4:5], 2
	s_getpc_b64 s[14:15]
	s_sext_i32_i16 s15, s15
	s_add_co_u32 s14, s14, _ZL11iq3xxs_grid@rel32@lo+8
	s_add_co_ci_u32 s15, s15, _ZL11iq3xxs_grid@rel32@hi+16
	s_add_nc_u64 s[2:3], s[2:3], s[16:17]
	s_wait_alu 0xfffe
	v_mad_co_u64_u32 v[2:3], null, v2, 36, s[2:3]
	v_add_co_u32 v4, s2, s0, v4
	s_wait_alu 0xf1ff
	v_add_co_ci_u32_e64 v5, null, s1, 0, s2
	s_delay_alu instid0(VALU_DEP_2) | instskip(NEXT) | instid1(VALU_DEP_1)
	v_add_co_u32 v4, vcc_lo, v4, 2
	v_add_co_ci_u32_e64 v5, null, 0, v5, vcc_lo
	v_add_co_u32 v6, vcc_lo, v2, 4
	s_wait_alu 0xfffd
	v_add_co_ci_u32_e64 v7, null, 0, v3, vcc_lo
.LBB268_3:                              ; =>This Loop Header: Depth=1
                                        ;     Child Loop BB268_4 Depth 2
	v_add_nc_u32_e32 v8, v14, v16
	v_mad_co_i64_i32 v[12:13], null, 0x62, v18, v[4:5]
	v_mov_b32_e32 v20, 0
	s_mov_b64 s[2:3], 0
	s_delay_alu instid0(VALU_DEP_3) | instskip(NEXT) | instid1(VALU_DEP_1)
	v_mad_co_i64_i32 v[8:9], null, 0x62, v8, s[0:1]
	v_add_co_u32 v10, vcc_lo, v8, v19
	s_wait_alu 0xfffd
	s_delay_alu instid0(VALU_DEP_2)
	v_add_co_ci_u32_e64 v11, null, 0, v9, vcc_lo
	global_load_b32 v21, v[10:11], off offset:66
	v_mad_co_i64_i32 v[10:11], null, v17, 36, v[6:7]
.LBB268_4:                              ;   Parent Loop BB268_3 Depth=1
                                        ; =>  This Inner Loop Header: Depth=2
	global_load_u16 v26, v[12:13], off
	s_wait_loadcnt 0x1
	v_and_b32_e32 v24, 0x7f, v21
	s_wait_alu 0xfffe
	v_add_co_u32 v22, vcc_lo, v10, s2
	s_getpc_b64 s[16:17]
	s_sext_i32_i16 s17, s17
	s_add_co_u32 s16, s16, _ZL8ksigns64@rel32@lo+8
	s_add_co_ci_u32 s17, s17, _ZL8ksigns64@rel32@hi+16
	s_wait_alu 0xfffd
	v_add_co_ci_u32_e64 v23, null, s3, v11, vcc_lo
	v_lshlrev_b32_e32 v24, 3, v24
	v_add_co_u32 v12, vcc_lo, v12, 2
	v_lshrrev_b32_e32 v21, 7, v21
	s_wait_alu 0xfffd
	v_add_co_ci_u32_e64 v13, null, 0, v13, vcc_lo
	global_load_b64 v[24:25], v24, s[16:17]
	s_add_nc_u64 s[2:3], s[2:3], 8
	s_wait_alu 0xfffe
	s_cmp_lg_u32 s2, 32
	s_wait_loadcnt 0x1
	v_lshrrev_b16 v27, 8, v26
	v_and_b32_e32 v26, 0xff, v26
	s_delay_alu instid0(VALU_DEP_2) | instskip(NEXT) | instid1(VALU_DEP_2)
	v_and_b32_e32 v27, 0xffff, v27
	v_lshlrev_b32_e32 v26, 2, v26
	s_delay_alu instid0(VALU_DEP_2)
	v_lshlrev_b32_e32 v27, 2, v27
	s_clause 0x1
	global_load_b32 v26, v26, s[14:15]
	global_load_b32 v27, v27, s[14:15]
	global_load_b64 v[22:23], v[22:23], off
	s_wait_loadcnt 0x3
	v_and_b32_e32 v35, 0xff0000, v24
	v_and_b32_e32 v34, 0xff000000, v24
	;; [unrolled: 1-line block ×6, first 2 shown]
	s_wait_loadcnt 0x2
	v_xor_b32_e32 v26, v24, v26
	s_wait_loadcnt 0x1
	v_xor_b32_e32 v27, v25, v27
	s_wait_loadcnt 0x0
	v_lshrrev_b16 v28, 8, v22
	v_lshrrev_b16 v29, 8, v23
	v_ashrrev_i32_e32 v32, 24, v23
	v_sub_nc_u32_e32 v35, v26, v35
	v_sub_nc_u32_e32 v24, v26, v24
	v_sub_nc_u32_e32 v25, v27, v25
	v_sub_nc_u32_e32 v34, v26, v34
	v_sub_nc_u32_e32 v26, v26, v36
	v_sub_nc_u32_e32 v36, v27, v39
	v_perm_b32 v24, v35, v24, 0xc060c00
	v_sub_nc_u32_e32 v35, v27, v38
	v_sub_nc_u32_e32 v27, v27, v37
	v_bfe_i32 v33, v23, 16, 8
	v_lshrrev_b16 v26, 8, v26
	v_ashrrev_i32_e32 v30, 24, v22
	v_perm_b32 v25, v35, v25, 0xc060c00
	v_lshrrev_b16 v35, 8, v36
	v_ashrrev_i32_e32 v27, 24, v27
	v_bfe_i32 v31, v22, 16, 8
	v_bfe_i32 v22, v22, 0, 8
	;; [unrolled: 1-line block ×6, first 2 shown]
	v_ashrrev_i32_e32 v34, 24, v34
	v_bfe_i32 v36, v24, 0, 8
	v_bfe_i32 v24, v24, 16, 8
	;; [unrolled: 1-line block ×5, first 2 shown]
	v_mul_i32_i24_e32 v27, v27, v32
	v_mul_i32_i24_e32 v32, v37, v33
	;; [unrolled: 1-line block ×6, first 2 shown]
	v_mad_i32_i24 v27, v34, v30, v27
	v_mad_i32_i24 v24, v24, v31, v32
	s_delay_alu instid0(VALU_DEP_2) | instskip(NEXT) | instid1(VALU_DEP_2)
	v_add3_u32 v25, v26, v25, v27
	v_add3_u32 v22, v22, v23, v24
	s_delay_alu instid0(VALU_DEP_1)
	v_add3_u32 v20, v22, v25, v20
	s_cbranch_scc1 .LBB268_4
; %bb.5:                                ;   in Loop: Header=BB268_3 Depth=1
	v_lshlrev_b32_e32 v10, 3, v14
	v_add_nc_u32_e32 v14, 4, v14
	v_add_nc_u32_e32 v18, 4, v18
	;; [unrolled: 1-line block ×3, first 2 shown]
	s_delay_alu instid0(VALU_DEP_4) | instskip(SKIP_4) | instid1(VALU_DEP_2)
	v_mad_co_i64_i32 v[10:11], null, v10, 36, v[2:3]
	global_load_u16 v8, v[8:9], off
	global_load_b32 v9, v[10:11], off
	v_cvt_f32_u32_e32 v10, v21
	v_cmp_le_u32_e32 vcc_lo, s11, v14
	v_add_f32_e32 v10, 0.5, v10
	s_or_b32 s5, vcc_lo, s5
	s_wait_loadcnt 0x1
	v_cvt_f32_f16_e32 v8, v8
	s_wait_loadcnt 0x0
	v_cvt_f32_f16_e32 v9, v9
	s_delay_alu instid0(VALU_DEP_2) | instskip(NEXT) | instid1(VALU_DEP_1)
	v_mul_f32_e32 v8, v10, v8
	v_mul_f32_e32 v8, v8, v9
	v_cvt_f32_i32_e32 v9, v20
	s_delay_alu instid0(VALU_DEP_2) | instskip(NEXT) | instid1(VALU_DEP_1)
	v_mul_f32_e32 v8, 0.5, v8
	v_fmac_f32_e32 v15, v8, v9
	s_wait_alu 0xfffe
	s_and_not1_b32 exec_lo, exec_lo, s5
	s_cbranch_execnz .LBB268_3
; %bb.6:
	s_or_b32 exec_lo, exec_lo, s5
.LBB268_7:
	s_delay_alu instid0(SALU_CYCLE_1) | instskip(SKIP_1) | instid1(VALU_DEP_1)
	s_or_b32 exec_lo, exec_lo, s12
	v_mbcnt_lo_u32_b32 v2, -1, 0
	v_xor_b32_e32 v3, 16, v2
	v_xor_b32_e32 v4, 8, v2
	;; [unrolled: 1-line block ×3, first 2 shown]
	s_delay_alu instid0(VALU_DEP_3)
	v_cmp_gt_i32_e32 vcc_lo, 32, v3
	s_wait_alu 0xfffd
	v_cndmask_b32_e32 v3, v2, v3, vcc_lo
	v_cmp_gt_i32_e32 vcc_lo, 32, v4
	s_wait_alu 0xfffd
	v_cndmask_b32_e32 v4, v2, v4, vcc_lo
	v_cmp_gt_i32_e32 vcc_lo, 32, v5
	s_delay_alu instid0(VALU_DEP_2)
	v_lshlrev_b32_e32 v4, 2, v4
	v_lshlrev_b32_e32 v3, 2, v3
	s_wait_alu 0xfffd
	v_cndmask_b32_e32 v5, v2, v5, vcc_lo
	ds_bpermute_b32 v3, v3, v15
	v_lshlrev_b32_e32 v5, 2, v5
	s_wait_dscnt 0x0
	v_add_f32_e32 v3, v15, v3
	ds_bpermute_b32 v4, v4, v3
	s_wait_dscnt 0x0
	v_add_f32_e32 v3, v3, v4
	ds_bpermute_b32 v4, v5, v3
	v_xor_b32_e32 v5, 2, v2
	s_delay_alu instid0(VALU_DEP_1) | instskip(SKIP_2) | instid1(VALU_DEP_1)
	v_cmp_gt_i32_e32 vcc_lo, 32, v5
	s_wait_alu 0xfffd
	v_cndmask_b32_e32 v5, v2, v5, vcc_lo
	v_lshlrev_b32_e32 v5, 2, v5
	s_wait_dscnt 0x0
	v_add_f32_e32 v3, v3, v4
	ds_bpermute_b32 v4, v5, v3
	v_xor_b32_e32 v5, 1, v2
	s_delay_alu instid0(VALU_DEP_1) | instskip(SKIP_4) | instid1(VALU_DEP_2)
	v_cmp_gt_i32_e32 vcc_lo, 32, v5
	s_wait_alu 0xfffd
	v_cndmask_b32_e32 v5, v2, v5, vcc_lo
	v_cmp_eq_u32_e32 vcc_lo, 0, v0
	s_wait_dscnt 0x0
	v_dual_add_f32 v2, v3, v4 :: v_dual_lshlrev_b32 v3, 2, v5
	ds_bpermute_b32 v3, v3, v2
	s_and_b32 exec_lo, exec_lo, vcc_lo
	s_cbranch_execz .LBB268_9
; %bb.8:
	v_mad_co_u64_u32 v[0:1], null, s6, s10, v[1:2]
	s_wait_dscnt 0x0
	v_dual_mov_b32 v1, 0 :: v_dual_add_f32 v2, v2, v3
	s_delay_alu instid0(VALU_DEP_1) | instskip(NEXT) | instid1(VALU_DEP_2)
	v_cvt_f16_f32_e32 v2, v2
	v_lshlrev_b64_e32 v[0:1], 1, v[0:1]
	s_wait_kmcnt 0x0
	s_delay_alu instid0(VALU_DEP_1) | instskip(SKIP_1) | instid1(VALU_DEP_2)
	v_add_co_u32 v0, vcc_lo, s8, v0
	s_wait_alu 0xfffd
	v_add_co_ci_u32_e64 v1, null, s9, v1, vcc_lo
	global_store_b16 v[0:1], v2, off
.LBB268_9:
	s_endpgm
	.section	.rodata,"a",@progbits
	.p2align	6, 0x0
	.amdhsa_kernel _ZL9moe_vec_qIN3c104HalfELi256ELi8E13block_iq3_xxsLi1EXadL_ZL20vec_dot_iq3_xxs_q8_1PKvPK10block_q8_1RKiEEEvS4_S4_PT_PS8_iiii
		.amdhsa_group_segment_fixed_size 0
		.amdhsa_private_segment_fixed_size 0
		.amdhsa_kernarg_size 304
		.amdhsa_user_sgpr_count 2
		.amdhsa_user_sgpr_dispatch_ptr 0
		.amdhsa_user_sgpr_queue_ptr 0
		.amdhsa_user_sgpr_kernarg_segment_ptr 1
		.amdhsa_user_sgpr_dispatch_id 0
		.amdhsa_user_sgpr_private_segment_size 0
		.amdhsa_wavefront_size32 1
		.amdhsa_uses_dynamic_stack 0
		.amdhsa_enable_private_segment 0
		.amdhsa_system_sgpr_workgroup_id_x 1
		.amdhsa_system_sgpr_workgroup_id_y 0
		.amdhsa_system_sgpr_workgroup_id_z 1
		.amdhsa_system_sgpr_workgroup_info 0
		.amdhsa_system_vgpr_workitem_id 1
		.amdhsa_next_free_vgpr 40
		.amdhsa_next_free_sgpr 19
		.amdhsa_reserve_vcc 1
		.amdhsa_float_round_mode_32 0
		.amdhsa_float_round_mode_16_64 0
		.amdhsa_float_denorm_mode_32 3
		.amdhsa_float_denorm_mode_16_64 3
		.amdhsa_fp16_overflow 0
		.amdhsa_workgroup_processor_mode 1
		.amdhsa_memory_ordered 1
		.amdhsa_forward_progress 1
		.amdhsa_inst_pref_size 12
		.amdhsa_round_robin_scheduling 0
		.amdhsa_exception_fp_ieee_invalid_op 0
		.amdhsa_exception_fp_denorm_src 0
		.amdhsa_exception_fp_ieee_div_zero 0
		.amdhsa_exception_fp_ieee_overflow 0
		.amdhsa_exception_fp_ieee_underflow 0
		.amdhsa_exception_fp_ieee_inexact 0
		.amdhsa_exception_int_div_zero 0
	.end_amdhsa_kernel
	.section	.text._ZL9moe_vec_qIN3c104HalfELi256ELi8E13block_iq3_xxsLi1EXadL_ZL20vec_dot_iq3_xxs_q8_1PKvPK10block_q8_1RKiEEEvS4_S4_PT_PS8_iiii,"axG",@progbits,_ZL9moe_vec_qIN3c104HalfELi256ELi8E13block_iq3_xxsLi1EXadL_ZL20vec_dot_iq3_xxs_q8_1PKvPK10block_q8_1RKiEEEvS4_S4_PT_PS8_iiii,comdat
.Lfunc_end268:
	.size	_ZL9moe_vec_qIN3c104HalfELi256ELi8E13block_iq3_xxsLi1EXadL_ZL20vec_dot_iq3_xxs_q8_1PKvPK10block_q8_1RKiEEEvS4_S4_PT_PS8_iiii, .Lfunc_end268-_ZL9moe_vec_qIN3c104HalfELi256ELi8E13block_iq3_xxsLi1EXadL_ZL20vec_dot_iq3_xxs_q8_1PKvPK10block_q8_1RKiEEEvS4_S4_PT_PS8_iiii
                                        ; -- End function
	.set _ZL9moe_vec_qIN3c104HalfELi256ELi8E13block_iq3_xxsLi1EXadL_ZL20vec_dot_iq3_xxs_q8_1PKvPK10block_q8_1RKiEEEvS4_S4_PT_PS8_iiii.num_vgpr, 40
	.set _ZL9moe_vec_qIN3c104HalfELi256ELi8E13block_iq3_xxsLi1EXadL_ZL20vec_dot_iq3_xxs_q8_1PKvPK10block_q8_1RKiEEEvS4_S4_PT_PS8_iiii.num_agpr, 0
	.set _ZL9moe_vec_qIN3c104HalfELi256ELi8E13block_iq3_xxsLi1EXadL_ZL20vec_dot_iq3_xxs_q8_1PKvPK10block_q8_1RKiEEEvS4_S4_PT_PS8_iiii.numbered_sgpr, 19
	.set _ZL9moe_vec_qIN3c104HalfELi256ELi8E13block_iq3_xxsLi1EXadL_ZL20vec_dot_iq3_xxs_q8_1PKvPK10block_q8_1RKiEEEvS4_S4_PT_PS8_iiii.num_named_barrier, 0
	.set _ZL9moe_vec_qIN3c104HalfELi256ELi8E13block_iq3_xxsLi1EXadL_ZL20vec_dot_iq3_xxs_q8_1PKvPK10block_q8_1RKiEEEvS4_S4_PT_PS8_iiii.private_seg_size, 0
	.set _ZL9moe_vec_qIN3c104HalfELi256ELi8E13block_iq3_xxsLi1EXadL_ZL20vec_dot_iq3_xxs_q8_1PKvPK10block_q8_1RKiEEEvS4_S4_PT_PS8_iiii.uses_vcc, 1
	.set _ZL9moe_vec_qIN3c104HalfELi256ELi8E13block_iq3_xxsLi1EXadL_ZL20vec_dot_iq3_xxs_q8_1PKvPK10block_q8_1RKiEEEvS4_S4_PT_PS8_iiii.uses_flat_scratch, 0
	.set _ZL9moe_vec_qIN3c104HalfELi256ELi8E13block_iq3_xxsLi1EXadL_ZL20vec_dot_iq3_xxs_q8_1PKvPK10block_q8_1RKiEEEvS4_S4_PT_PS8_iiii.has_dyn_sized_stack, 0
	.set _ZL9moe_vec_qIN3c104HalfELi256ELi8E13block_iq3_xxsLi1EXadL_ZL20vec_dot_iq3_xxs_q8_1PKvPK10block_q8_1RKiEEEvS4_S4_PT_PS8_iiii.has_recursion, 0
	.set _ZL9moe_vec_qIN3c104HalfELi256ELi8E13block_iq3_xxsLi1EXadL_ZL20vec_dot_iq3_xxs_q8_1PKvPK10block_q8_1RKiEEEvS4_S4_PT_PS8_iiii.has_indirect_call, 0
	.section	.AMDGPU.csdata,"",@progbits
; Kernel info:
; codeLenInByte = 1516
; TotalNumSgprs: 21
; NumVgprs: 40
; ScratchSize: 0
; MemoryBound: 0
; FloatMode: 240
; IeeeMode: 1
; LDSByteSize: 0 bytes/workgroup (compile time only)
; SGPRBlocks: 0
; VGPRBlocks: 4
; NumSGPRsForWavesPerEU: 21
; NumVGPRsForWavesPerEU: 40
; Occupancy: 16
; WaveLimiterHint : 1
; COMPUTE_PGM_RSRC2:SCRATCH_EN: 0
; COMPUTE_PGM_RSRC2:USER_SGPR: 2
; COMPUTE_PGM_RSRC2:TRAP_HANDLER: 0
; COMPUTE_PGM_RSRC2:TGID_X_EN: 1
; COMPUTE_PGM_RSRC2:TGID_Y_EN: 0
; COMPUTE_PGM_RSRC2:TGID_Z_EN: 1
; COMPUTE_PGM_RSRC2:TIDIG_COMP_CNT: 1
	.section	.text._ZL9moe_vec_qIN3c104HalfELi256ELi8E11block_iq1_sLi1EXadL_ZL18vec_dot_iq1_s_q8_1PKvPK10block_q8_1RKiEEEvS4_S4_PT_PS8_iiii,"axG",@progbits,_ZL9moe_vec_qIN3c104HalfELi256ELi8E11block_iq1_sLi1EXadL_ZL18vec_dot_iq1_s_q8_1PKvPK10block_q8_1RKiEEEvS4_S4_PT_PS8_iiii,comdat
	.globl	_ZL9moe_vec_qIN3c104HalfELi256ELi8E11block_iq1_sLi1EXadL_ZL18vec_dot_iq1_s_q8_1PKvPK10block_q8_1RKiEEEvS4_S4_PT_PS8_iiii ; -- Begin function _ZL9moe_vec_qIN3c104HalfELi256ELi8E11block_iq1_sLi1EXadL_ZL18vec_dot_iq1_s_q8_1PKvPK10block_q8_1RKiEEEvS4_S4_PT_PS8_iiii
	.p2align	8
	.type	_ZL9moe_vec_qIN3c104HalfELi256ELi8E11block_iq1_sLi1EXadL_ZL18vec_dot_iq1_s_q8_1PKvPK10block_q8_1RKiEEEvS4_S4_PT_PS8_iiii,@function
_ZL9moe_vec_qIN3c104HalfELi256ELi8E11block_iq1_sLi1EXadL_ZL18vec_dot_iq1_s_q8_1PKvPK10block_q8_1RKiEEEvS4_S4_PT_PS8_iiii: ; @_ZL9moe_vec_qIN3c104HalfELi256ELi8E11block_iq1_sLi1EXadL_ZL18vec_dot_iq1_s_q8_1PKvPK10block_q8_1RKiEEEvS4_S4_PT_PS8_iiii
; %bb.0:
	s_clause 0x1
	s_load_u16 s2, s[0:1], 0x3e
	s_load_b128 s[4:7], s[0:1], 0x20
	v_bfe_u32 v1, v0, 10, 10
	s_wait_kmcnt 0x0
	s_delay_alu instid0(VALU_DEP_1)
	v_mad_co_u64_u32 v[1:2], null, ttmp9, s2, v[1:2]
	s_mov_b32 s2, exec_lo
	v_cmpx_gt_u32_e64 s6, v1
	s_cbranch_execz .LBB269_7
; %bb.1:
	s_load_b64 s[2:3], s[0:1], 0x10
	s_ashr_i32 s8, s5, 31
	v_bfe_u32 v4, v0, 3, 7
	s_lshr_b32 s8, s8, 24
	v_dual_mov_b32 v5, 0 :: v_dual_and_b32 v0, 0x3ff, v0
	s_add_co_i32 s5, s5, s8
	s_lshr_b32 s10, ttmp7, 16
	s_ashr_i32 s11, s5, 8
	s_mov_b32 s12, exec_lo
	v_cmpx_gt_u32_e64 s11, v4
	s_cbranch_execz .LBB269_5
; %bb.2:
	s_clause 0x1
	s_load_b64 s[8:9], s[0:1], 0x18
	s_load_b128 s[16:19], s[0:1], 0x0
	s_cvt_f32_u32 s5, s4
	s_lshl_b32 s13, s10, 2
	s_mul_i32 s1, s11, s6
	v_and_b32_e32 v9, 7, v0
	v_rcp_iflag_f32_e32 v2, s5
	v_mul_lo_u32 v6, v1, s11
	v_mov_b32_e32 v5, 0
	v_lshlrev_b32_e32 v7, 3, v4
	v_lshlrev_b32_e32 v8, 1, v9
	s_delay_alu instid0(VALU_DEP_1) | instskip(NEXT) | instid1(TRANS32_DEP_1)
	v_lshlrev_b32_e32 v8, 1, v8
	v_readfirstlane_b32 s5, v2
	s_wait_kmcnt 0x0
	s_load_b32 s8, s[8:9], s13 offset:0x0
	s_mul_f32 s5, s5, 0x4f7ffffe
	s_sub_co_i32 s9, 0, s4
	s_wait_alu 0xfffe
	s_delay_alu instid0(SALU_CYCLE_1) | instskip(SKIP_1) | instid1(SALU_CYCLE_2)
	s_cvt_u32_f32 s5, s5
	s_wait_alu 0xfffe
	s_mul_i32 s9, s9, s5
	s_delay_alu instid0(SALU_CYCLE_1) | instskip(NEXT) | instid1(SALU_CYCLE_1)
	s_mul_hi_u32 s9, s5, s9
	s_add_co_i32 s5, s5, s9
	s_wait_alu 0xfffe
	s_mul_hi_u32 s0, s10, s5
	s_wait_alu 0xfffe
	s_mul_i32 s5, s0, s4
	s_add_co_i32 s13, s0, 1
	s_wait_alu 0xfffe
	s_sub_co_i32 s5, s10, s5
	s_wait_kmcnt 0x0
	s_mul_i32 s8, s1, s8
	s_wait_alu 0xfffe
	s_sub_co_i32 s1, s5, s4
	s_ashr_i32 s9, s8, 31
	s_cmp_ge_u32 s5, s4
	s_mul_u64 s[8:9], s[8:9], 50
	s_cselect_b32 s0, s13, s0
	s_wait_alu 0xfffe
	s_cselect_b32 s1, s1, s5
	s_add_co_i32 s5, s0, 1
	s_wait_alu 0xfffe
	s_cmp_ge_u32 s1, s4
	s_mov_b32 s1, 0
	s_cselect_b32 s0, s5, s0
	s_wait_alu 0xfffe
	s_mul_i32 s0, s0, s7
	s_wait_alu 0xfffe
	s_lshl_b64 s[4:5], s[0:1], 2
	s_mov_b32 s0, 0xb7000000
	s_wait_alu 0xfffe
	s_add_nc_u64 s[4:5], s[18:19], s[4:5]
	s_wait_alu 0xfffe
	v_mad_co_u64_u32 v[2:3], null, v9, 36, s[4:5]
	v_lshlrev_b32_e32 v9, 1, v9
	s_add_nc_u64 s[4:5], s[16:17], s[8:9]
	s_getpc_b64 s[8:9]
	s_sext_i32_i16 s9, s9
	s_add_co_u32 s8, s8, _ZL13iq1s_grid_gpu@rel32@lo+8
	s_add_co_ci_u32 s9, s9, _ZL13iq1s_grid_gpu@rel32@hi+16
.LBB269_3:                              ; =>This Inner Loop Header: Depth=1
	v_add_nc_u32_e32 v10, v6, v4
	v_mad_co_i64_i32 v[20:21], null, v7, 36, v[2:3]
	v_add_nc_u32_e32 v4, 4, v4
	v_add_nc_u32_e32 v7, 32, v7
	s_wait_alu 0xfffe
	v_mad_co_i64_i32 v[18:19], null, v10, 50, s[4:5]
	s_delay_alu instid0(VALU_DEP_1) | instskip(SKIP_1) | instid1(VALU_DEP_2)
	v_add_co_u32 v10, vcc_lo, v18, v8
	s_wait_alu 0xfffd
	v_add_co_ci_u32_e64 v11, null, 0, v19, vcc_lo
	v_add_co_u32 v12, vcc_lo, v18, v9
	s_wait_alu 0xfffd
	v_add_co_ci_u32_e64 v13, null, 0, v19, vcc_lo
	s_clause 0x1
	global_load_b32 v22, v[10:11], off offset:2
	global_load_u16 v23, v[12:13], off offset:34
	s_clause 0x1
	global_load_b128 v[10:13], v[20:21], off offset:4
	global_load_b128 v[14:17], v[20:21], off offset:20
	global_load_u16 v18, v[18:19], off
	v_cmp_le_u32_e32 vcc_lo, s11, v4
	s_or_b32 s1, vcc_lo, s1
	s_wait_loadcnt 0x2
	v_ashrrev_i32_e32 v31, 24, v11
	v_and_b32_e32 v24, 0xff, v22
	v_lshlrev_b32_e32 v25, 8, v23
	v_bfe_u32 v26, v22, 8, 8
	v_lshlrev_b32_e32 v27, 5, v23
	v_lshrrev_b32_e32 v19, 24, v22
	v_bfe_u32 v22, v22, 16, 8
	v_lshlrev_b32_e32 v28, 2, v23
	v_lshrrev_b32_e32 v29, 1, v23
	v_and_or_b32 v24, 0x700, v25, v24
	v_and_or_b32 v25, 0x700, v27, v26
	v_lshrrev_b16 v26, 8, v11
	v_and_or_b32 v22, 0x700, v28, v22
	v_and_or_b32 v19, 0x700, v29, v19
	v_lshlrev_b32_e32 v24, 3, v24
	v_lshlrev_b32_e32 v25, 3, v25
	v_bfe_i32 v32, v11, 16, 8
	v_lshlrev_b32_e32 v22, 3, v22
	v_lshlrev_b32_e32 v19, 3, v19
	s_clause 0x3
	global_load_b32 v24, v24, s[8:9]
	global_load_b32 v25, v25, s[8:9]
	;; [unrolled: 1-line block ×4, first 2 shown]
	global_load_b32 v20, v[20:21], off
	v_bfe_i32 v11, v11, 0, 8
	s_wait_loadcnt 0x6
	v_lshrrev_b16 v40, 8, v17
	v_ashrrev_i32_e32 v47, 24, v17
	v_bfe_i32 v48, v17, 16, 8
	v_bfe_i32 v17, v17, 0, 8
	v_lshrrev_b16 v21, 8, v10
	v_lshrrev_b16 v27, 8, v12
	;; [unrolled: 1-line block ×3, first 2 shown]
	v_bfe_i32 v29, v10, 16, 8
	v_ashrrev_i32_e32 v35, 24, v13
	v_bfe_i32 v36, v13, 16, 8
	v_bfe_i32 v13, v13, 0, 8
	;; [unrolled: 1-line block ×3, first 2 shown]
	v_ashrrev_i32_e32 v10, 24, v10
	v_ashrrev_i32_e32 v33, 24, v12
	v_lshrrev_b16 v37, 8, v14
	v_lshrrev_b16 v38, 8, v15
	v_ashrrev_i32_e32 v43, 24, v15
	v_bfe_i32 v44, v15, 16, 8
	v_bfe_i32 v15, v15, 0, 8
	;; [unrolled: 1-line block ×7, first 2 shown]
	v_lshrrev_b16 v39, 8, v16
	v_ashrrev_i32_e32 v41, 24, v14
	v_bfe_i32 v28, v28, 0, 8
	v_bfe_i32 v37, v37, 0, 8
	v_bfe_i32 v42, v14, 16, 8
	v_bfe_i32 v14, v14, 0, 8
	v_ashrrev_i32_e32 v45, 24, v16
	v_bfe_i32 v38, v38, 0, 8
	v_bfe_i32 v39, v39, 0, 8
	v_bfe_i32 v46, v16, 16, 8
	v_bfe_i32 v16, v16, 0, 8
	v_bfe_i32 v40, v40, 0, 8
	s_wait_loadcnt 0x4
	v_lshrrev_b32_e32 v51, 4, v24
	v_bfe_u32 v49, v24, 24, 4
	v_and_b32_e32 v50, 0xf0f0f0f, v24
	v_lshrrev_b32_e32 v52, 28, v24
	v_bfe_u32 v53, v24, 16, 4
	v_and_b32_e32 v54, 15, v24
	v_bfe_u32 v55, v24, 20, 4
	v_bfe_u32 v24, v24, 4, 4
	s_wait_loadcnt 0x3
	v_and_b32_e32 v57, 0xf0f0f0f, v25
	v_lshrrev_b32_e32 v58, 4, v25
	s_wait_loadcnt 0x1
	v_bfe_u32 v70, v19, 24, 4
	v_and_b32_e32 v71, 0xf0f0f0f, v19
	v_lshrrev_b32_e32 v72, 4, v19
	v_lshrrev_b32_e32 v73, 28, v19
	v_bfe_u32 v74, v19, 16, 4
	v_and_b32_e32 v75, 15, v19
	v_bfe_u32 v76, v19, 20, 4
	v_bfe_u32 v19, v19, 4, 4
	v_lshrrev_b16 v51, 8, v51
	v_bfe_u32 v56, v25, 24, 4
	v_lshrrev_b32_e32 v59, 28, v25
	v_bfe_u32 v60, v25, 16, 4
	v_and_b32_e32 v61, 15, v25
	v_bfe_u32 v62, v25, 20, 4
	v_bfe_u32 v25, v25, 4, 4
	v_and_b32_e32 v64, 0xf0f0f0f, v22
	v_lshrrev_b32_e32 v65, 4, v22
	v_lshrrev_b16 v50, 8, v50
	v_mul_i32_i24_e32 v11, v24, v11
	v_mul_i32_i24_e32 v24, v55, v32
	;; [unrolled: 1-line block ×3, first 2 shown]
	v_lshrrev_b16 v32, 8, v57
	v_lshrrev_b16 v52, 8, v58
	v_mul_i32_i24_e32 v17, v19, v17
	v_mul_i32_i24_e32 v19, v76, v48
	v_and_b32_e32 v48, 15, v51
	v_bfe_u32 v63, v22, 24, 4
	v_lshrrev_b32_e32 v66, 28, v22
	v_bfe_u32 v67, v22, 16, 4
	v_and_b32_e32 v68, 15, v22
	v_bfe_u32 v69, v22, 20, 4
	v_bfe_u32 v22, v22, 4, 4
	v_mul_i32_i24_e32 v13, v25, v13
	v_mul_i32_i24_e32 v25, v62, v36
	v_lshrrev_b16 v36, 8, v64
	v_lshrrev_b16 v55, 8, v65
	v_and_b32_e32 v50, 0xffff, v50
	v_and_b32_e32 v51, 15, v52
	v_and_b32_e32 v32, 0xffff, v32
	v_mad_i32_i24 v24, v53, v29, v24
	v_and_b32_e32 v29, 0xffff, v48
	v_mul_i32_i24_e32 v33, v33, v56
	v_mul_i32_i24_e32 v35, v59, v35
	;; [unrolled: 1-line block ×4, first 2 shown]
	v_lshrrev_b16 v44, 8, v71
	v_lshrrev_b16 v56, 8, v72
	v_and_b32_e32 v52, 15, v55
	v_and_b32_e32 v36, 0xffff, v36
	v_mad_i32_i24 v10, v49, v10, v31
	v_mad_i32_i24 v11, v54, v30, v11
	v_mul_i32_i24_e32 v21, v50, v21
	v_mul_i32_i24_e32 v27, v27, v32
	v_and_b32_e32 v30, 0xffff, v51
	v_mul_i32_i24_e32 v26, v29, v26
	v_mul_i32_i24_e32 v12, v12, v61
	;; [unrolled: 1-line block ×5, first 2 shown]
	v_and_b32_e32 v55, 15, v56
	v_and_b32_e32 v44, 0xffff, v44
	v_mul_i32_i24_e32 v31, v37, v36
	v_and_b32_e32 v32, 0xffff, v52
	v_add3_u32 v10, v10, v33, v35
	v_mul_i32_i24_e32 v28, v30, v28
	v_add3_u32 v21, v21, v26, v27
	v_mul_i32_i24_e32 v14, v14, v68
	v_mul_i32_i24_e32 v42, v42, v67
	;; [unrolled: 1-line block ×5, first 2 shown]
	v_and_b32_e32 v36, 0xffff, v55
	v_add3_u32 v24, v24, v34, v25
	v_add3_u32 v11, v11, v12, v13
	v_mul_i32_i24_e32 v12, v32, v38
	v_add3_u32 v10, v10, v41, v43
	v_add3_u32 v13, v21, v28, v31
	v_mul_i32_i24_e32 v16, v16, v75
	v_mul_i32_i24_e32 v46, v46, v74
	;; [unrolled: 1-line block ×3, first 2 shown]
	v_add3_u32 v11, v11, v14, v15
	v_add3_u32 v14, v24, v42, v22
	;; [unrolled: 1-line block ×4, first 2 shown]
	s_delay_alu instid0(VALU_DEP_4) | instskip(NEXT) | instid1(VALU_DEP_4)
	v_add3_u32 v11, v11, v16, v17
	v_add3_u32 v13, v14, v46, v19
	v_and_b32_e32 v14, 0x8000, v23
	s_delay_alu instid0(VALU_DEP_4) | instskip(SKIP_1) | instid1(VALU_DEP_2)
	v_add3_u32 v10, v12, v21, v10
	v_lshrrev_b32_e32 v12, 11, v23
	v_add3_u32 v10, v11, v13, v10
	s_wait_loadcnt 0x0
	v_cvt_f32_f16_e32 v11, v20
	s_delay_alu instid0(VALU_DEP_3) | instskip(SKIP_3) | instid1(VALU_DEP_4)
	v_and_or_b32 v12, v12, 14, 1
	v_cvt_f32_u32_e32 v13, v14
	v_cvt_f32_f16_e32 v14, v18
	v_cvt_f32_i32_e32 v10, v10
	v_cvt_f32_ubyte0_e32 v12, v12
	s_delay_alu instid0(VALU_DEP_2) | instskip(NEXT) | instid1(VALU_DEP_2)
	v_dual_fmaak_f32 v13, s0, v13, 0xbf600000 :: v_dual_mul_f32 v10, v11, v10
	v_mul_f32_e32 v11, v12, v14
	s_delay_alu instid0(VALU_DEP_2) | instskip(NEXT) | instid1(VALU_DEP_1)
	v_fma_mix_f32 v10, v13, v20, v10 op_sel:[0,1,0] op_sel_hi:[0,1,0]
	v_fmac_f32_e32 v5, v11, v10
	s_wait_alu 0xfffe
	s_and_not1_b32 exec_lo, exec_lo, s1
	s_cbranch_execnz .LBB269_3
; %bb.4:
	s_or_b32 exec_lo, exec_lo, s1
.LBB269_5:
	s_delay_alu instid0(SALU_CYCLE_1) | instskip(SKIP_1) | instid1(VALU_DEP_1)
	s_or_b32 exec_lo, exec_lo, s12
	v_mbcnt_lo_u32_b32 v2, -1, 0
	v_xor_b32_e32 v3, 16, v2
	v_xor_b32_e32 v4, 8, v2
	s_delay_alu instid0(VALU_DEP_2) | instskip(SKIP_2) | instid1(VALU_DEP_3)
	v_cmp_gt_i32_e32 vcc_lo, 32, v3
	s_wait_alu 0xfffd
	v_cndmask_b32_e32 v3, v2, v3, vcc_lo
	v_cmp_gt_i32_e32 vcc_lo, 32, v4
	s_wait_alu 0xfffd
	v_cndmask_b32_e32 v4, v2, v4, vcc_lo
	s_delay_alu instid0(VALU_DEP_1)
	v_lshlrev_b32_e32 v4, 2, v4
	v_lshlrev_b32_e32 v3, 2, v3
	ds_bpermute_b32 v3, v3, v5
	s_wait_dscnt 0x0
	v_add_f32_e32 v3, v5, v3
	v_xor_b32_e32 v5, 4, v2
	ds_bpermute_b32 v4, v4, v3
	v_cmp_gt_i32_e32 vcc_lo, 32, v5
	s_wait_alu 0xfffd
	v_cndmask_b32_e32 v5, v2, v5, vcc_lo
	s_delay_alu instid0(VALU_DEP_1) | instskip(SKIP_4) | instid1(VALU_DEP_1)
	v_lshlrev_b32_e32 v5, 2, v5
	s_wait_dscnt 0x0
	v_add_f32_e32 v3, v3, v4
	ds_bpermute_b32 v4, v5, v3
	v_xor_b32_e32 v5, 2, v2
	v_cmp_gt_i32_e32 vcc_lo, 32, v5
	s_wait_alu 0xfffd
	v_cndmask_b32_e32 v5, v2, v5, vcc_lo
	s_delay_alu instid0(VALU_DEP_1) | instskip(SKIP_4) | instid1(VALU_DEP_1)
	v_lshlrev_b32_e32 v5, 2, v5
	s_wait_dscnt 0x0
	v_add_f32_e32 v3, v3, v4
	ds_bpermute_b32 v4, v5, v3
	v_xor_b32_e32 v5, 1, v2
	v_cmp_gt_i32_e32 vcc_lo, 32, v5
	s_wait_alu 0xfffd
	v_cndmask_b32_e32 v5, v2, v5, vcc_lo
	v_cmp_eq_u32_e32 vcc_lo, 0, v0
	s_wait_dscnt 0x0
	s_delay_alu instid0(VALU_DEP_2)
	v_dual_add_f32 v2, v3, v4 :: v_dual_lshlrev_b32 v3, 2, v5
	ds_bpermute_b32 v3, v3, v2
	s_and_b32 exec_lo, exec_lo, vcc_lo
	s_cbranch_execz .LBB269_7
; %bb.6:
	v_mad_co_u64_u32 v[0:1], null, s6, s10, v[1:2]
	s_wait_dscnt 0x0
	v_dual_mov_b32 v1, 0 :: v_dual_add_f32 v2, v2, v3
	s_delay_alu instid0(VALU_DEP_1) | instskip(NEXT) | instid1(VALU_DEP_2)
	v_cvt_f16_f32_e32 v2, v2
	v_lshlrev_b64_e32 v[0:1], 1, v[0:1]
	s_wait_kmcnt 0x0
	s_delay_alu instid0(VALU_DEP_1) | instskip(SKIP_1) | instid1(VALU_DEP_2)
	v_add_co_u32 v0, vcc_lo, s2, v0
	s_wait_alu 0xfffd
	v_add_co_ci_u32_e64 v1, null, s3, v1, vcc_lo
	global_store_b16 v[0:1], v2, off
.LBB269_7:
	s_endpgm
	.section	.rodata,"a",@progbits
	.p2align	6, 0x0
	.amdhsa_kernel _ZL9moe_vec_qIN3c104HalfELi256ELi8E11block_iq1_sLi1EXadL_ZL18vec_dot_iq1_s_q8_1PKvPK10block_q8_1RKiEEEvS4_S4_PT_PS8_iiii
		.amdhsa_group_segment_fixed_size 0
		.amdhsa_private_segment_fixed_size 0
		.amdhsa_kernarg_size 304
		.amdhsa_user_sgpr_count 2
		.amdhsa_user_sgpr_dispatch_ptr 0
		.amdhsa_user_sgpr_queue_ptr 0
		.amdhsa_user_sgpr_kernarg_segment_ptr 1
		.amdhsa_user_sgpr_dispatch_id 0
		.amdhsa_user_sgpr_private_segment_size 0
		.amdhsa_wavefront_size32 1
		.amdhsa_uses_dynamic_stack 0
		.amdhsa_enable_private_segment 0
		.amdhsa_system_sgpr_workgroup_id_x 1
		.amdhsa_system_sgpr_workgroup_id_y 0
		.amdhsa_system_sgpr_workgroup_id_z 1
		.amdhsa_system_sgpr_workgroup_info 0
		.amdhsa_system_vgpr_workitem_id 1
		.amdhsa_next_free_vgpr 77
		.amdhsa_next_free_sgpr 20
		.amdhsa_reserve_vcc 1
		.amdhsa_float_round_mode_32 0
		.amdhsa_float_round_mode_16_64 0
		.amdhsa_float_denorm_mode_32 3
		.amdhsa_float_denorm_mode_16_64 3
		.amdhsa_fp16_overflow 0
		.amdhsa_workgroup_processor_mode 1
		.amdhsa_memory_ordered 1
		.amdhsa_forward_progress 1
		.amdhsa_inst_pref_size 17
		.amdhsa_round_robin_scheduling 0
		.amdhsa_exception_fp_ieee_invalid_op 0
		.amdhsa_exception_fp_denorm_src 0
		.amdhsa_exception_fp_ieee_div_zero 0
		.amdhsa_exception_fp_ieee_overflow 0
		.amdhsa_exception_fp_ieee_underflow 0
		.amdhsa_exception_fp_ieee_inexact 0
		.amdhsa_exception_int_div_zero 0
	.end_amdhsa_kernel
	.section	.text._ZL9moe_vec_qIN3c104HalfELi256ELi8E11block_iq1_sLi1EXadL_ZL18vec_dot_iq1_s_q8_1PKvPK10block_q8_1RKiEEEvS4_S4_PT_PS8_iiii,"axG",@progbits,_ZL9moe_vec_qIN3c104HalfELi256ELi8E11block_iq1_sLi1EXadL_ZL18vec_dot_iq1_s_q8_1PKvPK10block_q8_1RKiEEEvS4_S4_PT_PS8_iiii,comdat
.Lfunc_end269:
	.size	_ZL9moe_vec_qIN3c104HalfELi256ELi8E11block_iq1_sLi1EXadL_ZL18vec_dot_iq1_s_q8_1PKvPK10block_q8_1RKiEEEvS4_S4_PT_PS8_iiii, .Lfunc_end269-_ZL9moe_vec_qIN3c104HalfELi256ELi8E11block_iq1_sLi1EXadL_ZL18vec_dot_iq1_s_q8_1PKvPK10block_q8_1RKiEEEvS4_S4_PT_PS8_iiii
                                        ; -- End function
	.set _ZL9moe_vec_qIN3c104HalfELi256ELi8E11block_iq1_sLi1EXadL_ZL18vec_dot_iq1_s_q8_1PKvPK10block_q8_1RKiEEEvS4_S4_PT_PS8_iiii.num_vgpr, 77
	.set _ZL9moe_vec_qIN3c104HalfELi256ELi8E11block_iq1_sLi1EXadL_ZL18vec_dot_iq1_s_q8_1PKvPK10block_q8_1RKiEEEvS4_S4_PT_PS8_iiii.num_agpr, 0
	.set _ZL9moe_vec_qIN3c104HalfELi256ELi8E11block_iq1_sLi1EXadL_ZL18vec_dot_iq1_s_q8_1PKvPK10block_q8_1RKiEEEvS4_S4_PT_PS8_iiii.numbered_sgpr, 20
	.set _ZL9moe_vec_qIN3c104HalfELi256ELi8E11block_iq1_sLi1EXadL_ZL18vec_dot_iq1_s_q8_1PKvPK10block_q8_1RKiEEEvS4_S4_PT_PS8_iiii.num_named_barrier, 0
	.set _ZL9moe_vec_qIN3c104HalfELi256ELi8E11block_iq1_sLi1EXadL_ZL18vec_dot_iq1_s_q8_1PKvPK10block_q8_1RKiEEEvS4_S4_PT_PS8_iiii.private_seg_size, 0
	.set _ZL9moe_vec_qIN3c104HalfELi256ELi8E11block_iq1_sLi1EXadL_ZL18vec_dot_iq1_s_q8_1PKvPK10block_q8_1RKiEEEvS4_S4_PT_PS8_iiii.uses_vcc, 1
	.set _ZL9moe_vec_qIN3c104HalfELi256ELi8E11block_iq1_sLi1EXadL_ZL18vec_dot_iq1_s_q8_1PKvPK10block_q8_1RKiEEEvS4_S4_PT_PS8_iiii.uses_flat_scratch, 0
	.set _ZL9moe_vec_qIN3c104HalfELi256ELi8E11block_iq1_sLi1EXadL_ZL18vec_dot_iq1_s_q8_1PKvPK10block_q8_1RKiEEEvS4_S4_PT_PS8_iiii.has_dyn_sized_stack, 0
	.set _ZL9moe_vec_qIN3c104HalfELi256ELi8E11block_iq1_sLi1EXadL_ZL18vec_dot_iq1_s_q8_1PKvPK10block_q8_1RKiEEEvS4_S4_PT_PS8_iiii.has_recursion, 0
	.set _ZL9moe_vec_qIN3c104HalfELi256ELi8E11block_iq1_sLi1EXadL_ZL18vec_dot_iq1_s_q8_1PKvPK10block_q8_1RKiEEEvS4_S4_PT_PS8_iiii.has_indirect_call, 0
	.section	.AMDGPU.csdata,"",@progbits
; Kernel info:
; codeLenInByte = 2056
; TotalNumSgprs: 22
; NumVgprs: 77
; ScratchSize: 0
; MemoryBound: 0
; FloatMode: 240
; IeeeMode: 1
; LDSByteSize: 0 bytes/workgroup (compile time only)
; SGPRBlocks: 0
; VGPRBlocks: 9
; NumSGPRsForWavesPerEU: 22
; NumVGPRsForWavesPerEU: 77
; Occupancy: 16
; WaveLimiterHint : 1
; COMPUTE_PGM_RSRC2:SCRATCH_EN: 0
; COMPUTE_PGM_RSRC2:USER_SGPR: 2
; COMPUTE_PGM_RSRC2:TRAP_HANDLER: 0
; COMPUTE_PGM_RSRC2:TGID_X_EN: 1
; COMPUTE_PGM_RSRC2:TGID_Y_EN: 0
; COMPUTE_PGM_RSRC2:TGID_Z_EN: 1
; COMPUTE_PGM_RSRC2:TIDIG_COMP_CNT: 1
	.section	.text._ZL9moe_vec_qIN3c104HalfELi32ELi4E12block_iq4_nlLi2EXadL_ZL19vec_dot_iq4_nl_q8_1PKvPK10block_q8_1RKiEEEvS4_S4_PT_PS8_iiii,"axG",@progbits,_ZL9moe_vec_qIN3c104HalfELi32ELi4E12block_iq4_nlLi2EXadL_ZL19vec_dot_iq4_nl_q8_1PKvPK10block_q8_1RKiEEEvS4_S4_PT_PS8_iiii,comdat
	.globl	_ZL9moe_vec_qIN3c104HalfELi32ELi4E12block_iq4_nlLi2EXadL_ZL19vec_dot_iq4_nl_q8_1PKvPK10block_q8_1RKiEEEvS4_S4_PT_PS8_iiii ; -- Begin function _ZL9moe_vec_qIN3c104HalfELi32ELi4E12block_iq4_nlLi2EXadL_ZL19vec_dot_iq4_nl_q8_1PKvPK10block_q8_1RKiEEEvS4_S4_PT_PS8_iiii
	.p2align	8
	.type	_ZL9moe_vec_qIN3c104HalfELi32ELi4E12block_iq4_nlLi2EXadL_ZL19vec_dot_iq4_nl_q8_1PKvPK10block_q8_1RKiEEEvS4_S4_PT_PS8_iiii,@function
_ZL9moe_vec_qIN3c104HalfELi32ELi4E12block_iq4_nlLi2EXadL_ZL19vec_dot_iq4_nl_q8_1PKvPK10block_q8_1RKiEEEvS4_S4_PT_PS8_iiii: ; @_ZL9moe_vec_qIN3c104HalfELi32ELi4E12block_iq4_nlLi2EXadL_ZL19vec_dot_iq4_nl_q8_1PKvPK10block_q8_1RKiEEEvS4_S4_PT_PS8_iiii
; %bb.0:
	s_clause 0x1
	s_load_u16 s2, s[0:1], 0x3e
	s_load_b128 s[4:7], s[0:1], 0x20
	v_bfe_u32 v1, v0, 10, 10
	s_wait_kmcnt 0x0
	s_delay_alu instid0(VALU_DEP_1)
	v_mad_co_u64_u32 v[1:2], null, ttmp9, s2, v[1:2]
	s_mov_b32 s2, exec_lo
	v_cmpx_gt_u32_e64 s6, v1
	s_cbranch_execz .LBB270_7
; %bb.1:
	s_load_b64 s[8:9], s[0:1], 0x10
	s_cvt_f32_u32 s2, s4
	v_bfe_u32 v2, v0, 1, 9
	v_and_b32_e32 v0, 0x3ff, v0
	s_lshr_b32 s10, ttmp7, 16
	s_wait_alu 0xfffe
	v_rcp_iflag_f32_e32 v3, s2
	s_ashr_i32 s2, s5, 31
	s_mov_b32 s12, exec_lo
	s_wait_alu 0xfffe
	s_lshr_b32 s2, s2, 27
	s_wait_alu 0xfffe
	s_add_co_i32 s2, s5, s2
	s_wait_alu 0xfffe
	s_ashr_i32 s5, s2, 5
	s_delay_alu instid0(TRANS32_DEP_1)
	v_readfirstlane_b32 s2, v3
	v_mov_b32_e32 v3, 0
	v_cmpx_gt_u32_e64 s5, v2
	s_cbranch_execz .LBB270_5
; %bb.2:
	s_load_b64 s[14:15], s[0:1], 0x18
	s_mul_f32 s2, s2, 0x4f7ffffe
	s_sub_co_i32 s3, 0, s4
	s_lshl_b32 s13, s10, 2
	s_mov_b32 s11, 0
	s_wait_alu 0xfffe
	s_cvt_u32_f32 s2, s2
	v_lshlrev_b32_e32 v5, 1, v0
	v_mul_lo_u32 v4, v1, s5
	s_wait_alu 0xfffe
	s_mul_i32 s3, s3, s2
	s_wait_alu 0xfffe
	s_mul_hi_u32 s3, s2, s3
	v_and_b32_e32 v5, 2, v5
	s_delay_alu instid0(VALU_DEP_1)
	v_dual_mov_b32 v3, 0 :: v_dual_lshlrev_b32 v6, 1, v5
	v_lshlrev_b32_e32 v5, 2, v5
	s_wait_kmcnt 0x0
	s_load_b32 s13, s[14:15], s13 offset:0x0
	s_mov_b32 s15, s11
	s_add_co_i32 s14, s2, s3
	s_load_b128 s[0:3], s[0:1], 0x0
	s_mul_u64 s[14:15], s[10:11], s[14:15]
	s_mul_i32 s14, s5, s6
	s_mul_i32 s16, s15, s4
	s_add_co_i32 s17, s15, 1
	s_sub_co_i32 s16, s10, s16
	v_lshlrev_b32_e32 v6, 1, v6
	s_sub_co_i32 s18, s16, s4
	s_cmp_ge_u32 s16, s4
	s_cselect_b32 s15, s17, s15
	s_cselect_b32 s16, s18, s16
	s_add_co_i32 s17, s15, 1
	s_cmp_ge_u32 s16, s4
	s_cselect_b32 s4, s17, s15
	s_mov_b32 s17, s11
	s_wait_kmcnt 0x0
	s_mul_i32 s14, s14, s13
	s_wait_alu 0xfffe
	s_mul_i32 s16, s4, s7
	s_ashr_i32 s15, s14, 31
	s_lshl_b64 s[16:17], s[16:17], 2
	s_mul_u64 s[14:15], s[14:15], 18
	s_add_nc_u64 s[2:3], s[2:3], s[16:17]
	s_add_nc_u64 s[0:1], s[0:1], s[14:15]
	s_getpc_b64 s[14:15]
	s_sext_i32_i16 s15, s15
	s_add_co_u32 s14, s14, _ZL13kvalues_iq4nl@rel32@lo+8
	s_add_co_ci_u32 s15, s15, _ZL13kvalues_iq4nl@rel32@hi+16
.LBB270_3:                              ; =>This Inner Loop Header: Depth=1
	v_add_nc_u32_e32 v7, v4, v2
	s_wait_alu 0xfffe
	v_mad_co_i64_i32 v[11:12], null, v2, 36, s[2:3]
	s_delay_alu instid0(VALU_DEP_2) | instskip(NEXT) | instid1(VALU_DEP_1)
	v_mad_co_i64_i32 v[7:8], null, v7, 18, s[0:1]
	v_add_co_u32 v9, vcc_lo, v7, v6
	s_wait_alu 0xfffd
	s_delay_alu instid0(VALU_DEP_2) | instskip(NEXT) | instid1(VALU_DEP_4)
	v_add_co_ci_u32_e64 v10, null, 0, v8, vcc_lo
	v_add_co_u32 v13, vcc_lo, v11, v5
	s_wait_alu 0xfffd
	v_add_co_ci_u32_e64 v14, null, 0, v12, vcc_lo
	global_load_b64 v[9:10], v[9:10], off offset:2
	global_load_b64 v[15:16], v[13:14], off offset:4
	s_wait_loadcnt 0x1
	v_and_b32_e32 v18, 15, v9
	v_bfe_u32 v19, v9, 8, 4
	v_bfe_u32 v20, v9, 16, 4
	v_bfe_u32 v17, v9, 24, 4
	v_bfe_u32 v21, v9, 12, 4
	v_bfe_u32 v22, v9, 20, 4
	v_lshrrev_b32_e32 v23, 28, v9
	v_bfe_u32 v9, v9, 4, 4
	s_clause 0x7
	global_load_i8 v18, v18, s[14:15]
	global_load_i8 v19, v19, s[14:15]
	;; [unrolled: 1-line block ×8, first 2 shown]
	v_and_b32_e32 v25, 15, v10
	v_bfe_u32 v26, v10, 8, 4
	v_bfe_u32 v27, v10, 16, 4
	;; [unrolled: 1-line block ×5, first 2 shown]
	v_lshrrev_b32_e32 v30, 28, v10
	v_bfe_u32 v9, v10, 4, 4
	s_clause 0x7
	global_load_i8 v25, v25, s[14:15]
	global_load_i8 v26, v26, s[14:15]
	global_load_i8 v27, v27, s[14:15]
	global_load_i8 v28, v28, s[14:15]
	global_load_i8 v29, v29, s[14:15]
	global_load_i8 v30, v30, s[14:15]
	global_load_i8 v24, v24, s[14:15]
	global_load_i8 v32, v9, s[14:15]
	s_clause 0x1
	global_load_b64 v[9:10], v[13:14], off offset:20
	global_load_b32 v11, v[11:12], off
	global_load_u16 v7, v[7:8], off
	s_wait_loadcnt 0x11
	v_perm_b32 v8, v19, v18, 0xc0c0400
	s_wait_loadcnt 0xe
	v_perm_b32 v13, v21, v31, 0xc0c0400
	s_wait_loadcnt 0xc
	v_perm_b32 v14, v23, v22, 0x4000c0c
	s_wait_loadcnt 0xb
	v_perm_b32 v12, v17, v20, 0x4000c0c
	s_delay_alu instid0(VALU_DEP_2) | instskip(NEXT) | instid1(VALU_DEP_2)
	v_or_b32_e32 v13, v14, v13
	v_or_b32_e32 v8, v12, v8
	s_wait_loadcnt 0x9
	v_perm_b32 v12, v26, v25, 0xc0c0400
	s_wait_loadcnt 0x4
	v_perm_b32 v17, v24, v27, 0x4000c0c
	;; [unrolled: 2-line block ×3, first 2 shown]
	s_wait_loadcnt 0x1
	v_cvt_f32_f16_e32 v11, v11
	v_dot4_i32_iu8 v8, v15, v8, 0 neg_lo:[1,1,0]
	v_perm_b32 v15, v30, v29, 0x4000c0c
	v_or_b32_e32 v12, v17, v12
	s_wait_loadcnt 0x0
	v_cvt_f32_f16_e32 v7, v7
	v_dot4_i32_iu8 v8, v9, v13, v8 neg_lo:[1,1,0]
	v_or_b32_e32 v9, v15, v14
	s_delay_alu instid0(VALU_DEP_3) | instskip(NEXT) | instid1(VALU_DEP_3)
	v_mul_f32_e32 v7, v7, v11
	v_dot4_i32_iu8 v8, v16, v12, v8 neg_lo:[1,1,0]
	s_delay_alu instid0(VALU_DEP_1) | instskip(NEXT) | instid1(VALU_DEP_1)
	v_dot4_i32_iu8 v8, v10, v9, v8 neg_lo:[1,1,0]
	v_cvt_f32_i32_e32 v8, v8
	s_delay_alu instid0(VALU_DEP_1) | instskip(NEXT) | instid1(VALU_DEP_1)
	v_dual_fmac_f32 v3, v7, v8 :: v_dual_add_nc_u32 v2, 16, v2
	v_cmp_le_u32_e32 vcc_lo, s5, v2
	s_or_b32 s11, vcc_lo, s11
	s_delay_alu instid0(SALU_CYCLE_1)
	s_and_not1_b32 exec_lo, exec_lo, s11
	s_cbranch_execnz .LBB270_3
; %bb.4:
	s_or_b32 exec_lo, exec_lo, s11
.LBB270_5:
	s_delay_alu instid0(SALU_CYCLE_1) | instskip(SKIP_1) | instid1(VALU_DEP_1)
	s_or_b32 exec_lo, exec_lo, s12
	v_mbcnt_lo_u32_b32 v2, -1, 0
	v_xor_b32_e32 v4, 16, v2
	v_xor_b32_e32 v5, 8, v2
	s_delay_alu instid0(VALU_DEP_2) | instskip(SKIP_2) | instid1(VALU_DEP_3)
	v_cmp_gt_i32_e32 vcc_lo, 32, v4
	s_wait_alu 0xfffd
	v_cndmask_b32_e32 v4, v2, v4, vcc_lo
	v_cmp_gt_i32_e32 vcc_lo, 32, v5
	s_wait_alu 0xfffd
	v_cndmask_b32_e32 v5, v2, v5, vcc_lo
	s_delay_alu instid0(VALU_DEP_1)
	v_lshlrev_b32_e32 v5, 2, v5
	v_lshlrev_b32_e32 v4, 2, v4
	ds_bpermute_b32 v4, v4, v3
	s_wait_dscnt 0x0
	v_add_f32_e32 v3, v3, v4
	ds_bpermute_b32 v4, v5, v3
	v_xor_b32_e32 v5, 4, v2
	s_delay_alu instid0(VALU_DEP_1) | instskip(SKIP_2) | instid1(VALU_DEP_1)
	v_cmp_gt_i32_e32 vcc_lo, 32, v5
	s_wait_alu 0xfffd
	v_cndmask_b32_e32 v5, v2, v5, vcc_lo
	v_lshlrev_b32_e32 v5, 2, v5
	s_wait_dscnt 0x0
	v_add_f32_e32 v3, v3, v4
	ds_bpermute_b32 v4, v5, v3
	v_xor_b32_e32 v5, 2, v2
	s_delay_alu instid0(VALU_DEP_1) | instskip(SKIP_2) | instid1(VALU_DEP_1)
	v_cmp_gt_i32_e32 vcc_lo, 32, v5
	s_wait_alu 0xfffd
	v_cndmask_b32_e32 v5, v2, v5, vcc_lo
	v_lshlrev_b32_e32 v5, 2, v5
	s_wait_dscnt 0x0
	v_add_f32_e32 v3, v3, v4
	ds_bpermute_b32 v4, v5, v3
	v_xor_b32_e32 v5, 1, v2
	s_delay_alu instid0(VALU_DEP_1) | instskip(SKIP_4) | instid1(VALU_DEP_2)
	v_cmp_gt_i32_e32 vcc_lo, 32, v5
	s_wait_alu 0xfffd
	v_cndmask_b32_e32 v5, v2, v5, vcc_lo
	v_cmp_eq_u32_e32 vcc_lo, 0, v0
	s_wait_dscnt 0x0
	v_dual_add_f32 v2, v3, v4 :: v_dual_lshlrev_b32 v3, 2, v5
	ds_bpermute_b32 v3, v3, v2
	s_and_b32 exec_lo, exec_lo, vcc_lo
	s_cbranch_execz .LBB270_7
; %bb.6:
	v_mad_co_u64_u32 v[0:1], null, s6, s10, v[1:2]
	s_wait_dscnt 0x0
	v_dual_mov_b32 v1, 0 :: v_dual_add_f32 v2, v2, v3
	s_delay_alu instid0(VALU_DEP_1) | instskip(NEXT) | instid1(VALU_DEP_2)
	v_cvt_f16_f32_e32 v2, v2
	v_lshlrev_b64_e32 v[0:1], 1, v[0:1]
	s_wait_kmcnt 0x0
	s_delay_alu instid0(VALU_DEP_1) | instskip(SKIP_1) | instid1(VALU_DEP_2)
	v_add_co_u32 v0, vcc_lo, s8, v0
	s_wait_alu 0xfffd
	v_add_co_ci_u32_e64 v1, null, s9, v1, vcc_lo
	global_store_b16 v[0:1], v2, off
.LBB270_7:
	s_endpgm
	.section	.rodata,"a",@progbits
	.p2align	6, 0x0
	.amdhsa_kernel _ZL9moe_vec_qIN3c104HalfELi32ELi4E12block_iq4_nlLi2EXadL_ZL19vec_dot_iq4_nl_q8_1PKvPK10block_q8_1RKiEEEvS4_S4_PT_PS8_iiii
		.amdhsa_group_segment_fixed_size 0
		.amdhsa_private_segment_fixed_size 0
		.amdhsa_kernarg_size 304
		.amdhsa_user_sgpr_count 2
		.amdhsa_user_sgpr_dispatch_ptr 0
		.amdhsa_user_sgpr_queue_ptr 0
		.amdhsa_user_sgpr_kernarg_segment_ptr 1
		.amdhsa_user_sgpr_dispatch_id 0
		.amdhsa_user_sgpr_private_segment_size 0
		.amdhsa_wavefront_size32 1
		.amdhsa_uses_dynamic_stack 0
		.amdhsa_enable_private_segment 0
		.amdhsa_system_sgpr_workgroup_id_x 1
		.amdhsa_system_sgpr_workgroup_id_y 0
		.amdhsa_system_sgpr_workgroup_id_z 1
		.amdhsa_system_sgpr_workgroup_info 0
		.amdhsa_system_vgpr_workitem_id 1
		.amdhsa_next_free_vgpr 33
		.amdhsa_next_free_sgpr 19
		.amdhsa_reserve_vcc 1
		.amdhsa_float_round_mode_32 0
		.amdhsa_float_round_mode_16_64 0
		.amdhsa_float_denorm_mode_32 3
		.amdhsa_float_denorm_mode_16_64 3
		.amdhsa_fp16_overflow 0
		.amdhsa_workgroup_processor_mode 1
		.amdhsa_memory_ordered 1
		.amdhsa_forward_progress 1
		.amdhsa_inst_pref_size 11
		.amdhsa_round_robin_scheduling 0
		.amdhsa_exception_fp_ieee_invalid_op 0
		.amdhsa_exception_fp_denorm_src 0
		.amdhsa_exception_fp_ieee_div_zero 0
		.amdhsa_exception_fp_ieee_overflow 0
		.amdhsa_exception_fp_ieee_underflow 0
		.amdhsa_exception_fp_ieee_inexact 0
		.amdhsa_exception_int_div_zero 0
	.end_amdhsa_kernel
	.section	.text._ZL9moe_vec_qIN3c104HalfELi32ELi4E12block_iq4_nlLi2EXadL_ZL19vec_dot_iq4_nl_q8_1PKvPK10block_q8_1RKiEEEvS4_S4_PT_PS8_iiii,"axG",@progbits,_ZL9moe_vec_qIN3c104HalfELi32ELi4E12block_iq4_nlLi2EXadL_ZL19vec_dot_iq4_nl_q8_1PKvPK10block_q8_1RKiEEEvS4_S4_PT_PS8_iiii,comdat
.Lfunc_end270:
	.size	_ZL9moe_vec_qIN3c104HalfELi32ELi4E12block_iq4_nlLi2EXadL_ZL19vec_dot_iq4_nl_q8_1PKvPK10block_q8_1RKiEEEvS4_S4_PT_PS8_iiii, .Lfunc_end270-_ZL9moe_vec_qIN3c104HalfELi32ELi4E12block_iq4_nlLi2EXadL_ZL19vec_dot_iq4_nl_q8_1PKvPK10block_q8_1RKiEEEvS4_S4_PT_PS8_iiii
                                        ; -- End function
	.set _ZL9moe_vec_qIN3c104HalfELi32ELi4E12block_iq4_nlLi2EXadL_ZL19vec_dot_iq4_nl_q8_1PKvPK10block_q8_1RKiEEEvS4_S4_PT_PS8_iiii.num_vgpr, 33
	.set _ZL9moe_vec_qIN3c104HalfELi32ELi4E12block_iq4_nlLi2EXadL_ZL19vec_dot_iq4_nl_q8_1PKvPK10block_q8_1RKiEEEvS4_S4_PT_PS8_iiii.num_agpr, 0
	.set _ZL9moe_vec_qIN3c104HalfELi32ELi4E12block_iq4_nlLi2EXadL_ZL19vec_dot_iq4_nl_q8_1PKvPK10block_q8_1RKiEEEvS4_S4_PT_PS8_iiii.numbered_sgpr, 19
	.set _ZL9moe_vec_qIN3c104HalfELi32ELi4E12block_iq4_nlLi2EXadL_ZL19vec_dot_iq4_nl_q8_1PKvPK10block_q8_1RKiEEEvS4_S4_PT_PS8_iiii.num_named_barrier, 0
	.set _ZL9moe_vec_qIN3c104HalfELi32ELi4E12block_iq4_nlLi2EXadL_ZL19vec_dot_iq4_nl_q8_1PKvPK10block_q8_1RKiEEEvS4_S4_PT_PS8_iiii.private_seg_size, 0
	.set _ZL9moe_vec_qIN3c104HalfELi32ELi4E12block_iq4_nlLi2EXadL_ZL19vec_dot_iq4_nl_q8_1PKvPK10block_q8_1RKiEEEvS4_S4_PT_PS8_iiii.uses_vcc, 1
	.set _ZL9moe_vec_qIN3c104HalfELi32ELi4E12block_iq4_nlLi2EXadL_ZL19vec_dot_iq4_nl_q8_1PKvPK10block_q8_1RKiEEEvS4_S4_PT_PS8_iiii.uses_flat_scratch, 0
	.set _ZL9moe_vec_qIN3c104HalfELi32ELi4E12block_iq4_nlLi2EXadL_ZL19vec_dot_iq4_nl_q8_1PKvPK10block_q8_1RKiEEEvS4_S4_PT_PS8_iiii.has_dyn_sized_stack, 0
	.set _ZL9moe_vec_qIN3c104HalfELi32ELi4E12block_iq4_nlLi2EXadL_ZL19vec_dot_iq4_nl_q8_1PKvPK10block_q8_1RKiEEEvS4_S4_PT_PS8_iiii.has_recursion, 0
	.set _ZL9moe_vec_qIN3c104HalfELi32ELi4E12block_iq4_nlLi2EXadL_ZL19vec_dot_iq4_nl_q8_1PKvPK10block_q8_1RKiEEEvS4_S4_PT_PS8_iiii.has_indirect_call, 0
	.section	.AMDGPU.csdata,"",@progbits
; Kernel info:
; codeLenInByte = 1376
; TotalNumSgprs: 21
; NumVgprs: 33
; ScratchSize: 0
; MemoryBound: 0
; FloatMode: 240
; IeeeMode: 1
; LDSByteSize: 0 bytes/workgroup (compile time only)
; SGPRBlocks: 0
; VGPRBlocks: 4
; NumSGPRsForWavesPerEU: 21
; NumVGPRsForWavesPerEU: 33
; Occupancy: 16
; WaveLimiterHint : 1
; COMPUTE_PGM_RSRC2:SCRATCH_EN: 0
; COMPUTE_PGM_RSRC2:USER_SGPR: 2
; COMPUTE_PGM_RSRC2:TRAP_HANDLER: 0
; COMPUTE_PGM_RSRC2:TGID_X_EN: 1
; COMPUTE_PGM_RSRC2:TGID_Y_EN: 0
; COMPUTE_PGM_RSRC2:TGID_Z_EN: 1
; COMPUTE_PGM_RSRC2:TIDIG_COMP_CNT: 1
	.section	.text._ZL9moe_vec_qIN3c104HalfELi256ELi8E11block_iq3_sLi1EXadL_ZL18vec_dot_iq3_s_q8_1PKvPK10block_q8_1RKiEEEvS4_S4_PT_PS8_iiii,"axG",@progbits,_ZL9moe_vec_qIN3c104HalfELi256ELi8E11block_iq3_sLi1EXadL_ZL18vec_dot_iq3_s_q8_1PKvPK10block_q8_1RKiEEEvS4_S4_PT_PS8_iiii,comdat
	.globl	_ZL9moe_vec_qIN3c104HalfELi256ELi8E11block_iq3_sLi1EXadL_ZL18vec_dot_iq3_s_q8_1PKvPK10block_q8_1RKiEEEvS4_S4_PT_PS8_iiii ; -- Begin function _ZL9moe_vec_qIN3c104HalfELi256ELi8E11block_iq3_sLi1EXadL_ZL18vec_dot_iq3_s_q8_1PKvPK10block_q8_1RKiEEEvS4_S4_PT_PS8_iiii
	.p2align	8
	.type	_ZL9moe_vec_qIN3c104HalfELi256ELi8E11block_iq3_sLi1EXadL_ZL18vec_dot_iq3_s_q8_1PKvPK10block_q8_1RKiEEEvS4_S4_PT_PS8_iiii,@function
_ZL9moe_vec_qIN3c104HalfELi256ELi8E11block_iq3_sLi1EXadL_ZL18vec_dot_iq3_s_q8_1PKvPK10block_q8_1RKiEEEvS4_S4_PT_PS8_iiii: ; @_ZL9moe_vec_qIN3c104HalfELi256ELi8E11block_iq3_sLi1EXadL_ZL18vec_dot_iq3_s_q8_1PKvPK10block_q8_1RKiEEEvS4_S4_PT_PS8_iiii
; %bb.0:
	s_clause 0x1
	s_load_u16 s2, s[0:1], 0x3e
	s_load_b128 s[4:7], s[0:1], 0x20
	v_bfe_u32 v1, v0, 10, 10
	s_wait_kmcnt 0x0
	s_delay_alu instid0(VALU_DEP_1)
	v_mad_co_u64_u32 v[1:2], null, ttmp9, s2, v[1:2]
	s_mov_b32 s2, exec_lo
	v_cmpx_gt_u32_e64 s6, v1
	s_cbranch_execz .LBB271_9
; %bb.1:
	s_load_b64 s[8:9], s[0:1], 0x10
	s_ashr_i32 s2, s5, 31
	v_bfe_u32 v18, v0, 3, 7
	s_wait_alu 0xfffe
	s_lshr_b32 s2, s2, 24
	v_dual_mov_b32 v19, 0 :: v_dual_and_b32 v0, 0x3ff, v0
	s_wait_alu 0xfffe
	s_add_co_i32 s2, s5, s2
	s_lshr_b32 s10, ttmp7, 16
	s_wait_alu 0xfffe
	s_ashr_i32 s11, s2, 8
	s_mov_b32 s12, exec_lo
	v_cmpx_gt_u32_e64 s11, v18
	s_cbranch_execz .LBB271_7
; %bb.2:
	s_load_b64 s[14:15], s[0:1], 0x18
	s_cvt_f32_u32 s2, s4
	s_lshl_b32 s13, s10, 2
	s_mul_i32 s16, s11, s6
	v_and_b32_e32 v21, 7, v0
	s_wait_alu 0xfffe
	v_rcp_iflag_f32_e32 v2, s2
	s_load_b128 s[0:3], s[0:1], 0x0
	v_mov_b32_e32 v19, 0
	v_mul_lo_u32 v20, v1, s11
	v_lshlrev_b32_e32 v3, 3, v21
	v_bfe_u32 v22, v0, 1, 2
	s_delay_alu instid0(TRANS32_DEP_1)
	v_readfirstlane_b32 s5, v2
	v_lshlrev_b32_e32 v2, 2, v0
	v_add_nc_u32_e32 v24, v18, v20
	s_wait_kmcnt 0x0
	s_load_b32 s13, s[14:15], s13 offset:0x0
	s_mul_f32 s14, s5, 0x4f7ffffe
	s_sub_co_i32 s15, 0, s4
	v_and_b32_e32 v23, 4, v2
	v_lshlrev_b32_e32 v2, 2, v21
	s_cvt_u32_f32 s14, s14
	s_mov_b32 s5, 0
	s_delay_alu instid0(SALU_CYCLE_2) | instskip(NEXT) | instid1(SALU_CYCLE_1)
	s_mul_i32 s15, s15, s14
	s_mul_hi_u32 s15, s14, s15
	s_delay_alu instid0(SALU_CYCLE_1) | instskip(NEXT) | instid1(SALU_CYCLE_1)
	s_add_co_i32 s14, s14, s15
	s_mul_hi_u32 s17, s10, s14
	s_delay_alu instid0(SALU_CYCLE_1)
	s_mul_i32 s14, s17, s4
	s_add_co_i32 s18, s17, 1
	s_sub_co_i32 s19, s10, s14
	s_wait_kmcnt 0x0
	s_mul_i32 s14, s16, s13
	s_sub_co_i32 s13, s19, s4
	s_ashr_i32 s15, s14, 31
	s_cmp_ge_u32 s19, s4
	s_mul_u64 s[14:15], s[14:15], 0x6e
	s_cselect_b32 s16, s18, s17
	s_cselect_b32 s13, s13, s19
	s_add_co_i32 s17, s16, 1
	s_cmp_ge_u32 s13, s4
	s_add_nc_u64 s[0:1], s[0:1], s[14:15]
	s_cselect_b32 s4, s17, s16
	s_delay_alu instid0(SALU_CYCLE_1)
	s_mul_i32 s4, s4, s7
	s_wait_alu 0xfffe
	v_add_co_u32 v2, s7, s0, v2
	s_wait_alu 0xf1ff
	v_add_co_ci_u32_e64 v4, null, s1, 0, s7
	s_lshl_b64 s[14:15], s[4:5], 2
	v_add_co_u32 v6, s4, s0, v3
	s_delay_alu instid0(VALU_DEP_1) | instskip(SKIP_2) | instid1(VALU_DEP_1)
	v_add_co_ci_u32_e64 v7, null, s1, 0, s4
	s_add_nc_u64 s[2:3], s[2:3], s[14:15]
	v_add_co_u32 v2, vcc_lo, 0x4a, v2
	v_add_co_ci_u32_e64 v3, null, 0, v4, vcc_lo
	s_wait_alu 0xfffe
	v_mad_co_u64_u32 v[4:5], null, v21, 36, s[2:3]
	v_add_co_u32 v6, vcc_lo, v6, 2
	s_wait_alu 0xfffd
	v_add_co_ci_u32_e64 v7, null, 0, v7, vcc_lo
.LBB271_3:                              ; =>This Loop Header: Depth=1
                                        ;     Child Loop BB271_4 Depth 2
	v_dual_mov_b32 v25, 0 :: v_dual_add_nc_u32 v8, v18, v20
	v_mad_co_i64_i32 v[12:13], null, 0x6e, v24, v[2:3]
	s_delay_alu instid0(VALU_DEP_3) | instskip(NEXT) | instid1(VALU_DEP_3)
	v_mad_co_i64_i32 v[14:15], null, 0x6e, v24, v[6:7]
	v_mad_co_i64_i32 v[8:9], null, 0x6e, v8, s[0:1]
	s_mov_b32 s2, 7
	v_add_co_u32 v10, vcc_lo, v8, v21
	s_wait_alu 0xfffd
	v_add_co_ci_u32_e64 v11, null, 0, v9, vcc_lo
	global_load_u8 v26, v[10:11], off offset:66
	v_lshlrev_b32_e32 v10, 3, v18
	s_delay_alu instid0(VALU_DEP_1) | instskip(NEXT) | instid1(VALU_DEP_1)
	v_mad_co_i64_i32 v[10:11], null, v10, 36, v[4:5]
	v_add_co_u32 v16, vcc_lo, v10, 4
	s_wait_alu 0xfffd
	s_delay_alu instid0(VALU_DEP_2)
	v_add_co_ci_u32_e64 v17, null, 0, v11, vcc_lo
.LBB271_4:                              ;   Parent Loop BB271_3 Depth=1
                                        ; =>  This Inner Loop Header: Depth=2
	global_load_u16 v27, v[14:15], off
	global_load_u8 v29, v[12:13], off
	s_wait_alu 0xfffe
	s_add_co_i32 s3, s2, 1
	s_wait_loadcnt 0x2
	v_lshlrev_b32_e32 v28, s2, v26
	s_wait_alu 0xfffe
	v_lshlrev_b32_e32 v30, s3, v26
	s_getpc_b64 s[14:15]
	s_sext_i32_i16 s15, s15
	s_add_co_u32 s14, s14, _ZL10iq3xs_grid@rel32@lo+8
	s_add_co_ci_u32 s15, s15, _ZL10iq3xs_grid@rel32@hi+16
	s_add_co_i32 s2, s2, -2
	s_wait_alu 0xfffe
	s_cmp_lg_u32 s2, -1
	s_wait_loadcnt 0x1
	v_lshrrev_b16 v31, 8, v27
	v_and_b32_e32 v27, 0xff, v27
	s_wait_loadcnt 0x0
	v_and_b32_e32 v32, 15, v29
	v_lshrrev_b16 v29, 4, v29
	v_and_b32_e32 v31, 0xffff, v31
	v_and_or_b32 v27, 0x100, v30, v27
	s_delay_alu instid0(VALU_DEP_4) | instskip(NEXT) | instid1(VALU_DEP_4)
	v_and_b32_e32 v32, 0xffff, v32
	v_and_b32_e32 v29, 0xffff, v29
	s_delay_alu instid0(VALU_DEP_4) | instskip(NEXT) | instid1(VALU_DEP_4)
	v_and_or_b32 v28, 0x100, v28, v31
	v_lshlrev_b32_e32 v27, 2, v27
	s_delay_alu instid0(VALU_DEP_4) | instskip(NEXT) | instid1(VALU_DEP_4)
	v_mul_lo_u32 v32, 0x1010101, v32
	v_mul_lo_u32 v29, 0x1010101, v29
	s_delay_alu instid0(VALU_DEP_4)
	v_lshlrev_b32_e32 v28, 2, v28
	s_clause 0x1
	global_load_b32 v30, v27, s[14:15]
	global_load_b32 v31, v28, s[14:15]
	global_load_b64 v[27:28], v[16:17], off
	v_not_b32_e32 v32, v32
	v_add_co_u32 v16, vcc_lo, v16, 8
	s_wait_alu 0xfffd
	v_add_co_ci_u32_e64 v17, null, 0, v17, vcc_lo
	s_delay_alu instid0(VALU_DEP_3)
	v_and_b32_e32 v39, 0x8040201, v32
	v_and_b32_e32 v40, 0x40000, v32
	v_and_b32_e32 v41, 0x200, v32
	v_not_b32_e32 v29, v29
	v_and_b32_e32 v32, 1, v32
	v_cmp_gt_u32_e32 vcc_lo, 0x1000000, v39
	s_delay_alu instid0(VALU_DEP_3)
	v_and_b32_e32 v42, 0x8040201, v29
	v_and_b32_e32 v43, 0x40000, v29
	s_wait_alu 0xfffd
	v_cndmask_b32_e64 v39, 0, -1, vcc_lo
	v_cmp_eq_u32_e32 vcc_lo, 0, v40
	v_and_b32_e32 v44, 0x200, v29
	v_and_b32_e32 v29, 1, v29
	s_delay_alu instid0(VALU_DEP_4)
	v_lshlrev_b32_e32 v39, 24, v39
	s_wait_alu 0xfffd
	v_cndmask_b32_e64 v40, 0, 0xff0000, vcc_lo
	v_cmp_eq_u32_e32 vcc_lo, 0, v41
	s_wait_alu 0xfffd
	v_cndmask_b32_e64 v41, 0, 0xff00, vcc_lo
	v_cmp_eq_u32_e32 vcc_lo, 0, v32
	s_wait_alu 0xfffd
	v_cndmask_b32_e64 v32, 0, 0xff, vcc_lo
	v_cmp_gt_u32_e32 vcc_lo, 0x1000000, v42
	s_delay_alu instid0(VALU_DEP_2) | instskip(SKIP_3) | instid1(VALU_DEP_3)
	v_or_b32_e32 v45, v41, v32
	s_wait_alu 0xfffd
	v_cndmask_b32_e64 v42, 0, -1, vcc_lo
	v_cmp_eq_u32_e32 vcc_lo, 0, v43
	v_or3_b32 v45, v45, v40, v39
	s_delay_alu instid0(VALU_DEP_3)
	v_lshlrev_b32_e32 v42, 24, v42
	s_wait_alu 0xfffd
	v_cndmask_b32_e64 v43, 0, 0xff0000, vcc_lo
	v_cmp_eq_u32_e32 vcc_lo, 0, v44
	s_wait_alu 0xfffd
	v_cndmask_b32_e64 v44, 0, 0xff00, vcc_lo
	v_cmp_eq_u32_e32 vcc_lo, 0, v29
	s_wait_alu 0xfffd
	v_cndmask_b32_e64 v29, 0, 0xff, vcc_lo
	v_add_co_u32 v12, vcc_lo, v12, 1
	s_wait_alu 0xfffd
	v_add_co_ci_u32_e64 v13, null, 0, v13, vcc_lo
	s_delay_alu instid0(VALU_DEP_3) | instskip(SKIP_3) | instid1(VALU_DEP_3)
	v_or_b32_e32 v46, v44, v29
	v_add_co_u32 v14, vcc_lo, v14, 2
	s_wait_alu 0xfffd
	v_add_co_ci_u32_e64 v15, null, 0, v15, vcc_lo
	v_or3_b32 v46, v46, v43, v42
	s_wait_loadcnt 0x2
	v_xor_b32_e32 v30, v45, v30
	s_wait_loadcnt 0x1
	s_delay_alu instid0(VALU_DEP_2)
	v_xor_b32_e32 v31, v46, v31
	s_wait_loadcnt 0x0
	v_lshrrev_b16 v33, 8, v27
	v_ashrrev_i32_e32 v35, 24, v27
	v_bfe_i32 v36, v27, 16, 8
	v_sub_nc_u32_e32 v40, v30, v40
	v_sub_nc_u32_e32 v32, v30, v32
	;; [unrolled: 1-line block ×6, first 2 shown]
	v_perm_b32 v32, v40, v32, 0xc060c00
	v_bfe_i32 v27, v27, 0, 8
	v_lshrrev_b16 v40, 8, v41
	v_sub_nc_u32_e32 v41, v31, v44
	v_sub_nc_u32_e32 v31, v31, v42
	v_perm_b32 v29, v39, v29, 0xc060c00
	v_bfe_i32 v39, v32, 0, 8
	v_lshrrev_b16 v34, 8, v28
	v_ashrrev_i32_e32 v37, 24, v28
	v_bfe_i32 v38, v28, 16, 8
	v_bfe_i32 v33, v33, 0, 8
	v_lshrrev_b16 v41, 8, v41
	v_bfe_i32 v40, v40, 0, 8
	v_ashrrev_i32_e32 v31, 24, v31
	v_mul_i32_i24_e32 v27, v39, v27
	v_bfe_i32 v39, v29, 16, 8
	v_bfe_i32 v28, v28, 0, 8
	v_bfe_i32 v34, v34, 0, 8
	v_ashrrev_i32_e32 v30, 24, v30
	v_bfe_i32 v32, v32, 16, 8
	v_mul_i32_i24_e32 v33, v40, v33
	v_bfe_i32 v29, v29, 0, 8
	v_bfe_i32 v40, v41, 0, 8
	v_mul_i32_i24_e32 v31, v31, v37
	v_mul_i32_i24_e32 v37, v39, v38
	s_delay_alu instid0(VALU_DEP_4) | instskip(NEXT) | instid1(VALU_DEP_4)
	v_mul_i32_i24_e32 v28, v29, v28
	v_mul_i32_i24_e32 v29, v40, v34
	s_delay_alu instid0(VALU_DEP_4) | instskip(NEXT) | instid1(VALU_DEP_4)
	v_mad_i32_i24 v30, v30, v35, v31
	v_mad_i32_i24 v31, v32, v36, v37
	s_delay_alu instid0(VALU_DEP_2) | instskip(NEXT) | instid1(VALU_DEP_2)
	v_add3_u32 v29, v33, v29, v30
	v_add3_u32 v27, v27, v28, v31
	s_delay_alu instid0(VALU_DEP_1)
	v_add3_u32 v25, v27, v29, v25
	s_cbranch_scc1 .LBB271_4
; %bb.5:                                ;   in Loop: Header=BB271_3 Depth=1
	v_add_co_u32 v12, vcc_lo, v8, v22
	s_wait_alu 0xfffd
	v_add_co_ci_u32_e64 v13, null, 0, v9, vcc_lo
	v_add_nc_u32_e32 v18, 4, v18
	v_add_nc_u32_e32 v24, 4, v24
	s_clause 0x1
	global_load_u8 v12, v[12:13], off offset:106
	global_load_u16 v8, v[8:9], off
	global_load_b32 v9, v[10:11], off
	v_cmp_le_u32_e32 vcc_lo, s11, v18
	s_or_b32 s5, vcc_lo, s5
	s_wait_loadcnt 0x2
	v_bfe_u32 v10, v12, v23, 4
	s_wait_loadcnt 0x1
	v_cvt_f32_f16_e32 v8, v8
	s_wait_loadcnt 0x0
	v_cvt_f32_f16_e32 v9, v9
	v_cvt_f32_ubyte0_e32 v10, v10
	s_delay_alu instid0(VALU_DEP_1) | instskip(NEXT) | instid1(VALU_DEP_1)
	v_add_f32_e32 v10, 0.5, v10
	v_mul_f32_e32 v8, v10, v8
	s_delay_alu instid0(VALU_DEP_1) | instskip(SKIP_1) | instid1(VALU_DEP_2)
	v_mul_f32_e32 v8, v8, v9
	v_cvt_f32_i32_e32 v9, v25
	v_mul_f32_e32 v8, 0.5, v8
	s_delay_alu instid0(VALU_DEP_1)
	v_fmac_f32_e32 v19, v8, v9
	s_wait_alu 0xfffe
	s_and_not1_b32 exec_lo, exec_lo, s5
	s_cbranch_execnz .LBB271_3
; %bb.6:
	s_or_b32 exec_lo, exec_lo, s5
.LBB271_7:
	s_delay_alu instid0(SALU_CYCLE_1) | instskip(SKIP_1) | instid1(VALU_DEP_1)
	s_or_b32 exec_lo, exec_lo, s12
	v_mbcnt_lo_u32_b32 v2, -1, 0
	v_xor_b32_e32 v3, 16, v2
	v_xor_b32_e32 v4, 8, v2
	;; [unrolled: 1-line block ×3, first 2 shown]
	s_delay_alu instid0(VALU_DEP_3)
	v_cmp_gt_i32_e32 vcc_lo, 32, v3
	s_wait_alu 0xfffd
	v_cndmask_b32_e32 v3, v2, v3, vcc_lo
	v_cmp_gt_i32_e32 vcc_lo, 32, v4
	s_wait_alu 0xfffd
	v_cndmask_b32_e32 v4, v2, v4, vcc_lo
	v_cmp_gt_i32_e32 vcc_lo, 32, v5
	s_delay_alu instid0(VALU_DEP_2)
	v_lshlrev_b32_e32 v4, 2, v4
	v_lshlrev_b32_e32 v3, 2, v3
	s_wait_alu 0xfffd
	v_cndmask_b32_e32 v5, v2, v5, vcc_lo
	ds_bpermute_b32 v3, v3, v19
	v_lshlrev_b32_e32 v5, 2, v5
	s_wait_dscnt 0x0
	v_add_f32_e32 v3, v19, v3
	ds_bpermute_b32 v4, v4, v3
	s_wait_dscnt 0x0
	v_add_f32_e32 v3, v3, v4
	ds_bpermute_b32 v4, v5, v3
	v_xor_b32_e32 v5, 2, v2
	s_delay_alu instid0(VALU_DEP_1) | instskip(SKIP_2) | instid1(VALU_DEP_1)
	v_cmp_gt_i32_e32 vcc_lo, 32, v5
	s_wait_alu 0xfffd
	v_cndmask_b32_e32 v5, v2, v5, vcc_lo
	v_lshlrev_b32_e32 v5, 2, v5
	s_wait_dscnt 0x0
	v_add_f32_e32 v3, v3, v4
	ds_bpermute_b32 v4, v5, v3
	v_xor_b32_e32 v5, 1, v2
	s_delay_alu instid0(VALU_DEP_1) | instskip(SKIP_4) | instid1(VALU_DEP_2)
	v_cmp_gt_i32_e32 vcc_lo, 32, v5
	s_wait_alu 0xfffd
	v_cndmask_b32_e32 v5, v2, v5, vcc_lo
	v_cmp_eq_u32_e32 vcc_lo, 0, v0
	s_wait_dscnt 0x0
	v_dual_add_f32 v2, v3, v4 :: v_dual_lshlrev_b32 v3, 2, v5
	ds_bpermute_b32 v3, v3, v2
	s_and_b32 exec_lo, exec_lo, vcc_lo
	s_cbranch_execz .LBB271_9
; %bb.8:
	v_mad_co_u64_u32 v[0:1], null, s6, s10, v[1:2]
	s_wait_dscnt 0x0
	v_dual_mov_b32 v1, 0 :: v_dual_add_f32 v2, v2, v3
	s_delay_alu instid0(VALU_DEP_1) | instskip(NEXT) | instid1(VALU_DEP_2)
	v_cvt_f16_f32_e32 v2, v2
	v_lshlrev_b64_e32 v[0:1], 1, v[0:1]
	s_wait_kmcnt 0x0
	s_delay_alu instid0(VALU_DEP_1) | instskip(SKIP_1) | instid1(VALU_DEP_2)
	v_add_co_u32 v0, vcc_lo, s8, v0
	s_wait_alu 0xfffd
	v_add_co_ci_u32_e64 v1, null, s9, v1, vcc_lo
	global_store_b16 v[0:1], v2, off
.LBB271_9:
	s_endpgm
	.section	.rodata,"a",@progbits
	.p2align	6, 0x0
	.amdhsa_kernel _ZL9moe_vec_qIN3c104HalfELi256ELi8E11block_iq3_sLi1EXadL_ZL18vec_dot_iq3_s_q8_1PKvPK10block_q8_1RKiEEEvS4_S4_PT_PS8_iiii
		.amdhsa_group_segment_fixed_size 0
		.amdhsa_private_segment_fixed_size 0
		.amdhsa_kernarg_size 304
		.amdhsa_user_sgpr_count 2
		.amdhsa_user_sgpr_dispatch_ptr 0
		.amdhsa_user_sgpr_queue_ptr 0
		.amdhsa_user_sgpr_kernarg_segment_ptr 1
		.amdhsa_user_sgpr_dispatch_id 0
		.amdhsa_user_sgpr_private_segment_size 0
		.amdhsa_wavefront_size32 1
		.amdhsa_uses_dynamic_stack 0
		.amdhsa_enable_private_segment 0
		.amdhsa_system_sgpr_workgroup_id_x 1
		.amdhsa_system_sgpr_workgroup_id_y 0
		.amdhsa_system_sgpr_workgroup_id_z 1
		.amdhsa_system_sgpr_workgroup_info 0
		.amdhsa_system_vgpr_workitem_id 1
		.amdhsa_next_free_vgpr 47
		.amdhsa_next_free_sgpr 20
		.amdhsa_reserve_vcc 1
		.amdhsa_float_round_mode_32 0
		.amdhsa_float_round_mode_16_64 0
		.amdhsa_float_denorm_mode_32 3
		.amdhsa_float_denorm_mode_16_64 3
		.amdhsa_fp16_overflow 0
		.amdhsa_workgroup_processor_mode 1
		.amdhsa_memory_ordered 1
		.amdhsa_forward_progress 1
		.amdhsa_inst_pref_size 16
		.amdhsa_round_robin_scheduling 0
		.amdhsa_exception_fp_ieee_invalid_op 0
		.amdhsa_exception_fp_denorm_src 0
		.amdhsa_exception_fp_ieee_div_zero 0
		.amdhsa_exception_fp_ieee_overflow 0
		.amdhsa_exception_fp_ieee_underflow 0
		.amdhsa_exception_fp_ieee_inexact 0
		.amdhsa_exception_int_div_zero 0
	.end_amdhsa_kernel
	.section	.text._ZL9moe_vec_qIN3c104HalfELi256ELi8E11block_iq3_sLi1EXadL_ZL18vec_dot_iq3_s_q8_1PKvPK10block_q8_1RKiEEEvS4_S4_PT_PS8_iiii,"axG",@progbits,_ZL9moe_vec_qIN3c104HalfELi256ELi8E11block_iq3_sLi1EXadL_ZL18vec_dot_iq3_s_q8_1PKvPK10block_q8_1RKiEEEvS4_S4_PT_PS8_iiii,comdat
.Lfunc_end271:
	.size	_ZL9moe_vec_qIN3c104HalfELi256ELi8E11block_iq3_sLi1EXadL_ZL18vec_dot_iq3_s_q8_1PKvPK10block_q8_1RKiEEEvS4_S4_PT_PS8_iiii, .Lfunc_end271-_ZL9moe_vec_qIN3c104HalfELi256ELi8E11block_iq3_sLi1EXadL_ZL18vec_dot_iq3_s_q8_1PKvPK10block_q8_1RKiEEEvS4_S4_PT_PS8_iiii
                                        ; -- End function
	.set _ZL9moe_vec_qIN3c104HalfELi256ELi8E11block_iq3_sLi1EXadL_ZL18vec_dot_iq3_s_q8_1PKvPK10block_q8_1RKiEEEvS4_S4_PT_PS8_iiii.num_vgpr, 47
	.set _ZL9moe_vec_qIN3c104HalfELi256ELi8E11block_iq3_sLi1EXadL_ZL18vec_dot_iq3_s_q8_1PKvPK10block_q8_1RKiEEEvS4_S4_PT_PS8_iiii.num_agpr, 0
	.set _ZL9moe_vec_qIN3c104HalfELi256ELi8E11block_iq3_sLi1EXadL_ZL18vec_dot_iq3_s_q8_1PKvPK10block_q8_1RKiEEEvS4_S4_PT_PS8_iiii.numbered_sgpr, 20
	.set _ZL9moe_vec_qIN3c104HalfELi256ELi8E11block_iq3_sLi1EXadL_ZL18vec_dot_iq3_s_q8_1PKvPK10block_q8_1RKiEEEvS4_S4_PT_PS8_iiii.num_named_barrier, 0
	.set _ZL9moe_vec_qIN3c104HalfELi256ELi8E11block_iq3_sLi1EXadL_ZL18vec_dot_iq3_s_q8_1PKvPK10block_q8_1RKiEEEvS4_S4_PT_PS8_iiii.private_seg_size, 0
	.set _ZL9moe_vec_qIN3c104HalfELi256ELi8E11block_iq3_sLi1EXadL_ZL18vec_dot_iq3_s_q8_1PKvPK10block_q8_1RKiEEEvS4_S4_PT_PS8_iiii.uses_vcc, 1
	.set _ZL9moe_vec_qIN3c104HalfELi256ELi8E11block_iq3_sLi1EXadL_ZL18vec_dot_iq3_s_q8_1PKvPK10block_q8_1RKiEEEvS4_S4_PT_PS8_iiii.uses_flat_scratch, 0
	.set _ZL9moe_vec_qIN3c104HalfELi256ELi8E11block_iq3_sLi1EXadL_ZL18vec_dot_iq3_s_q8_1PKvPK10block_q8_1RKiEEEvS4_S4_PT_PS8_iiii.has_dyn_sized_stack, 0
	.set _ZL9moe_vec_qIN3c104HalfELi256ELi8E11block_iq3_sLi1EXadL_ZL18vec_dot_iq3_s_q8_1PKvPK10block_q8_1RKiEEEvS4_S4_PT_PS8_iiii.has_recursion, 0
	.set _ZL9moe_vec_qIN3c104HalfELi256ELi8E11block_iq3_sLi1EXadL_ZL18vec_dot_iq3_s_q8_1PKvPK10block_q8_1RKiEEEvS4_S4_PT_PS8_iiii.has_indirect_call, 0
	.section	.AMDGPU.csdata,"",@progbits
; Kernel info:
; codeLenInByte = 1940
; TotalNumSgprs: 22
; NumVgprs: 47
; ScratchSize: 0
; MemoryBound: 0
; FloatMode: 240
; IeeeMode: 1
; LDSByteSize: 0 bytes/workgroup (compile time only)
; SGPRBlocks: 0
; VGPRBlocks: 5
; NumSGPRsForWavesPerEU: 22
; NumVGPRsForWavesPerEU: 47
; Occupancy: 16
; WaveLimiterHint : 1
; COMPUTE_PGM_RSRC2:SCRATCH_EN: 0
; COMPUTE_PGM_RSRC2:USER_SGPR: 2
; COMPUTE_PGM_RSRC2:TRAP_HANDLER: 0
; COMPUTE_PGM_RSRC2:TGID_X_EN: 1
; COMPUTE_PGM_RSRC2:TGID_Y_EN: 0
; COMPUTE_PGM_RSRC2:TGID_Z_EN: 1
; COMPUTE_PGM_RSRC2:TIDIG_COMP_CNT: 1
	.section	.text._ZL9moe_vec_qIN3c104HalfELi256ELi8E11block_iq2_sLi1EXadL_ZL18vec_dot_iq2_s_q8_1PKvPK10block_q8_1RKiEEEvS4_S4_PT_PS8_iiii,"axG",@progbits,_ZL9moe_vec_qIN3c104HalfELi256ELi8E11block_iq2_sLi1EXadL_ZL18vec_dot_iq2_s_q8_1PKvPK10block_q8_1RKiEEEvS4_S4_PT_PS8_iiii,comdat
	.globl	_ZL9moe_vec_qIN3c104HalfELi256ELi8E11block_iq2_sLi1EXadL_ZL18vec_dot_iq2_s_q8_1PKvPK10block_q8_1RKiEEEvS4_S4_PT_PS8_iiii ; -- Begin function _ZL9moe_vec_qIN3c104HalfELi256ELi8E11block_iq2_sLi1EXadL_ZL18vec_dot_iq2_s_q8_1PKvPK10block_q8_1RKiEEEvS4_S4_PT_PS8_iiii
	.p2align	8
	.type	_ZL9moe_vec_qIN3c104HalfELi256ELi8E11block_iq2_sLi1EXadL_ZL18vec_dot_iq2_s_q8_1PKvPK10block_q8_1RKiEEEvS4_S4_PT_PS8_iiii,@function
_ZL9moe_vec_qIN3c104HalfELi256ELi8E11block_iq2_sLi1EXadL_ZL18vec_dot_iq2_s_q8_1PKvPK10block_q8_1RKiEEEvS4_S4_PT_PS8_iiii: ; @_ZL9moe_vec_qIN3c104HalfELi256ELi8E11block_iq2_sLi1EXadL_ZL18vec_dot_iq2_s_q8_1PKvPK10block_q8_1RKiEEEvS4_S4_PT_PS8_iiii
; %bb.0:
	s_clause 0x1
	s_load_u16 s2, s[0:1], 0x3e
	s_load_b128 s[4:7], s[0:1], 0x20
	v_bfe_u32 v1, v0, 10, 10
	s_wait_kmcnt 0x0
	s_delay_alu instid0(VALU_DEP_1)
	v_mad_co_u64_u32 v[1:2], null, ttmp9, s2, v[1:2]
	s_mov_b32 s2, exec_lo
	v_cmpx_gt_u32_e64 s6, v1
	s_cbranch_execz .LBB272_7
; %bb.1:
	s_load_b64 s[2:3], s[0:1], 0x10
	s_ashr_i32 s8, s5, 31
	v_bfe_u32 v4, v0, 3, 7
	s_lshr_b32 s8, s8, 24
	v_dual_mov_b32 v5, 0 :: v_dual_and_b32 v0, 0x3ff, v0
	s_add_co_i32 s5, s5, s8
	s_lshr_b32 s10, ttmp7, 16
	s_ashr_i32 s11, s5, 8
	s_mov_b32 s12, exec_lo
	v_cmpx_gt_u32_e64 s11, v4
	s_cbranch_execz .LBB272_5
; %bb.2:
	s_clause 0x1
	s_load_b64 s[8:9], s[0:1], 0x18
	s_load_b128 s[16:19], s[0:1], 0x0
	s_cvt_f32_u32 s5, s4
	s_lshl_b32 s13, s10, 2
	s_mul_i32 s1, s11, s6
	v_dual_mov_b32 v5, 0 :: v_dual_and_b32 v6, 7, v0
	v_rcp_iflag_f32_e32 v2, s5
	v_mul_lo_u32 v7, v1, s11
	v_lshlrev_b32_e32 v9, 3, v4
	s_delay_alu instid0(VALU_DEP_3) | instskip(NEXT) | instid1(TRANS32_DEP_1)
	v_lshlrev_b32_e32 v8, 2, v6
	v_readfirstlane_b32 s5, v2
	s_wait_kmcnt 0x0
	s_load_b32 s8, s[8:9], s13 offset:0x0
	s_sub_co_i32 s9, 0, s4
	s_mul_f32 s5, s5, 0x4f7ffffe
	s_wait_alu 0xfffe
	s_delay_alu instid0(SALU_CYCLE_2) | instskip(SKIP_1) | instid1(SALU_CYCLE_2)
	s_cvt_u32_f32 s5, s5
	s_wait_alu 0xfffe
	s_mul_i32 s9, s9, s5
	s_delay_alu instid0(SALU_CYCLE_1) | instskip(NEXT) | instid1(SALU_CYCLE_1)
	s_mul_hi_u32 s9, s5, s9
	s_add_co_i32 s5, s5, s9
	s_wait_alu 0xfffe
	s_mul_hi_u32 s0, s10, s5
	s_wait_alu 0xfffe
	s_mul_i32 s5, s0, s4
	s_add_co_i32 s13, s0, 1
	s_wait_alu 0xfffe
	s_sub_co_i32 s5, s10, s5
	s_wait_kmcnt 0x0
	s_mul_i32 s8, s1, s8
	s_wait_alu 0xfffe
	s_sub_co_i32 s1, s5, s4
	s_ashr_i32 s9, s8, 31
	s_cmp_ge_u32 s5, s4
	s_mul_u64 s[8:9], s[8:9], 0x52
	s_cselect_b32 s0, s13, s0
	s_wait_alu 0xfffe
	s_cselect_b32 s1, s1, s5
	s_add_co_i32 s5, s0, 1
	s_wait_alu 0xfffe
	s_cmp_ge_u32 s1, s4
	s_mov_b32 s1, 0
	s_cselect_b32 s0, s5, s0
	s_wait_alu 0xfffe
	s_mul_i32 s0, s0, s7
	s_wait_alu 0xfffe
	s_lshl_b64 s[4:5], s[0:1], 2
	s_wait_alu 0xfffe
	s_add_nc_u64 s[4:5], s[18:19], s[4:5]
	s_wait_alu 0xfffe
	v_mad_co_u64_u32 v[2:3], null, v6, 36, s[4:5]
	s_add_nc_u64 s[4:5], s[16:17], s[8:9]
	s_getpc_b64 s[8:9]
	s_sext_i32_i16 s9, s9
	s_add_co_u32 s8, s8, _ZL9iq2s_grid@rel32@lo+8
	s_add_co_ci_u32 s9, s9, _ZL9iq2s_grid@rel32@hi+16
.LBB272_3:                              ; =>This Inner Loop Header: Depth=1
	v_add_nc_u32_e32 v10, v7, v4
	v_mad_co_i64_i32 v[22:23], null, v9, 36, v[2:3]
	v_add_nc_u32_e32 v4, 4, v4
	v_add_nc_u32_e32 v9, 32, v9
	s_wait_alu 0xfffe
	v_mad_co_i64_i32 v[18:19], null, 0x52, v10, s[4:5]
	s_delay_alu instid0(VALU_DEP_1) | instskip(SKIP_1) | instid1(VALU_DEP_2)
	v_add_co_u32 v20, vcc_lo, v18, v8
	s_wait_alu 0xfffd
	v_add_co_ci_u32_e64 v21, null, 0, v19, vcc_lo
	v_add_co_u32 v10, vcc_lo, v18, v6
	s_wait_alu 0xfffd
	v_add_co_ci_u32_e64 v11, null, 0, v19, vcc_lo
	s_clause 0x2
	global_load_b32 v24, v[20:21], off offset:2
	global_load_u8 v25, v[10:11], off offset:66
	global_load_u8 v30, v[10:11], off offset:74
	s_clause 0x1
	global_load_b128 v[10:13], v[22:23], off offset:4
	global_load_b128 v[14:17], v[22:23], off offset:20
	global_load_b32 v31, v[20:21], off offset:34
	s_wait_loadcnt 0x5
	v_and_b32_e32 v21, 0xff, v24
	s_wait_loadcnt 0x4
	v_lshlrev_b32_e32 v26, 8, v25
	v_bfe_u32 v27, v24, 8, 8
	v_lshlrev_b32_e32 v28, 6, v25
	v_lshrrev_b32_e32 v20, 24, v24
	v_bfe_u32 v24, v24, 16, 8
	v_lshlrev_b32_e32 v29, 4, v25
	v_lshlrev_b32_e32 v25, 2, v25
	v_and_or_b32 v21, 0x300, v26, v21
	v_and_or_b32 v26, 0x300, v28, v27
	s_wait_loadcnt 0x1
	v_perm_b32 v32, v14, v15, 0xc0c0400
	v_and_or_b32 v24, 0x300, v29, v24
	v_and_or_b32 v20, 0x300, v25, v20
	v_lshlrev_b32_e32 v21, 3, v21
	v_lshlrev_b32_e32 v25, 3, v26
	v_perm_b32 v33, v17, v16, 0x4000c0c
	v_lshlrev_b32_e32 v26, 3, v24
	v_lshlrev_b32_e32 v28, 3, v20
	s_clause 0x3
	global_load_b64 v[20:21], v21, s[8:9]
	global_load_b64 v[24:25], v25, s[8:9]
	;; [unrolled: 1-line block ×4, first 2 shown]
	global_load_b32 v22, v[22:23], off
	global_load_u16 v18, v[18:19], off
	v_perm_b32 v19, v14, v15, 0xc0c0602
	v_perm_b32 v23, v17, v16, 0x6020c0c
	;; [unrolled: 1-line block ×14, first 2 shown]
	v_or_b32_e32 v13, v23, v19
	v_or_b32_e32 v19, v33, v32
	s_wait_loadcnt 0x6
	v_and_b32_e32 v32, 15, v31
	v_or_b32_e32 v14, v15, v14
	v_or_b32_e32 v15, v17, v16
	;; [unrolled: 1-line block ×4, first 2 shown]
	v_mul_lo_u32 v32, 0x1010101, v32
	v_bfe_u32 v36, v31, 20, 4
	v_or_b32_e32 v10, v11, v10
	v_lshrrev_b32_e32 v11, 8, v31
	v_lshrrev_b32_e32 v23, 24, v31
	v_lshrrev_b16 v33, 4, v31
	v_mul_lo_u32 v36, 0x1010101, v36
	v_lshrrev_b16 v37, 4, v30
	v_not_b32_e32 v32, v32
	v_lshrrev_b16 v23, 4, v23
	v_and_b32_e32 v33, 15, v33
	v_lshrrev_b16 v11, 4, v11
	v_and_b32_e32 v30, 15, v30
	v_and_b32_e32 v38, 0x8040201, v32
	;; [unrolled: 1-line block ×5, first 2 shown]
	v_not_b32_e32 v36, v36
	v_cmp_gt_u32_e32 vcc_lo, 0x1000000, v38
	v_and_b32_e32 v33, 0xffff, v33
	v_and_b32_e32 v23, 0xffff, v23
	;; [unrolled: 1-line block ×4, first 2 shown]
	s_wait_alu 0xfffd
	v_cndmask_b32_e64 v38, 0, -1, vcc_lo
	v_cmp_eq_u32_e32 vcc_lo, 0, v39
	v_and_b32_e32 v48, 0x40000, v36
	v_and_b32_e32 v49, 0x200, v36
	;; [unrolled: 1-line block ×3, first 2 shown]
	v_mul_lo_u32 v33, 0x1010101, v33
	s_wait_alu 0xfffd
	v_cndmask_b32_e64 v39, 0, 0xff0000, vcc_lo
	v_cmp_eq_u32_e32 vcc_lo, 0, v40
	v_mul_lo_u32 v23, 0x1010101, v23
	v_and_b32_e32 v11, 0xffff, v11
	v_lshlrev_b32_e32 v38, 24, v38
	s_wait_alu 0xfffd
	v_cndmask_b32_e64 v40, 0, 0xff00, vcc_lo
	v_cmp_eq_u32_e32 vcc_lo, 0, v32
	v_not_b32_e32 v33, v33
	v_mul_lo_u32 v11, 0x1010101, v11
	v_not_b32_e32 v23, v23
	s_wait_alu 0xfffd
	v_cndmask_b32_e64 v32, 0, 0xff, vcc_lo
	v_and_b32_e32 v54, 0x8040201, v33
	v_and_b32_e32 v55, 0x40000, v33
	;; [unrolled: 1-line block ×7, first 2 shown]
	v_not_b32_e32 v11, v11
	v_and_b32_e32 v23, 1, v23
	v_or_b32_e32 v53, v40, v32
	s_delay_alu instid0(VALU_DEP_3)
	v_and_b32_e32 v64, 0x8040201, v11
	v_and_b32_e32 v66, 0x200, v11
	;; [unrolled: 1-line block ×4, first 2 shown]
	v_or3_b32 v53, v53, v39, v38
	s_wait_loadcnt 0x5
	s_delay_alu instid0(VALU_DEP_1)
	v_xor_b32_e32 v20, v53, v20
	s_wait_loadcnt 0x1
	v_cvt_f32_f16_e32 v12, v22
	v_or_b32_e32 v22, v35, v34
	v_bfe_u32 v34, v31, 8, 4
	v_bfe_u32 v35, v31, 16, 4
	;; [unrolled: 1-line block ×3, first 2 shown]
	v_sub_nc_u32_e32 v38, v20, v38
	v_sub_nc_u32_e32 v39, v20, v39
	v_mul_lo_u32 v34, 0x1010101, v34
	v_mul_lo_u32 v35, 0x1010101, v35
	;; [unrolled: 1-line block ×3, first 2 shown]
	v_sub_nc_u32_e32 v40, v20, v40
	v_sub_nc_u32_e32 v20, v20, v32
	v_not_b32_e32 v34, v34
	v_not_b32_e32 v35, v35
	v_not_b32_e32 v31, v31
	s_delay_alu instid0(VALU_DEP_3)
	v_and_b32_e32 v41, 0x8040201, v34
	v_and_b32_e32 v42, 0x40000, v34
	;; [unrolled: 1-line block ×5, first 2 shown]
	v_cmp_gt_u32_e32 vcc_lo, 0x1000000, v41
	v_and_b32_e32 v45, 0x40000, v35
	v_and_b32_e32 v46, 0x200, v35
	;; [unrolled: 1-line block ×4, first 2 shown]
	s_wait_alu 0xfffd
	v_cndmask_b32_e64 v41, 0, -1, vcc_lo
	v_cmp_eq_u32_e32 vcc_lo, 0, v42
	v_and_b32_e32 v51, 0x40000, v31
	v_and_b32_e32 v52, 0x200, v31
	;; [unrolled: 1-line block ×3, first 2 shown]
	v_lshlrev_b32_e32 v41, 24, v41
	s_wait_alu 0xfffd
	v_cndmask_b32_e64 v42, 0, 0xff0000, vcc_lo
	v_cmp_eq_u32_e32 vcc_lo, 0, v43
	s_wait_alu 0xfffd
	v_cndmask_b32_e64 v43, 0, 0xff00, vcc_lo
	v_cmp_eq_u32_e32 vcc_lo, 0, v34
	s_wait_alu 0xfffd
	v_cndmask_b32_e64 v34, 0, 0xff, vcc_lo
	v_cmp_gt_u32_e32 vcc_lo, 0x1000000, v44
	s_delay_alu instid0(VALU_DEP_2) | instskip(SKIP_3) | instid1(VALU_DEP_3)
	v_or_b32_e32 v57, v43, v34
	s_wait_alu 0xfffd
	v_cndmask_b32_e64 v44, 0, -1, vcc_lo
	v_cmp_eq_u32_e32 vcc_lo, 0, v45
	v_or3_b32 v57, v57, v42, v41
	s_delay_alu instid0(VALU_DEP_3)
	v_lshlrev_b32_e32 v44, 24, v44
	s_wait_alu 0xfffd
	v_cndmask_b32_e64 v45, 0, 0xff0000, vcc_lo
	v_cmp_eq_u32_e32 vcc_lo, 0, v46
	v_xor_b32_e32 v24, v57, v24
	s_wait_alu 0xfffd
	v_cndmask_b32_e64 v46, 0, 0xff00, vcc_lo
	v_cmp_eq_u32_e32 vcc_lo, 0, v35
	s_wait_alu 0xfffd
	v_cndmask_b32_e64 v35, 0, 0xff, vcc_lo
	v_cmp_gt_u32_e32 vcc_lo, 0x1000000, v47
	s_delay_alu instid0(VALU_DEP_2) | instskip(SKIP_3) | instid1(VALU_DEP_3)
	v_or_b32_e32 v58, v46, v35
	s_wait_alu 0xfffd
	v_cndmask_b32_e64 v47, 0, -1, vcc_lo
	v_cmp_eq_u32_e32 vcc_lo, 0, v48
	v_or3_b32 v58, v58, v45, v44
	s_delay_alu instid0(VALU_DEP_3)
	v_lshlrev_b32_e32 v47, 24, v47
	s_wait_alu 0xfffd
	v_cndmask_b32_e64 v48, 0, 0xff0000, vcc_lo
	v_cmp_eq_u32_e32 vcc_lo, 0, v49
	v_xor_b32_e32 v26, v58, v26
	;; [unrolled: 18-line block ×5, first 2 shown]
	s_wait_alu 0xfffd
	v_cndmask_b32_e64 v63, 0, 0xff00, vcc_lo
	v_cmp_eq_u32_e32 vcc_lo, 0, v23
	s_delay_alu instid0(VALU_DEP_3)
	v_sub_nc_u32_e32 v32, v21, v54
	v_sub_nc_u32_e32 v53, v21, v55
	;; [unrolled: 1-line block ×4, first 2 shown]
	s_wait_alu 0xfffd
	v_cndmask_b32_e64 v23, 0, 0xff, vcc_lo
	v_cmp_gt_u32_e32 vcc_lo, 0x1000000, v64
	v_sub_nc_u32_e32 v33, v24, v41
	v_sub_nc_u32_e32 v41, v24, v42
	;; [unrolled: 1-line block ×3, first 2 shown]
	v_or_b32_e32 v68, v63, v23
	s_wait_alu 0xfffd
	v_cndmask_b32_e64 v64, 0, -1, vcc_lo
	v_cmp_eq_u32_e32 vcc_lo, 0, v66
	v_sub_nc_u32_e32 v24, v24, v34
	v_or3_b32 v68, v68, v62, v61
	s_delay_alu instid0(VALU_DEP_4)
	v_lshlrev_b32_e32 v64, 24, v64
	s_wait_alu 0xfffd
	v_cndmask_b32_e64 v66, 0, 0xff00, vcc_lo
	v_cmp_eq_u32_e32 vcc_lo, 0, v11
	v_perm_b32 v41, v41, v24, 0xc060c00
	v_xor_b32_e32 v29, v68, v29
	s_wait_alu 0xfffd
	v_cndmask_b32_e64 v11, 0, 0xff, vcc_lo
	v_cmp_eq_u32_e32 vcc_lo, 0, v65
	s_delay_alu instid0(VALU_DEP_3) | instskip(NEXT) | instid1(VALU_DEP_3)
	v_sub_nc_u32_e32 v23, v29, v23
	v_or_b32_e32 v69, v66, v11
	s_wait_alu 0xfffd
	v_cndmask_b32_e64 v65, 0, 0xff0000, vcc_lo
	v_cmp_le_u32_e32 vcc_lo, s11, v4
	s_delay_alu instid0(VALU_DEP_2) | instskip(SKIP_1) | instid1(VALU_DEP_1)
	v_or3_b32 v69, v69, v65, v64
	s_or_b32 s1, vcc_lo, s1
	v_xor_b32_e32 v25, v69, v25
	s_delay_alu instid0(VALU_DEP_1)
	v_sub_nc_u32_e32 v34, v25, v64
	v_sub_nc_u32_e32 v43, v25, v65
	;; [unrolled: 1-line block ×19, first 2 shown]
	v_perm_b32 v44, v44, v26, 0xc060c00
	v_perm_b32 v46, v46, v27, 0xc060c00
	;; [unrolled: 1-line block ×21, first 2 shown]
	v_or_b32_e32 v23, v23, v26
	v_or_b32_e32 v25, v27, v25
	;; [unrolled: 1-line block ×3, first 2 shown]
	v_perm_b32 v27, v29, v39, 0xc0c0602
	v_perm_b32 v28, v43, v41, 0x6020c0c
	v_or_b32_e32 v11, v11, v20
	v_or_b32_e32 v20, v24, v21
	;; [unrolled: 1-line block ×4, first 2 shown]
	v_dot4_i32_iu8 v22, v25, v22, 0 neg_lo:[1,1,0]
	v_dot4_i32_iu8 v14, v26, v14, 0 neg_lo:[1,1,0]
	;; [unrolled: 1-line block ×3, first 2 shown]
	v_or_b32_e32 v23, v28, v27
	v_dot4_i32_iu8 v17, v20, v17, 0 neg_lo:[1,1,0]
	v_dot4_i32_iu8 v10, v21, v10, 0 neg_lo:[1,1,0]
	;; [unrolled: 1-line block ×3, first 2 shown]
	v_add_nc_u32_e32 v14, v14, v22
	v_cvt_f32_ubyte0_e32 v20, v37
	v_dot4_i32_iu8 v11, v11, v16, 0 neg_lo:[1,1,0]
	v_dot4_i32_iu8 v15, v23, v15, 0 neg_lo:[1,1,0]
	v_add_nc_u32_e32 v10, v10, v17
	v_add3_u32 v13, v19, v13, v14
	s_wait_loadcnt 0x0
	v_cvt_f32_f16_e32 v14, v18
	v_cvt_f32_ubyte0_e32 v16, v30
	v_add_f32_e32 v17, 0.5, v20
	v_add3_u32 v10, v11, v15, v10
	v_cvt_f32_i32_e32 v11, v13
	v_mul_f32_e32 v12, v14, v12
	v_add_f32_e32 v13, 0.5, v16
	s_delay_alu instid0(VALU_DEP_4) | instskip(NEXT) | instid1(VALU_DEP_3)
	v_cvt_f32_i32_e32 v10, v10
	v_dual_mul_f32 v11, v17, v11 :: v_dual_mul_f32 v12, 0x3e800000, v12
	s_delay_alu instid0(VALU_DEP_1) | instskip(NEXT) | instid1(VALU_DEP_1)
	v_fmac_f32_e32 v11, v13, v10
	v_fmac_f32_e32 v5, v12, v11
	s_wait_alu 0xfffe
	s_and_not1_b32 exec_lo, exec_lo, s1
	s_cbranch_execnz .LBB272_3
; %bb.4:
	s_or_b32 exec_lo, exec_lo, s1
.LBB272_5:
	s_delay_alu instid0(SALU_CYCLE_1) | instskip(SKIP_1) | instid1(VALU_DEP_1)
	s_or_b32 exec_lo, exec_lo, s12
	v_mbcnt_lo_u32_b32 v2, -1, 0
	v_xor_b32_e32 v3, 16, v2
	v_xor_b32_e32 v4, 8, v2
	s_delay_alu instid0(VALU_DEP_2) | instskip(SKIP_2) | instid1(VALU_DEP_3)
	v_cmp_gt_i32_e32 vcc_lo, 32, v3
	s_wait_alu 0xfffd
	v_cndmask_b32_e32 v3, v2, v3, vcc_lo
	v_cmp_gt_i32_e32 vcc_lo, 32, v4
	s_wait_alu 0xfffd
	v_cndmask_b32_e32 v4, v2, v4, vcc_lo
	s_delay_alu instid0(VALU_DEP_1)
	v_lshlrev_b32_e32 v4, 2, v4
	v_lshlrev_b32_e32 v3, 2, v3
	ds_bpermute_b32 v3, v3, v5
	s_wait_dscnt 0x0
	v_add_f32_e32 v3, v5, v3
	v_xor_b32_e32 v5, 4, v2
	ds_bpermute_b32 v4, v4, v3
	v_cmp_gt_i32_e32 vcc_lo, 32, v5
	s_wait_alu 0xfffd
	v_cndmask_b32_e32 v5, v2, v5, vcc_lo
	s_delay_alu instid0(VALU_DEP_1) | instskip(SKIP_4) | instid1(VALU_DEP_1)
	v_lshlrev_b32_e32 v5, 2, v5
	s_wait_dscnt 0x0
	v_add_f32_e32 v3, v3, v4
	ds_bpermute_b32 v4, v5, v3
	v_xor_b32_e32 v5, 2, v2
	v_cmp_gt_i32_e32 vcc_lo, 32, v5
	s_wait_alu 0xfffd
	v_cndmask_b32_e32 v5, v2, v5, vcc_lo
	s_delay_alu instid0(VALU_DEP_1) | instskip(SKIP_4) | instid1(VALU_DEP_1)
	v_lshlrev_b32_e32 v5, 2, v5
	s_wait_dscnt 0x0
	v_add_f32_e32 v3, v3, v4
	ds_bpermute_b32 v4, v5, v3
	v_xor_b32_e32 v5, 1, v2
	v_cmp_gt_i32_e32 vcc_lo, 32, v5
	s_wait_alu 0xfffd
	v_cndmask_b32_e32 v5, v2, v5, vcc_lo
	v_cmp_eq_u32_e32 vcc_lo, 0, v0
	s_wait_dscnt 0x0
	s_delay_alu instid0(VALU_DEP_2)
	v_dual_add_f32 v2, v3, v4 :: v_dual_lshlrev_b32 v3, 2, v5
	ds_bpermute_b32 v3, v3, v2
	s_and_b32 exec_lo, exec_lo, vcc_lo
	s_cbranch_execz .LBB272_7
; %bb.6:
	v_mad_co_u64_u32 v[0:1], null, s6, s10, v[1:2]
	s_wait_dscnt 0x0
	v_dual_mov_b32 v1, 0 :: v_dual_add_f32 v2, v2, v3
	s_delay_alu instid0(VALU_DEP_1) | instskip(NEXT) | instid1(VALU_DEP_2)
	v_cvt_f16_f32_e32 v2, v2
	v_lshlrev_b64_e32 v[0:1], 1, v[0:1]
	s_wait_kmcnt 0x0
	s_delay_alu instid0(VALU_DEP_1) | instskip(SKIP_1) | instid1(VALU_DEP_2)
	v_add_co_u32 v0, vcc_lo, s2, v0
	s_wait_alu 0xfffd
	v_add_co_ci_u32_e64 v1, null, s3, v1, vcc_lo
	global_store_b16 v[0:1], v2, off
.LBB272_7:
	s_endpgm
	.section	.rodata,"a",@progbits
	.p2align	6, 0x0
	.amdhsa_kernel _ZL9moe_vec_qIN3c104HalfELi256ELi8E11block_iq2_sLi1EXadL_ZL18vec_dot_iq2_s_q8_1PKvPK10block_q8_1RKiEEEvS4_S4_PT_PS8_iiii
		.amdhsa_group_segment_fixed_size 0
		.amdhsa_private_segment_fixed_size 0
		.amdhsa_kernarg_size 304
		.amdhsa_user_sgpr_count 2
		.amdhsa_user_sgpr_dispatch_ptr 0
		.amdhsa_user_sgpr_queue_ptr 0
		.amdhsa_user_sgpr_kernarg_segment_ptr 1
		.amdhsa_user_sgpr_dispatch_id 0
		.amdhsa_user_sgpr_private_segment_size 0
		.amdhsa_wavefront_size32 1
		.amdhsa_uses_dynamic_stack 0
		.amdhsa_enable_private_segment 0
		.amdhsa_system_sgpr_workgroup_id_x 1
		.amdhsa_system_sgpr_workgroup_id_y 0
		.amdhsa_system_sgpr_workgroup_id_z 1
		.amdhsa_system_sgpr_workgroup_info 0
		.amdhsa_system_vgpr_workitem_id 1
		.amdhsa_next_free_vgpr 70
		.amdhsa_next_free_sgpr 20
		.amdhsa_reserve_vcc 1
		.amdhsa_float_round_mode_32 0
		.amdhsa_float_round_mode_16_64 0
		.amdhsa_float_denorm_mode_32 3
		.amdhsa_float_denorm_mode_16_64 3
		.amdhsa_fp16_overflow 0
		.amdhsa_workgroup_processor_mode 1
		.amdhsa_memory_ordered 1
		.amdhsa_forward_progress 1
		.amdhsa_inst_pref_size 26
		.amdhsa_round_robin_scheduling 0
		.amdhsa_exception_fp_ieee_invalid_op 0
		.amdhsa_exception_fp_denorm_src 0
		.amdhsa_exception_fp_ieee_div_zero 0
		.amdhsa_exception_fp_ieee_overflow 0
		.amdhsa_exception_fp_ieee_underflow 0
		.amdhsa_exception_fp_ieee_inexact 0
		.amdhsa_exception_int_div_zero 0
	.end_amdhsa_kernel
	.section	.text._ZL9moe_vec_qIN3c104HalfELi256ELi8E11block_iq2_sLi1EXadL_ZL18vec_dot_iq2_s_q8_1PKvPK10block_q8_1RKiEEEvS4_S4_PT_PS8_iiii,"axG",@progbits,_ZL9moe_vec_qIN3c104HalfELi256ELi8E11block_iq2_sLi1EXadL_ZL18vec_dot_iq2_s_q8_1PKvPK10block_q8_1RKiEEEvS4_S4_PT_PS8_iiii,comdat
.Lfunc_end272:
	.size	_ZL9moe_vec_qIN3c104HalfELi256ELi8E11block_iq2_sLi1EXadL_ZL18vec_dot_iq2_s_q8_1PKvPK10block_q8_1RKiEEEvS4_S4_PT_PS8_iiii, .Lfunc_end272-_ZL9moe_vec_qIN3c104HalfELi256ELi8E11block_iq2_sLi1EXadL_ZL18vec_dot_iq2_s_q8_1PKvPK10block_q8_1RKiEEEvS4_S4_PT_PS8_iiii
                                        ; -- End function
	.set _ZL9moe_vec_qIN3c104HalfELi256ELi8E11block_iq2_sLi1EXadL_ZL18vec_dot_iq2_s_q8_1PKvPK10block_q8_1RKiEEEvS4_S4_PT_PS8_iiii.num_vgpr, 70
	.set _ZL9moe_vec_qIN3c104HalfELi256ELi8E11block_iq2_sLi1EXadL_ZL18vec_dot_iq2_s_q8_1PKvPK10block_q8_1RKiEEEvS4_S4_PT_PS8_iiii.num_agpr, 0
	.set _ZL9moe_vec_qIN3c104HalfELi256ELi8E11block_iq2_sLi1EXadL_ZL18vec_dot_iq2_s_q8_1PKvPK10block_q8_1RKiEEEvS4_S4_PT_PS8_iiii.numbered_sgpr, 20
	.set _ZL9moe_vec_qIN3c104HalfELi256ELi8E11block_iq2_sLi1EXadL_ZL18vec_dot_iq2_s_q8_1PKvPK10block_q8_1RKiEEEvS4_S4_PT_PS8_iiii.num_named_barrier, 0
	.set _ZL9moe_vec_qIN3c104HalfELi256ELi8E11block_iq2_sLi1EXadL_ZL18vec_dot_iq2_s_q8_1PKvPK10block_q8_1RKiEEEvS4_S4_PT_PS8_iiii.private_seg_size, 0
	.set _ZL9moe_vec_qIN3c104HalfELi256ELi8E11block_iq2_sLi1EXadL_ZL18vec_dot_iq2_s_q8_1PKvPK10block_q8_1RKiEEEvS4_S4_PT_PS8_iiii.uses_vcc, 1
	.set _ZL9moe_vec_qIN3c104HalfELi256ELi8E11block_iq2_sLi1EXadL_ZL18vec_dot_iq2_s_q8_1PKvPK10block_q8_1RKiEEEvS4_S4_PT_PS8_iiii.uses_flat_scratch, 0
	.set _ZL9moe_vec_qIN3c104HalfELi256ELi8E11block_iq2_sLi1EXadL_ZL18vec_dot_iq2_s_q8_1PKvPK10block_q8_1RKiEEEvS4_S4_PT_PS8_iiii.has_dyn_sized_stack, 0
	.set _ZL9moe_vec_qIN3c104HalfELi256ELi8E11block_iq2_sLi1EXadL_ZL18vec_dot_iq2_s_q8_1PKvPK10block_q8_1RKiEEEvS4_S4_PT_PS8_iiii.has_recursion, 0
	.set _ZL9moe_vec_qIN3c104HalfELi256ELi8E11block_iq2_sLi1EXadL_ZL18vec_dot_iq2_s_q8_1PKvPK10block_q8_1RKiEEEvS4_S4_PT_PS8_iiii.has_indirect_call, 0
	.section	.AMDGPU.csdata,"",@progbits
; Kernel info:
; codeLenInByte = 3256
; TotalNumSgprs: 22
; NumVgprs: 70
; ScratchSize: 0
; MemoryBound: 0
; FloatMode: 240
; IeeeMode: 1
; LDSByteSize: 0 bytes/workgroup (compile time only)
; SGPRBlocks: 0
; VGPRBlocks: 8
; NumSGPRsForWavesPerEU: 22
; NumVGPRsForWavesPerEU: 70
; Occupancy: 16
; WaveLimiterHint : 1
; COMPUTE_PGM_RSRC2:SCRATCH_EN: 0
; COMPUTE_PGM_RSRC2:USER_SGPR: 2
; COMPUTE_PGM_RSRC2:TRAP_HANDLER: 0
; COMPUTE_PGM_RSRC2:TGID_X_EN: 1
; COMPUTE_PGM_RSRC2:TGID_Y_EN: 0
; COMPUTE_PGM_RSRC2:TGID_Z_EN: 1
; COMPUTE_PGM_RSRC2:TIDIG_COMP_CNT: 1
	.section	.text._ZL9moe_vec_qIN3c104HalfELi256ELi8E12block_iq4_xsLi1EXadL_ZL19vec_dot_iq4_xs_q8_1PKvPK10block_q8_1RKiEEEvS4_S4_PT_PS8_iiii,"axG",@progbits,_ZL9moe_vec_qIN3c104HalfELi256ELi8E12block_iq4_xsLi1EXadL_ZL19vec_dot_iq4_xs_q8_1PKvPK10block_q8_1RKiEEEvS4_S4_PT_PS8_iiii,comdat
	.globl	_ZL9moe_vec_qIN3c104HalfELi256ELi8E12block_iq4_xsLi1EXadL_ZL19vec_dot_iq4_xs_q8_1PKvPK10block_q8_1RKiEEEvS4_S4_PT_PS8_iiii ; -- Begin function _ZL9moe_vec_qIN3c104HalfELi256ELi8E12block_iq4_xsLi1EXadL_ZL19vec_dot_iq4_xs_q8_1PKvPK10block_q8_1RKiEEEvS4_S4_PT_PS8_iiii
	.p2align	8
	.type	_ZL9moe_vec_qIN3c104HalfELi256ELi8E12block_iq4_xsLi1EXadL_ZL19vec_dot_iq4_xs_q8_1PKvPK10block_q8_1RKiEEEvS4_S4_PT_PS8_iiii,@function
_ZL9moe_vec_qIN3c104HalfELi256ELi8E12block_iq4_xsLi1EXadL_ZL19vec_dot_iq4_xs_q8_1PKvPK10block_q8_1RKiEEEvS4_S4_PT_PS8_iiii: ; @_ZL9moe_vec_qIN3c104HalfELi256ELi8E12block_iq4_xsLi1EXadL_ZL19vec_dot_iq4_xs_q8_1PKvPK10block_q8_1RKiEEEvS4_S4_PT_PS8_iiii
; %bb.0:
	s_clause 0x1
	s_load_u16 s2, s[0:1], 0x3e
	s_load_b128 s[4:7], s[0:1], 0x20
	v_bfe_u32 v1, v0, 10, 10
	s_wait_kmcnt 0x0
	s_delay_alu instid0(VALU_DEP_1)
	v_mad_co_u64_u32 v[1:2], null, ttmp9, s2, v[1:2]
	s_mov_b32 s2, exec_lo
	v_cmpx_gt_u32_e64 s6, v1
	s_cbranch_execz .LBB273_7
; %bb.1:
	s_load_b64 s[8:9], s[0:1], 0x10
	s_ashr_i32 s2, s5, 31
	v_bfe_u32 v4, v0, 3, 7
	s_wait_alu 0xfffe
	s_lshr_b32 s2, s2, 24
	v_dual_mov_b32 v5, 0 :: v_dual_and_b32 v0, 0x3ff, v0
	s_wait_alu 0xfffe
	s_add_co_i32 s2, s5, s2
	s_lshr_b32 s10, ttmp7, 16
	s_wait_alu 0xfffe
	s_ashr_i32 s11, s2, 8
	s_mov_b32 s12, exec_lo
	v_cmpx_gt_u32_e64 s11, v4
	s_cbranch_execz .LBB273_5
; %bb.2:
	s_load_b64 s[2:3], s[0:1], 0x18
	s_cvt_f32_u32 s5, s4
	s_lshl_b32 s13, s10, 2
	s_mul_i32 s15, s11, s6
	v_and_b32_e32 v9, 7, v0
	v_rcp_iflag_f32_e32 v2, s5
	v_dual_mov_b32 v5, 0 :: v_dual_lshlrev_b32 v8, 2, v0
	v_mul_lo_u32 v6, v1, s11
	s_delay_alu instid0(VALU_DEP_3) | instskip(SKIP_3) | instid1(VALU_DEP_4)
	v_lshlrev_b32_e32 v11, 2, v9
	v_bfe_u32 v7, v0, 1, 2
	v_lshlrev_b32_e32 v10, 3, v4
	v_and_b32_e32 v8, 4, v8
	v_lshlrev_b32_e32 v11, 2, v11
	s_delay_alu instid0(TRANS32_DEP_1)
	v_readfirstlane_b32 s5, v2
	s_wait_kmcnt 0x0
	s_load_b32 s13, s[2:3], s13 offset:0x0
	s_mul_f32 s2, s5, 0x4f7ffffe
	s_sub_co_i32 s5, 0, s4
	s_wait_alu 0xfffe
	s_delay_alu instid0(SALU_CYCLE_1) | instskip(SKIP_1) | instid1(SALU_CYCLE_2)
	s_cvt_u32_f32 s14, s2
	s_load_b128 s[0:3], s[0:1], 0x0
	s_mul_i32 s5, s5, s14
	s_wait_alu 0xfffe
	s_mul_hi_u32 s16, s14, s5
	s_mov_b32 s5, 0
	s_add_co_i32 s14, s14, s16
	s_delay_alu instid0(SALU_CYCLE_1) | instskip(NEXT) | instid1(SALU_CYCLE_1)
	s_mul_hi_u32 s16, s10, s14
	s_mul_i32 s14, s16, s4
	s_add_co_i32 s17, s16, 1
	s_sub_co_i32 s18, s10, s14
	s_wait_kmcnt 0x0
	s_mul_i32 s14, s15, s13
	s_sub_co_i32 s13, s18, s4
	s_ashr_i32 s15, s14, 31
	s_cmp_ge_u32 s18, s4
	s_mul_u64 s[14:15], s[14:15], 0x88
	s_cselect_b32 s16, s17, s16
	s_cselect_b32 s13, s13, s18
	s_add_co_i32 s17, s16, 1
	s_cmp_ge_u32 s13, s4
	s_add_nc_u64 s[0:1], s[0:1], s[14:15]
	s_cselect_b32 s4, s17, s16
	s_wait_alu 0xfffe
	s_mul_i32 s4, s4, s7
	s_wait_alu 0xfffe
	s_lshl_b64 s[16:17], s[4:5], 2
	s_delay_alu instid0(SALU_CYCLE_1)
	s_add_nc_u64 s[2:3], s[2:3], s[16:17]
	s_wait_alu 0xfffe
	v_mad_co_u64_u32 v[2:3], null, v9, 36, s[2:3]
	v_lshlrev_b32_e32 v9, 1, v9
	s_getpc_b64 s[2:3]
	s_wait_alu 0xfffe
	s_sext_i32_i16 s3, s3
	s_add_co_u32 s2, s2, _ZL13kvalues_iq4nl@rel32@lo+12
	s_wait_alu 0xfffe
	s_add_co_ci_u32 s3, s3, _ZL13kvalues_iq4nl@rel32@hi+24
.LBB273_3:                              ; =>This Inner Loop Header: Depth=1
	v_add_nc_u32_e32 v12, v6, v4
	v_mad_co_i64_i32 v[20:21], null, v10, 36, v[2:3]
	v_add_nc_u32_e32 v4, 4, v4
	v_add_nc_u32_e32 v10, 32, v10
	s_delay_alu instid0(VALU_DEP_4) | instskip(NEXT) | instid1(VALU_DEP_1)
	v_mad_co_i64_i32 v[24:25], null, 0x88, v12, s[0:1]
	v_add_co_u32 v12, vcc_lo, v24, v11
	s_wait_alu 0xfffd
	s_delay_alu instid0(VALU_DEP_2)
	v_add_co_ci_u32_e64 v13, null, 0, v25, vcc_lo
	v_add_co_u32 v16, vcc_lo, v24, v7
	s_wait_alu 0xfffd
	v_add_co_ci_u32_e64 v17, null, 0, v25, vcc_lo
	s_clause 0x1
	global_load_b128 v[12:15], v[12:13], off offset:8
	global_load_u8 v26, v[16:17], off offset:4
	s_clause 0x2
	global_load_b32 v27, v[20:21], off
	global_load_b128 v[16:19], v[20:21], off offset:4
	global_load_b128 v[20:23], v[20:21], off offset:20
	global_load_b32 v24, v[24:25], off
	v_cmp_le_u32_e32 vcc_lo, s11, v4
	s_or_b32 s5, vcc_lo, s5
	s_wait_loadcnt 0x2
	v_perm_b32 v16, v16, v16, 0x3020001
	v_and_b32_e32 v28, 15, v12
	v_bfe_u32 v29, v12, 8, 4
	v_bfe_u32 v30, v12, 16, 4
	;; [unrolled: 1-line block ×5, first 2 shown]
	v_lshrrev_b32_e32 v32, 28, v12
	v_bfe_u32 v12, v12, 12, 4
	v_bfe_u32 v34, v13, 24, 4
	v_and_b32_e32 v35, 15, v13
	v_bfe_u32 v36, v13, 8, 4
	v_bfe_u32 v37, v13, 16, 4
	v_bfe_u32 v38, v13, 20, 4
	v_lshrrev_b32_e32 v39, 28, v13
	v_bfe_u32 v40, v13, 4, 4
	v_bfe_u32 v13, v13, 12, 4
	v_bfe_u32 v41, v14, 24, 4
	v_and_b32_e32 v42, 15, v14
	v_bfe_u32 v43, v14, 8, 4
	v_bfe_u32 v44, v14, 16, 4
	v_bfe_u32 v45, v14, 20, 4
	v_lshrrev_b32_e32 v46, 28, v14
	v_bfe_u32 v47, v14, 4, 4
	;; [unrolled: 8-line block ×3, first 2 shown]
	v_bfe_u32 v15, v15, 12, 4
	s_clause 0x1f
	global_load_i8 v28, v28, s[2:3]
	global_load_i8 v29, v29, s[2:3]
	;; [unrolled: 1-line block ×32, first 2 shown]
	s_wait_loadcnt 0x20
	v_lshrrev_b32_e32 v55, 16, v24
	v_perm_b32 v20, v20, v20, 0x3020001
	v_bfe_u32 v26, v26, v8, 4
	s_delay_alu instid0(VALU_DEP_3) | instskip(NEXT) | instid1(VALU_DEP_1)
	v_lshrrev_b32_e32 v55, v9, v55
	v_lshlrev_b32_e32 v55, 4, v55
	s_delay_alu instid0(VALU_DEP_1)
	v_and_or_b32 v26, v55, 48, v26
	s_wait_loadcnt 0x1e
	v_perm_b32 v28, v28, v29, 0xc0c0400
	s_wait_loadcnt 0x1b
	v_perm_b32 v12, v33, v12, 0xc0c0400
	;; [unrolled: 2-line block ×5, first 2 shown]
	v_or_b32_e32 v12, v29, v12
	s_wait_loadcnt 0x13
	v_perm_b32 v13, v13, v40, 0xc0c0400
	v_or_b32_e32 v25, v25, v28
	s_wait_loadcnt 0x11
	v_perm_b32 v32, v39, v38, 0x4000c0c
	s_wait_loadcnt 0x10
	v_perm_b32 v31, v34, v37, 0x4000c0c
	v_dot4_i32_iu8 v12, v20, v12, 0 neg_lo:[1,1,0]
	s_wait_loadcnt 0xe
	v_perm_b32 v33, v43, v42, 0xc0c0400
	v_dot4_i32_iu8 v16, v16, v25, 0 neg_lo:[1,1,0]
	v_or_b32_e32 v13, v32, v13
	s_wait_loadcnt 0xb
	v_perm_b32 v14, v14, v47, 0xc0c0400
	v_or_b32_e32 v28, v31, v30
	s_wait_loadcnt 0x9
	v_perm_b32 v35, v46, v45, 0x4000c0c
	s_wait_loadcnt 0x8
	v_perm_b32 v34, v41, v44, 0x4000c0c
	v_dot4_i32_iu8 v12, v21, v13, v12 neg_lo:[1,1,0]
	s_wait_loadcnt 0x6
	v_perm_b32 v36, v50, v49, 0xc0c0400
	v_dot4_i32_iu8 v16, v17, v28, v16 neg_lo:[1,1,0]
	v_or_b32_e32 v14, v35, v14
	v_or_b32_e32 v25, v34, v33
	s_wait_loadcnt 0x2
	v_perm_b32 v20, v53, v52, 0x4000c0c
	s_wait_loadcnt 0x1
	v_perm_b32 v37, v48, v51, 0x4000c0c
	;; [unrolled: 2-line block ×3, first 2 shown]
	v_subrev_nc_u32_e32 v13, 32, v26
	v_dot4_i32_iu8 v16, v18, v25, v16 neg_lo:[1,1,0]
	v_dot4_i32_iu8 v12, v22, v14, v12 neg_lo:[1,1,0]
	v_or_b32_e32 v17, v37, v36
	v_or_b32_e32 v15, v20, v15
	v_cvt_f32_f16_e32 v14, v24
	v_cvt_f32_i32_e32 v13, v13
	s_delay_alu instid0(VALU_DEP_4) | instskip(NEXT) | instid1(VALU_DEP_4)
	v_dot4_i32_iu8 v16, v19, v17, v16 neg_lo:[1,1,0]
	v_dot4_i32_iu8 v12, v23, v15, v12 neg_lo:[1,1,0]
	v_cvt_f32_f16_e32 v15, v27
	s_delay_alu instid0(VALU_DEP_2) | instskip(NEXT) | instid1(VALU_DEP_1)
	v_dual_mul_f32 v13, v14, v13 :: v_dual_add_nc_u32 v12, v12, v16
	v_mul_f32_e32 v13, v13, v15
	s_delay_alu instid0(VALU_DEP_2) | instskip(NEXT) | instid1(VALU_DEP_1)
	v_cvt_f32_i32_e32 v12, v12
	v_fmac_f32_e32 v5, v13, v12
	s_wait_alu 0xfffe
	s_and_not1_b32 exec_lo, exec_lo, s5
	s_cbranch_execnz .LBB273_3
; %bb.4:
	s_or_b32 exec_lo, exec_lo, s5
.LBB273_5:
	s_delay_alu instid0(SALU_CYCLE_1) | instskip(SKIP_1) | instid1(VALU_DEP_1)
	s_or_b32 exec_lo, exec_lo, s12
	v_mbcnt_lo_u32_b32 v2, -1, 0
	v_xor_b32_e32 v3, 16, v2
	v_xor_b32_e32 v4, 8, v2
	s_delay_alu instid0(VALU_DEP_2) | instskip(SKIP_2) | instid1(VALU_DEP_3)
	v_cmp_gt_i32_e32 vcc_lo, 32, v3
	s_wait_alu 0xfffd
	v_cndmask_b32_e32 v3, v2, v3, vcc_lo
	v_cmp_gt_i32_e32 vcc_lo, 32, v4
	s_wait_alu 0xfffd
	v_cndmask_b32_e32 v4, v2, v4, vcc_lo
	s_delay_alu instid0(VALU_DEP_1)
	v_lshlrev_b32_e32 v4, 2, v4
	v_lshlrev_b32_e32 v3, 2, v3
	ds_bpermute_b32 v3, v3, v5
	s_wait_dscnt 0x0
	v_add_f32_e32 v3, v5, v3
	v_xor_b32_e32 v5, 4, v2
	ds_bpermute_b32 v4, v4, v3
	v_cmp_gt_i32_e32 vcc_lo, 32, v5
	s_wait_alu 0xfffd
	v_cndmask_b32_e32 v5, v2, v5, vcc_lo
	s_delay_alu instid0(VALU_DEP_1) | instskip(SKIP_4) | instid1(VALU_DEP_1)
	v_lshlrev_b32_e32 v5, 2, v5
	s_wait_dscnt 0x0
	v_add_f32_e32 v3, v3, v4
	ds_bpermute_b32 v4, v5, v3
	v_xor_b32_e32 v5, 2, v2
	v_cmp_gt_i32_e32 vcc_lo, 32, v5
	s_wait_alu 0xfffd
	v_cndmask_b32_e32 v5, v2, v5, vcc_lo
	s_delay_alu instid0(VALU_DEP_1) | instskip(SKIP_4) | instid1(VALU_DEP_1)
	v_lshlrev_b32_e32 v5, 2, v5
	s_wait_dscnt 0x0
	v_add_f32_e32 v3, v3, v4
	ds_bpermute_b32 v4, v5, v3
	v_xor_b32_e32 v5, 1, v2
	v_cmp_gt_i32_e32 vcc_lo, 32, v5
	s_wait_alu 0xfffd
	v_cndmask_b32_e32 v5, v2, v5, vcc_lo
	v_cmp_eq_u32_e32 vcc_lo, 0, v0
	s_wait_dscnt 0x0
	s_delay_alu instid0(VALU_DEP_2)
	v_dual_add_f32 v2, v3, v4 :: v_dual_lshlrev_b32 v3, 2, v5
	ds_bpermute_b32 v3, v3, v2
	s_and_b32 exec_lo, exec_lo, vcc_lo
	s_cbranch_execz .LBB273_7
; %bb.6:
	v_mad_co_u64_u32 v[0:1], null, s6, s10, v[1:2]
	s_wait_dscnt 0x0
	v_dual_mov_b32 v1, 0 :: v_dual_add_f32 v2, v2, v3
	s_delay_alu instid0(VALU_DEP_1) | instskip(NEXT) | instid1(VALU_DEP_2)
	v_cvt_f16_f32_e32 v2, v2
	v_lshlrev_b64_e32 v[0:1], 1, v[0:1]
	s_wait_kmcnt 0x0
	s_delay_alu instid0(VALU_DEP_1) | instskip(SKIP_1) | instid1(VALU_DEP_2)
	v_add_co_u32 v0, vcc_lo, s8, v0
	s_wait_alu 0xfffd
	v_add_co_ci_u32_e64 v1, null, s9, v1, vcc_lo
	global_store_b16 v[0:1], v2, off
.LBB273_7:
	s_endpgm
	.section	.rodata,"a",@progbits
	.p2align	6, 0x0
	.amdhsa_kernel _ZL9moe_vec_qIN3c104HalfELi256ELi8E12block_iq4_xsLi1EXadL_ZL19vec_dot_iq4_xs_q8_1PKvPK10block_q8_1RKiEEEvS4_S4_PT_PS8_iiii
		.amdhsa_group_segment_fixed_size 0
		.amdhsa_private_segment_fixed_size 0
		.amdhsa_kernarg_size 304
		.amdhsa_user_sgpr_count 2
		.amdhsa_user_sgpr_dispatch_ptr 0
		.amdhsa_user_sgpr_queue_ptr 0
		.amdhsa_user_sgpr_kernarg_segment_ptr 1
		.amdhsa_user_sgpr_dispatch_id 0
		.amdhsa_user_sgpr_private_segment_size 0
		.amdhsa_wavefront_size32 1
		.amdhsa_uses_dynamic_stack 0
		.amdhsa_enable_private_segment 0
		.amdhsa_system_sgpr_workgroup_id_x 1
		.amdhsa_system_sgpr_workgroup_id_y 0
		.amdhsa_system_sgpr_workgroup_id_z 1
		.amdhsa_system_sgpr_workgroup_info 0
		.amdhsa_system_vgpr_workitem_id 1
		.amdhsa_next_free_vgpr 56
		.amdhsa_next_free_sgpr 19
		.amdhsa_reserve_vcc 1
		.amdhsa_float_round_mode_32 0
		.amdhsa_float_round_mode_16_64 0
		.amdhsa_float_denorm_mode_32 3
		.amdhsa_float_denorm_mode_16_64 3
		.amdhsa_fp16_overflow 0
		.amdhsa_workgroup_processor_mode 1
		.amdhsa_memory_ordered 1
		.amdhsa_forward_progress 1
		.amdhsa_inst_pref_size 16
		.amdhsa_round_robin_scheduling 0
		.amdhsa_exception_fp_ieee_invalid_op 0
		.amdhsa_exception_fp_denorm_src 0
		.amdhsa_exception_fp_ieee_div_zero 0
		.amdhsa_exception_fp_ieee_overflow 0
		.amdhsa_exception_fp_ieee_underflow 0
		.amdhsa_exception_fp_ieee_inexact 0
		.amdhsa_exception_int_div_zero 0
	.end_amdhsa_kernel
	.section	.text._ZL9moe_vec_qIN3c104HalfELi256ELi8E12block_iq4_xsLi1EXadL_ZL19vec_dot_iq4_xs_q8_1PKvPK10block_q8_1RKiEEEvS4_S4_PT_PS8_iiii,"axG",@progbits,_ZL9moe_vec_qIN3c104HalfELi256ELi8E12block_iq4_xsLi1EXadL_ZL19vec_dot_iq4_xs_q8_1PKvPK10block_q8_1RKiEEEvS4_S4_PT_PS8_iiii,comdat
.Lfunc_end273:
	.size	_ZL9moe_vec_qIN3c104HalfELi256ELi8E12block_iq4_xsLi1EXadL_ZL19vec_dot_iq4_xs_q8_1PKvPK10block_q8_1RKiEEEvS4_S4_PT_PS8_iiii, .Lfunc_end273-_ZL9moe_vec_qIN3c104HalfELi256ELi8E12block_iq4_xsLi1EXadL_ZL19vec_dot_iq4_xs_q8_1PKvPK10block_q8_1RKiEEEvS4_S4_PT_PS8_iiii
                                        ; -- End function
	.set _ZL9moe_vec_qIN3c104HalfELi256ELi8E12block_iq4_xsLi1EXadL_ZL19vec_dot_iq4_xs_q8_1PKvPK10block_q8_1RKiEEEvS4_S4_PT_PS8_iiii.num_vgpr, 56
	.set _ZL9moe_vec_qIN3c104HalfELi256ELi8E12block_iq4_xsLi1EXadL_ZL19vec_dot_iq4_xs_q8_1PKvPK10block_q8_1RKiEEEvS4_S4_PT_PS8_iiii.num_agpr, 0
	.set _ZL9moe_vec_qIN3c104HalfELi256ELi8E12block_iq4_xsLi1EXadL_ZL19vec_dot_iq4_xs_q8_1PKvPK10block_q8_1RKiEEEvS4_S4_PT_PS8_iiii.numbered_sgpr, 19
	.set _ZL9moe_vec_qIN3c104HalfELi256ELi8E12block_iq4_xsLi1EXadL_ZL19vec_dot_iq4_xs_q8_1PKvPK10block_q8_1RKiEEEvS4_S4_PT_PS8_iiii.num_named_barrier, 0
	.set _ZL9moe_vec_qIN3c104HalfELi256ELi8E12block_iq4_xsLi1EXadL_ZL19vec_dot_iq4_xs_q8_1PKvPK10block_q8_1RKiEEEvS4_S4_PT_PS8_iiii.private_seg_size, 0
	.set _ZL9moe_vec_qIN3c104HalfELi256ELi8E12block_iq4_xsLi1EXadL_ZL19vec_dot_iq4_xs_q8_1PKvPK10block_q8_1RKiEEEvS4_S4_PT_PS8_iiii.uses_vcc, 1
	.set _ZL9moe_vec_qIN3c104HalfELi256ELi8E12block_iq4_xsLi1EXadL_ZL19vec_dot_iq4_xs_q8_1PKvPK10block_q8_1RKiEEEvS4_S4_PT_PS8_iiii.uses_flat_scratch, 0
	.set _ZL9moe_vec_qIN3c104HalfELi256ELi8E12block_iq4_xsLi1EXadL_ZL19vec_dot_iq4_xs_q8_1PKvPK10block_q8_1RKiEEEvS4_S4_PT_PS8_iiii.has_dyn_sized_stack, 0
	.set _ZL9moe_vec_qIN3c104HalfELi256ELi8E12block_iq4_xsLi1EXadL_ZL19vec_dot_iq4_xs_q8_1PKvPK10block_q8_1RKiEEEvS4_S4_PT_PS8_iiii.has_recursion, 0
	.set _ZL9moe_vec_qIN3c104HalfELi256ELi8E12block_iq4_xsLi1EXadL_ZL19vec_dot_iq4_xs_q8_1PKvPK10block_q8_1RKiEEEvS4_S4_PT_PS8_iiii.has_indirect_call, 0
	.section	.AMDGPU.csdata,"",@progbits
; Kernel info:
; codeLenInByte = 1984
; TotalNumSgprs: 21
; NumVgprs: 56
; ScratchSize: 0
; MemoryBound: 0
; FloatMode: 240
; IeeeMode: 1
; LDSByteSize: 0 bytes/workgroup (compile time only)
; SGPRBlocks: 0
; VGPRBlocks: 6
; NumSGPRsForWavesPerEU: 21
; NumVGPRsForWavesPerEU: 56
; Occupancy: 16
; WaveLimiterHint : 1
; COMPUTE_PGM_RSRC2:SCRATCH_EN: 0
; COMPUTE_PGM_RSRC2:USER_SGPR: 2
; COMPUTE_PGM_RSRC2:TRAP_HANDLER: 0
; COMPUTE_PGM_RSRC2:TGID_X_EN: 1
; COMPUTE_PGM_RSRC2:TGID_Y_EN: 0
; COMPUTE_PGM_RSRC2:TGID_Z_EN: 1
; COMPUTE_PGM_RSRC2:TIDIG_COMP_CNT: 1
	.section	.text._ZL9moe_vec_qIN3c104HalfELi256ELi8E11block_iq1_mLi1EXadL_ZL18vec_dot_iq1_m_q8_1PKvPK10block_q8_1RKiEEEvS4_S4_PT_PS8_iiii,"axG",@progbits,_ZL9moe_vec_qIN3c104HalfELi256ELi8E11block_iq1_mLi1EXadL_ZL18vec_dot_iq1_m_q8_1PKvPK10block_q8_1RKiEEEvS4_S4_PT_PS8_iiii,comdat
	.globl	_ZL9moe_vec_qIN3c104HalfELi256ELi8E11block_iq1_mLi1EXadL_ZL18vec_dot_iq1_m_q8_1PKvPK10block_q8_1RKiEEEvS4_S4_PT_PS8_iiii ; -- Begin function _ZL9moe_vec_qIN3c104HalfELi256ELi8E11block_iq1_mLi1EXadL_ZL18vec_dot_iq1_m_q8_1PKvPK10block_q8_1RKiEEEvS4_S4_PT_PS8_iiii
	.p2align	8
	.type	_ZL9moe_vec_qIN3c104HalfELi256ELi8E11block_iq1_mLi1EXadL_ZL18vec_dot_iq1_m_q8_1PKvPK10block_q8_1RKiEEEvS4_S4_PT_PS8_iiii,@function
_ZL9moe_vec_qIN3c104HalfELi256ELi8E11block_iq1_mLi1EXadL_ZL18vec_dot_iq1_m_q8_1PKvPK10block_q8_1RKiEEEvS4_S4_PT_PS8_iiii: ; @_ZL9moe_vec_qIN3c104HalfELi256ELi8E11block_iq1_mLi1EXadL_ZL18vec_dot_iq1_m_q8_1PKvPK10block_q8_1RKiEEEvS4_S4_PT_PS8_iiii
; %bb.0:
	s_clause 0x1
	s_load_u16 s2, s[0:1], 0x3e
	s_load_b128 s[4:7], s[0:1], 0x20
	v_bfe_u32 v1, v0, 10, 10
	s_wait_kmcnt 0x0
	s_delay_alu instid0(VALU_DEP_1)
	v_mad_co_u64_u32 v[1:2], null, ttmp9, s2, v[1:2]
	s_mov_b32 s2, exec_lo
	v_cmpx_gt_u32_e64 s6, v1
	s_cbranch_execz .LBB274_7
; %bb.1:
	s_load_b64 s[8:9], s[0:1], 0x10
	s_ashr_i32 s2, s5, 31
	v_bfe_u32 v4, v0, 3, 7
	s_wait_alu 0xfffe
	s_lshr_b32 s2, s2, 24
	v_dual_mov_b32 v5, 0 :: v_dual_and_b32 v0, 0x3ff, v0
	s_wait_alu 0xfffe
	s_add_co_i32 s2, s5, s2
	s_lshr_b32 s10, ttmp7, 16
	s_wait_alu 0xfffe
	s_ashr_i32 s11, s2, 8
	s_mov_b32 s12, exec_lo
	v_cmpx_gt_u32_e64 s11, v4
	s_cbranch_execz .LBB274_5
; %bb.2:
	s_load_b64 s[2:3], s[0:1], 0x18
	s_cvt_f32_u32 s5, s4
	s_lshl_b32 s13, s10, 2
	s_mul_i32 s15, s11, s6
	v_and_b32_e32 v8, 1, v0
	v_rcp_iflag_f32_e32 v2, s5
	v_dual_mov_b32 v5, 0 :: v_dual_and_b32 v10, 7, v0
	v_bfe_u32 v11, v0, 1, 2
	s_delay_alu instid0(VALU_DEP_3) | instskip(SKIP_1) | instid1(VALU_DEP_4)
	v_cmp_eq_u32_e32 vcc_lo, 1, v8
	v_mul_lo_u32 v6, v1, s11
	v_lshlrev_b32_e32 v7, 1, v10
	v_lshlrev_b32_e32 v9, 3, v4
	;; [unrolled: 1-line block ×3, first 2 shown]
	v_cndmask_b32_e64 v8, 0, 6, vcc_lo
	s_delay_alu instid0(TRANS32_DEP_1)
	v_readfirstlane_b32 s5, v2
	s_wait_kmcnt 0x0
	s_load_b32 s13, s[2:3], s13 offset:0x0
	s_mul_f32 s2, s5, 0x4f7ffffe
	s_sub_co_i32 s5, 0, s4
	s_wait_alu 0xfffe
	s_delay_alu instid0(SALU_CYCLE_1) | instskip(SKIP_1) | instid1(SALU_CYCLE_2)
	s_cvt_u32_f32 s14, s2
	s_load_b128 s[0:3], s[0:1], 0x0
	s_mul_i32 s5, s5, s14
	s_wait_alu 0xfffe
	s_mul_hi_u32 s16, s14, s5
	s_mov_b32 s5, 0
	s_add_co_i32 s14, s14, s16
	s_delay_alu instid0(SALU_CYCLE_1) | instskip(NEXT) | instid1(SALU_CYCLE_1)
	s_mul_hi_u32 s16, s10, s14
	s_mul_i32 s14, s16, s4
	s_add_co_i32 s17, s16, 1
	s_sub_co_i32 s18, s10, s14
	s_wait_kmcnt 0x0
	s_mul_i32 s14, s15, s13
	s_sub_co_i32 s13, s18, s4
	s_ashr_i32 s15, s14, 31
	s_cmp_ge_u32 s18, s4
	s_mul_u64 s[14:15], s[14:15], 56
	s_cselect_b32 s16, s17, s16
	s_cselect_b32 s13, s13, s18
	s_add_co_i32 s17, s16, 1
	s_cmp_ge_u32 s13, s4
	s_add_nc_u64 s[0:1], s[0:1], s[14:15]
	s_cselect_b32 s4, s17, s16
	s_wait_alu 0xfffe
	s_mul_i32 s4, s4, s7
	s_wait_alu 0xfffe
	s_lshl_b64 s[16:17], s[4:5], 2
	s_mov_b32 s4, 0xbd000000
	s_add_nc_u64 s[2:3], s[2:3], s[16:17]
	s_wait_alu 0xfffe
	v_mad_co_u64_u32 v[2:3], null, v10, 36, s[2:3]
	v_lshlrev_b32_e32 v10, 2, v10
	s_getpc_b64 s[2:3]
	s_wait_alu 0xfffe
	s_sext_i32_i16 s3, s3
	s_add_co_u32 s2, s2, _ZL13iq1s_grid_gpu@rel32@lo+12
	s_wait_alu 0xfffe
	s_add_co_ci_u32 s3, s3, _ZL13iq1s_grid_gpu@rel32@hi+24
.LBB274_3:                              ; =>This Inner Loop Header: Depth=1
	v_add_nc_u32_e32 v12, v6, v4
	v_mad_co_i64_i32 v[20:21], null, v9, 36, v[2:3]
	v_add_nc_u32_e32 v4, 4, v4
	v_add_nc_u32_e32 v9, 32, v9
	s_delay_alu instid0(VALU_DEP_4) | instskip(NEXT) | instid1(VALU_DEP_1)
	v_mad_co_i64_i32 v[16:17], null, v12, 56, s[0:1]
	v_add_co_u32 v12, vcc_lo, v16, v7
	s_wait_alu 0xfffd
	s_delay_alu instid0(VALU_DEP_2)
	v_add_co_ci_u32_e64 v13, null, 0, v17, vcc_lo
	v_add_co_u32 v14, vcc_lo, v16, v11
	s_wait_alu 0xfffd
	v_add_co_ci_u32_e64 v15, null, 0, v17, vcc_lo
	v_add_co_u32 v18, vcc_lo, v16, v10
	s_wait_alu 0xfffd
	v_add_co_ci_u32_e64 v19, null, 0, v17, vcc_lo
	s_clause 0x2
	global_load_u16 v24, v[14:15], off offset:48
	global_load_u16 v25, v[12:13], off offset:32
	global_load_b32 v18, v[18:19], off
	global_load_b128 v[12:15], v[20:21], off offset:20
	global_load_b64 v[22:23], v[16:17], off offset:48
	v_cmp_le_u32_e32 vcc_lo, s11, v4
	s_or_b32 s5, vcc_lo, s5
	s_wait_loadcnt 0x4
	v_lshrrev_b32_e32 v24, v8, v24
	s_wait_loadcnt 0x3
	v_lshrrev_b16 v29, 12, v25
	s_wait_loadcnt 0x1
	v_lshrrev_b16 v45, 8, v13
	v_lshrrev_b16 v47, 8, v15
	;; [unrolled: 1-line block ×3, first 2 shown]
	v_ashrrev_i32_e32 v48, 24, v12
	v_bfe_i32 v49, v12, 16, 8
	v_bfe_i32 v12, v12, 0, 8
	v_bfe_i32 v52, v14, 0, 8
	v_bfe_i32 v45, v45, 0, 8
	v_bfe_i32 v47, v47, 0, 8
	v_lshrrev_b16 v46, 8, v14
	v_ashrrev_i32_e32 v50, 24, v13
	v_bfe_i32 v51, v13, 16, 8
	v_bfe_i32 v13, v13, 0, 8
	v_ashrrev_i32_e32 v54, 24, v15
	v_bfe_i32 v55, v15, 16, 8
	v_bfe_i32 v15, v15, 0, 8
	v_add_nc_u32_e32 v57, v45, v12
	s_wait_loadcnt 0x0
	v_pk_lshrrev_b16 v22, 0x8000c, v22
	v_add_nc_u32_e32 v59, v47, v52
	v_bfe_i32 v44, v44, 0, 8
	v_bfe_i32 v46, v46, 0, 8
	v_add3_u32 v57, v57, v13, v51
	v_lshrrev_b32_e32 v60, 16, v22
	v_add3_u32 v59, v59, v15, v55
	v_ashrrev_i32_e32 v53, 24, v14
	v_bfe_i32 v14, v14, 16, 8
	v_pk_lshrrev_b16 v23, 4, v23
	v_and_b32_e32 v60, 0xf0, v60
	v_add3_u32 v57, v57, v50, v44
	v_add3_u32 v59, v59, v54, v46
	v_bfe_u32 v17, v18, 8, 8
	v_and_b32_e32 v23, 0xf0000f00, v23
	v_or_b32_e32 v22, v60, v22
	v_add3_u32 v57, v57, v49, v48
	v_add3_u32 v59, v59, v14, v53
	v_lshrrev_b16 v26, 4, v25
	v_bfe_u32 v19, v18, 16, 8
	v_lshrrev_b32_e32 v62, 16, v23
	v_or_b32_e32 v22, v22, v23
	v_cvt_f32_i32_e32 v23, v57
	v_cvt_f32_i32_e32 v57, v59
	v_and_b32_e32 v16, 0xff, v18
	v_alignbit_b32 v18, v29, v18, 24
	v_and_b32_e32 v29, 8, v29
	v_lshlrev_b32_e32 v27, 8, v25
	v_lshrrev_b16 v28, 8, v25
	v_lshlrev_b32_e32 v61, 1, v24
	v_and_b32_e32 v18, 0x7ff, v18
	v_cvt_f32_ubyte0_e32 v29, v29
	v_and_b32_e32 v30, 15, v26
	v_and_b32_e32 v26, 8, v26
	v_and_or_b32 v16, 0x700, v27, v16
	s_delay_alu instid0(VALU_DEP_4) | instskip(NEXT) | instid1(VALU_DEP_4)
	v_dual_fmaak_f32 v29, s4, v29, 0xbf600000 :: v_dual_lshlrev_b32 v18, 3, v18
	v_lshlrev_b32_e32 v30, 8, v30
	s_delay_alu instid0(VALU_DEP_4)
	v_cvt_f32_ubyte0_e32 v26, v26
	v_lshlrev_b32_e32 v27, 8, v28
	v_lshlrev_b32_e32 v16, 3, v16
	v_and_b32_e32 v61, 14, v61
	v_and_or_b32 v17, 0x700, v30, v17
	v_fmaak_f32 v26, s4, v26, 0xbf600000
	v_and_or_b32 v19, 0x700, v27, v19
	global_load_b32 v27, v16, s[2:3]
	v_or_b32_e32 v60, 1, v61
	v_lshlrev_b32_e32 v17, 3, v17
	v_and_b32_e32 v28, 8, v28
	v_lshlrev_b32_e32 v16, 3, v19
	s_clause 0x2
	global_load_b32 v30, v17, s[2:3]
	global_load_b32 v31, v16, s[2:3]
	;; [unrolled: 1-line block ×3, first 2 shown]
	s_clause 0x1
	global_load_b128 v[16:19], v[20:21], off offset:4
	global_load_b32 v20, v[20:21], off
	v_cvt_f32_ubyte0_e32 v28, v28
	v_lshrrev_b32_e32 v24, 2, v24
	s_delay_alu instid0(VALU_DEP_2) | instskip(NEXT) | instid1(VALU_DEP_2)
	v_fmaak_f32 v28, s4, v28, 0xbf600000
	v_and_b32_e32 v24, 14, v24
	s_delay_alu instid0(VALU_DEP_1)
	v_or_b32_e32 v24, 1, v24
	s_wait_loadcnt 0x5
	v_and_b32_e32 v61, 0xf0f0f0f, v27
	v_bfe_u32 v59, v27, 24, 4
	v_lshrrev_b32_e32 v63, 4, v27
	v_lshrrev_b32_e32 v64, 28, v27
	v_bfe_u32 v65, v27, 16, 4
	v_lshrrev_b16 v61, 8, v61
	v_and_b32_e32 v66, 15, v27
	s_wait_loadcnt 0x1
	v_lshrrev_b16 v21, 8, v16
	v_lshrrev_b16 v35, 8, v19
	v_ashrrev_i32_e32 v36, 24, v16
	v_bfe_i32 v37, v16, 16, 8
	v_bfe_i32 v16, v16, 0, 8
	;; [unrolled: 1-line block ×5, first 2 shown]
	v_lshrrev_b16 v33, 8, v17
	v_lshrrev_b16 v34, 8, v18
	v_ashrrev_i32_e32 v42, 24, v19
	v_bfe_i32 v43, v19, 16, 8
	v_bfe_i32 v19, v19, 0, 8
	v_add_nc_u32_e32 v56, v21, v16
	v_add_nc_u32_e32 v58, v35, v40
	v_ashrrev_i32_e32 v38, 24, v17
	v_bfe_i32 v39, v17, 16, 8
	v_bfe_i32 v17, v17, 0, 8
	;; [unrolled: 1-line block ×4, first 2 shown]
	v_add3_u32 v56, v56, v37, v36
	v_add3_u32 v58, v58, v19, v43
	v_ashrrev_i32_e32 v41, 24, v18
	v_bfe_i32 v18, v18, 16, 8
	v_bfe_u32 v67, v27, 20, 4
	v_add3_u32 v56, v56, v33, v17
	v_add3_u32 v58, v58, v42, v34
	v_bfe_u32 v27, v27, 4, 4
	v_lshrrev_b16 v63, 8, v63
	v_mul_i32_i24_e32 v36, v59, v36
	v_and_b32_e32 v59, 0xffff, v61
	v_bfe_u32 v61, v30, 24, 4
	v_lshrrev_b32_e32 v71, 4, v31
	v_add3_u32 v56, v56, v39, v38
	v_add3_u32 v58, v58, v18, v41
	v_mul_i32_i24_e32 v37, v65, v37
	v_mul_i32_i24_e32 v17, v27, v17
	;; [unrolled: 1-line block ×3, first 2 shown]
	v_and_b32_e32 v39, 15, v63
	v_and_b32_e32 v63, 0xf0f0f0f, v30
	v_lshrrev_b32_e32 v65, 28, v30
	v_bfe_u32 v76, v32, 24, 4
	v_and_b32_e32 v77, 0xf0f0f0f, v32
	v_lshrrev_b32_e32 v78, 4, v32
	v_lshrrev_b32_e32 v79, 28, v32
	v_and_b32_e32 v80, 15, v32
	v_bfe_u32 v81, v32, 16, 4
	v_bfe_u32 v82, v32, 20, 4
	;; [unrolled: 1-line block ×3, first 2 shown]
	v_mul_i32_i24_e32 v41, v41, v61
	v_lshrrev_b16 v61, 8, v71
	v_mul_i32_i24_e32 v16, v66, v16
	v_mul_i32_i24_e32 v38, v64, v38
	v_lshrrev_b32_e32 v64, 4, v30
	v_and_b32_e32 v66, 15, v30
	v_bfe_u32 v67, v30, 16, 4
	v_bfe_u32 v68, v30, 20, 4
	;; [unrolled: 1-line block ×3, first 2 shown]
	v_and_b32_e32 v70, 0xf0f0f0f, v31
	v_lshrrev_b16 v63, 8, v63
	v_mul_i32_i24_e32 v42, v65, v42
	v_lshrrev_b16 v65, 8, v78
	v_mul_i32_i24_e32 v15, v32, v15
	v_mul_i32_i24_e32 v32, v82, v55
	v_and_b32_e32 v55, 15, v61
	v_bfe_u32 v69, v31, 24, 4
	v_lshrrev_b32_e32 v72, 28, v31
	v_mul_i32_i24_e32 v19, v30, v19
	v_mul_i32_i24_e32 v30, v68, v43
	v_lshrrev_b16 v43, 8, v70
	v_and_b32_e32 v61, 0xffff, v63
	v_and_b32_e32 v63, 15, v65
	;; [unrolled: 1-line block ×3, first 2 shown]
	v_bfe_u32 v73, v31, 16, 4
	v_and_b32_e32 v74, 15, v31
	v_bfe_u32 v75, v31, 20, 4
	v_bfe_u32 v31, v31, 4, 4
	v_and_b32_e32 v39, 0xffff, v39
	v_lshrrev_b16 v64, 8, v64
	v_mul_i32_i24_e32 v48, v48, v69
	v_mul_i32_i24_e32 v50, v72, v50
	;; [unrolled: 1-line block ×3, first 2 shown]
	v_add3_u32 v27, v37, v27, v30
	v_add3_u32 v30, v36, v38, v42
	v_and_b32_e32 v36, 0xffff, v43
	v_and_b32_e32 v37, 0xffff, v63
	v_mul_i32_i24_e32 v38, v55, v45
	v_mul_i32_i24_e32 v12, v12, v74
	;; [unrolled: 1-line block ×5, first 2 shown]
	v_lshrrev_b16 v51, 8, v77
	v_mul_i32_i24_e32 v33, v39, v33
	v_and_b32_e32 v39, 15, v64
	v_add3_u32 v43, v48, v50, v54
	v_mul_i32_i24_e32 v37, v37, v47
	v_mad_i32_i24 v36, v44, v36, v38
	v_mul_i32_i24_e32 v14, v14, v81
	v_mul_i32_i24_e32 v53, v53, v76
	v_and_b32_e32 v42, 0xffff, v51
	v_and_b32_e32 v39, 0xffff, v39
	v_add3_u32 v31, v49, v31, v32
	v_add3_u32 v12, v12, v13, v15
	v_mad_i32_i24 v13, v59, v21, v33
	v_add3_u32 v21, v36, v37, v43
	v_mul_i32_i24_e32 v15, v39, v35
	v_add3_u32 v16, v16, v17, v19
	v_mad_i32_i24 v14, v52, v80, v14
	v_mad_i32_i24 v17, v46, v42, v53
	v_add3_u32 v12, v12, v31, v21
	v_add3_u32 v13, v13, v15, v30
	v_fma_f32 v15, v28, v23, 0
	v_mul_i32_i24_e32 v18, v18, v67
	v_cvt_f32_i32_e32 v56, v56
	v_add3_u32 v12, v14, v17, v12
	v_mad_i32_i24 v19, v34, v61, v41
	v_fmac_f32_e32 v15, v29, v57
	v_mad_i32_i24 v18, v40, v66, v18
	v_add3_u32 v13, v16, v27, v13
	v_cvt_f32_i32_e32 v12, v12
	v_and_b32_e32 v25, 8, v25
	v_cvt_f32_i32_e32 v14, v58
	v_cvt_f32_ubyte0_e32 v17, v24
	v_add3_u32 v13, v18, v19, v13
	v_add_f32_e32 v12, v15, v12
	v_cvt_f32_ubyte0_e32 v25, v25
	v_or_b32_e32 v18, v22, v62
	v_cvt_f32_ubyte0_e32 v15, v60
	v_cvt_f32_i32_e32 v13, v13
	v_mul_f32_e32 v12, v12, v17
	v_fmaak_f32 v25, s4, v25, 0xbf600000
	v_cvt_f32_f16_e32 v18, v18
	s_delay_alu instid0(VALU_DEP_2) | instskip(NEXT) | instid1(VALU_DEP_1)
	v_fma_f32 v16, v25, v56, 0
	v_fmac_f32_e32 v16, v26, v14
	s_wait_loadcnt 0x0
	v_cvt_f32_f16_e32 v14, v20
	s_delay_alu instid0(VALU_DEP_1) | instskip(NEXT) | instid1(VALU_DEP_1)
	v_dual_add_f32 v13, v16, v13 :: v_dual_mul_f32 v14, v14, v18
	v_fmac_f32_e32 v12, v13, v15
	s_delay_alu instid0(VALU_DEP_1)
	v_fmac_f32_e32 v5, v14, v12
	s_wait_alu 0xfffe
	s_and_not1_b32 exec_lo, exec_lo, s5
	s_cbranch_execnz .LBB274_3
; %bb.4:
	s_or_b32 exec_lo, exec_lo, s5
.LBB274_5:
	s_delay_alu instid0(SALU_CYCLE_1) | instskip(SKIP_1) | instid1(VALU_DEP_1)
	s_or_b32 exec_lo, exec_lo, s12
	v_mbcnt_lo_u32_b32 v2, -1, 0
	v_xor_b32_e32 v3, 16, v2
	v_xor_b32_e32 v4, 8, v2
	s_delay_alu instid0(VALU_DEP_2) | instskip(SKIP_2) | instid1(VALU_DEP_3)
	v_cmp_gt_i32_e32 vcc_lo, 32, v3
	s_wait_alu 0xfffd
	v_cndmask_b32_e32 v3, v2, v3, vcc_lo
	v_cmp_gt_i32_e32 vcc_lo, 32, v4
	s_wait_alu 0xfffd
	v_cndmask_b32_e32 v4, v2, v4, vcc_lo
	s_delay_alu instid0(VALU_DEP_1)
	v_lshlrev_b32_e32 v4, 2, v4
	v_lshlrev_b32_e32 v3, 2, v3
	ds_bpermute_b32 v3, v3, v5
	s_wait_dscnt 0x0
	v_add_f32_e32 v3, v5, v3
	v_xor_b32_e32 v5, 4, v2
	ds_bpermute_b32 v4, v4, v3
	v_cmp_gt_i32_e32 vcc_lo, 32, v5
	s_wait_alu 0xfffd
	v_cndmask_b32_e32 v5, v2, v5, vcc_lo
	s_delay_alu instid0(VALU_DEP_1) | instskip(SKIP_4) | instid1(VALU_DEP_1)
	v_lshlrev_b32_e32 v5, 2, v5
	s_wait_dscnt 0x0
	v_add_f32_e32 v3, v3, v4
	ds_bpermute_b32 v4, v5, v3
	v_xor_b32_e32 v5, 2, v2
	v_cmp_gt_i32_e32 vcc_lo, 32, v5
	s_wait_alu 0xfffd
	v_cndmask_b32_e32 v5, v2, v5, vcc_lo
	s_delay_alu instid0(VALU_DEP_1) | instskip(SKIP_4) | instid1(VALU_DEP_1)
	v_lshlrev_b32_e32 v5, 2, v5
	s_wait_dscnt 0x0
	v_add_f32_e32 v3, v3, v4
	ds_bpermute_b32 v4, v5, v3
	v_xor_b32_e32 v5, 1, v2
	v_cmp_gt_i32_e32 vcc_lo, 32, v5
	s_wait_alu 0xfffd
	v_cndmask_b32_e32 v5, v2, v5, vcc_lo
	v_cmp_eq_u32_e32 vcc_lo, 0, v0
	s_wait_dscnt 0x0
	s_delay_alu instid0(VALU_DEP_2)
	v_dual_add_f32 v2, v3, v4 :: v_dual_lshlrev_b32 v3, 2, v5
	ds_bpermute_b32 v3, v3, v2
	s_and_b32 exec_lo, exec_lo, vcc_lo
	s_cbranch_execz .LBB274_7
; %bb.6:
	v_mad_co_u64_u32 v[0:1], null, s6, s10, v[1:2]
	s_wait_dscnt 0x0
	v_dual_mov_b32 v1, 0 :: v_dual_add_f32 v2, v2, v3
	s_delay_alu instid0(VALU_DEP_1) | instskip(NEXT) | instid1(VALU_DEP_2)
	v_cvt_f16_f32_e32 v2, v2
	v_lshlrev_b64_e32 v[0:1], 1, v[0:1]
	s_wait_kmcnt 0x0
	s_delay_alu instid0(VALU_DEP_1) | instskip(SKIP_1) | instid1(VALU_DEP_2)
	v_add_co_u32 v0, vcc_lo, s8, v0
	s_wait_alu 0xfffd
	v_add_co_ci_u32_e64 v1, null, s9, v1, vcc_lo
	global_store_b16 v[0:1], v2, off
.LBB274_7:
	s_endpgm
	.section	.rodata,"a",@progbits
	.p2align	6, 0x0
	.amdhsa_kernel _ZL9moe_vec_qIN3c104HalfELi256ELi8E11block_iq1_mLi1EXadL_ZL18vec_dot_iq1_m_q8_1PKvPK10block_q8_1RKiEEEvS4_S4_PT_PS8_iiii
		.amdhsa_group_segment_fixed_size 0
		.amdhsa_private_segment_fixed_size 0
		.amdhsa_kernarg_size 304
		.amdhsa_user_sgpr_count 2
		.amdhsa_user_sgpr_dispatch_ptr 0
		.amdhsa_user_sgpr_queue_ptr 0
		.amdhsa_user_sgpr_kernarg_segment_ptr 1
		.amdhsa_user_sgpr_dispatch_id 0
		.amdhsa_user_sgpr_private_segment_size 0
		.amdhsa_wavefront_size32 1
		.amdhsa_uses_dynamic_stack 0
		.amdhsa_enable_private_segment 0
		.amdhsa_system_sgpr_workgroup_id_x 1
		.amdhsa_system_sgpr_workgroup_id_y 0
		.amdhsa_system_sgpr_workgroup_id_z 1
		.amdhsa_system_sgpr_workgroup_info 0
		.amdhsa_system_vgpr_workitem_id 1
		.amdhsa_next_free_vgpr 83
		.amdhsa_next_free_sgpr 19
		.amdhsa_reserve_vcc 1
		.amdhsa_float_round_mode_32 0
		.amdhsa_float_round_mode_16_64 0
		.amdhsa_float_denorm_mode_32 3
		.amdhsa_float_denorm_mode_16_64 3
		.amdhsa_fp16_overflow 0
		.amdhsa_workgroup_processor_mode 1
		.amdhsa_memory_ordered 1
		.amdhsa_forward_progress 1
		.amdhsa_inst_pref_size 19
		.amdhsa_round_robin_scheduling 0
		.amdhsa_exception_fp_ieee_invalid_op 0
		.amdhsa_exception_fp_denorm_src 0
		.amdhsa_exception_fp_ieee_div_zero 0
		.amdhsa_exception_fp_ieee_overflow 0
		.amdhsa_exception_fp_ieee_underflow 0
		.amdhsa_exception_fp_ieee_inexact 0
		.amdhsa_exception_int_div_zero 0
	.end_amdhsa_kernel
	.section	.text._ZL9moe_vec_qIN3c104HalfELi256ELi8E11block_iq1_mLi1EXadL_ZL18vec_dot_iq1_m_q8_1PKvPK10block_q8_1RKiEEEvS4_S4_PT_PS8_iiii,"axG",@progbits,_ZL9moe_vec_qIN3c104HalfELi256ELi8E11block_iq1_mLi1EXadL_ZL18vec_dot_iq1_m_q8_1PKvPK10block_q8_1RKiEEEvS4_S4_PT_PS8_iiii,comdat
.Lfunc_end274:
	.size	_ZL9moe_vec_qIN3c104HalfELi256ELi8E11block_iq1_mLi1EXadL_ZL18vec_dot_iq1_m_q8_1PKvPK10block_q8_1RKiEEEvS4_S4_PT_PS8_iiii, .Lfunc_end274-_ZL9moe_vec_qIN3c104HalfELi256ELi8E11block_iq1_mLi1EXadL_ZL18vec_dot_iq1_m_q8_1PKvPK10block_q8_1RKiEEEvS4_S4_PT_PS8_iiii
                                        ; -- End function
	.set _ZL9moe_vec_qIN3c104HalfELi256ELi8E11block_iq1_mLi1EXadL_ZL18vec_dot_iq1_m_q8_1PKvPK10block_q8_1RKiEEEvS4_S4_PT_PS8_iiii.num_vgpr, 83
	.set _ZL9moe_vec_qIN3c104HalfELi256ELi8E11block_iq1_mLi1EXadL_ZL18vec_dot_iq1_m_q8_1PKvPK10block_q8_1RKiEEEvS4_S4_PT_PS8_iiii.num_agpr, 0
	.set _ZL9moe_vec_qIN3c104HalfELi256ELi8E11block_iq1_mLi1EXadL_ZL18vec_dot_iq1_m_q8_1PKvPK10block_q8_1RKiEEEvS4_S4_PT_PS8_iiii.numbered_sgpr, 19
	.set _ZL9moe_vec_qIN3c104HalfELi256ELi8E11block_iq1_mLi1EXadL_ZL18vec_dot_iq1_m_q8_1PKvPK10block_q8_1RKiEEEvS4_S4_PT_PS8_iiii.num_named_barrier, 0
	.set _ZL9moe_vec_qIN3c104HalfELi256ELi8E11block_iq1_mLi1EXadL_ZL18vec_dot_iq1_m_q8_1PKvPK10block_q8_1RKiEEEvS4_S4_PT_PS8_iiii.private_seg_size, 0
	.set _ZL9moe_vec_qIN3c104HalfELi256ELi8E11block_iq1_mLi1EXadL_ZL18vec_dot_iq1_m_q8_1PKvPK10block_q8_1RKiEEEvS4_S4_PT_PS8_iiii.uses_vcc, 1
	.set _ZL9moe_vec_qIN3c104HalfELi256ELi8E11block_iq1_mLi1EXadL_ZL18vec_dot_iq1_m_q8_1PKvPK10block_q8_1RKiEEEvS4_S4_PT_PS8_iiii.uses_flat_scratch, 0
	.set _ZL9moe_vec_qIN3c104HalfELi256ELi8E11block_iq1_mLi1EXadL_ZL18vec_dot_iq1_m_q8_1PKvPK10block_q8_1RKiEEEvS4_S4_PT_PS8_iiii.has_dyn_sized_stack, 0
	.set _ZL9moe_vec_qIN3c104HalfELi256ELi8E11block_iq1_mLi1EXadL_ZL18vec_dot_iq1_m_q8_1PKvPK10block_q8_1RKiEEEvS4_S4_PT_PS8_iiii.has_recursion, 0
	.set _ZL9moe_vec_qIN3c104HalfELi256ELi8E11block_iq1_mLi1EXadL_ZL18vec_dot_iq1_m_q8_1PKvPK10block_q8_1RKiEEEvS4_S4_PT_PS8_iiii.has_indirect_call, 0
	.section	.AMDGPU.csdata,"",@progbits
; Kernel info:
; codeLenInByte = 2416
; TotalNumSgprs: 21
; NumVgprs: 83
; ScratchSize: 0
; MemoryBound: 0
; FloatMode: 240
; IeeeMode: 1
; LDSByteSize: 0 bytes/workgroup (compile time only)
; SGPRBlocks: 0
; VGPRBlocks: 10
; NumSGPRsForWavesPerEU: 21
; NumVGPRsForWavesPerEU: 83
; Occupancy: 16
; WaveLimiterHint : 1
; COMPUTE_PGM_RSRC2:SCRATCH_EN: 0
; COMPUTE_PGM_RSRC2:USER_SGPR: 2
; COMPUTE_PGM_RSRC2:TRAP_HANDLER: 0
; COMPUTE_PGM_RSRC2:TGID_X_EN: 1
; COMPUTE_PGM_RSRC2:TGID_Y_EN: 0
; COMPUTE_PGM_RSRC2:TGID_Z_EN: 1
; COMPUTE_PGM_RSRC2:TIDIG_COMP_CNT: 1
	.section	.text._ZL9moe_vec_qIN3c108BFloat16ELi32ELi4E10block_q4_0Li2EXadL_ZL17vec_dot_q4_0_q8_1PKvPK10block_q8_1RKiEEEvS4_S4_PT_PS8_iiii,"axG",@progbits,_ZL9moe_vec_qIN3c108BFloat16ELi32ELi4E10block_q4_0Li2EXadL_ZL17vec_dot_q4_0_q8_1PKvPK10block_q8_1RKiEEEvS4_S4_PT_PS8_iiii,comdat
	.globl	_ZL9moe_vec_qIN3c108BFloat16ELi32ELi4E10block_q4_0Li2EXadL_ZL17vec_dot_q4_0_q8_1PKvPK10block_q8_1RKiEEEvS4_S4_PT_PS8_iiii ; -- Begin function _ZL9moe_vec_qIN3c108BFloat16ELi32ELi4E10block_q4_0Li2EXadL_ZL17vec_dot_q4_0_q8_1PKvPK10block_q8_1RKiEEEvS4_S4_PT_PS8_iiii
	.p2align	8
	.type	_ZL9moe_vec_qIN3c108BFloat16ELi32ELi4E10block_q4_0Li2EXadL_ZL17vec_dot_q4_0_q8_1PKvPK10block_q8_1RKiEEEvS4_S4_PT_PS8_iiii,@function
_ZL9moe_vec_qIN3c108BFloat16ELi32ELi4E10block_q4_0Li2EXadL_ZL17vec_dot_q4_0_q8_1PKvPK10block_q8_1RKiEEEvS4_S4_PT_PS8_iiii: ; @_ZL9moe_vec_qIN3c108BFloat16ELi32ELi4E10block_q4_0Li2EXadL_ZL17vec_dot_q4_0_q8_1PKvPK10block_q8_1RKiEEEvS4_S4_PT_PS8_iiii
; %bb.0:
	s_clause 0x1
	s_load_u16 s2, s[0:1], 0x3e
	s_load_b128 s[4:7], s[0:1], 0x20
	v_bfe_u32 v1, v0, 10, 10
	s_wait_kmcnt 0x0
	s_delay_alu instid0(VALU_DEP_1)
	v_mad_co_u64_u32 v[1:2], null, ttmp9, s2, v[1:2]
	s_mov_b32 s2, exec_lo
	v_cmpx_gt_u32_e64 s6, v1
	s_cbranch_execz .LBB275_7
; %bb.1:
	s_load_b64 s[2:3], s[0:1], 0x10
	s_cvt_f32_u32 s8, s4
	v_bfe_u32 v2, v0, 1, 9
	v_and_b32_e32 v0, 0x3ff, v0
	s_mov_b32 s11, exec_lo
	v_rcp_iflag_f32_e32 v3, s8
	s_ashr_i32 s8, s5, 31
	s_wait_alu 0xfffe
	s_lshr_b32 s8, s8, 27
	s_wait_alu 0xfffe
	s_add_co_i32 s5, s5, s8
	s_lshr_b32 s8, ttmp7, 16
	s_ashr_i32 s10, s5, 5
	s_delay_alu instid0(TRANS32_DEP_1)
	v_readfirstlane_b32 s5, v3
	v_mov_b32_e32 v3, 0
	v_cmpx_gt_u32_e64 s10, v2
	s_cbranch_execz .LBB275_5
; %bb.2:
	s_load_b64 s[12:13], s[0:1], 0x18
	s_mul_f32 s5, s5, 0x4f7ffffe
	s_sub_co_i32 s14, 0, s4
	s_lshl_b32 s15, s8, 2
	s_mov_b32 s9, 0
	s_cvt_u32_f32 s5, s5
	v_lshlrev_b32_e32 v5, 3, v0
	v_mul_lo_u32 v4, v1, s10
	v_mov_b32_e32 v3, 0
	s_mul_i32 s14, s14, s5
	s_delay_alu instid0(SALU_CYCLE_1)
	s_mul_hi_u32 s14, s5, s14
	v_and_b32_e32 v5, 8, v5
	s_wait_kmcnt 0x0
	s_load_b32 s18, s[12:13], s15 offset:0x0
	s_mov_b32 s13, s9
	s_add_co_i32 s12, s5, s14
	s_delay_alu instid0(SALU_CYCLE_1)
	s_mul_u64 s[16:17], s[8:9], s[12:13]
	s_load_b128 s[12:15], s[0:1], 0x0
	s_mul_i32 s1, s17, s4
	s_add_co_i32 s5, s17, 1
	s_wait_alu 0xfffe
	s_sub_co_i32 s1, s8, s1
	s_mul_i32 s0, s10, s6
	s_wait_alu 0xfffe
	s_sub_co_i32 s16, s1, s4
	s_cmp_ge_u32 s1, s4
	s_cselect_b32 s5, s5, s17
	s_cselect_b32 s1, s16, s1
	s_add_co_i32 s16, s5, 1
	s_wait_alu 0xfffe
	s_cmp_ge_u32 s1, s4
	s_cselect_b32 s4, s16, s5
	s_mov_b32 s5, s9
	s_wait_kmcnt 0x0
	s_mul_i32 s0, s0, s18
	s_mul_i32 s4, s4, s7
	s_wait_alu 0xfffe
	s_ashr_i32 s1, s0, 31
	s_lshl_b64 s[4:5], s[4:5], 2
	s_wait_alu 0xfffe
	s_mul_u64 s[0:1], s[0:1], 18
	s_add_nc_u64 s[4:5], s[14:15], s[4:5]
	s_wait_alu 0xfffe
	s_add_nc_u64 s[0:1], s[12:13], s[0:1]
.LBB275_3:                              ; =>This Inner Loop Header: Depth=1
	v_add_nc_u32_e32 v8, v4, v2
	v_mad_co_i64_i32 v[6:7], null, v2, 36, s[4:5]
	v_add_nc_u32_e32 v2, 16, v2
	s_wait_alu 0xfffe
	s_delay_alu instid0(VALU_DEP_3) | instskip(NEXT) | instid1(VALU_DEP_3)
	v_mad_co_i64_i32 v[8:9], null, v8, 18, s[0:1]
	v_add_co_u32 v10, vcc_lo, v6, v5
	s_wait_alu 0xfffd
	s_delay_alu instid0(VALU_DEP_4) | instskip(NEXT) | instid1(VALU_DEP_3)
	v_add_co_ci_u32_e64 v11, null, 0, v7, vcc_lo
	v_add_co_u32 v12, vcc_lo, v8, v5
	s_wait_alu 0xfffd
	s_delay_alu instid0(VALU_DEP_4)
	v_add_co_ci_u32_e64 v13, null, 0, v9, vcc_lo
	v_cmp_le_u32_e32 vcc_lo, s10, v2
	global_load_b64 v[14:15], v[10:11], off offset:4
	global_load_b64 v[12:13], v[12:13], off offset:2
	s_clause 0x1
	global_load_b64 v[10:11], v[10:11], off offset:20
	global_load_b32 v6, v[6:7], off
	global_load_u16 v7, v[8:9], off
	s_or_b32 s9, vcc_lo, s9
	s_wait_loadcnt 0x4
	v_lshrrev_b16 v8, 8, v14
	s_wait_loadcnt 0x3
	v_lshrrev_b32_e32 v28, 4, v12
	s_wait_loadcnt 0x2
	v_lshrrev_b16 v9, 8, v10
	v_ashrrev_i32_e32 v18, 24, v10
	v_bfe_i32 v19, v10, 16, 8
	v_bfe_i32 v10, v10, 0, 8
	v_ashrrev_i32_e32 v23, 24, v11
	v_bfe_i32 v24, v11, 16, 8
	v_bfe_i32 v25, v11, 8, 8
	;; [unrolled: 1-line block ×3, first 2 shown]
	v_bfe_u32 v26, v12, 24, 4
	v_and_b32_e32 v27, 0xf0f0f0f, v12
	v_lshrrev_b32_e32 v29, 28, v12
	v_bfe_u32 v30, v12, 16, 4
	v_and_b32_e32 v31, 15, v12
	v_bfe_u32 v32, v12, 20, 4
	v_bfe_u32 v12, v12, 4, 4
	;; [unrolled: 1-line block ×3, first 2 shown]
	v_and_b32_e32 v34, 0xf0f0f0f, v13
	v_lshrrev_b32_e32 v35, 4, v13
	v_lshrrev_b32_e32 v36, 28, v13
	v_bfe_u32 v37, v13, 16, 4
	v_and_b32_e32 v38, 15, v13
	v_bfe_u32 v39, v13, 20, 4
	v_bfe_u32 v13, v13, 4, 4
	v_lshrrev_b16 v28, 8, v28
	v_lshrrev_b16 v27, 8, v27
	v_mul_i32_i24_e32 v10, v12, v10
	v_mul_i32_i24_e32 v12, v32, v19
	;; [unrolled: 1-line block ×3, first 2 shown]
	v_lshrrev_b16 v19, 8, v34
	v_lshrrev_b16 v29, 8, v35
	v_mul_i32_i24_e32 v11, v11, v13
	v_mul_i32_i24_e32 v13, v24, v39
	v_and_b32_e32 v24, 15, v28
	v_bfe_i32 v16, v14, 16, 8
	v_bfe_i32 v17, v14, 0, 8
	v_ashrrev_i32_e32 v14, 24, v14
	v_ashrrev_i32_e32 v20, 24, v15
	v_bfe_i32 v22, v15, 8, 8
	v_bfe_i32 v8, v8, 0, 8
	;; [unrolled: 1-line block ×3, first 2 shown]
	v_and_b32_e32 v27, 0xffff, v27
	v_and_b32_e32 v19, 0xffff, v19
	;; [unrolled: 1-line block ×4, first 2 shown]
	v_bfe_i32 v21, v15, 16, 8
	v_bfe_i32 v15, v15, 0, 8
	v_mul_i32_i24_e32 v20, v20, v33
	v_mul_i32_i24_e32 v23, v23, v36
	v_mad_i32_i24 v14, v26, v14, v18
	v_mul_i32_i24_e32 v8, v27, v8
	v_mul_i32_i24_e32 v18, v22, v19
	v_and_b32_e32 v19, 0xffff, v28
	v_mul_i32_i24_e32 v9, v24, v9
	v_mul_i32_i24_e32 v15, v15, v38
	;; [unrolled: 1-line block ×3, first 2 shown]
	v_mad_i32_i24 v10, v31, v17, v10
	v_mad_i32_i24 v12, v30, v16, v12
	v_add3_u32 v14, v14, v20, v23
	v_mul_i32_i24_e32 v16, v25, v19
	v_add3_u32 v8, v8, v9, v18
	s_wait_loadcnt 0x1
	v_lshrrev_b32_e32 v9, 16, v6
	v_add3_u32 v12, v12, v21, v13
	v_add3_u32 v10, v10, v15, v11
	;; [unrolled: 1-line block ×3, first 2 shown]
	s_delay_alu instid0(VALU_DEP_4) | instskip(NEXT) | instid1(VALU_DEP_2)
	v_cvt_f32_f16_e32 v9, v9
	v_add3_u32 v8, v10, v12, v8
	s_delay_alu instid0(VALU_DEP_2) | instskip(NEXT) | instid1(VALU_DEP_2)
	v_mul_f32_e32 v9, -4.0, v9
	v_cvt_f32_i32_e32 v8, v8
	s_delay_alu instid0(VALU_DEP_1) | instskip(SKIP_1) | instid1(VALU_DEP_1)
	v_fma_mix_f32 v6, v6, v8, v9 op_sel_hi:[1,0,0]
	s_wait_loadcnt 0x0
	v_fma_mix_f32 v3, v6, v7, v3 op_sel_hi:[0,1,0]
	s_wait_alu 0xfffe
	s_and_not1_b32 exec_lo, exec_lo, s9
	s_cbranch_execnz .LBB275_3
; %bb.4:
	s_or_b32 exec_lo, exec_lo, s9
.LBB275_5:
	s_delay_alu instid0(SALU_CYCLE_1) | instskip(SKIP_1) | instid1(VALU_DEP_1)
	s_or_b32 exec_lo, exec_lo, s11
	v_mbcnt_lo_u32_b32 v2, -1, 0
	v_xor_b32_e32 v4, 16, v2
	v_xor_b32_e32 v5, 8, v2
	s_delay_alu instid0(VALU_DEP_2) | instskip(SKIP_2) | instid1(VALU_DEP_3)
	v_cmp_gt_i32_e32 vcc_lo, 32, v4
	s_wait_alu 0xfffd
	v_cndmask_b32_e32 v4, v2, v4, vcc_lo
	v_cmp_gt_i32_e32 vcc_lo, 32, v5
	s_wait_alu 0xfffd
	v_cndmask_b32_e32 v5, v2, v5, vcc_lo
	s_delay_alu instid0(VALU_DEP_1)
	v_lshlrev_b32_e32 v5, 2, v5
	v_lshlrev_b32_e32 v4, 2, v4
	ds_bpermute_b32 v4, v4, v3
	s_wait_dscnt 0x0
	v_add_f32_e32 v3, v3, v4
	ds_bpermute_b32 v4, v5, v3
	v_xor_b32_e32 v5, 4, v2
	s_delay_alu instid0(VALU_DEP_1) | instskip(SKIP_2) | instid1(VALU_DEP_1)
	v_cmp_gt_i32_e32 vcc_lo, 32, v5
	s_wait_alu 0xfffd
	v_cndmask_b32_e32 v5, v2, v5, vcc_lo
	v_lshlrev_b32_e32 v5, 2, v5
	s_wait_dscnt 0x0
	v_add_f32_e32 v3, v3, v4
	ds_bpermute_b32 v4, v5, v3
	v_xor_b32_e32 v5, 2, v2
	s_delay_alu instid0(VALU_DEP_1) | instskip(SKIP_2) | instid1(VALU_DEP_1)
	v_cmp_gt_i32_e32 vcc_lo, 32, v5
	s_wait_alu 0xfffd
	v_cndmask_b32_e32 v5, v2, v5, vcc_lo
	v_lshlrev_b32_e32 v5, 2, v5
	s_wait_dscnt 0x0
	v_add_f32_e32 v3, v3, v4
	ds_bpermute_b32 v4, v5, v3
	v_xor_b32_e32 v5, 1, v2
	s_delay_alu instid0(VALU_DEP_1) | instskip(SKIP_4) | instid1(VALU_DEP_2)
	v_cmp_gt_i32_e32 vcc_lo, 32, v5
	s_wait_alu 0xfffd
	v_cndmask_b32_e32 v5, v2, v5, vcc_lo
	v_cmp_eq_u32_e32 vcc_lo, 0, v0
	s_wait_dscnt 0x0
	v_dual_add_f32 v2, v3, v4 :: v_dual_lshlrev_b32 v3, 2, v5
	ds_bpermute_b32 v3, v3, v2
	s_and_b32 exec_lo, exec_lo, vcc_lo
	s_cbranch_execz .LBB275_7
; %bb.6:
	s_wait_dscnt 0x0
	v_add_f32_e32 v2, v2, v3
	s_wait_alu 0xfffe
	s_delay_alu instid0(VALU_DEP_1) | instskip(SKIP_3) | instid1(VALU_DEP_2)
	v_mad_co_u64_u32 v[0:1], null, s6, s8, v[1:2]
	v_mov_b32_e32 v1, 0
	v_bfe_u32 v3, v2, 16, 1
	v_cmp_o_f32_e32 vcc_lo, v2, v2
	v_add3_u32 v3, v2, v3, 0x7fff
	s_delay_alu instid0(VALU_DEP_4) | instskip(NEXT) | instid1(VALU_DEP_2)
	v_lshlrev_b64_e32 v[0:1], 1, v[0:1]
	v_lshrrev_b32_e32 v3, 16, v3
	s_wait_alu 0xfffd
	s_delay_alu instid0(VALU_DEP_1) | instskip(SKIP_1) | instid1(VALU_DEP_3)
	v_cndmask_b32_e32 v2, 0x7fc0, v3, vcc_lo
	s_wait_kmcnt 0x0
	v_add_co_u32 v0, vcc_lo, s2, v0
	s_wait_alu 0xfffd
	v_add_co_ci_u32_e64 v1, null, s3, v1, vcc_lo
	global_store_b16 v[0:1], v2, off
.LBB275_7:
	s_endpgm
	.section	.rodata,"a",@progbits
	.p2align	6, 0x0
	.amdhsa_kernel _ZL9moe_vec_qIN3c108BFloat16ELi32ELi4E10block_q4_0Li2EXadL_ZL17vec_dot_q4_0_q8_1PKvPK10block_q8_1RKiEEEvS4_S4_PT_PS8_iiii
		.amdhsa_group_segment_fixed_size 0
		.amdhsa_private_segment_fixed_size 0
		.amdhsa_kernarg_size 304
		.amdhsa_user_sgpr_count 2
		.amdhsa_user_sgpr_dispatch_ptr 0
		.amdhsa_user_sgpr_queue_ptr 0
		.amdhsa_user_sgpr_kernarg_segment_ptr 1
		.amdhsa_user_sgpr_dispatch_id 0
		.amdhsa_user_sgpr_private_segment_size 0
		.amdhsa_wavefront_size32 1
		.amdhsa_uses_dynamic_stack 0
		.amdhsa_enable_private_segment 0
		.amdhsa_system_sgpr_workgroup_id_x 1
		.amdhsa_system_sgpr_workgroup_id_y 0
		.amdhsa_system_sgpr_workgroup_id_z 1
		.amdhsa_system_sgpr_workgroup_info 0
		.amdhsa_system_vgpr_workitem_id 1
		.amdhsa_next_free_vgpr 40
		.amdhsa_next_free_sgpr 19
		.amdhsa_reserve_vcc 1
		.amdhsa_float_round_mode_32 0
		.amdhsa_float_round_mode_16_64 0
		.amdhsa_float_denorm_mode_32 3
		.amdhsa_float_denorm_mode_16_64 3
		.amdhsa_fp16_overflow 0
		.amdhsa_workgroup_processor_mode 1
		.amdhsa_memory_ordered 1
		.amdhsa_forward_progress 1
		.amdhsa_inst_pref_size 11
		.amdhsa_round_robin_scheduling 0
		.amdhsa_exception_fp_ieee_invalid_op 0
		.amdhsa_exception_fp_denorm_src 0
		.amdhsa_exception_fp_ieee_div_zero 0
		.amdhsa_exception_fp_ieee_overflow 0
		.amdhsa_exception_fp_ieee_underflow 0
		.amdhsa_exception_fp_ieee_inexact 0
		.amdhsa_exception_int_div_zero 0
	.end_amdhsa_kernel
	.section	.text._ZL9moe_vec_qIN3c108BFloat16ELi32ELi4E10block_q4_0Li2EXadL_ZL17vec_dot_q4_0_q8_1PKvPK10block_q8_1RKiEEEvS4_S4_PT_PS8_iiii,"axG",@progbits,_ZL9moe_vec_qIN3c108BFloat16ELi32ELi4E10block_q4_0Li2EXadL_ZL17vec_dot_q4_0_q8_1PKvPK10block_q8_1RKiEEEvS4_S4_PT_PS8_iiii,comdat
.Lfunc_end275:
	.size	_ZL9moe_vec_qIN3c108BFloat16ELi32ELi4E10block_q4_0Li2EXadL_ZL17vec_dot_q4_0_q8_1PKvPK10block_q8_1RKiEEEvS4_S4_PT_PS8_iiii, .Lfunc_end275-_ZL9moe_vec_qIN3c108BFloat16ELi32ELi4E10block_q4_0Li2EXadL_ZL17vec_dot_q4_0_q8_1PKvPK10block_q8_1RKiEEEvS4_S4_PT_PS8_iiii
                                        ; -- End function
	.set _ZL9moe_vec_qIN3c108BFloat16ELi32ELi4E10block_q4_0Li2EXadL_ZL17vec_dot_q4_0_q8_1PKvPK10block_q8_1RKiEEEvS4_S4_PT_PS8_iiii.num_vgpr, 40
	.set _ZL9moe_vec_qIN3c108BFloat16ELi32ELi4E10block_q4_0Li2EXadL_ZL17vec_dot_q4_0_q8_1PKvPK10block_q8_1RKiEEEvS4_S4_PT_PS8_iiii.num_agpr, 0
	.set _ZL9moe_vec_qIN3c108BFloat16ELi32ELi4E10block_q4_0Li2EXadL_ZL17vec_dot_q4_0_q8_1PKvPK10block_q8_1RKiEEEvS4_S4_PT_PS8_iiii.numbered_sgpr, 19
	.set _ZL9moe_vec_qIN3c108BFloat16ELi32ELi4E10block_q4_0Li2EXadL_ZL17vec_dot_q4_0_q8_1PKvPK10block_q8_1RKiEEEvS4_S4_PT_PS8_iiii.num_named_barrier, 0
	.set _ZL9moe_vec_qIN3c108BFloat16ELi32ELi4E10block_q4_0Li2EXadL_ZL17vec_dot_q4_0_q8_1PKvPK10block_q8_1RKiEEEvS4_S4_PT_PS8_iiii.private_seg_size, 0
	.set _ZL9moe_vec_qIN3c108BFloat16ELi32ELi4E10block_q4_0Li2EXadL_ZL17vec_dot_q4_0_q8_1PKvPK10block_q8_1RKiEEEvS4_S4_PT_PS8_iiii.uses_vcc, 1
	.set _ZL9moe_vec_qIN3c108BFloat16ELi32ELi4E10block_q4_0Li2EXadL_ZL17vec_dot_q4_0_q8_1PKvPK10block_q8_1RKiEEEvS4_S4_PT_PS8_iiii.uses_flat_scratch, 0
	.set _ZL9moe_vec_qIN3c108BFloat16ELi32ELi4E10block_q4_0Li2EXadL_ZL17vec_dot_q4_0_q8_1PKvPK10block_q8_1RKiEEEvS4_S4_PT_PS8_iiii.has_dyn_sized_stack, 0
	.set _ZL9moe_vec_qIN3c108BFloat16ELi32ELi4E10block_q4_0Li2EXadL_ZL17vec_dot_q4_0_q8_1PKvPK10block_q8_1RKiEEEvS4_S4_PT_PS8_iiii.has_recursion, 0
	.set _ZL9moe_vec_qIN3c108BFloat16ELi32ELi4E10block_q4_0Li2EXadL_ZL17vec_dot_q4_0_q8_1PKvPK10block_q8_1RKiEEEvS4_S4_PT_PS8_iiii.has_indirect_call, 0
	.section	.AMDGPU.csdata,"",@progbits
; Kernel info:
; codeLenInByte = 1352
; TotalNumSgprs: 21
; NumVgprs: 40
; ScratchSize: 0
; MemoryBound: 0
; FloatMode: 240
; IeeeMode: 1
; LDSByteSize: 0 bytes/workgroup (compile time only)
; SGPRBlocks: 0
; VGPRBlocks: 4
; NumSGPRsForWavesPerEU: 21
; NumVGPRsForWavesPerEU: 40
; Occupancy: 16
; WaveLimiterHint : 1
; COMPUTE_PGM_RSRC2:SCRATCH_EN: 0
; COMPUTE_PGM_RSRC2:USER_SGPR: 2
; COMPUTE_PGM_RSRC2:TRAP_HANDLER: 0
; COMPUTE_PGM_RSRC2:TGID_X_EN: 1
; COMPUTE_PGM_RSRC2:TGID_Y_EN: 0
; COMPUTE_PGM_RSRC2:TGID_Z_EN: 1
; COMPUTE_PGM_RSRC2:TIDIG_COMP_CNT: 1
	.section	.text._ZL9moe_vec_qIN3c108BFloat16ELi32ELi4E10block_q4_1Li2EXadL_ZL17vec_dot_q4_1_q8_1PKvPK10block_q8_1RKiEEEvS4_S4_PT_PS8_iiii,"axG",@progbits,_ZL9moe_vec_qIN3c108BFloat16ELi32ELi4E10block_q4_1Li2EXadL_ZL17vec_dot_q4_1_q8_1PKvPK10block_q8_1RKiEEEvS4_S4_PT_PS8_iiii,comdat
	.globl	_ZL9moe_vec_qIN3c108BFloat16ELi32ELi4E10block_q4_1Li2EXadL_ZL17vec_dot_q4_1_q8_1PKvPK10block_q8_1RKiEEEvS4_S4_PT_PS8_iiii ; -- Begin function _ZL9moe_vec_qIN3c108BFloat16ELi32ELi4E10block_q4_1Li2EXadL_ZL17vec_dot_q4_1_q8_1PKvPK10block_q8_1RKiEEEvS4_S4_PT_PS8_iiii
	.p2align	8
	.type	_ZL9moe_vec_qIN3c108BFloat16ELi32ELi4E10block_q4_1Li2EXadL_ZL17vec_dot_q4_1_q8_1PKvPK10block_q8_1RKiEEEvS4_S4_PT_PS8_iiii,@function
_ZL9moe_vec_qIN3c108BFloat16ELi32ELi4E10block_q4_1Li2EXadL_ZL17vec_dot_q4_1_q8_1PKvPK10block_q8_1RKiEEEvS4_S4_PT_PS8_iiii: ; @_ZL9moe_vec_qIN3c108BFloat16ELi32ELi4E10block_q4_1Li2EXadL_ZL17vec_dot_q4_1_q8_1PKvPK10block_q8_1RKiEEEvS4_S4_PT_PS8_iiii
; %bb.0:
	s_clause 0x1
	s_load_u16 s2, s[0:1], 0x3e
	s_load_b128 s[4:7], s[0:1], 0x20
	v_bfe_u32 v1, v0, 10, 10
	s_wait_kmcnt 0x0
	s_delay_alu instid0(VALU_DEP_1)
	v_mad_co_u64_u32 v[1:2], null, ttmp9, s2, v[1:2]
	s_mov_b32 s2, exec_lo
	v_cmpx_gt_u32_e64 s6, v1
	s_cbranch_execz .LBB276_7
; %bb.1:
	s_load_b64 s[2:3], s[0:1], 0x10
	s_cvt_f32_u32 s8, s4
	v_bfe_u32 v2, v0, 1, 9
	v_and_b32_e32 v0, 0x3ff, v0
	s_mov_b32 s11, exec_lo
	v_rcp_iflag_f32_e32 v3, s8
	s_ashr_i32 s8, s5, 31
	s_wait_alu 0xfffe
	s_lshr_b32 s8, s8, 27
	s_wait_alu 0xfffe
	s_add_co_i32 s5, s5, s8
	s_lshr_b32 s8, ttmp7, 16
	s_ashr_i32 s10, s5, 5
	s_delay_alu instid0(TRANS32_DEP_1)
	v_readfirstlane_b32 s5, v3
	v_mov_b32_e32 v3, 0
	v_cmpx_gt_u32_e64 s10, v2
	s_cbranch_execz .LBB276_5
; %bb.2:
	s_load_b64 s[12:13], s[0:1], 0x18
	s_mul_f32 s5, s5, 0x4f7ffffe
	s_sub_co_i32 s14, 0, s4
	s_lshl_b32 s15, s8, 2
	s_mov_b32 s9, 0
	s_cvt_u32_f32 s5, s5
	v_lshlrev_b32_e32 v5, 3, v0
	v_mul_lo_u32 v4, v1, s10
	v_mov_b32_e32 v3, 0
	s_mul_i32 s14, s14, s5
	s_delay_alu instid0(SALU_CYCLE_1)
	s_mul_hi_u32 s14, s5, s14
	v_and_b32_e32 v5, 8, v5
	s_wait_kmcnt 0x0
	s_load_b32 s18, s[12:13], s15 offset:0x0
	s_mov_b32 s13, s9
	s_add_co_i32 s12, s5, s14
	s_delay_alu instid0(SALU_CYCLE_1)
	s_mul_u64 s[16:17], s[8:9], s[12:13]
	s_load_b128 s[12:15], s[0:1], 0x0
	s_mul_i32 s1, s17, s4
	s_add_co_i32 s5, s17, 1
	s_wait_alu 0xfffe
	s_sub_co_i32 s1, s8, s1
	s_mul_i32 s0, s10, s6
	s_wait_alu 0xfffe
	s_sub_co_i32 s16, s1, s4
	s_cmp_ge_u32 s1, s4
	s_cselect_b32 s5, s5, s17
	s_cselect_b32 s1, s16, s1
	s_add_co_i32 s16, s5, 1
	s_wait_alu 0xfffe
	s_cmp_ge_u32 s1, s4
	s_cselect_b32 s4, s16, s5
	s_mov_b32 s5, s9
	s_wait_kmcnt 0x0
	s_mul_i32 s0, s0, s18
	s_mul_i32 s4, s4, s7
	s_wait_alu 0xfffe
	s_ashr_i32 s1, s0, 31
	s_lshl_b64 s[4:5], s[4:5], 2
	s_wait_alu 0xfffe
	s_mul_u64 s[0:1], s[0:1], 20
	s_add_nc_u64 s[4:5], s[14:15], s[4:5]
	s_wait_alu 0xfffe
	s_add_nc_u64 s[0:1], s[12:13], s[0:1]
.LBB276_3:                              ; =>This Inner Loop Header: Depth=1
	v_add_nc_u32_e32 v8, v4, v2
	v_mad_co_i64_i32 v[6:7], null, v2, 36, s[4:5]
	v_add_nc_u32_e32 v2, 16, v2
	s_wait_alu 0xfffe
	s_delay_alu instid0(VALU_DEP_3) | instskip(NEXT) | instid1(VALU_DEP_3)
	v_mad_co_i64_i32 v[8:9], null, v8, 20, s[0:1]
	v_add_co_u32 v10, vcc_lo, v6, v5
	s_wait_alu 0xfffd
	s_delay_alu instid0(VALU_DEP_4) | instskip(NEXT) | instid1(VALU_DEP_3)
	v_add_co_ci_u32_e64 v11, null, 0, v7, vcc_lo
	v_add_co_u32 v12, vcc_lo, v8, v5
	s_wait_alu 0xfffd
	s_delay_alu instid0(VALU_DEP_4)
	v_add_co_ci_u32_e64 v13, null, 0, v9, vcc_lo
	s_clause 0x2
	global_load_b32 v14, v[6:7], off
	global_load_b64 v[6:7], v[10:11], off offset:4
	global_load_b64 v[10:11], v[10:11], off offset:20
	v_cmp_le_u32_e32 vcc_lo, s10, v2
	s_clause 0x1
	global_load_b64 v[12:13], v[12:13], off offset:4
	global_load_b32 v8, v[8:9], off
	s_or_b32 s9, vcc_lo, s9
	s_wait_loadcnt 0x3
	v_lshrrev_b16 v9, 8, v6
	s_wait_loadcnt 0x2
	v_lshrrev_b16 v15, 8, v10
	v_ashrrev_i32_e32 v18, 24, v10
	s_wait_loadcnt 0x1
	v_lshrrev_b32_e32 v27, 4, v12
	v_bfe_i32 v19, v10, 16, 8
	v_bfe_i32 v10, v10, 0, 8
	v_ashrrev_i32_e32 v23, 24, v11
	v_bfe_i32 v24, v11, 16, 8
	v_bfe_i32 v25, v11, 8, 8
	;; [unrolled: 1-line block ×3, first 2 shown]
	s_wait_loadcnt 0x0
	v_pk_mul_f16 v8, v8, v14
	v_bfe_u32 v14, v12, 24, 4
	v_and_b32_e32 v26, 0xf0f0f0f, v12
	v_lshrrev_b32_e32 v28, 28, v12
	v_bfe_u32 v29, v12, 16, 4
	v_and_b32_e32 v30, 15, v12
	v_bfe_u32 v31, v12, 20, 4
	v_bfe_u32 v12, v12, 4, 4
	;; [unrolled: 1-line block ×3, first 2 shown]
	v_and_b32_e32 v33, 0xf0f0f0f, v13
	v_lshrrev_b32_e32 v34, 4, v13
	v_lshrrev_b32_e32 v35, 28, v13
	v_bfe_u32 v36, v13, 16, 4
	v_and_b32_e32 v37, 15, v13
	v_bfe_u32 v38, v13, 20, 4
	v_bfe_u32 v13, v13, 4, 4
	v_lshrrev_b16 v27, 8, v27
	v_lshrrev_b16 v26, 8, v26
	v_mul_i32_i24_e32 v10, v12, v10
	v_mul_i32_i24_e32 v12, v31, v19
	;; [unrolled: 1-line block ×3, first 2 shown]
	v_lshrrev_b16 v19, 8, v33
	v_lshrrev_b16 v28, 8, v34
	v_mul_i32_i24_e32 v11, v11, v13
	v_mul_i32_i24_e32 v13, v24, v38
	v_and_b32_e32 v24, 15, v27
	v_bfe_i32 v16, v6, 16, 8
	v_bfe_i32 v17, v6, 0, 8
	v_ashrrev_i32_e32 v6, 24, v6
	v_ashrrev_i32_e32 v20, 24, v7
	v_bfe_i32 v22, v7, 8, 8
	v_bfe_i32 v9, v9, 0, 8
	;; [unrolled: 1-line block ×3, first 2 shown]
	v_and_b32_e32 v26, 0xffff, v26
	v_and_b32_e32 v19, 0xffff, v19
	;; [unrolled: 1-line block ×4, first 2 shown]
	v_bfe_i32 v21, v7, 16, 8
	v_bfe_i32 v7, v7, 0, 8
	v_mul_i32_i24_e32 v20, v20, v32
	v_mul_i32_i24_e32 v23, v23, v35
	v_mad_i32_i24 v6, v14, v6, v18
	v_mul_i32_i24_e32 v9, v26, v9
	v_mul_i32_i24_e32 v14, v22, v19
	v_and_b32_e32 v18, 0xffff, v27
	v_mul_i32_i24_e32 v15, v24, v15
	v_mul_i32_i24_e32 v7, v7, v37
	v_mul_i32_i24_e32 v21, v21, v36
	v_mad_i32_i24 v10, v30, v17, v10
	v_mad_i32_i24 v12, v29, v16, v12
	v_add3_u32 v6, v6, v20, v23
	v_mul_i32_i24_e32 v16, v25, v18
	v_add3_u32 v9, v9, v15, v14
	v_lshrrev_b32_e32 v14, 16, v8
	v_add3_u32 v12, v12, v21, v13
	v_add3_u32 v7, v10, v7, v11
	s_delay_alu instid0(VALU_DEP_4) | instskip(NEXT) | instid1(VALU_DEP_4)
	v_add3_u32 v6, v9, v16, v6
	v_cvt_f32_f16_e32 v9, v14
	s_delay_alu instid0(VALU_DEP_2) | instskip(NEXT) | instid1(VALU_DEP_2)
	v_add3_u32 v6, v7, v12, v6
	v_mul_f32_e32 v7, 0.5, v9
	s_delay_alu instid0(VALU_DEP_2) | instskip(NEXT) | instid1(VALU_DEP_1)
	v_cvt_f32_i32_e32 v6, v6
	v_fma_mix_f32 v6, v6, v8, v7 op_sel_hi:[0,1,0]
	s_delay_alu instid0(VALU_DEP_1)
	v_add_f32_e32 v3, v3, v6
	s_wait_alu 0xfffe
	s_and_not1_b32 exec_lo, exec_lo, s9
	s_cbranch_execnz .LBB276_3
; %bb.4:
	s_or_b32 exec_lo, exec_lo, s9
.LBB276_5:
	s_delay_alu instid0(SALU_CYCLE_1) | instskip(SKIP_1) | instid1(VALU_DEP_1)
	s_or_b32 exec_lo, exec_lo, s11
	v_mbcnt_lo_u32_b32 v2, -1, 0
	v_xor_b32_e32 v4, 16, v2
	v_xor_b32_e32 v5, 8, v2
	s_delay_alu instid0(VALU_DEP_2) | instskip(SKIP_2) | instid1(VALU_DEP_3)
	v_cmp_gt_i32_e32 vcc_lo, 32, v4
	s_wait_alu 0xfffd
	v_cndmask_b32_e32 v4, v2, v4, vcc_lo
	v_cmp_gt_i32_e32 vcc_lo, 32, v5
	s_wait_alu 0xfffd
	v_cndmask_b32_e32 v5, v2, v5, vcc_lo
	s_delay_alu instid0(VALU_DEP_1)
	v_lshlrev_b32_e32 v5, 2, v5
	v_lshlrev_b32_e32 v4, 2, v4
	ds_bpermute_b32 v4, v4, v3
	s_wait_dscnt 0x0
	v_add_f32_e32 v3, v3, v4
	ds_bpermute_b32 v4, v5, v3
	v_xor_b32_e32 v5, 4, v2
	s_delay_alu instid0(VALU_DEP_1) | instskip(SKIP_2) | instid1(VALU_DEP_1)
	v_cmp_gt_i32_e32 vcc_lo, 32, v5
	s_wait_alu 0xfffd
	v_cndmask_b32_e32 v5, v2, v5, vcc_lo
	v_lshlrev_b32_e32 v5, 2, v5
	s_wait_dscnt 0x0
	v_add_f32_e32 v3, v3, v4
	ds_bpermute_b32 v4, v5, v3
	v_xor_b32_e32 v5, 2, v2
	s_delay_alu instid0(VALU_DEP_1) | instskip(SKIP_2) | instid1(VALU_DEP_1)
	v_cmp_gt_i32_e32 vcc_lo, 32, v5
	s_wait_alu 0xfffd
	v_cndmask_b32_e32 v5, v2, v5, vcc_lo
	v_lshlrev_b32_e32 v5, 2, v5
	s_wait_dscnt 0x0
	v_add_f32_e32 v3, v3, v4
	ds_bpermute_b32 v4, v5, v3
	v_xor_b32_e32 v5, 1, v2
	s_delay_alu instid0(VALU_DEP_1) | instskip(SKIP_4) | instid1(VALU_DEP_2)
	v_cmp_gt_i32_e32 vcc_lo, 32, v5
	s_wait_alu 0xfffd
	v_cndmask_b32_e32 v5, v2, v5, vcc_lo
	v_cmp_eq_u32_e32 vcc_lo, 0, v0
	s_wait_dscnt 0x0
	v_dual_add_f32 v2, v3, v4 :: v_dual_lshlrev_b32 v3, 2, v5
	ds_bpermute_b32 v3, v3, v2
	s_and_b32 exec_lo, exec_lo, vcc_lo
	s_cbranch_execz .LBB276_7
; %bb.6:
	s_wait_dscnt 0x0
	v_add_f32_e32 v2, v2, v3
	s_wait_alu 0xfffe
	s_delay_alu instid0(VALU_DEP_1) | instskip(SKIP_3) | instid1(VALU_DEP_2)
	v_mad_co_u64_u32 v[0:1], null, s6, s8, v[1:2]
	v_mov_b32_e32 v1, 0
	v_bfe_u32 v3, v2, 16, 1
	v_cmp_o_f32_e32 vcc_lo, v2, v2
	v_add3_u32 v3, v2, v3, 0x7fff
	s_delay_alu instid0(VALU_DEP_4) | instskip(NEXT) | instid1(VALU_DEP_2)
	v_lshlrev_b64_e32 v[0:1], 1, v[0:1]
	v_lshrrev_b32_e32 v3, 16, v3
	s_wait_alu 0xfffd
	s_delay_alu instid0(VALU_DEP_1) | instskip(SKIP_1) | instid1(VALU_DEP_3)
	v_cndmask_b32_e32 v2, 0x7fc0, v3, vcc_lo
	s_wait_kmcnt 0x0
	v_add_co_u32 v0, vcc_lo, s2, v0
	s_wait_alu 0xfffd
	v_add_co_ci_u32_e64 v1, null, s3, v1, vcc_lo
	global_store_b16 v[0:1], v2, off
.LBB276_7:
	s_endpgm
	.section	.rodata,"a",@progbits
	.p2align	6, 0x0
	.amdhsa_kernel _ZL9moe_vec_qIN3c108BFloat16ELi32ELi4E10block_q4_1Li2EXadL_ZL17vec_dot_q4_1_q8_1PKvPK10block_q8_1RKiEEEvS4_S4_PT_PS8_iiii
		.amdhsa_group_segment_fixed_size 0
		.amdhsa_private_segment_fixed_size 0
		.amdhsa_kernarg_size 304
		.amdhsa_user_sgpr_count 2
		.amdhsa_user_sgpr_dispatch_ptr 0
		.amdhsa_user_sgpr_queue_ptr 0
		.amdhsa_user_sgpr_kernarg_segment_ptr 1
		.amdhsa_user_sgpr_dispatch_id 0
		.amdhsa_user_sgpr_private_segment_size 0
		.amdhsa_wavefront_size32 1
		.amdhsa_uses_dynamic_stack 0
		.amdhsa_enable_private_segment 0
		.amdhsa_system_sgpr_workgroup_id_x 1
		.amdhsa_system_sgpr_workgroup_id_y 0
		.amdhsa_system_sgpr_workgroup_id_z 1
		.amdhsa_system_sgpr_workgroup_info 0
		.amdhsa_system_vgpr_workitem_id 1
		.amdhsa_next_free_vgpr 39
		.amdhsa_next_free_sgpr 19
		.amdhsa_reserve_vcc 1
		.amdhsa_float_round_mode_32 0
		.amdhsa_float_round_mode_16_64 0
		.amdhsa_float_denorm_mode_32 3
		.amdhsa_float_denorm_mode_16_64 3
		.amdhsa_fp16_overflow 0
		.amdhsa_workgroup_processor_mode 1
		.amdhsa_memory_ordered 1
		.amdhsa_forward_progress 1
		.amdhsa_inst_pref_size 11
		.amdhsa_round_robin_scheduling 0
		.amdhsa_exception_fp_ieee_invalid_op 0
		.amdhsa_exception_fp_denorm_src 0
		.amdhsa_exception_fp_ieee_div_zero 0
		.amdhsa_exception_fp_ieee_overflow 0
		.amdhsa_exception_fp_ieee_underflow 0
		.amdhsa_exception_fp_ieee_inexact 0
		.amdhsa_exception_int_div_zero 0
	.end_amdhsa_kernel
	.section	.text._ZL9moe_vec_qIN3c108BFloat16ELi32ELi4E10block_q4_1Li2EXadL_ZL17vec_dot_q4_1_q8_1PKvPK10block_q8_1RKiEEEvS4_S4_PT_PS8_iiii,"axG",@progbits,_ZL9moe_vec_qIN3c108BFloat16ELi32ELi4E10block_q4_1Li2EXadL_ZL17vec_dot_q4_1_q8_1PKvPK10block_q8_1RKiEEEvS4_S4_PT_PS8_iiii,comdat
.Lfunc_end276:
	.size	_ZL9moe_vec_qIN3c108BFloat16ELi32ELi4E10block_q4_1Li2EXadL_ZL17vec_dot_q4_1_q8_1PKvPK10block_q8_1RKiEEEvS4_S4_PT_PS8_iiii, .Lfunc_end276-_ZL9moe_vec_qIN3c108BFloat16ELi32ELi4E10block_q4_1Li2EXadL_ZL17vec_dot_q4_1_q8_1PKvPK10block_q8_1RKiEEEvS4_S4_PT_PS8_iiii
                                        ; -- End function
	.set _ZL9moe_vec_qIN3c108BFloat16ELi32ELi4E10block_q4_1Li2EXadL_ZL17vec_dot_q4_1_q8_1PKvPK10block_q8_1RKiEEEvS4_S4_PT_PS8_iiii.num_vgpr, 39
	.set _ZL9moe_vec_qIN3c108BFloat16ELi32ELi4E10block_q4_1Li2EXadL_ZL17vec_dot_q4_1_q8_1PKvPK10block_q8_1RKiEEEvS4_S4_PT_PS8_iiii.num_agpr, 0
	.set _ZL9moe_vec_qIN3c108BFloat16ELi32ELi4E10block_q4_1Li2EXadL_ZL17vec_dot_q4_1_q8_1PKvPK10block_q8_1RKiEEEvS4_S4_PT_PS8_iiii.numbered_sgpr, 19
	.set _ZL9moe_vec_qIN3c108BFloat16ELi32ELi4E10block_q4_1Li2EXadL_ZL17vec_dot_q4_1_q8_1PKvPK10block_q8_1RKiEEEvS4_S4_PT_PS8_iiii.num_named_barrier, 0
	.set _ZL9moe_vec_qIN3c108BFloat16ELi32ELi4E10block_q4_1Li2EXadL_ZL17vec_dot_q4_1_q8_1PKvPK10block_q8_1RKiEEEvS4_S4_PT_PS8_iiii.private_seg_size, 0
	.set _ZL9moe_vec_qIN3c108BFloat16ELi32ELi4E10block_q4_1Li2EXadL_ZL17vec_dot_q4_1_q8_1PKvPK10block_q8_1RKiEEEvS4_S4_PT_PS8_iiii.uses_vcc, 1
	.set _ZL9moe_vec_qIN3c108BFloat16ELi32ELi4E10block_q4_1Li2EXadL_ZL17vec_dot_q4_1_q8_1PKvPK10block_q8_1RKiEEEvS4_S4_PT_PS8_iiii.uses_flat_scratch, 0
	.set _ZL9moe_vec_qIN3c108BFloat16ELi32ELi4E10block_q4_1Li2EXadL_ZL17vec_dot_q4_1_q8_1PKvPK10block_q8_1RKiEEEvS4_S4_PT_PS8_iiii.has_dyn_sized_stack, 0
	.set _ZL9moe_vec_qIN3c108BFloat16ELi32ELi4E10block_q4_1Li2EXadL_ZL17vec_dot_q4_1_q8_1PKvPK10block_q8_1RKiEEEvS4_S4_PT_PS8_iiii.has_recursion, 0
	.set _ZL9moe_vec_qIN3c108BFloat16ELi32ELi4E10block_q4_1Li2EXadL_ZL17vec_dot_q4_1_q8_1PKvPK10block_q8_1RKiEEEvS4_S4_PT_PS8_iiii.has_indirect_call, 0
	.section	.AMDGPU.csdata,"",@progbits
; Kernel info:
; codeLenInByte = 1360
; TotalNumSgprs: 21
; NumVgprs: 39
; ScratchSize: 0
; MemoryBound: 0
; FloatMode: 240
; IeeeMode: 1
; LDSByteSize: 0 bytes/workgroup (compile time only)
; SGPRBlocks: 0
; VGPRBlocks: 4
; NumSGPRsForWavesPerEU: 21
; NumVGPRsForWavesPerEU: 39
; Occupancy: 16
; WaveLimiterHint : 1
; COMPUTE_PGM_RSRC2:SCRATCH_EN: 0
; COMPUTE_PGM_RSRC2:USER_SGPR: 2
; COMPUTE_PGM_RSRC2:TRAP_HANDLER: 0
; COMPUTE_PGM_RSRC2:TGID_X_EN: 1
; COMPUTE_PGM_RSRC2:TGID_Y_EN: 0
; COMPUTE_PGM_RSRC2:TGID_Z_EN: 1
; COMPUTE_PGM_RSRC2:TIDIG_COMP_CNT: 1
	.section	.text._ZL9moe_vec_qIN3c108BFloat16ELi32ELi4E10block_q5_0Li2EXadL_ZL17vec_dot_q5_0_q8_1PKvPK10block_q8_1RKiEEEvS4_S4_PT_PS8_iiii,"axG",@progbits,_ZL9moe_vec_qIN3c108BFloat16ELi32ELi4E10block_q5_0Li2EXadL_ZL17vec_dot_q5_0_q8_1PKvPK10block_q8_1RKiEEEvS4_S4_PT_PS8_iiii,comdat
	.globl	_ZL9moe_vec_qIN3c108BFloat16ELi32ELi4E10block_q5_0Li2EXadL_ZL17vec_dot_q5_0_q8_1PKvPK10block_q8_1RKiEEEvS4_S4_PT_PS8_iiii ; -- Begin function _ZL9moe_vec_qIN3c108BFloat16ELi32ELi4E10block_q5_0Li2EXadL_ZL17vec_dot_q5_0_q8_1PKvPK10block_q8_1RKiEEEvS4_S4_PT_PS8_iiii
	.p2align	8
	.type	_ZL9moe_vec_qIN3c108BFloat16ELi32ELi4E10block_q5_0Li2EXadL_ZL17vec_dot_q5_0_q8_1PKvPK10block_q8_1RKiEEEvS4_S4_PT_PS8_iiii,@function
_ZL9moe_vec_qIN3c108BFloat16ELi32ELi4E10block_q5_0Li2EXadL_ZL17vec_dot_q5_0_q8_1PKvPK10block_q8_1RKiEEEvS4_S4_PT_PS8_iiii: ; @_ZL9moe_vec_qIN3c108BFloat16ELi32ELi4E10block_q5_0Li2EXadL_ZL17vec_dot_q5_0_q8_1PKvPK10block_q8_1RKiEEEvS4_S4_PT_PS8_iiii
; %bb.0:
	s_clause 0x1
	s_load_u16 s2, s[0:1], 0x3e
	s_load_b128 s[4:7], s[0:1], 0x20
	v_bfe_u32 v1, v0, 10, 10
	s_wait_kmcnt 0x0
	s_delay_alu instid0(VALU_DEP_1)
	v_mad_co_u64_u32 v[1:2], null, ttmp9, s2, v[1:2]
	s_mov_b32 s2, exec_lo
	v_cmpx_gt_u32_e64 s6, v1
	s_cbranch_execz .LBB277_7
; %bb.1:
	s_load_b64 s[2:3], s[0:1], 0x10
	s_cvt_f32_u32 s8, s4
	v_bfe_u32 v2, v0, 1, 9
	v_and_b32_e32 v0, 0x3ff, v0
	s_mov_b32 s11, exec_lo
	v_rcp_iflag_f32_e32 v3, s8
	s_ashr_i32 s8, s5, 31
	s_wait_alu 0xfffe
	s_lshr_b32 s8, s8, 27
	s_wait_alu 0xfffe
	s_add_co_i32 s5, s5, s8
	s_lshr_b32 s8, ttmp7, 16
	s_ashr_i32 s10, s5, 5
	s_delay_alu instid0(TRANS32_DEP_1)
	v_readfirstlane_b32 s5, v3
	v_mov_b32_e32 v3, 0
	v_cmpx_gt_u32_e64 s10, v2
	s_cbranch_execz .LBB277_5
; %bb.2:
	s_load_b64 s[12:13], s[0:1], 0x18
	s_mul_f32 s5, s5, 0x4f7ffffe
	s_sub_co_i32 s14, 0, s4
	s_lshl_b32 s15, s8, 2
	s_mov_b32 s9, 0
	s_cvt_u32_f32 s5, s5
	v_lshlrev_b32_e32 v3, 3, v0
	v_mul_lo_u32 v4, v1, s10
	s_delay_alu instid0(SALU_CYCLE_1) | instskip(NEXT) | instid1(SALU_CYCLE_1)
	s_mul_i32 s14, s14, s5
	s_mul_hi_u32 s14, s5, s14
	s_delay_alu instid0(VALU_DEP_2) | instskip(SKIP_1) | instid1(VALU_DEP_2)
	v_and_b32_e32 v5, 8, v3
	v_mov_b32_e32 v3, 0
	v_or_b32_e32 v6, 4, v5
	s_wait_kmcnt 0x0
	s_load_b32 s18, s[12:13], s15 offset:0x0
	s_mov_b32 s13, s9
	s_add_co_i32 s12, s5, s14
	s_delay_alu instid0(SALU_CYCLE_1)
	s_mul_u64 s[16:17], s[8:9], s[12:13]
	s_load_b128 s[12:15], s[0:1], 0x0
	s_mul_i32 s1, s17, s4
	s_add_co_i32 s5, s17, 1
	s_wait_alu 0xfffe
	s_sub_co_i32 s1, s8, s1
	s_mul_i32 s0, s10, s6
	s_wait_alu 0xfffe
	s_sub_co_i32 s16, s1, s4
	s_cmp_ge_u32 s1, s4
	s_cselect_b32 s5, s5, s17
	s_cselect_b32 s1, s16, s1
	s_add_co_i32 s16, s5, 1
	s_wait_alu 0xfffe
	s_cmp_ge_u32 s1, s4
	s_cselect_b32 s4, s16, s5
	s_mov_b32 s5, s9
	s_wait_kmcnt 0x0
	s_mul_i32 s0, s0, s18
	s_mul_i32 s4, s4, s7
	s_wait_alu 0xfffe
	s_ashr_i32 s1, s0, 31
	s_lshl_b64 s[4:5], s[4:5], 2
	s_wait_alu 0xfffe
	s_mul_u64 s[0:1], s[0:1], 22
	s_add_nc_u64 s[4:5], s[14:15], s[4:5]
	s_wait_alu 0xfffe
	s_add_nc_u64 s[0:1], s[12:13], s[0:1]
.LBB277_3:                              ; =>This Inner Loop Header: Depth=1
	v_add_nc_u32_e32 v9, v4, v2
	v_mad_co_i64_i32 v[7:8], null, v2, 36, s[4:5]
	v_add_nc_u32_e32 v2, 16, v2
	s_wait_alu 0xfffe
	s_delay_alu instid0(VALU_DEP_3) | instskip(NEXT) | instid1(VALU_DEP_3)
	v_mad_co_i64_i32 v[9:10], null, v9, 22, s[0:1]
	v_add_co_u32 v11, vcc_lo, v7, v5
	s_wait_alu 0xfffd
	s_delay_alu instid0(VALU_DEP_4) | instskip(NEXT) | instid1(VALU_DEP_3)
	v_add_co_ci_u32_e64 v12, null, 0, v8, vcc_lo
	v_add_co_u32 v13, vcc_lo, v9, v5
	s_wait_alu 0xfffd
	s_delay_alu instid0(VALU_DEP_4)
	v_add_co_ci_u32_e64 v14, null, 0, v10, vcc_lo
	v_cmp_le_u32_e32 vcc_lo, s10, v2
	global_load_b32 v17, v[9:10], off offset:2
	global_load_b64 v[15:16], v[11:12], off offset:4
	global_load_b64 v[13:14], v[13:14], off offset:6
	s_clause 0x1
	global_load_b64 v[11:12], v[11:12], off offset:20
	global_load_b32 v7, v[7:8], off
	global_load_u16 v8, v[9:10], off
	s_or_b32 s9, vcc_lo, s9
	s_wait_loadcnt 0x5
	v_ashrrev_i32_e32 v9, v5, v17
	v_ashrrev_i32_e32 v17, v6, v17
	s_wait_loadcnt 0x3
	v_and_b32_e32 v29, 0xf0f0f0f, v13
	v_lshrrev_b32_e32 v13, 4, v13
	v_and_b32_e32 v37, 0xf0f0f0f, v14
	v_lshlrev_b32_e32 v30, 4, v9
	v_lshlrev_b32_e32 v31, 11, v9
	;; [unrolled: 1-line block ×3, first 2 shown]
	v_lshrrev_b32_e32 v34, 12, v9
	v_lshrrev_b32_e32 v35, 5, v9
	v_lshlrev_b32_e32 v36, 2, v9
	v_lshlrev_b32_e32 v38, 4, v17
	v_lshlrev_b32_e32 v39, 11, v17
	v_lshlrev_b32_e32 v40, 18, v17
	v_lshrrev_b32_e32 v42, 12, v17
	v_lshrrev_b32_e32 v43, 5, v17
	v_lshlrev_b32_e32 v44, 2, v17
	v_lshlrev_b32_e32 v32, 18, v9
	;; [unrolled: 1-line block ×4, first 2 shown]
	v_lshrrev_b32_e32 v14, 4, v14
	v_lshlrev_b32_e32 v17, 9, v17
	v_and_b32_e32 v30, 16, v30
	v_and_b32_e32 v31, 0x1000, v31
	v_and_or_b32 v33, 0x10000000, v33, v29
	v_and_b32_e32 v34, 16, v34
	v_and_b32_e32 v35, 0x1000, v35
	;; [unrolled: 1-line block ×14, first 2 shown]
	v_or3_b32 v29, v30, v29, v31
	v_lshrrev_b32_e32 v30, 24, v33
	v_or3_b32 v31, v35, v34, v36
	v_or3_b32 v33, v39, v38, v40
	v_or3_b32 v34, v43, v42, v44
	v_lshrrev_b16 v10, 8, v15
	v_and_or_b32 v32, 0x100000, v32, v29
	v_lshrrev_b16 v29, 8, v29
	v_or3_b32 v9, v31, v9, v13
	v_or3_b32 v13, v33, v41, v37
	;; [unrolled: 1-line block ×3, first 2 shown]
	s_wait_loadcnt 0x2
	v_lshrrev_b16 v18, 8, v11
	v_ashrrev_i32_e32 v21, 24, v11
	v_ashrrev_i32_e32 v23, 24, v16
	v_bfe_i32 v24, v16, 16, 8
	v_bfe_i32 v25, v16, 8, 8
	;; [unrolled: 1-line block ×4, first 2 shown]
	v_bfe_u32 v17, v32, 16, 5
	v_and_b32_e32 v31, 31, v32
	v_and_b32_e32 v29, 0xffff, v29
	v_lshrrev_b32_e32 v32, 24, v9
	v_lshrrev_b16 v33, 8, v9
	v_lshrrev_b32_e32 v35, 24, v13
	v_lshrrev_b16 v36, 8, v13
	v_bfe_u32 v37, v13, 16, 5
	v_and_b32_e32 v13, 31, v13
	v_lshrrev_b16 v39, 8, v14
	v_ashrrev_i32_e32 v19, 24, v15
	v_bfe_i32 v22, v11, 16, 8
	v_bfe_i32 v11, v11, 0, 8
	v_ashrrev_i32_e32 v26, 24, v12
	v_bfe_i32 v28, v12, 8, 8
	v_bfe_i32 v18, v18, 0, 8
	v_bfe_u32 v34, v9, 16, 5
	v_and_b32_e32 v9, 31, v9
	v_lshrrev_b32_e32 v38, 24, v14
	v_mul_i32_i24_e32 v10, v29, v10
	v_and_b32_e32 v29, 0xffff, v33
	v_mul_i32_i24_e32 v21, v32, v21
	v_mul_i32_i24_e32 v13, v16, v13
	;; [unrolled: 1-line block ×3, first 2 shown]
	v_and_b32_e32 v24, 0xffff, v39
	v_bfe_i32 v20, v15, 16, 8
	v_bfe_i32 v15, v15, 0, 8
	;; [unrolled: 1-line block ×4, first 2 shown]
	v_bfe_u32 v40, v14, 16, 5
	v_and_b32_e32 v14, 31, v14
	v_mul_i32_i24_e32 v9, v9, v11
	v_mul_i32_i24_e32 v11, v34, v22
	v_and_b32_e32 v22, 0xffff, v36
	v_mul_i32_i24_e32 v23, v23, v35
	v_mul_i32_i24_e32 v26, v26, v38
	;; [unrolled: 1-line block ×4, first 2 shown]
	v_mad_i32_i24 v19, v30, v19, v21
	v_mul_i32_i24_e32 v12, v12, v14
	v_mul_i32_i24_e32 v14, v27, v40
	;; [unrolled: 1-line block ×3, first 2 shown]
	v_mad_i32_i24 v9, v31, v15, v9
	v_mad_i32_i24 v11, v17, v20, v11
	v_add3_u32 v10, v10, v18, v24
	v_add3_u32 v15, v19, v26, v23
	s_wait_loadcnt 0x1
	v_lshrrev_b32_e32 v17, 16, v7
	v_add3_u32 v9, v9, v12, v13
	v_add3_u32 v11, v11, v14, v16
	;; [unrolled: 1-line block ×3, first 2 shown]
	s_delay_alu instid0(VALU_DEP_4) | instskip(NEXT) | instid1(VALU_DEP_2)
	v_cvt_f32_f16_e32 v12, v17
	v_add3_u32 v9, v9, v11, v10
	s_delay_alu instid0(VALU_DEP_2) | instskip(NEXT) | instid1(VALU_DEP_2)
	v_mul_f32_e32 v10, 0xc1000000, v12
	v_cvt_f32_i32_e32 v9, v9
	s_delay_alu instid0(VALU_DEP_1) | instskip(SKIP_1) | instid1(VALU_DEP_1)
	v_fma_mix_f32 v7, v7, v9, v10 op_sel_hi:[1,0,0]
	s_wait_loadcnt 0x0
	v_fma_mix_f32 v3, v7, v8, v3 op_sel_hi:[0,1,0]
	s_wait_alu 0xfffe
	s_and_not1_b32 exec_lo, exec_lo, s9
	s_cbranch_execnz .LBB277_3
; %bb.4:
	s_or_b32 exec_lo, exec_lo, s9
.LBB277_5:
	s_delay_alu instid0(SALU_CYCLE_1) | instskip(SKIP_1) | instid1(VALU_DEP_1)
	s_or_b32 exec_lo, exec_lo, s11
	v_mbcnt_lo_u32_b32 v2, -1, 0
	v_xor_b32_e32 v4, 16, v2
	v_xor_b32_e32 v5, 8, v2
	s_delay_alu instid0(VALU_DEP_2) | instskip(SKIP_2) | instid1(VALU_DEP_3)
	v_cmp_gt_i32_e32 vcc_lo, 32, v4
	s_wait_alu 0xfffd
	v_cndmask_b32_e32 v4, v2, v4, vcc_lo
	v_cmp_gt_i32_e32 vcc_lo, 32, v5
	s_wait_alu 0xfffd
	v_cndmask_b32_e32 v5, v2, v5, vcc_lo
	s_delay_alu instid0(VALU_DEP_1)
	v_lshlrev_b32_e32 v5, 2, v5
	v_lshlrev_b32_e32 v4, 2, v4
	ds_bpermute_b32 v4, v4, v3
	s_wait_dscnt 0x0
	v_add_f32_e32 v3, v3, v4
	ds_bpermute_b32 v4, v5, v3
	v_xor_b32_e32 v5, 4, v2
	s_delay_alu instid0(VALU_DEP_1) | instskip(SKIP_2) | instid1(VALU_DEP_1)
	v_cmp_gt_i32_e32 vcc_lo, 32, v5
	s_wait_alu 0xfffd
	v_cndmask_b32_e32 v5, v2, v5, vcc_lo
	v_lshlrev_b32_e32 v5, 2, v5
	s_wait_dscnt 0x0
	v_add_f32_e32 v3, v3, v4
	ds_bpermute_b32 v4, v5, v3
	v_xor_b32_e32 v5, 2, v2
	s_delay_alu instid0(VALU_DEP_1) | instskip(SKIP_2) | instid1(VALU_DEP_1)
	v_cmp_gt_i32_e32 vcc_lo, 32, v5
	s_wait_alu 0xfffd
	v_cndmask_b32_e32 v5, v2, v5, vcc_lo
	v_lshlrev_b32_e32 v5, 2, v5
	s_wait_dscnt 0x0
	v_add_f32_e32 v3, v3, v4
	ds_bpermute_b32 v4, v5, v3
	v_xor_b32_e32 v5, 1, v2
	s_delay_alu instid0(VALU_DEP_1) | instskip(SKIP_4) | instid1(VALU_DEP_2)
	v_cmp_gt_i32_e32 vcc_lo, 32, v5
	s_wait_alu 0xfffd
	v_cndmask_b32_e32 v5, v2, v5, vcc_lo
	v_cmp_eq_u32_e32 vcc_lo, 0, v0
	s_wait_dscnt 0x0
	v_dual_add_f32 v2, v3, v4 :: v_dual_lshlrev_b32 v3, 2, v5
	ds_bpermute_b32 v3, v3, v2
	s_and_b32 exec_lo, exec_lo, vcc_lo
	s_cbranch_execz .LBB277_7
; %bb.6:
	s_wait_dscnt 0x0
	v_add_f32_e32 v2, v2, v3
	s_wait_alu 0xfffe
	s_delay_alu instid0(VALU_DEP_1) | instskip(SKIP_3) | instid1(VALU_DEP_2)
	v_mad_co_u64_u32 v[0:1], null, s6, s8, v[1:2]
	v_mov_b32_e32 v1, 0
	v_bfe_u32 v3, v2, 16, 1
	v_cmp_o_f32_e32 vcc_lo, v2, v2
	v_add3_u32 v3, v2, v3, 0x7fff
	s_delay_alu instid0(VALU_DEP_4) | instskip(NEXT) | instid1(VALU_DEP_2)
	v_lshlrev_b64_e32 v[0:1], 1, v[0:1]
	v_lshrrev_b32_e32 v3, 16, v3
	s_wait_alu 0xfffd
	s_delay_alu instid0(VALU_DEP_1) | instskip(SKIP_1) | instid1(VALU_DEP_3)
	v_cndmask_b32_e32 v2, 0x7fc0, v3, vcc_lo
	s_wait_kmcnt 0x0
	v_add_co_u32 v0, vcc_lo, s2, v0
	s_wait_alu 0xfffd
	v_add_co_ci_u32_e64 v1, null, s3, v1, vcc_lo
	global_store_b16 v[0:1], v2, off
.LBB277_7:
	s_endpgm
	.section	.rodata,"a",@progbits
	.p2align	6, 0x0
	.amdhsa_kernel _ZL9moe_vec_qIN3c108BFloat16ELi32ELi4E10block_q5_0Li2EXadL_ZL17vec_dot_q5_0_q8_1PKvPK10block_q8_1RKiEEEvS4_S4_PT_PS8_iiii
		.amdhsa_group_segment_fixed_size 0
		.amdhsa_private_segment_fixed_size 0
		.amdhsa_kernarg_size 304
		.amdhsa_user_sgpr_count 2
		.amdhsa_user_sgpr_dispatch_ptr 0
		.amdhsa_user_sgpr_queue_ptr 0
		.amdhsa_user_sgpr_kernarg_segment_ptr 1
		.amdhsa_user_sgpr_dispatch_id 0
		.amdhsa_user_sgpr_private_segment_size 0
		.amdhsa_wavefront_size32 1
		.amdhsa_uses_dynamic_stack 0
		.amdhsa_enable_private_segment 0
		.amdhsa_system_sgpr_workgroup_id_x 1
		.amdhsa_system_sgpr_workgroup_id_y 0
		.amdhsa_system_sgpr_workgroup_id_z 1
		.amdhsa_system_sgpr_workgroup_info 0
		.amdhsa_system_vgpr_workitem_id 1
		.amdhsa_next_free_vgpr 45
		.amdhsa_next_free_sgpr 19
		.amdhsa_reserve_vcc 1
		.amdhsa_float_round_mode_32 0
		.amdhsa_float_round_mode_16_64 0
		.amdhsa_float_denorm_mode_32 3
		.amdhsa_float_denorm_mode_16_64 3
		.amdhsa_fp16_overflow 0
		.amdhsa_workgroup_processor_mode 1
		.amdhsa_memory_ordered 1
		.amdhsa_forward_progress 1
		.amdhsa_inst_pref_size 13
		.amdhsa_round_robin_scheduling 0
		.amdhsa_exception_fp_ieee_invalid_op 0
		.amdhsa_exception_fp_denorm_src 0
		.amdhsa_exception_fp_ieee_div_zero 0
		.amdhsa_exception_fp_ieee_overflow 0
		.amdhsa_exception_fp_ieee_underflow 0
		.amdhsa_exception_fp_ieee_inexact 0
		.amdhsa_exception_int_div_zero 0
	.end_amdhsa_kernel
	.section	.text._ZL9moe_vec_qIN3c108BFloat16ELi32ELi4E10block_q5_0Li2EXadL_ZL17vec_dot_q5_0_q8_1PKvPK10block_q8_1RKiEEEvS4_S4_PT_PS8_iiii,"axG",@progbits,_ZL9moe_vec_qIN3c108BFloat16ELi32ELi4E10block_q5_0Li2EXadL_ZL17vec_dot_q5_0_q8_1PKvPK10block_q8_1RKiEEEvS4_S4_PT_PS8_iiii,comdat
.Lfunc_end277:
	.size	_ZL9moe_vec_qIN3c108BFloat16ELi32ELi4E10block_q5_0Li2EXadL_ZL17vec_dot_q5_0_q8_1PKvPK10block_q8_1RKiEEEvS4_S4_PT_PS8_iiii, .Lfunc_end277-_ZL9moe_vec_qIN3c108BFloat16ELi32ELi4E10block_q5_0Li2EXadL_ZL17vec_dot_q5_0_q8_1PKvPK10block_q8_1RKiEEEvS4_S4_PT_PS8_iiii
                                        ; -- End function
	.set _ZL9moe_vec_qIN3c108BFloat16ELi32ELi4E10block_q5_0Li2EXadL_ZL17vec_dot_q5_0_q8_1PKvPK10block_q8_1RKiEEEvS4_S4_PT_PS8_iiii.num_vgpr, 45
	.set _ZL9moe_vec_qIN3c108BFloat16ELi32ELi4E10block_q5_0Li2EXadL_ZL17vec_dot_q5_0_q8_1PKvPK10block_q8_1RKiEEEvS4_S4_PT_PS8_iiii.num_agpr, 0
	.set _ZL9moe_vec_qIN3c108BFloat16ELi32ELi4E10block_q5_0Li2EXadL_ZL17vec_dot_q5_0_q8_1PKvPK10block_q8_1RKiEEEvS4_S4_PT_PS8_iiii.numbered_sgpr, 19
	.set _ZL9moe_vec_qIN3c108BFloat16ELi32ELi4E10block_q5_0Li2EXadL_ZL17vec_dot_q5_0_q8_1PKvPK10block_q8_1RKiEEEvS4_S4_PT_PS8_iiii.num_named_barrier, 0
	.set _ZL9moe_vec_qIN3c108BFloat16ELi32ELi4E10block_q5_0Li2EXadL_ZL17vec_dot_q5_0_q8_1PKvPK10block_q8_1RKiEEEvS4_S4_PT_PS8_iiii.private_seg_size, 0
	.set _ZL9moe_vec_qIN3c108BFloat16ELi32ELi4E10block_q5_0Li2EXadL_ZL17vec_dot_q5_0_q8_1PKvPK10block_q8_1RKiEEEvS4_S4_PT_PS8_iiii.uses_vcc, 1
	.set _ZL9moe_vec_qIN3c108BFloat16ELi32ELi4E10block_q5_0Li2EXadL_ZL17vec_dot_q5_0_q8_1PKvPK10block_q8_1RKiEEEvS4_S4_PT_PS8_iiii.uses_flat_scratch, 0
	.set _ZL9moe_vec_qIN3c108BFloat16ELi32ELi4E10block_q5_0Li2EXadL_ZL17vec_dot_q5_0_q8_1PKvPK10block_q8_1RKiEEEvS4_S4_PT_PS8_iiii.has_dyn_sized_stack, 0
	.set _ZL9moe_vec_qIN3c108BFloat16ELi32ELi4E10block_q5_0Li2EXadL_ZL17vec_dot_q5_0_q8_1PKvPK10block_q8_1RKiEEEvS4_S4_PT_PS8_iiii.has_recursion, 0
	.set _ZL9moe_vec_qIN3c108BFloat16ELi32ELi4E10block_q5_0Li2EXadL_ZL17vec_dot_q5_0_q8_1PKvPK10block_q8_1RKiEEEvS4_S4_PT_PS8_iiii.has_indirect_call, 0
	.section	.AMDGPU.csdata,"",@progbits
; Kernel info:
; codeLenInByte = 1616
; TotalNumSgprs: 21
; NumVgprs: 45
; ScratchSize: 0
; MemoryBound: 0
; FloatMode: 240
; IeeeMode: 1
; LDSByteSize: 0 bytes/workgroup (compile time only)
; SGPRBlocks: 0
; VGPRBlocks: 5
; NumSGPRsForWavesPerEU: 21
; NumVGPRsForWavesPerEU: 45
; Occupancy: 16
; WaveLimiterHint : 1
; COMPUTE_PGM_RSRC2:SCRATCH_EN: 0
; COMPUTE_PGM_RSRC2:USER_SGPR: 2
; COMPUTE_PGM_RSRC2:TRAP_HANDLER: 0
; COMPUTE_PGM_RSRC2:TGID_X_EN: 1
; COMPUTE_PGM_RSRC2:TGID_Y_EN: 0
; COMPUTE_PGM_RSRC2:TGID_Z_EN: 1
; COMPUTE_PGM_RSRC2:TIDIG_COMP_CNT: 1
	.section	.text._ZL9moe_vec_qIN3c108BFloat16ELi32ELi4E10block_q5_1Li2EXadL_ZL17vec_dot_q5_1_q8_1PKvPK10block_q8_1RKiEEEvS4_S4_PT_PS8_iiii,"axG",@progbits,_ZL9moe_vec_qIN3c108BFloat16ELi32ELi4E10block_q5_1Li2EXadL_ZL17vec_dot_q5_1_q8_1PKvPK10block_q8_1RKiEEEvS4_S4_PT_PS8_iiii,comdat
	.globl	_ZL9moe_vec_qIN3c108BFloat16ELi32ELi4E10block_q5_1Li2EXadL_ZL17vec_dot_q5_1_q8_1PKvPK10block_q8_1RKiEEEvS4_S4_PT_PS8_iiii ; -- Begin function _ZL9moe_vec_qIN3c108BFloat16ELi32ELi4E10block_q5_1Li2EXadL_ZL17vec_dot_q5_1_q8_1PKvPK10block_q8_1RKiEEEvS4_S4_PT_PS8_iiii
	.p2align	8
	.type	_ZL9moe_vec_qIN3c108BFloat16ELi32ELi4E10block_q5_1Li2EXadL_ZL17vec_dot_q5_1_q8_1PKvPK10block_q8_1RKiEEEvS4_S4_PT_PS8_iiii,@function
_ZL9moe_vec_qIN3c108BFloat16ELi32ELi4E10block_q5_1Li2EXadL_ZL17vec_dot_q5_1_q8_1PKvPK10block_q8_1RKiEEEvS4_S4_PT_PS8_iiii: ; @_ZL9moe_vec_qIN3c108BFloat16ELi32ELi4E10block_q5_1Li2EXadL_ZL17vec_dot_q5_1_q8_1PKvPK10block_q8_1RKiEEEvS4_S4_PT_PS8_iiii
; %bb.0:
	s_clause 0x1
	s_load_u16 s2, s[0:1], 0x3e
	s_load_b128 s[4:7], s[0:1], 0x20
	v_bfe_u32 v1, v0, 10, 10
	s_wait_kmcnt 0x0
	s_delay_alu instid0(VALU_DEP_1)
	v_mad_co_u64_u32 v[1:2], null, ttmp9, s2, v[1:2]
	s_mov_b32 s2, exec_lo
	v_cmpx_gt_u32_e64 s6, v1
	s_cbranch_execz .LBB278_7
; %bb.1:
	s_load_b64 s[2:3], s[0:1], 0x10
	s_cvt_f32_u32 s8, s4
	v_bfe_u32 v2, v0, 1, 9
	v_and_b32_e32 v0, 0x3ff, v0
	s_mov_b32 s11, exec_lo
	v_rcp_iflag_f32_e32 v3, s8
	s_ashr_i32 s8, s5, 31
	s_wait_alu 0xfffe
	s_lshr_b32 s8, s8, 27
	s_wait_alu 0xfffe
	s_add_co_i32 s5, s5, s8
	s_lshr_b32 s8, ttmp7, 16
	s_ashr_i32 s10, s5, 5
	s_delay_alu instid0(TRANS32_DEP_1)
	v_readfirstlane_b32 s5, v3
	v_mov_b32_e32 v3, 0
	v_cmpx_gt_u32_e64 s10, v2
	s_cbranch_execz .LBB278_5
; %bb.2:
	s_load_b64 s[12:13], s[0:1], 0x18
	s_mul_f32 s5, s5, 0x4f7ffffe
	s_sub_co_i32 s14, 0, s4
	s_lshl_b32 s15, s8, 2
	s_mov_b32 s9, 0
	s_cvt_u32_f32 s5, s5
	v_lshlrev_b32_e32 v3, 3, v0
	v_mul_lo_u32 v4, v1, s10
	s_delay_alu instid0(SALU_CYCLE_1) | instskip(NEXT) | instid1(SALU_CYCLE_1)
	s_mul_i32 s14, s14, s5
	s_mul_hi_u32 s14, s5, s14
	s_delay_alu instid0(VALU_DEP_2) | instskip(SKIP_1) | instid1(VALU_DEP_2)
	v_and_b32_e32 v5, 8, v3
	v_mov_b32_e32 v3, 0
	v_or_b32_e32 v6, 4, v5
	s_wait_kmcnt 0x0
	s_load_b32 s18, s[12:13], s15 offset:0x0
	s_mov_b32 s13, s9
	s_add_co_i32 s12, s5, s14
	s_delay_alu instid0(SALU_CYCLE_1)
	s_mul_u64 s[16:17], s[8:9], s[12:13]
	s_load_b128 s[12:15], s[0:1], 0x0
	s_mul_i32 s1, s17, s4
	s_add_co_i32 s5, s17, 1
	s_wait_alu 0xfffe
	s_sub_co_i32 s1, s8, s1
	s_mul_i32 s0, s10, s6
	s_wait_alu 0xfffe
	s_sub_co_i32 s16, s1, s4
	s_cmp_ge_u32 s1, s4
	s_cselect_b32 s5, s5, s17
	s_cselect_b32 s1, s16, s1
	s_add_co_i32 s16, s5, 1
	s_wait_alu 0xfffe
	s_cmp_ge_u32 s1, s4
	s_cselect_b32 s4, s16, s5
	s_mov_b32 s5, s9
	s_wait_kmcnt 0x0
	s_mul_i32 s0, s0, s18
	s_mul_i32 s4, s4, s7
	s_wait_alu 0xfffe
	s_ashr_i32 s1, s0, 31
	s_lshl_b64 s[4:5], s[4:5], 2
	s_wait_alu 0xfffe
	s_mul_u64 s[0:1], s[0:1], 24
	s_add_nc_u64 s[4:5], s[14:15], s[4:5]
	s_wait_alu 0xfffe
	s_add_nc_u64 s[0:1], s[12:13], s[0:1]
.LBB278_3:                              ; =>This Inner Loop Header: Depth=1
	v_mad_co_i64_i32 v[7:8], null, v2, 36, s[4:5]
	v_add_nc_u32_e32 v9, v4, v2
	v_add_nc_u32_e32 v2, 16, v2
	s_wait_alu 0xfffe
	s_delay_alu instid0(VALU_DEP_2) | instskip(NEXT) | instid1(VALU_DEP_4)
	v_mad_co_i64_i32 v[9:10], null, v9, 24, s[0:1]
	v_add_co_u32 v11, vcc_lo, v7, v5
	s_wait_alu 0xfffd
	v_add_co_ci_u32_e64 v12, null, 0, v8, vcc_lo
	global_load_b64 v[13:14], v[9:10], off
	s_clause 0x1
	global_load_b64 v[15:16], v[11:12], off offset:4
	global_load_b64 v[11:12], v[11:12], off offset:20
	v_add_co_u32 v9, vcc_lo, v9, v5
	s_wait_alu 0xfffd
	v_add_co_ci_u32_e64 v10, null, 0, v10, vcc_lo
	v_cmp_le_u32_e32 vcc_lo, s10, v2
	global_load_b64 v[9:10], v[9:10], off offset:8
	global_load_b32 v7, v[7:8], off
	s_or_b32 s9, vcc_lo, s9
	s_wait_loadcnt 0x4
	v_ashrrev_i32_e32 v8, v5, v14
	v_ashrrev_i32_e32 v14, v6, v14
	s_wait_loadcnt 0x3
	v_lshrrev_b16 v17, 8, v15
	s_wait_loadcnt 0x2
	v_lshrrev_b16 v18, 8, v11
	v_ashrrev_i32_e32 v21, 24, v11
	v_lshlrev_b32_e32 v29, 4, v8
	v_lshlrev_b32_e32 v30, 11, v8
	;; [unrolled: 1-line block ×3, first 2 shown]
	v_lshrrev_b32_e32 v33, 12, v8
	v_lshrrev_b32_e32 v34, 5, v8
	s_wait_loadcnt 0x0
	v_pk_mul_f16 v7, v13, v7
	v_and_b32_e32 v13, 0xf0f0f0f, v9
	v_lshlrev_b32_e32 v35, 2, v8
	v_lshlrev_b32_e32 v37, 4, v14
	v_lshlrev_b32_e32 v38, 11, v14
	v_lshlrev_b32_e32 v39, 18, v14
	v_lshrrev_b32_e32 v41, 12, v14
	v_lshrrev_b32_e32 v42, 5, v14
	v_lshlrev_b32_e32 v43, 2, v14
	v_lshlrev_b32_e32 v31, 18, v8
	v_lshrrev_b32_e32 v9, 4, v9
	v_lshlrev_b32_e32 v8, 9, v8
	v_and_b32_e32 v36, 0xf0f0f0f, v10
	v_lshlrev_b32_e32 v40, 25, v14
	v_lshrrev_b32_e32 v10, 4, v10
	v_lshlrev_b32_e32 v14, 9, v14
	v_and_b32_e32 v29, 16, v29
	v_and_b32_e32 v30, 0x1000, v30
	v_and_or_b32 v32, 0x10000000, v32, v13
	v_and_b32_e32 v33, 16, v33
	v_and_b32_e32 v34, 0x1000, v34
	v_and_b32_e32 v35, 0x100000, v35
	v_and_b32_e32 v37, 16, v37
	v_and_b32_e32 v38, 0x1000, v38
	v_and_b32_e32 v39, 0x100000, v39
	v_and_b32_e32 v41, 16, v41
	v_and_b32_e32 v42, 0x1000, v42
	v_and_b32_e32 v43, 0x100000, v43
	v_and_b32_e32 v9, 0xf0f0f0f, v9
	v_and_b32_e32 v8, 0x10000000, v8
	v_and_b32_e32 v40, 0x10000000, v40
	v_and_b32_e32 v10, 0xf0f0f0f, v10
	v_and_b32_e32 v14, 0x10000000, v14
	v_or3_b32 v13, v29, v13, v30
	v_lshrrev_b32_e32 v29, 24, v32
	v_or3_b32 v30, v34, v33, v35
	v_or3_b32 v32, v38, v37, v39
	;; [unrolled: 1-line block ×3, first 2 shown]
	v_and_or_b32 v31, 0x100000, v31, v13
	v_lshrrev_b16 v13, 8, v13
	v_or3_b32 v8, v30, v8, v9
	v_or3_b32 v9, v32, v40, v36
	;; [unrolled: 1-line block ×3, first 2 shown]
	v_ashrrev_i32_e32 v23, 24, v16
	v_bfe_i32 v24, v16, 16, 8
	v_bfe_i32 v25, v16, 8, 8
	v_bfe_i32 v16, v16, 0, 8
	v_bfe_i32 v17, v17, 0, 8
	v_bfe_u32 v14, v31, 16, 5
	v_and_b32_e32 v30, 31, v31
	v_and_b32_e32 v13, 0xffff, v13
	v_lshrrev_b32_e32 v31, 24, v8
	v_lshrrev_b16 v32, 8, v8
	v_lshrrev_b32_e32 v34, 24, v9
	v_lshrrev_b16 v35, 8, v9
	v_bfe_u32 v36, v9, 16, 5
	v_and_b32_e32 v9, 31, v9
	v_lshrrev_b16 v38, 8, v10
	v_ashrrev_i32_e32 v19, 24, v15
	v_bfe_i32 v22, v11, 16, 8
	v_bfe_i32 v11, v11, 0, 8
	v_ashrrev_i32_e32 v26, 24, v12
	v_bfe_i32 v28, v12, 8, 8
	v_bfe_i32 v18, v18, 0, 8
	v_bfe_u32 v33, v8, 16, 5
	v_and_b32_e32 v8, 31, v8
	v_lshrrev_b32_e32 v37, 24, v10
	v_mul_i32_i24_e32 v13, v13, v17
	v_and_b32_e32 v17, 0xffff, v32
	v_mul_i32_i24_e32 v21, v31, v21
	v_mul_i32_i24_e32 v9, v16, v9
	v_mul_i32_i24_e32 v16, v24, v36
	v_and_b32_e32 v24, 0xffff, v38
	v_bfe_i32 v20, v15, 16, 8
	v_bfe_i32 v15, v15, 0, 8
	;; [unrolled: 1-line block ×4, first 2 shown]
	v_bfe_u32 v39, v10, 16, 5
	v_and_b32_e32 v10, 31, v10
	v_mul_i32_i24_e32 v8, v8, v11
	v_mul_i32_i24_e32 v11, v33, v22
	v_and_b32_e32 v22, 0xffff, v35
	v_mul_i32_i24_e32 v23, v23, v34
	v_mul_i32_i24_e32 v26, v26, v37
	;; [unrolled: 1-line block ×4, first 2 shown]
	v_mad_i32_i24 v19, v29, v19, v21
	v_mul_i32_i24_e32 v10, v12, v10
	v_mul_i32_i24_e32 v12, v27, v39
	;; [unrolled: 1-line block ×3, first 2 shown]
	v_mad_i32_i24 v8, v30, v15, v8
	v_mad_i32_i24 v11, v14, v20, v11
	v_add3_u32 v13, v13, v17, v18
	v_add3_u32 v14, v19, v26, v23
	v_lshrrev_b32_e32 v15, 16, v7
	v_add3_u32 v8, v8, v10, v9
	v_add3_u32 v11, v11, v12, v16
	s_delay_alu instid0(VALU_DEP_4) | instskip(NEXT) | instid1(VALU_DEP_4)
	v_add3_u32 v9, v13, v21, v14
	v_cvt_f32_f16_e32 v10, v15
	s_delay_alu instid0(VALU_DEP_2) | instskip(NEXT) | instid1(VALU_DEP_2)
	v_add3_u32 v8, v8, v11, v9
	v_mul_f32_e32 v9, 0.5, v10
	s_delay_alu instid0(VALU_DEP_2) | instskip(NEXT) | instid1(VALU_DEP_1)
	v_cvt_f32_i32_e32 v8, v8
	v_fma_mix_f32 v7, v8, v7, v9 op_sel_hi:[0,1,0]
	s_delay_alu instid0(VALU_DEP_1)
	v_add_f32_e32 v3, v3, v7
	s_wait_alu 0xfffe
	s_and_not1_b32 exec_lo, exec_lo, s9
	s_cbranch_execnz .LBB278_3
; %bb.4:
	s_or_b32 exec_lo, exec_lo, s9
.LBB278_5:
	s_delay_alu instid0(SALU_CYCLE_1) | instskip(SKIP_1) | instid1(VALU_DEP_1)
	s_or_b32 exec_lo, exec_lo, s11
	v_mbcnt_lo_u32_b32 v2, -1, 0
	v_xor_b32_e32 v4, 16, v2
	v_xor_b32_e32 v5, 8, v2
	s_delay_alu instid0(VALU_DEP_2) | instskip(SKIP_2) | instid1(VALU_DEP_3)
	v_cmp_gt_i32_e32 vcc_lo, 32, v4
	s_wait_alu 0xfffd
	v_cndmask_b32_e32 v4, v2, v4, vcc_lo
	v_cmp_gt_i32_e32 vcc_lo, 32, v5
	s_wait_alu 0xfffd
	v_cndmask_b32_e32 v5, v2, v5, vcc_lo
	s_delay_alu instid0(VALU_DEP_1)
	v_lshlrev_b32_e32 v5, 2, v5
	v_lshlrev_b32_e32 v4, 2, v4
	ds_bpermute_b32 v4, v4, v3
	s_wait_dscnt 0x0
	v_add_f32_e32 v3, v3, v4
	ds_bpermute_b32 v4, v5, v3
	v_xor_b32_e32 v5, 4, v2
	s_delay_alu instid0(VALU_DEP_1) | instskip(SKIP_2) | instid1(VALU_DEP_1)
	v_cmp_gt_i32_e32 vcc_lo, 32, v5
	s_wait_alu 0xfffd
	v_cndmask_b32_e32 v5, v2, v5, vcc_lo
	v_lshlrev_b32_e32 v5, 2, v5
	s_wait_dscnt 0x0
	v_add_f32_e32 v3, v3, v4
	ds_bpermute_b32 v4, v5, v3
	v_xor_b32_e32 v5, 2, v2
	s_delay_alu instid0(VALU_DEP_1) | instskip(SKIP_2) | instid1(VALU_DEP_1)
	v_cmp_gt_i32_e32 vcc_lo, 32, v5
	s_wait_alu 0xfffd
	v_cndmask_b32_e32 v5, v2, v5, vcc_lo
	v_lshlrev_b32_e32 v5, 2, v5
	s_wait_dscnt 0x0
	v_add_f32_e32 v3, v3, v4
	ds_bpermute_b32 v4, v5, v3
	v_xor_b32_e32 v5, 1, v2
	s_delay_alu instid0(VALU_DEP_1) | instskip(SKIP_4) | instid1(VALU_DEP_2)
	v_cmp_gt_i32_e32 vcc_lo, 32, v5
	s_wait_alu 0xfffd
	v_cndmask_b32_e32 v5, v2, v5, vcc_lo
	v_cmp_eq_u32_e32 vcc_lo, 0, v0
	s_wait_dscnt 0x0
	v_dual_add_f32 v2, v3, v4 :: v_dual_lshlrev_b32 v3, 2, v5
	ds_bpermute_b32 v3, v3, v2
	s_and_b32 exec_lo, exec_lo, vcc_lo
	s_cbranch_execz .LBB278_7
; %bb.6:
	s_wait_dscnt 0x0
	v_add_f32_e32 v2, v2, v3
	s_wait_alu 0xfffe
	s_delay_alu instid0(VALU_DEP_1) | instskip(SKIP_3) | instid1(VALU_DEP_2)
	v_mad_co_u64_u32 v[0:1], null, s6, s8, v[1:2]
	v_mov_b32_e32 v1, 0
	v_bfe_u32 v3, v2, 16, 1
	v_cmp_o_f32_e32 vcc_lo, v2, v2
	v_add3_u32 v3, v2, v3, 0x7fff
	s_delay_alu instid0(VALU_DEP_4) | instskip(NEXT) | instid1(VALU_DEP_2)
	v_lshlrev_b64_e32 v[0:1], 1, v[0:1]
	v_lshrrev_b32_e32 v3, 16, v3
	s_wait_alu 0xfffd
	s_delay_alu instid0(VALU_DEP_1) | instskip(SKIP_1) | instid1(VALU_DEP_3)
	v_cndmask_b32_e32 v2, 0x7fc0, v3, vcc_lo
	s_wait_kmcnt 0x0
	v_add_co_u32 v0, vcc_lo, s2, v0
	s_wait_alu 0xfffd
	v_add_co_ci_u32_e64 v1, null, s3, v1, vcc_lo
	global_store_b16 v[0:1], v2, off
.LBB278_7:
	s_endpgm
	.section	.rodata,"a",@progbits
	.p2align	6, 0x0
	.amdhsa_kernel _ZL9moe_vec_qIN3c108BFloat16ELi32ELi4E10block_q5_1Li2EXadL_ZL17vec_dot_q5_1_q8_1PKvPK10block_q8_1RKiEEEvS4_S4_PT_PS8_iiii
		.amdhsa_group_segment_fixed_size 0
		.amdhsa_private_segment_fixed_size 0
		.amdhsa_kernarg_size 304
		.amdhsa_user_sgpr_count 2
		.amdhsa_user_sgpr_dispatch_ptr 0
		.amdhsa_user_sgpr_queue_ptr 0
		.amdhsa_user_sgpr_kernarg_segment_ptr 1
		.amdhsa_user_sgpr_dispatch_id 0
		.amdhsa_user_sgpr_private_segment_size 0
		.amdhsa_wavefront_size32 1
		.amdhsa_uses_dynamic_stack 0
		.amdhsa_enable_private_segment 0
		.amdhsa_system_sgpr_workgroup_id_x 1
		.amdhsa_system_sgpr_workgroup_id_y 0
		.amdhsa_system_sgpr_workgroup_id_z 1
		.amdhsa_system_sgpr_workgroup_info 0
		.amdhsa_system_vgpr_workitem_id 1
		.amdhsa_next_free_vgpr 44
		.amdhsa_next_free_sgpr 19
		.amdhsa_reserve_vcc 1
		.amdhsa_float_round_mode_32 0
		.amdhsa_float_round_mode_16_64 0
		.amdhsa_float_denorm_mode_32 3
		.amdhsa_float_denorm_mode_16_64 3
		.amdhsa_fp16_overflow 0
		.amdhsa_workgroup_processor_mode 1
		.amdhsa_memory_ordered 1
		.amdhsa_forward_progress 1
		.amdhsa_inst_pref_size 13
		.amdhsa_round_robin_scheduling 0
		.amdhsa_exception_fp_ieee_invalid_op 0
		.amdhsa_exception_fp_denorm_src 0
		.amdhsa_exception_fp_ieee_div_zero 0
		.amdhsa_exception_fp_ieee_overflow 0
		.amdhsa_exception_fp_ieee_underflow 0
		.amdhsa_exception_fp_ieee_inexact 0
		.amdhsa_exception_int_div_zero 0
	.end_amdhsa_kernel
	.section	.text._ZL9moe_vec_qIN3c108BFloat16ELi32ELi4E10block_q5_1Li2EXadL_ZL17vec_dot_q5_1_q8_1PKvPK10block_q8_1RKiEEEvS4_S4_PT_PS8_iiii,"axG",@progbits,_ZL9moe_vec_qIN3c108BFloat16ELi32ELi4E10block_q5_1Li2EXadL_ZL17vec_dot_q5_1_q8_1PKvPK10block_q8_1RKiEEEvS4_S4_PT_PS8_iiii,comdat
.Lfunc_end278:
	.size	_ZL9moe_vec_qIN3c108BFloat16ELi32ELi4E10block_q5_1Li2EXadL_ZL17vec_dot_q5_1_q8_1PKvPK10block_q8_1RKiEEEvS4_S4_PT_PS8_iiii, .Lfunc_end278-_ZL9moe_vec_qIN3c108BFloat16ELi32ELi4E10block_q5_1Li2EXadL_ZL17vec_dot_q5_1_q8_1PKvPK10block_q8_1RKiEEEvS4_S4_PT_PS8_iiii
                                        ; -- End function
	.set _ZL9moe_vec_qIN3c108BFloat16ELi32ELi4E10block_q5_1Li2EXadL_ZL17vec_dot_q5_1_q8_1PKvPK10block_q8_1RKiEEEvS4_S4_PT_PS8_iiii.num_vgpr, 44
	.set _ZL9moe_vec_qIN3c108BFloat16ELi32ELi4E10block_q5_1Li2EXadL_ZL17vec_dot_q5_1_q8_1PKvPK10block_q8_1RKiEEEvS4_S4_PT_PS8_iiii.num_agpr, 0
	.set _ZL9moe_vec_qIN3c108BFloat16ELi32ELi4E10block_q5_1Li2EXadL_ZL17vec_dot_q5_1_q8_1PKvPK10block_q8_1RKiEEEvS4_S4_PT_PS8_iiii.numbered_sgpr, 19
	.set _ZL9moe_vec_qIN3c108BFloat16ELi32ELi4E10block_q5_1Li2EXadL_ZL17vec_dot_q5_1_q8_1PKvPK10block_q8_1RKiEEEvS4_S4_PT_PS8_iiii.num_named_barrier, 0
	.set _ZL9moe_vec_qIN3c108BFloat16ELi32ELi4E10block_q5_1Li2EXadL_ZL17vec_dot_q5_1_q8_1PKvPK10block_q8_1RKiEEEvS4_S4_PT_PS8_iiii.private_seg_size, 0
	.set _ZL9moe_vec_qIN3c108BFloat16ELi32ELi4E10block_q5_1Li2EXadL_ZL17vec_dot_q5_1_q8_1PKvPK10block_q8_1RKiEEEvS4_S4_PT_PS8_iiii.uses_vcc, 1
	.set _ZL9moe_vec_qIN3c108BFloat16ELi32ELi4E10block_q5_1Li2EXadL_ZL17vec_dot_q5_1_q8_1PKvPK10block_q8_1RKiEEEvS4_S4_PT_PS8_iiii.uses_flat_scratch, 0
	.set _ZL9moe_vec_qIN3c108BFloat16ELi32ELi4E10block_q5_1Li2EXadL_ZL17vec_dot_q5_1_q8_1PKvPK10block_q8_1RKiEEEvS4_S4_PT_PS8_iiii.has_dyn_sized_stack, 0
	.set _ZL9moe_vec_qIN3c108BFloat16ELi32ELi4E10block_q5_1Li2EXadL_ZL17vec_dot_q5_1_q8_1PKvPK10block_q8_1RKiEEEvS4_S4_PT_PS8_iiii.has_recursion, 0
	.set _ZL9moe_vec_qIN3c108BFloat16ELi32ELi4E10block_q5_1Li2EXadL_ZL17vec_dot_q5_1_q8_1PKvPK10block_q8_1RKiEEEvS4_S4_PT_PS8_iiii.has_indirect_call, 0
	.section	.AMDGPU.csdata,"",@progbits
; Kernel info:
; codeLenInByte = 1596
; TotalNumSgprs: 21
; NumVgprs: 44
; ScratchSize: 0
; MemoryBound: 0
; FloatMode: 240
; IeeeMode: 1
; LDSByteSize: 0 bytes/workgroup (compile time only)
; SGPRBlocks: 0
; VGPRBlocks: 5
; NumSGPRsForWavesPerEU: 21
; NumVGPRsForWavesPerEU: 44
; Occupancy: 16
; WaveLimiterHint : 1
; COMPUTE_PGM_RSRC2:SCRATCH_EN: 0
; COMPUTE_PGM_RSRC2:USER_SGPR: 2
; COMPUTE_PGM_RSRC2:TRAP_HANDLER: 0
; COMPUTE_PGM_RSRC2:TGID_X_EN: 1
; COMPUTE_PGM_RSRC2:TGID_Y_EN: 0
; COMPUTE_PGM_RSRC2:TGID_Z_EN: 1
; COMPUTE_PGM_RSRC2:TIDIG_COMP_CNT: 1
	.section	.text._ZL9moe_vec_qIN3c108BFloat16ELi32ELi8E10block_q8_0Li2EXadL_ZL17vec_dot_q8_0_q8_1PKvPK10block_q8_1RKiEEEvS4_S4_PT_PS8_iiii,"axG",@progbits,_ZL9moe_vec_qIN3c108BFloat16ELi32ELi8E10block_q8_0Li2EXadL_ZL17vec_dot_q8_0_q8_1PKvPK10block_q8_1RKiEEEvS4_S4_PT_PS8_iiii,comdat
	.globl	_ZL9moe_vec_qIN3c108BFloat16ELi32ELi8E10block_q8_0Li2EXadL_ZL17vec_dot_q8_0_q8_1PKvPK10block_q8_1RKiEEEvS4_S4_PT_PS8_iiii ; -- Begin function _ZL9moe_vec_qIN3c108BFloat16ELi32ELi8E10block_q8_0Li2EXadL_ZL17vec_dot_q8_0_q8_1PKvPK10block_q8_1RKiEEEvS4_S4_PT_PS8_iiii
	.p2align	8
	.type	_ZL9moe_vec_qIN3c108BFloat16ELi32ELi8E10block_q8_0Li2EXadL_ZL17vec_dot_q8_0_q8_1PKvPK10block_q8_1RKiEEEvS4_S4_PT_PS8_iiii,@function
_ZL9moe_vec_qIN3c108BFloat16ELi32ELi8E10block_q8_0Li2EXadL_ZL17vec_dot_q8_0_q8_1PKvPK10block_q8_1RKiEEEvS4_S4_PT_PS8_iiii: ; @_ZL9moe_vec_qIN3c108BFloat16ELi32ELi8E10block_q8_0Li2EXadL_ZL17vec_dot_q8_0_q8_1PKvPK10block_q8_1RKiEEEvS4_S4_PT_PS8_iiii
; %bb.0:
	s_clause 0x1
	s_load_u16 s2, s[0:1], 0x3e
	s_load_b128 s[4:7], s[0:1], 0x20
	v_bfe_u32 v1, v0, 10, 10
	s_wait_kmcnt 0x0
	s_delay_alu instid0(VALU_DEP_1)
	v_mad_co_u64_u32 v[1:2], null, ttmp9, s2, v[1:2]
	s_mov_b32 s2, exec_lo
	v_cmpx_gt_u32_e64 s6, v1
	s_cbranch_execz .LBB279_7
; %bb.1:
	s_load_b64 s[2:3], s[0:1], 0x10
	s_cvt_f32_u32 s8, s4
	v_bfe_u32 v2, v0, 2, 8
	v_and_b32_e32 v0, 0x3ff, v0
	s_mov_b32 s11, exec_lo
	v_rcp_iflag_f32_e32 v3, s8
	s_ashr_i32 s8, s5, 31
	s_wait_alu 0xfffe
	s_lshr_b32 s8, s8, 27
	s_wait_alu 0xfffe
	s_add_co_i32 s5, s5, s8
	s_lshr_b32 s8, ttmp7, 16
	s_ashr_i32 s10, s5, 5
	s_delay_alu instid0(TRANS32_DEP_1)
	v_readfirstlane_b32 s5, v3
	v_mov_b32_e32 v3, 0
	v_cmpx_gt_u32_e64 s10, v2
	s_cbranch_execz .LBB279_5
; %bb.2:
	s_load_b64 s[12:13], s[0:1], 0x18
	s_mul_f32 s5, s5, 0x4f7ffffe
	s_sub_co_i32 s14, 0, s4
	s_lshl_b32 s15, s8, 2
	s_mov_b32 s9, 0
	s_cvt_u32_f32 s5, s5
	v_lshlrev_b32_e32 v5, 3, v0
	v_mul_lo_u32 v4, v1, s10
	v_mov_b32_e32 v3, 0
	s_mul_i32 s14, s14, s5
	s_delay_alu instid0(SALU_CYCLE_1)
	s_mul_hi_u32 s14, s5, s14
	v_and_b32_e32 v5, 24, v5
	s_wait_kmcnt 0x0
	s_load_b32 s18, s[12:13], s15 offset:0x0
	s_mov_b32 s13, s9
	s_add_co_i32 s12, s5, s14
	s_delay_alu instid0(SALU_CYCLE_1)
	s_mul_u64 s[16:17], s[8:9], s[12:13]
	s_load_b128 s[12:15], s[0:1], 0x0
	s_mul_i32 s1, s17, s4
	s_add_co_i32 s5, s17, 1
	s_wait_alu 0xfffe
	s_sub_co_i32 s1, s8, s1
	s_mul_i32 s0, s10, s6
	s_wait_alu 0xfffe
	s_sub_co_i32 s16, s1, s4
	s_cmp_ge_u32 s1, s4
	s_cselect_b32 s5, s5, s17
	s_cselect_b32 s1, s16, s1
	s_add_co_i32 s16, s5, 1
	s_wait_alu 0xfffe
	s_cmp_ge_u32 s1, s4
	s_cselect_b32 s4, s16, s5
	s_mov_b32 s5, s9
	s_wait_kmcnt 0x0
	s_mul_i32 s0, s0, s18
	s_mul_i32 s4, s4, s7
	s_wait_alu 0xfffe
	s_ashr_i32 s1, s0, 31
	s_lshl_b64 s[4:5], s[4:5], 2
	s_wait_alu 0xfffe
	s_mul_u64 s[0:1], s[0:1], 34
	s_add_nc_u64 s[4:5], s[14:15], s[4:5]
	s_wait_alu 0xfffe
	s_add_nc_u64 s[0:1], s[12:13], s[0:1]
.LBB279_3:                              ; =>This Inner Loop Header: Depth=1
	v_add_nc_u32_e32 v8, v4, v2
	v_mad_co_i64_i32 v[6:7], null, v2, 36, s[4:5]
	v_add_nc_u32_e32 v2, 8, v2
	s_wait_alu 0xfffe
	s_delay_alu instid0(VALU_DEP_3) | instskip(NEXT) | instid1(VALU_DEP_3)
	v_mad_co_i64_i32 v[8:9], null, v8, 34, s[0:1]
	v_add_co_u32 v10, vcc_lo, v6, v5
	s_wait_alu 0xfffd
	s_delay_alu instid0(VALU_DEP_4) | instskip(NEXT) | instid1(VALU_DEP_3)
	v_add_co_ci_u32_e64 v11, null, 0, v7, vcc_lo
	v_add_co_u32 v12, vcc_lo, v8, v5
	s_wait_alu 0xfffd
	s_delay_alu instid0(VALU_DEP_4)
	v_add_co_ci_u32_e64 v13, null, 0, v9, vcc_lo
	global_load_b64 v[10:11], v[10:11], off offset:4
	v_cmp_le_u32_e32 vcc_lo, s10, v2
	s_clause 0x1
	global_load_b32 v14, v[12:13], off offset:2
	global_load_b32 v12, v[12:13], off offset:6
	global_load_b32 v6, v[6:7], off
	global_load_u16 v7, v[8:9], off
	s_or_b32 s9, vcc_lo, s9
	s_wait_loadcnt 0x4
	v_lshrrev_b16 v8, 8, v10
	v_bfe_i32 v9, v10, 0, 8
	v_ashrrev_i32_e32 v13, 24, v10
	v_bfe_i32 v10, v10, 16, 8
	s_wait_loadcnt 0x3
	v_lshrrev_b16 v18, 8, v14
	v_bfe_i32 v19, v14, 0, 8
	v_ashrrev_i32_e32 v20, 24, v14
	v_bfe_i32 v14, v14, 16, 8
	v_bfe_i32 v15, v11, 0, 8
	;; [unrolled: 1-line block ×4, first 2 shown]
	v_ashrrev_i32_e32 v11, 24, v11
	v_bfe_i32 v8, v8, 0, 8
	s_wait_loadcnt 0x2
	v_bfe_i32 v22, v12, 8, 8
	v_ashrrev_i32_e32 v23, 24, v12
	v_bfe_i32 v18, v18, 0, 8
	v_mul_i32_i24_e32 v10, v10, v14
	v_mul_i32_i24_e32 v13, v13, v20
	v_bfe_i32 v21, v12, 0, 8
	v_bfe_i32 v12, v12, 16, 8
	v_mul_i32_i24_e32 v14, v16, v22
	v_mul_i32_i24_e32 v11, v11, v23
	v_mad_i32_i24 v9, v9, v19, v10
	v_mad_i32_i24 v8, v8, v18, v13
	v_mul_i32_i24_e32 v10, v17, v12
	v_mad_i32_i24 v12, v15, v21, v14
	s_wait_loadcnt 0x1
	v_cvt_f32_f16_e32 v6, v6
	s_wait_loadcnt 0x0
	v_cvt_f32_f16_e32 v7, v7
	v_add3_u32 v8, v9, v8, v11
	s_delay_alu instid0(VALU_DEP_2) | instskip(NEXT) | instid1(VALU_DEP_2)
	v_mul_f32_e32 v6, v7, v6
	v_add3_u32 v8, v8, v12, v10
	s_delay_alu instid0(VALU_DEP_1) | instskip(NEXT) | instid1(VALU_DEP_1)
	v_cvt_f32_i32_e32 v7, v8
	v_fmac_f32_e32 v3, v6, v7
	s_wait_alu 0xfffe
	s_and_not1_b32 exec_lo, exec_lo, s9
	s_cbranch_execnz .LBB279_3
; %bb.4:
	s_or_b32 exec_lo, exec_lo, s9
.LBB279_5:
	s_delay_alu instid0(SALU_CYCLE_1) | instskip(SKIP_1) | instid1(VALU_DEP_1)
	s_or_b32 exec_lo, exec_lo, s11
	v_mbcnt_lo_u32_b32 v2, -1, 0
	v_xor_b32_e32 v4, 16, v2
	v_xor_b32_e32 v5, 8, v2
	s_delay_alu instid0(VALU_DEP_2) | instskip(SKIP_2) | instid1(VALU_DEP_3)
	v_cmp_gt_i32_e32 vcc_lo, 32, v4
	s_wait_alu 0xfffd
	v_cndmask_b32_e32 v4, v2, v4, vcc_lo
	v_cmp_gt_i32_e32 vcc_lo, 32, v5
	s_wait_alu 0xfffd
	v_cndmask_b32_e32 v5, v2, v5, vcc_lo
	s_delay_alu instid0(VALU_DEP_1)
	v_lshlrev_b32_e32 v5, 2, v5
	v_lshlrev_b32_e32 v4, 2, v4
	ds_bpermute_b32 v4, v4, v3
	s_wait_dscnt 0x0
	v_add_f32_e32 v3, v3, v4
	ds_bpermute_b32 v4, v5, v3
	v_xor_b32_e32 v5, 4, v2
	s_delay_alu instid0(VALU_DEP_1) | instskip(SKIP_2) | instid1(VALU_DEP_1)
	v_cmp_gt_i32_e32 vcc_lo, 32, v5
	s_wait_alu 0xfffd
	v_cndmask_b32_e32 v5, v2, v5, vcc_lo
	v_lshlrev_b32_e32 v5, 2, v5
	s_wait_dscnt 0x0
	v_add_f32_e32 v3, v3, v4
	ds_bpermute_b32 v4, v5, v3
	v_xor_b32_e32 v5, 2, v2
	s_delay_alu instid0(VALU_DEP_1) | instskip(SKIP_2) | instid1(VALU_DEP_1)
	v_cmp_gt_i32_e32 vcc_lo, 32, v5
	s_wait_alu 0xfffd
	v_cndmask_b32_e32 v5, v2, v5, vcc_lo
	v_lshlrev_b32_e32 v5, 2, v5
	s_wait_dscnt 0x0
	v_add_f32_e32 v3, v3, v4
	ds_bpermute_b32 v4, v5, v3
	v_xor_b32_e32 v5, 1, v2
	s_delay_alu instid0(VALU_DEP_1) | instskip(SKIP_4) | instid1(VALU_DEP_2)
	v_cmp_gt_i32_e32 vcc_lo, 32, v5
	s_wait_alu 0xfffd
	v_cndmask_b32_e32 v5, v2, v5, vcc_lo
	v_cmp_eq_u32_e32 vcc_lo, 0, v0
	s_wait_dscnt 0x0
	v_dual_add_f32 v2, v3, v4 :: v_dual_lshlrev_b32 v3, 2, v5
	ds_bpermute_b32 v3, v3, v2
	s_and_b32 exec_lo, exec_lo, vcc_lo
	s_cbranch_execz .LBB279_7
; %bb.6:
	s_wait_dscnt 0x0
	v_add_f32_e32 v2, v2, v3
	s_wait_alu 0xfffe
	s_delay_alu instid0(VALU_DEP_1) | instskip(SKIP_3) | instid1(VALU_DEP_2)
	v_mad_co_u64_u32 v[0:1], null, s6, s8, v[1:2]
	v_mov_b32_e32 v1, 0
	v_bfe_u32 v3, v2, 16, 1
	v_cmp_o_f32_e32 vcc_lo, v2, v2
	v_add3_u32 v3, v2, v3, 0x7fff
	s_delay_alu instid0(VALU_DEP_4) | instskip(NEXT) | instid1(VALU_DEP_2)
	v_lshlrev_b64_e32 v[0:1], 1, v[0:1]
	v_lshrrev_b32_e32 v3, 16, v3
	s_wait_alu 0xfffd
	s_delay_alu instid0(VALU_DEP_1) | instskip(SKIP_1) | instid1(VALU_DEP_3)
	v_cndmask_b32_e32 v2, 0x7fc0, v3, vcc_lo
	s_wait_kmcnt 0x0
	v_add_co_u32 v0, vcc_lo, s2, v0
	s_wait_alu 0xfffd
	v_add_co_ci_u32_e64 v1, null, s3, v1, vcc_lo
	global_store_b16 v[0:1], v2, off
.LBB279_7:
	s_endpgm
	.section	.rodata,"a",@progbits
	.p2align	6, 0x0
	.amdhsa_kernel _ZL9moe_vec_qIN3c108BFloat16ELi32ELi8E10block_q8_0Li2EXadL_ZL17vec_dot_q8_0_q8_1PKvPK10block_q8_1RKiEEEvS4_S4_PT_PS8_iiii
		.amdhsa_group_segment_fixed_size 0
		.amdhsa_private_segment_fixed_size 0
		.amdhsa_kernarg_size 304
		.amdhsa_user_sgpr_count 2
		.amdhsa_user_sgpr_dispatch_ptr 0
		.amdhsa_user_sgpr_queue_ptr 0
		.amdhsa_user_sgpr_kernarg_segment_ptr 1
		.amdhsa_user_sgpr_dispatch_id 0
		.amdhsa_user_sgpr_private_segment_size 0
		.amdhsa_wavefront_size32 1
		.amdhsa_uses_dynamic_stack 0
		.amdhsa_enable_private_segment 0
		.amdhsa_system_sgpr_workgroup_id_x 1
		.amdhsa_system_sgpr_workgroup_id_y 0
		.amdhsa_system_sgpr_workgroup_id_z 1
		.amdhsa_system_sgpr_workgroup_info 0
		.amdhsa_system_vgpr_workitem_id 1
		.amdhsa_next_free_vgpr 24
		.amdhsa_next_free_sgpr 19
		.amdhsa_reserve_vcc 1
		.amdhsa_float_round_mode_32 0
		.amdhsa_float_round_mode_16_64 0
		.amdhsa_float_denorm_mode_32 3
		.amdhsa_float_denorm_mode_16_64 3
		.amdhsa_fp16_overflow 0
		.amdhsa_workgroup_processor_mode 1
		.amdhsa_memory_ordered 1
		.amdhsa_forward_progress 1
		.amdhsa_inst_pref_size 9
		.amdhsa_round_robin_scheduling 0
		.amdhsa_exception_fp_ieee_invalid_op 0
		.amdhsa_exception_fp_denorm_src 0
		.amdhsa_exception_fp_ieee_div_zero 0
		.amdhsa_exception_fp_ieee_overflow 0
		.amdhsa_exception_fp_ieee_underflow 0
		.amdhsa_exception_fp_ieee_inexact 0
		.amdhsa_exception_int_div_zero 0
	.end_amdhsa_kernel
	.section	.text._ZL9moe_vec_qIN3c108BFloat16ELi32ELi8E10block_q8_0Li2EXadL_ZL17vec_dot_q8_0_q8_1PKvPK10block_q8_1RKiEEEvS4_S4_PT_PS8_iiii,"axG",@progbits,_ZL9moe_vec_qIN3c108BFloat16ELi32ELi8E10block_q8_0Li2EXadL_ZL17vec_dot_q8_0_q8_1PKvPK10block_q8_1RKiEEEvS4_S4_PT_PS8_iiii,comdat
.Lfunc_end279:
	.size	_ZL9moe_vec_qIN3c108BFloat16ELi32ELi8E10block_q8_0Li2EXadL_ZL17vec_dot_q8_0_q8_1PKvPK10block_q8_1RKiEEEvS4_S4_PT_PS8_iiii, .Lfunc_end279-_ZL9moe_vec_qIN3c108BFloat16ELi32ELi8E10block_q8_0Li2EXadL_ZL17vec_dot_q8_0_q8_1PKvPK10block_q8_1RKiEEEvS4_S4_PT_PS8_iiii
                                        ; -- End function
	.set _ZL9moe_vec_qIN3c108BFloat16ELi32ELi8E10block_q8_0Li2EXadL_ZL17vec_dot_q8_0_q8_1PKvPK10block_q8_1RKiEEEvS4_S4_PT_PS8_iiii.num_vgpr, 24
	.set _ZL9moe_vec_qIN3c108BFloat16ELi32ELi8E10block_q8_0Li2EXadL_ZL17vec_dot_q8_0_q8_1PKvPK10block_q8_1RKiEEEvS4_S4_PT_PS8_iiii.num_agpr, 0
	.set _ZL9moe_vec_qIN3c108BFloat16ELi32ELi8E10block_q8_0Li2EXadL_ZL17vec_dot_q8_0_q8_1PKvPK10block_q8_1RKiEEEvS4_S4_PT_PS8_iiii.numbered_sgpr, 19
	.set _ZL9moe_vec_qIN3c108BFloat16ELi32ELi8E10block_q8_0Li2EXadL_ZL17vec_dot_q8_0_q8_1PKvPK10block_q8_1RKiEEEvS4_S4_PT_PS8_iiii.num_named_barrier, 0
	.set _ZL9moe_vec_qIN3c108BFloat16ELi32ELi8E10block_q8_0Li2EXadL_ZL17vec_dot_q8_0_q8_1PKvPK10block_q8_1RKiEEEvS4_S4_PT_PS8_iiii.private_seg_size, 0
	.set _ZL9moe_vec_qIN3c108BFloat16ELi32ELi8E10block_q8_0Li2EXadL_ZL17vec_dot_q8_0_q8_1PKvPK10block_q8_1RKiEEEvS4_S4_PT_PS8_iiii.uses_vcc, 1
	.set _ZL9moe_vec_qIN3c108BFloat16ELi32ELi8E10block_q8_0Li2EXadL_ZL17vec_dot_q8_0_q8_1PKvPK10block_q8_1RKiEEEvS4_S4_PT_PS8_iiii.uses_flat_scratch, 0
	.set _ZL9moe_vec_qIN3c108BFloat16ELi32ELi8E10block_q8_0Li2EXadL_ZL17vec_dot_q8_0_q8_1PKvPK10block_q8_1RKiEEEvS4_S4_PT_PS8_iiii.has_dyn_sized_stack, 0
	.set _ZL9moe_vec_qIN3c108BFloat16ELi32ELi8E10block_q8_0Li2EXadL_ZL17vec_dot_q8_0_q8_1PKvPK10block_q8_1RKiEEEvS4_S4_PT_PS8_iiii.has_recursion, 0
	.set _ZL9moe_vec_qIN3c108BFloat16ELi32ELi8E10block_q8_0Li2EXadL_ZL17vec_dot_q8_0_q8_1PKvPK10block_q8_1RKiEEEvS4_S4_PT_PS8_iiii.has_indirect_call, 0
	.section	.AMDGPU.csdata,"",@progbits
; Kernel info:
; codeLenInByte = 1096
; TotalNumSgprs: 21
; NumVgprs: 24
; ScratchSize: 0
; MemoryBound: 0
; FloatMode: 240
; IeeeMode: 1
; LDSByteSize: 0 bytes/workgroup (compile time only)
; SGPRBlocks: 0
; VGPRBlocks: 2
; NumSGPRsForWavesPerEU: 21
; NumVGPRsForWavesPerEU: 24
; Occupancy: 16
; WaveLimiterHint : 1
; COMPUTE_PGM_RSRC2:SCRATCH_EN: 0
; COMPUTE_PGM_RSRC2:USER_SGPR: 2
; COMPUTE_PGM_RSRC2:TRAP_HANDLER: 0
; COMPUTE_PGM_RSRC2:TGID_X_EN: 1
; COMPUTE_PGM_RSRC2:TGID_Y_EN: 0
; COMPUTE_PGM_RSRC2:TGID_Z_EN: 1
; COMPUTE_PGM_RSRC2:TIDIG_COMP_CNT: 1
	.section	.text._ZL9moe_vec_qIN3c108BFloat16ELi256ELi16E10block_q2_KLi1EXadL_ZL17vec_dot_q2_K_q8_1PKvPK10block_q8_1RKiEEEvS4_S4_PT_PS8_iiii,"axG",@progbits,_ZL9moe_vec_qIN3c108BFloat16ELi256ELi16E10block_q2_KLi1EXadL_ZL17vec_dot_q2_K_q8_1PKvPK10block_q8_1RKiEEEvS4_S4_PT_PS8_iiii,comdat
	.globl	_ZL9moe_vec_qIN3c108BFloat16ELi256ELi16E10block_q2_KLi1EXadL_ZL17vec_dot_q2_K_q8_1PKvPK10block_q8_1RKiEEEvS4_S4_PT_PS8_iiii ; -- Begin function _ZL9moe_vec_qIN3c108BFloat16ELi256ELi16E10block_q2_KLi1EXadL_ZL17vec_dot_q2_K_q8_1PKvPK10block_q8_1RKiEEEvS4_S4_PT_PS8_iiii
	.p2align	8
	.type	_ZL9moe_vec_qIN3c108BFloat16ELi256ELi16E10block_q2_KLi1EXadL_ZL17vec_dot_q2_K_q8_1PKvPK10block_q8_1RKiEEEvS4_S4_PT_PS8_iiii,@function
_ZL9moe_vec_qIN3c108BFloat16ELi256ELi16E10block_q2_KLi1EXadL_ZL17vec_dot_q2_K_q8_1PKvPK10block_q8_1RKiEEEvS4_S4_PT_PS8_iiii: ; @_ZL9moe_vec_qIN3c108BFloat16ELi256ELi16E10block_q2_KLi1EXadL_ZL17vec_dot_q2_K_q8_1PKvPK10block_q8_1RKiEEEvS4_S4_PT_PS8_iiii
; %bb.0:
	s_clause 0x1
	s_load_u16 s2, s[0:1], 0x3e
	s_load_b128 s[4:7], s[0:1], 0x20
	v_bfe_u32 v1, v0, 10, 10
	s_wait_kmcnt 0x0
	s_delay_alu instid0(VALU_DEP_1)
	v_mad_co_u64_u32 v[1:2], null, ttmp9, s2, v[1:2]
	s_mov_b32 s2, exec_lo
	v_cmpx_gt_u32_e64 s6, v1
	s_cbranch_execz .LBB280_7
; %bb.1:
	s_load_b64 s[8:9], s[0:1], 0x10
	s_ashr_i32 s2, s5, 31
	v_bfe_u32 v8, v0, 4, 6
	s_wait_alu 0xfffe
	s_lshr_b32 s2, s2, 24
	v_dual_mov_b32 v3, 0 :: v_dual_and_b32 v0, 0x3ff, v0
	s_wait_alu 0xfffe
	s_add_co_i32 s2, s5, s2
	s_lshr_b32 s10, ttmp7, 16
	s_wait_alu 0xfffe
	s_ashr_i32 s11, s2, 8
	s_mov_b32 s12, exec_lo
	v_cmpx_gt_u32_e64 s11, v8
	s_cbranch_execz .LBB280_5
; %bb.2:
	s_load_b64 s[2:3], s[0:1], 0x18
	s_cvt_f32_u32 s5, s4
	s_lshl_b32 s13, s10, 2
	s_sub_co_i32 s16, 0, s4
	v_dual_mov_b32 v3, 0 :: v_dual_and_b32 v4, 15, v0
	v_rcp_iflag_f32_e32 v2, s5
	s_mul_i32 s15, s11, s6
	v_lshrrev_b32_e32 v5, 1, v0
	v_mul_lo_u32 v9, v1, s11
	v_lshlrev_b32_e32 v11, 2, v4
	v_lshlrev_b32_e32 v12, 3, v8
	s_delay_alu instid0(VALU_DEP_4) | instskip(NEXT) | instid1(TRANS32_DEP_1)
	v_and_b32_e32 v5, 4, v5
	v_readfirstlane_b32 s5, v2
	v_sub_co_u32 v2, vcc_lo, v4, 8
	s_wait_kmcnt 0x0
	s_load_b32 s13, s[2:3], s13 offset:0x0
	s_delay_alu instid0(VALU_DEP_2) | instskip(SKIP_2) | instid1(SALU_CYCLE_1)
	s_mul_f32 s5, s5, 0x4f7ffffe
	s_load_b128 s[0:3], s[0:1], 0x0
	v_cndmask_b32_e32 v2, v2, v4, vcc_lo
	s_cvt_u32_f32 s14, s5
	s_mov_b32 s5, 0
	s_delay_alu instid0(VALU_DEP_1) | instskip(NEXT) | instid1(SALU_CYCLE_1)
	v_sub_nc_u32_e32 v6, v4, v2
	s_mul_i32 s16, s16, s14
	v_cmp_lt_u32_e32 vcc_lo, 3, v2
	s_mul_hi_u32 s16, s14, s16
	s_delay_alu instid0(SALU_CYCLE_1) | instskip(NEXT) | instid1(SALU_CYCLE_1)
	s_add_co_i32 s14, s14, s16
	s_mul_hi_u32 s16, s10, s14
	s_wait_alu 0xfffd
	v_add_co_ci_u32_e64 v10, null, 0, v6, vcc_lo
	s_mul_i32 s14, s16, s4
	s_add_co_i32 s17, s16, 1
	s_sub_co_i32 s18, s10, s14
	s_wait_kmcnt 0x0
	s_mul_i32 s14, s15, s13
	s_sub_co_i32 s13, s18, s4
	s_ashr_i32 s15, s14, 31
	s_cmp_ge_u32 s18, s4
	v_lshlrev_b64_e32 v[6:7], 2, v[2:3]
	s_cselect_b32 s16, s17, s16
	s_cselect_b32 s13, s13, s18
	s_add_co_i32 s17, s16, 1
	s_cmp_ge_u32 s13, s4
	v_ashrrev_i32_e32 v2, 31, v10
	s_cselect_b32 s4, s17, s16
	s_mul_u64 s[14:15], s[14:15], 0x54
	s_wait_alu 0xfffe
	s_mul_i32 s4, s4, s7
	s_add_nc_u64 s[0:1], s[0:1], s[14:15]
	s_wait_alu 0xfffe
	s_lshl_b64 s[16:17], s[4:5], 2
	s_delay_alu instid0(SALU_CYCLE_1)
	s_add_nc_u64 s[2:3], s[2:3], s[16:17]
	s_wait_alu 0xfffe
	v_mad_co_u64_u32 v[4:5], null, v5, 36, s[2:3]
.LBB280_3:                              ; =>This Inner Loop Header: Depth=1
	v_add_nc_u32_e32 v15, v9, v8
	s_delay_alu instid0(VALU_DEP_2) | instskip(SKIP_2) | instid1(VALU_DEP_4)
	v_mad_co_i64_i32 v[13:14], null, v12, 36, v[4:5]
	v_add_nc_u32_e32 v8, 2, v8
	v_add_nc_u32_e32 v12, 16, v12
	v_mad_co_i64_i32 v[15:16], null, 0x54, v15, s[0:1]
	s_delay_alu instid0(VALU_DEP_4)
	v_add_co_u32 v17, vcc_lo, v13, v6
	s_wait_alu 0xfffd
	v_add_co_ci_u32_e64 v18, null, v14, v7, vcc_lo
	s_clause 0x6
	global_load_b32 v21, v[13:14], off
	global_load_b32 v22, v[13:14], off offset:36
	global_load_b32 v23, v[13:14], off offset:72
	global_load_b32 v24, v[17:18], off offset:4
	global_load_b32 v25, v[17:18], off offset:40
	global_load_b32 v26, v[17:18], off offset:76
	global_load_b32 v27, v[17:18], off offset:112
	v_add_co_u32 v17, vcc_lo, v15, v11
	s_wait_alu 0xfffd
	v_add_co_ci_u32_e64 v18, null, 0, v16, vcc_lo
	v_add_co_u32 v19, vcc_lo, v15, v10
	s_wait_alu 0xfffd
	v_add_co_ci_u32_e64 v20, null, v16, v2, vcc_lo
	s_clause 0x5
	global_load_b32 v17, v[17:18], off offset:16
	global_load_u8 v18, v[19:20], off
	global_load_u8 v28, v[19:20], off offset:2
	global_load_u8 v29, v[19:20], off offset:4
	;; [unrolled: 1-line block ×3, first 2 shown]
	global_load_b32 v15, v[15:16], off offset:80
	global_load_b32 v13, v[13:14], off offset:108
	v_cmp_le_u32_e32 vcc_lo, s11, v8
	s_or_b32 s5, vcc_lo, s5
	s_wait_loadcnt 0xa
	v_lshrrev_b16 v14, 8, v24
	v_ashrrev_i32_e32 v16, 24, v24
	v_bfe_i32 v20, v24, 16, 8
	v_bfe_i32 v24, v24, 0, 8
	s_wait_loadcnt 0x9
	v_bfe_i32 v30, v25, 0, 8
	s_wait_loadcnt 0x8
	v_lshlrev_b32_e32 v36, 16, v26
	v_lshlrev_b32_e32 v38, 8, v26
	;; [unrolled: 1-line block ×3, first 2 shown]
	s_wait_loadcnt 0x6
	v_and_b32_e32 v45, 3, v17
	s_wait_loadcnt 0x5
	v_and_b32_e32 v49, 15, v18
	v_lshrrev_b32_e32 v18, 4, v18
	v_bfe_u32 v50, v17, 2, 2
	s_wait_loadcnt 0x4
	v_and_b32_e32 v54, 15, v28
	v_lshrrev_b32_e32 v28, 4, v28
	v_bfe_i32 v32, v25, 8, 8
	v_mul_lo_u32 v18, 0x1010101, v18
	v_lshlrev_b32_e32 v33, 8, v25
	v_bfe_i32 v34, v25, 16, 8
	v_ashrrev_i32_e32 v25, 24, v25
	v_bfe_i32 v44, v27, 16, 8
	v_bfe_u32 v46, v17, 8, 2
	v_bfe_i32 v14, v14, 0, 8
	v_bfe_u32 v51, v17, 10, 2
	v_bfe_u32 v52, v17, 18, 2
	;; [unrolled: 1-line block ×3, first 2 shown]
	v_perm_b32 v36, v38, v36, 0xc0c0703
	v_bfe_u32 v38, v17, 22, 2
	v_mul_i32_i24_e32 v45, v24, v45
	v_mul_i32_i24_e32 v50, v30, v50
	s_wait_loadcnt 0x3
	v_and_b32_e32 v58, 15, v29
	v_lshrrev_b32_e32 v29, 4, v29
	v_mul_lo_u32 v28, 0x1010101, v28
	v_bfe_i32 v35, v26, 0, 8
	v_bfe_i32 v37, v26, 8, 8
	;; [unrolled: 1-line block ×3, first 2 shown]
	v_ashrrev_i32_e32 v26, 24, v26
	v_bfe_u32 v48, v17, 24, 2
	v_bfe_u32 v57, v17, 28, 2
	v_mul_i32_i24_e32 v34, v34, v52
	v_mul_i32_i24_e32 v52, v25, v53
	;; [unrolled: 1-line block ×3, first 2 shown]
	v_mad_i32_i24 v44, v14, v46, v45
	v_mad_i32_i24 v32, v32, v51, v50
	v_lshrrev_b32_e32 v45, 24, v18
	v_lshrrev_b16 v46, 8, v18
	v_bfe_u32 v47, v17, 16, 2
	s_wait_loadcnt 0x2
	v_and_b32_e32 v61, 15, v19
	v_lshrrev_b32_e32 v19, 4, v19
	v_mul_lo_u32 v29, 0x1010101, v29
	v_perm_b32 v31, v33, v31, 0xc0c0703
	v_bfe_u32 v33, v17, 4, 2
	v_bfe_u32 v55, v17, 12, 2
	v_mul_i32_i24_e32 v48, v16, v48
	v_mul_i32_i24_e32 v53, v26, v57
	v_bfe_i32 v50, v18, 16, 8
	v_bfe_i32 v18, v18, 0, 8
	;; [unrolled: 1-line block ×3, first 2 shown]
	v_add3_u32 v32, v32, v34, v52
	v_bfe_i32 v34, v46, 0, 8
	v_mul_i32_i24_e32 v16, v45, v16
	v_bfe_u32 v56, v17, 20, 2
	v_mul_i32_i24_e32 v47, v20, v47
	v_mul_lo_u32 v19, 0x1010101, v19
	v_bfe_i32 v40, v27, 0, 8
	v_lshlrev_b32_e32 v41, 16, v27
	v_bfe_i32 v42, v27, 8, 8
	v_lshlrev_b32_e32 v43, 8, v27
	v_ashrrev_i32_e32 v27, 24, v27
	v_bfe_u32 v59, v17, 6, 2
	v_bfe_u32 v60, v17, 14, 2
	v_lshrrev_b32_e32 v17, 30, v17
	v_mul_i32_i24_e32 v37, v37, v55
	v_mad_i32_i24 v33, v35, v33, v53
	v_lshrrev_b32_e32 v53, 24, v28
	v_perm_b32 v28, v28, v28, 0xc0c0201
	v_bfe_i32 v55, v29, 0, 8
	v_mul_i32_i24_e32 v18, v18, v24
	v_mul_i32_i24_e32 v20, v50, v20
	;; [unrolled: 1-line block ×3, first 2 shown]
	v_mad_i32_i24 v14, v34, v14, v16
	v_mul_i32_i24_e32 v39, v39, v56
	v_add3_u32 v44, v44, v47, v48
	v_mul_i32_i24_e32 v17, v27, v17
	v_lshrrev_b32_e32 v56, 24, v29
	v_perm_b32 v29, v29, v29, 0xc0c0201
	v_bfe_i32 v57, v19, 0, 8
	v_mul_i32_i24_e32 v30, v35, v55
	v_dot4_i32_iu8 v24, v31, v28, v24 neg_lo:[1,1,0]
	v_add3_u32 v14, v18, v20, v14
	v_add3_u32 v33, v33, v37, v39
	v_mul_lo_u32 v37, v49, v44
	v_perm_b32 v41, v43, v41, 0xc0c0703
	v_mad_i32_i24 v17, v40, v59, v17
	v_lshrrev_b32_e32 v59, 24, v19
	v_perm_b32 v19, v19, v19, 0xc0c0201
	v_mul_i32_i24_e32 v35, v40, v57
	v_dot4_i32_iu8 v28, v36, v29, v30 neg_lo:[1,1,0]
	v_mad_i32_i24 v20, v25, v53, v24
	v_cvt_f32_i32_e32 v14, v14
	v_mul_i32_i24_e32 v42, v42, v60
	v_mul_lo_u32 v32, v54, v32
	v_dot4_i32_iu8 v18, v41, v19, v35 neg_lo:[1,1,0]
	v_cvt_f32_i32_e32 v19, v37
	v_mad_i32_i24 v25, v26, v56, v28
	v_cvt_f32_i32_e32 v20, v20
	v_fma_mix_f32 v14, v21, v14, 0 op_sel_hi:[1,0,0]
	v_add3_u32 v17, v17, v42, v38
	v_mul_lo_u32 v16, v58, v33
	v_cvt_f32_i32_e32 v24, v32
	v_mad_i32_i24 v18, v27, v59, v18
	v_fma_mix_f32 v19, v21, v19, 0 op_sel_hi:[1,0,0]
	v_cvt_f32_i32_e32 v21, v25
	v_fma_mix_f32 v14, v22, v20, v14 op_sel_hi:[1,0,0]
	v_mul_lo_u32 v17, v61, v17
	s_wait_loadcnt 0x1
	v_lshrrev_b32_e32 v43, 16, v15
	v_cvt_f32_i32_e32 v16, v16
	v_cvt_f32_i32_e32 v18, v18
	v_fma_mix_f32 v19, v22, v24, v19 op_sel_hi:[1,0,0]
	v_fma_mix_f32 v14, v23, v21, v14 op_sel_hi:[1,0,0]
	v_cvt_f32_f16_e32 v20, v43
	v_cvt_f32_i32_e32 v17, v17
	s_delay_alu instid0(VALU_DEP_4) | instskip(SKIP_2) | instid1(VALU_DEP_2)
	v_fma_mix_f32 v16, v23, v16, v19 op_sel_hi:[1,0,0]
	s_wait_loadcnt 0x0
	v_fma_mix_f32 v14, v13, v18, v14 op_sel_hi:[1,0,0]
	v_fma_mix_f32 v13, v13, v17, v16 op_sel_hi:[1,0,0]
	s_delay_alu instid0(VALU_DEP_2) | instskip(NEXT) | instid1(VALU_DEP_1)
	v_mul_f32_e32 v14, v14, v20
	v_fma_mix_f32 v13, v13, v15, -v14 op_sel_hi:[0,1,0]
	s_delay_alu instid0(VALU_DEP_1)
	v_add_f32_e32 v3, v3, v13
	s_wait_alu 0xfffe
	s_and_not1_b32 exec_lo, exec_lo, s5
	s_cbranch_execnz .LBB280_3
; %bb.4:
	s_or_b32 exec_lo, exec_lo, s5
.LBB280_5:
	s_delay_alu instid0(SALU_CYCLE_1) | instskip(SKIP_1) | instid1(VALU_DEP_1)
	s_or_b32 exec_lo, exec_lo, s12
	v_mbcnt_lo_u32_b32 v2, -1, 0
	v_xor_b32_e32 v4, 16, v2
	v_xor_b32_e32 v5, 8, v2
	s_delay_alu instid0(VALU_DEP_2) | instskip(SKIP_2) | instid1(VALU_DEP_3)
	v_cmp_gt_i32_e32 vcc_lo, 32, v4
	s_wait_alu 0xfffd
	v_cndmask_b32_e32 v4, v2, v4, vcc_lo
	v_cmp_gt_i32_e32 vcc_lo, 32, v5
	s_wait_alu 0xfffd
	v_cndmask_b32_e32 v5, v2, v5, vcc_lo
	s_delay_alu instid0(VALU_DEP_1)
	v_lshlrev_b32_e32 v5, 2, v5
	v_lshlrev_b32_e32 v4, 2, v4
	ds_bpermute_b32 v4, v4, v3
	s_wait_dscnt 0x0
	v_add_f32_e32 v3, v3, v4
	ds_bpermute_b32 v4, v5, v3
	v_xor_b32_e32 v5, 4, v2
	s_delay_alu instid0(VALU_DEP_1) | instskip(SKIP_2) | instid1(VALU_DEP_1)
	v_cmp_gt_i32_e32 vcc_lo, 32, v5
	s_wait_alu 0xfffd
	v_cndmask_b32_e32 v5, v2, v5, vcc_lo
	v_lshlrev_b32_e32 v5, 2, v5
	s_wait_dscnt 0x0
	v_add_f32_e32 v3, v3, v4
	ds_bpermute_b32 v4, v5, v3
	v_xor_b32_e32 v5, 2, v2
	s_delay_alu instid0(VALU_DEP_1) | instskip(SKIP_2) | instid1(VALU_DEP_1)
	v_cmp_gt_i32_e32 vcc_lo, 32, v5
	s_wait_alu 0xfffd
	v_cndmask_b32_e32 v5, v2, v5, vcc_lo
	v_lshlrev_b32_e32 v5, 2, v5
	s_wait_dscnt 0x0
	v_add_f32_e32 v3, v3, v4
	ds_bpermute_b32 v4, v5, v3
	v_xor_b32_e32 v5, 1, v2
	s_delay_alu instid0(VALU_DEP_1) | instskip(SKIP_4) | instid1(VALU_DEP_2)
	v_cmp_gt_i32_e32 vcc_lo, 32, v5
	s_wait_alu 0xfffd
	v_cndmask_b32_e32 v5, v2, v5, vcc_lo
	v_cmp_eq_u32_e32 vcc_lo, 0, v0
	s_wait_dscnt 0x0
	v_dual_add_f32 v2, v3, v4 :: v_dual_lshlrev_b32 v3, 2, v5
	ds_bpermute_b32 v3, v3, v2
	s_and_b32 exec_lo, exec_lo, vcc_lo
	s_cbranch_execz .LBB280_7
; %bb.6:
	s_wait_dscnt 0x0
	v_add_f32_e32 v2, v2, v3
	s_delay_alu instid0(VALU_DEP_1) | instskip(SKIP_3) | instid1(VALU_DEP_2)
	v_mad_co_u64_u32 v[0:1], null, s6, s10, v[1:2]
	v_mov_b32_e32 v1, 0
	v_bfe_u32 v3, v2, 16, 1
	v_cmp_o_f32_e32 vcc_lo, v2, v2
	v_add3_u32 v3, v2, v3, 0x7fff
	s_delay_alu instid0(VALU_DEP_4) | instskip(NEXT) | instid1(VALU_DEP_2)
	v_lshlrev_b64_e32 v[0:1], 1, v[0:1]
	v_lshrrev_b32_e32 v3, 16, v3
	s_wait_alu 0xfffd
	s_delay_alu instid0(VALU_DEP_1) | instskip(SKIP_1) | instid1(VALU_DEP_3)
	v_cndmask_b32_e32 v2, 0x7fc0, v3, vcc_lo
	s_wait_kmcnt 0x0
	v_add_co_u32 v0, vcc_lo, s8, v0
	s_wait_alu 0xfffd
	v_add_co_ci_u32_e64 v1, null, s9, v1, vcc_lo
	global_store_b16 v[0:1], v2, off
.LBB280_7:
	s_endpgm
	.section	.rodata,"a",@progbits
	.p2align	6, 0x0
	.amdhsa_kernel _ZL9moe_vec_qIN3c108BFloat16ELi256ELi16E10block_q2_KLi1EXadL_ZL17vec_dot_q2_K_q8_1PKvPK10block_q8_1RKiEEEvS4_S4_PT_PS8_iiii
		.amdhsa_group_segment_fixed_size 0
		.amdhsa_private_segment_fixed_size 0
		.amdhsa_kernarg_size 304
		.amdhsa_user_sgpr_count 2
		.amdhsa_user_sgpr_dispatch_ptr 0
		.amdhsa_user_sgpr_queue_ptr 0
		.amdhsa_user_sgpr_kernarg_segment_ptr 1
		.amdhsa_user_sgpr_dispatch_id 0
		.amdhsa_user_sgpr_private_segment_size 0
		.amdhsa_wavefront_size32 1
		.amdhsa_uses_dynamic_stack 0
		.amdhsa_enable_private_segment 0
		.amdhsa_system_sgpr_workgroup_id_x 1
		.amdhsa_system_sgpr_workgroup_id_y 0
		.amdhsa_system_sgpr_workgroup_id_z 1
		.amdhsa_system_sgpr_workgroup_info 0
		.amdhsa_system_vgpr_workitem_id 1
		.amdhsa_next_free_vgpr 62
		.amdhsa_next_free_sgpr 19
		.amdhsa_reserve_vcc 1
		.amdhsa_float_round_mode_32 0
		.amdhsa_float_round_mode_16_64 0
		.amdhsa_float_denorm_mode_32 3
		.amdhsa_float_denorm_mode_16_64 3
		.amdhsa_fp16_overflow 0
		.amdhsa_workgroup_processor_mode 1
		.amdhsa_memory_ordered 1
		.amdhsa_forward_progress 1
		.amdhsa_inst_pref_size 16
		.amdhsa_round_robin_scheduling 0
		.amdhsa_exception_fp_ieee_invalid_op 0
		.amdhsa_exception_fp_denorm_src 0
		.amdhsa_exception_fp_ieee_div_zero 0
		.amdhsa_exception_fp_ieee_overflow 0
		.amdhsa_exception_fp_ieee_underflow 0
		.amdhsa_exception_fp_ieee_inexact 0
		.amdhsa_exception_int_div_zero 0
	.end_amdhsa_kernel
	.section	.text._ZL9moe_vec_qIN3c108BFloat16ELi256ELi16E10block_q2_KLi1EXadL_ZL17vec_dot_q2_K_q8_1PKvPK10block_q8_1RKiEEEvS4_S4_PT_PS8_iiii,"axG",@progbits,_ZL9moe_vec_qIN3c108BFloat16ELi256ELi16E10block_q2_KLi1EXadL_ZL17vec_dot_q2_K_q8_1PKvPK10block_q8_1RKiEEEvS4_S4_PT_PS8_iiii,comdat
.Lfunc_end280:
	.size	_ZL9moe_vec_qIN3c108BFloat16ELi256ELi16E10block_q2_KLi1EXadL_ZL17vec_dot_q2_K_q8_1PKvPK10block_q8_1RKiEEEvS4_S4_PT_PS8_iiii, .Lfunc_end280-_ZL9moe_vec_qIN3c108BFloat16ELi256ELi16E10block_q2_KLi1EXadL_ZL17vec_dot_q2_K_q8_1PKvPK10block_q8_1RKiEEEvS4_S4_PT_PS8_iiii
                                        ; -- End function
	.set _ZL9moe_vec_qIN3c108BFloat16ELi256ELi16E10block_q2_KLi1EXadL_ZL17vec_dot_q2_K_q8_1PKvPK10block_q8_1RKiEEEvS4_S4_PT_PS8_iiii.num_vgpr, 62
	.set _ZL9moe_vec_qIN3c108BFloat16ELi256ELi16E10block_q2_KLi1EXadL_ZL17vec_dot_q2_K_q8_1PKvPK10block_q8_1RKiEEEvS4_S4_PT_PS8_iiii.num_agpr, 0
	.set _ZL9moe_vec_qIN3c108BFloat16ELi256ELi16E10block_q2_KLi1EXadL_ZL17vec_dot_q2_K_q8_1PKvPK10block_q8_1RKiEEEvS4_S4_PT_PS8_iiii.numbered_sgpr, 19
	.set _ZL9moe_vec_qIN3c108BFloat16ELi256ELi16E10block_q2_KLi1EXadL_ZL17vec_dot_q2_K_q8_1PKvPK10block_q8_1RKiEEEvS4_S4_PT_PS8_iiii.num_named_barrier, 0
	.set _ZL9moe_vec_qIN3c108BFloat16ELi256ELi16E10block_q2_KLi1EXadL_ZL17vec_dot_q2_K_q8_1PKvPK10block_q8_1RKiEEEvS4_S4_PT_PS8_iiii.private_seg_size, 0
	.set _ZL9moe_vec_qIN3c108BFloat16ELi256ELi16E10block_q2_KLi1EXadL_ZL17vec_dot_q2_K_q8_1PKvPK10block_q8_1RKiEEEvS4_S4_PT_PS8_iiii.uses_vcc, 1
	.set _ZL9moe_vec_qIN3c108BFloat16ELi256ELi16E10block_q2_KLi1EXadL_ZL17vec_dot_q2_K_q8_1PKvPK10block_q8_1RKiEEEvS4_S4_PT_PS8_iiii.uses_flat_scratch, 0
	.set _ZL9moe_vec_qIN3c108BFloat16ELi256ELi16E10block_q2_KLi1EXadL_ZL17vec_dot_q2_K_q8_1PKvPK10block_q8_1RKiEEEvS4_S4_PT_PS8_iiii.has_dyn_sized_stack, 0
	.set _ZL9moe_vec_qIN3c108BFloat16ELi256ELi16E10block_q2_KLi1EXadL_ZL17vec_dot_q2_K_q8_1PKvPK10block_q8_1RKiEEEvS4_S4_PT_PS8_iiii.has_recursion, 0
	.set _ZL9moe_vec_qIN3c108BFloat16ELi256ELi16E10block_q2_KLi1EXadL_ZL17vec_dot_q2_K_q8_1PKvPK10block_q8_1RKiEEEvS4_S4_PT_PS8_iiii.has_indirect_call, 0
	.section	.AMDGPU.csdata,"",@progbits
; Kernel info:
; codeLenInByte = 1936
; TotalNumSgprs: 21
; NumVgprs: 62
; ScratchSize: 0
; MemoryBound: 0
; FloatMode: 240
; IeeeMode: 1
; LDSByteSize: 0 bytes/workgroup (compile time only)
; SGPRBlocks: 0
; VGPRBlocks: 7
; NumSGPRsForWavesPerEU: 21
; NumVGPRsForWavesPerEU: 62
; Occupancy: 16
; WaveLimiterHint : 1
; COMPUTE_PGM_RSRC2:SCRATCH_EN: 0
; COMPUTE_PGM_RSRC2:USER_SGPR: 2
; COMPUTE_PGM_RSRC2:TRAP_HANDLER: 0
; COMPUTE_PGM_RSRC2:TGID_X_EN: 1
; COMPUTE_PGM_RSRC2:TGID_Y_EN: 0
; COMPUTE_PGM_RSRC2:TGID_Z_EN: 1
; COMPUTE_PGM_RSRC2:TIDIG_COMP_CNT: 1
	.section	.text._ZL9moe_vec_qIN3c108BFloat16ELi256ELi16E10block_q3_KLi1EXadL_ZL17vec_dot_q3_K_q8_1PKvPK10block_q8_1RKiEEEvS4_S4_PT_PS8_iiii,"axG",@progbits,_ZL9moe_vec_qIN3c108BFloat16ELi256ELi16E10block_q3_KLi1EXadL_ZL17vec_dot_q3_K_q8_1PKvPK10block_q8_1RKiEEEvS4_S4_PT_PS8_iiii,comdat
	.globl	_ZL9moe_vec_qIN3c108BFloat16ELi256ELi16E10block_q3_KLi1EXadL_ZL17vec_dot_q3_K_q8_1PKvPK10block_q8_1RKiEEEvS4_S4_PT_PS8_iiii ; -- Begin function _ZL9moe_vec_qIN3c108BFloat16ELi256ELi16E10block_q3_KLi1EXadL_ZL17vec_dot_q3_K_q8_1PKvPK10block_q8_1RKiEEEvS4_S4_PT_PS8_iiii
	.p2align	8
	.type	_ZL9moe_vec_qIN3c108BFloat16ELi256ELi16E10block_q3_KLi1EXadL_ZL17vec_dot_q3_K_q8_1PKvPK10block_q8_1RKiEEEvS4_S4_PT_PS8_iiii,@function
_ZL9moe_vec_qIN3c108BFloat16ELi256ELi16E10block_q3_KLi1EXadL_ZL17vec_dot_q3_K_q8_1PKvPK10block_q8_1RKiEEEvS4_S4_PT_PS8_iiii: ; @_ZL9moe_vec_qIN3c108BFloat16ELi256ELi16E10block_q3_KLi1EXadL_ZL17vec_dot_q3_K_q8_1PKvPK10block_q8_1RKiEEEvS4_S4_PT_PS8_iiii
; %bb.0:
	s_clause 0x1
	s_load_u16 s2, s[0:1], 0x3e
	s_load_b128 s[4:7], s[0:1], 0x20
	v_bfe_u32 v1, v0, 10, 10
	s_wait_kmcnt 0x0
	s_delay_alu instid0(VALU_DEP_1)
	v_mad_co_u64_u32 v[1:2], null, ttmp9, s2, v[1:2]
	s_mov_b32 s2, exec_lo
	v_cmpx_gt_u32_e64 s6, v1
	s_cbranch_execz .LBB281_7
; %bb.1:
	s_load_b64 s[8:9], s[0:1], 0x10
	s_ashr_i32 s2, s5, 31
	v_bfe_u32 v8, v0, 4, 6
	s_wait_alu 0xfffe
	s_lshr_b32 s2, s2, 24
	v_dual_mov_b32 v3, 0 :: v_dual_and_b32 v0, 0x3ff, v0
	s_wait_alu 0xfffe
	s_add_co_i32 s2, s5, s2
	s_lshr_b32 s12, ttmp7, 16
	s_wait_alu 0xfffe
	s_ashr_i32 s13, s2, 8
	s_mov_b32 s14, exec_lo
	v_cmpx_gt_u32_e64 s13, v8
	s_cbranch_execz .LBB281_5
; %bb.2:
	s_cvt_f32_u32 s5, s4
	v_and_b32_e32 v4, 15, v0
	s_load_b64 s[10:11], s[0:1], 0x18
	s_lshl_b32 s15, s12, 2
	v_rcp_iflag_f32_e32 v3, s5
	s_sub_co_i32 s17, 0, s4
	s_load_b128 s[0:3], s[0:1], 0x0
	s_mul_i32 s16, s13, s6
	s_mov_b32 s5, 0
	v_mul_lo_u32 v9, v1, s13
	v_lshlrev_b32_e32 v35, 3, v8
	s_delay_alu instid0(TRANS32_DEP_1) | instskip(SKIP_3) | instid1(VALU_DEP_4)
	v_readfirstlane_b32 s18, v3
	v_mov_b32_e32 v3, 0
	v_sub_co_u32 v2, vcc_lo, v4, 8
	v_lshlrev_b32_e32 v11, 2, v4
	s_mul_f32 s18, s18, 0x4f7ffffe
	s_delay_alu instid0(VALU_DEP_2) | instskip(SKIP_3) | instid1(VALU_DEP_1)
	v_cndmask_b32_e32 v2, v2, v4, vcc_lo
	s_wait_kmcnt 0x0
	s_load_b32 s10, s[10:11], s15 offset:0x0
	s_cvt_u32_f32 s11, s18
	v_sub_nc_u32_e32 v5, v4, v2
	v_cmp_lt_u32_e32 vcc_lo, 3, v2
	s_delay_alu instid0(SALU_CYCLE_1) | instskip(NEXT) | instid1(SALU_CYCLE_1)
	s_mul_i32 s17, s17, s11
	s_mul_hi_u32 s15, s11, s17
	s_wait_alu 0xfffd
	v_add_co_ci_u32_e64 v19, null, 0, v5, vcc_lo
	v_lshrrev_b32_e32 v5, 1, v0
	s_add_co_i32 s11, s11, s15
	s_delay_alu instid0(VALU_DEP_2) | instskip(SKIP_1) | instid1(VALU_DEP_3)
	v_bfe_i32 v6, v19, 0, 8
	v_add_nc_u16 v20, v19, 2
	v_and_b32_e32 v10, 4, v5
	v_lshlrev_b64_e32 v[4:5], 2, v[2:3]
	v_add_nc_u16 v26, v19, 4
	v_lshrrev_b16 v6, 7, v6
	v_bfe_i32 v7, v20, 0, 8
	v_add_nc_u16 v27, v19, 6
	s_mul_hi_u32 s15, s12, s11
	v_bfe_i32 v18, v26, 0, 8
	v_and_b32_e32 v2, 0xff, v6
	v_lshrrev_b16 v6, 7, v7
	v_bfe_i32 v28, v27, 0, 8
	s_mul_i32 s11, s15, s4
	v_lshrrev_b16 v18, 7, v18
	v_lshrrev_b16 v7, 5, v2
	;; [unrolled: 1-line block ×3, first 2 shown]
	v_and_b32_e32 v15, 0xff, v6
	s_sub_co_i32 s18, s12, s11
	v_and_b32_e32 v23, 0xff, v18
	s_wait_kmcnt 0x0
	s_mul_i32 s10, s16, s10
	v_add_nc_u16 v14, v19, v2
	v_lshrrev_b16 v17, 5, v15
	v_lshrrev_b16 v15, 6, v15
	;; [unrolled: 1-line block ×4, first 2 shown]
	v_bfe_i32 v16, v14, 0, 8
	v_add_nc_u16 v17, v20, v17
	v_and_b32_e32 v14, 0xfc, v14
	v_add_nc_u16 v24, v26, v24
	v_add_nc_u16 v29, v26, v23
	v_ashrrev_i16 v16, 2, v16
	v_bfe_i32 v21, v17, 0, 8
	v_sub_nc_u16 v22, v19, v14
	v_and_b32_e32 v17, 0xf8, v17
	v_add_nc_u16 v7, v19, v7
	v_bfe_i32 v16, v16, 0, 16
	s_add_co_i32 s17, s15, 1
	s_sub_co_i32 s16, s18, s4
	v_sub_nc_u16 v25, v20, v17
	s_ashr_i32 s11, s10, 31
	v_lshlrev_b32_e32 v14, 1, v16
	v_lshrrev_b16 v16, 3, v21
	v_add_nc_u16 v21, v20, v15
	v_bfe_i32 v15, v22, 0, 8
	s_cmp_ge_u32 s18, s4
	v_bfe_i32 v12, v7, 0, 8
	v_and_b32_e32 v18, 0xff, v16
	v_bfe_i32 v22, v21, 0, 8
	v_and_b32_e32 v21, 0xfc, v21
	s_cselect_b32 s15, s17, s15
	s_cselect_b32 s16, s16, s18
	v_lshlrev_b32_e32 v17, 2, v18
	v_ashrrev_i16 v22, 2, v22
	v_bfe_i32 v18, v25, 0, 8
	v_bfe_i32 v25, v24, 0, 8
	v_sub_nc_u16 v21, v20, v21
	v_and_b32_e32 v24, 0xf8, v24
	v_bfe_i32 v22, v22, 0, 16
	v_and_b32_e32 v7, 0xf8, v7
	s_add_co_i32 s17, s15, 1
	s_cmp_ge_u32 s16, s4
	v_sub_nc_u16 v24, v26, v24
	v_lshlrev_b32_e32 v20, 1, v22
	v_lshrrev_b16 v22, 3, v25
	v_lshrrev_b16 v25, 7, v28
	s_cselect_b32 s4, s17, s15
	v_lshrrev_b16 v12, 3, v12
	v_sub_nc_u16 v13, v19, v7
	v_and_b32_e32 v28, 0xff, v22
	v_and_b32_e32 v25, 0xff, v25
	s_wait_alu 0xfffe
	s_mul_i32 s4, s4, s7
	v_and_b32_e32 v12, 0xff, v12
	s_wait_alu 0xfffe
	s_lshl_b64 s[16:17], s[4:5], 2
	v_lshlrev_b32_e32 v23, 2, v28
	v_bfe_i32 v28, v29, 0, 8
	v_lshrrev_b16 v30, 5, v25
	v_lshrrev_b16 v31, 6, v25
	v_and_b32_e32 v29, 0xfc, v29
	s_add_nc_u64 s[2:3], s[2:3], s[16:17]
	v_lshrrev_b16 v28, 2, v28
	v_add_nc_u16 v30, v27, v30
	v_add_nc_u16 v31, v27, v31
	v_sub_nc_u16 v29, v26, v29
	v_bfe_i32 v2, v13, 0, 8
	v_and_b32_e32 v26, 0xff, v28
	v_bfe_i32 v28, v30, 0, 8
	v_and_b32_e32 v30, 0xf8, v30
	;; [unrolled: 2-line block ×3, first 2 shown]
	v_bfe_i32 v21, v21, 0, 8
	v_lshrrev_b16 v28, 3, v28
	v_sub_nc_u16 v30, v27, v30
	v_lshrrev_b16 v32, 2, v32
	v_sub_nc_u16 v31, v27, v31
	v_bfe_i32 v24, v24, 0, 8
	v_bfe_i32 v27, v29, 0, 8
	v_and_b32_e32 v33, 0xff, v28
	v_bfe_i32 v28, v30, 0, 8
	v_and_b32_e32 v34, 0xff, v32
	v_bfe_i32 v29, v31, 0, 8
	s_wait_alu 0xfffe
	v_mad_co_u64_u32 v[6:7], null, v10, 36, s[2:3]
	v_lshlrev_b32_e32 v12, 2, v12
	v_ashrrev_i32_e32 v13, 31, v2
	v_ashrrev_i32_e32 v16, 31, v15
	;; [unrolled: 1-line block ×5, first 2 shown]
	v_lshlrev_b32_e32 v26, 1, v26
	v_ashrrev_i32_e32 v30, 31, v27
	v_lshlrev_b32_e32 v31, 2, v33
	v_ashrrev_i32_e32 v32, 31, v28
	;; [unrolled: 2-line block ×3, first 2 shown]
	s_mul_u64 s[10:11], s[10:11], 0x6e
	s_delay_alu instid0(SALU_CYCLE_1)
	s_add_nc_u64 s[0:1], s[0:1], s[10:11]
.LBB281_3:                              ; =>This Inner Loop Header: Depth=1
	v_add_nc_u32_e32 v38, v9, v8
	v_mad_co_i64_i32 v[36:37], null, v35, 36, v[6:7]
	v_add_nc_u32_e32 v8, 2, v8
	v_add_nc_u32_e32 v35, 16, v35
	s_wait_alu 0xfffe
	v_mad_co_i64_i32 v[38:39], null, 0x6e, v38, s[0:1]
	s_delay_alu instid0(VALU_DEP_4) | instskip(SKIP_2) | instid1(VALU_DEP_3)
	v_add_co_u32 v40, vcc_lo, v36, v4
	s_wait_alu 0xfffd
	v_add_co_ci_u32_e64 v41, null, v37, v5, vcc_lo
	v_add_co_u32 v42, vcc_lo, v38, v11
	s_wait_alu 0xfffd
	s_delay_alu instid0(VALU_DEP_4)
	v_add_co_ci_u32_e64 v43, null, 0, v39, vcc_lo
	v_add_co_u32 v44, vcc_lo, v38, v4
	s_wait_alu 0xfffd
	v_add_co_ci_u32_e64 v45, null, v39, v5, vcc_lo
	s_clause 0x3
	global_load_b32 v60, v[40:41], off offset:4
	global_load_b32 v61, v[40:41], off offset:40
	global_load_b32 v62, v[40:41], off offset:76
	global_load_b32 v63, v[40:41], off offset:112
	v_add_co_u32 v40, vcc_lo, v38, v2
	s_wait_alu 0xfffd
	v_add_co_ci_u32_e64 v41, null, v39, v13, vcc_lo
	v_add_co_u32 v46, vcc_lo, v38, v15
	s_wait_alu 0xfffd
	v_add_co_ci_u32_e64 v47, null, v39, v16, vcc_lo
	;; [unrolled: 3-line block ×8, first 2 shown]
	s_clause 0xa
	global_load_u16 v38, v[38:39], off offset:108
	global_load_b32 v39, v[44:45], off
	global_load_u8 v40, v[40:41], off offset:96
	global_load_u8 v41, v[46:47], off offset:104
	global_load_b32 v42, v[42:43], off offset:32
	global_load_u8 v43, v[48:49], off offset:96
	global_load_u8 v44, v[50:51], off offset:104
	;; [unrolled: 1-line block ×6, first 2 shown]
	s_clause 0x3
	global_load_b32 v49, v[36:37], off
	global_load_b32 v50, v[36:37], off offset:36
	global_load_b32 v51, v[36:37], off offset:72
	;; [unrolled: 1-line block ×3, first 2 shown]
	v_cmp_le_u32_e32 vcc_lo, s13, v8
	s_or_b32 s5, vcc_lo, s5
	s_wait_loadcnt 0x12
	v_lshrrev_b16 v37, 8, v60
	s_wait_loadcnt 0x11
	v_lshlrev_b32_e32 v57, 8, v61
	v_ashrrev_i32_e32 v52, 24, v60
	v_bfe_i32 v53, v60, 16, 8
	v_bfe_i32 v54, v60, 0, 8
	;; [unrolled: 1-line block ×4, first 2 shown]
	s_wait_loadcnt 0x10
	v_lshlrev_b32_e32 v59, 16, v62
	v_lshlrev_b32_e32 v60, 8, v62
	v_perm_b32 v57, v61, v57, 0xc0c0703
	s_wait_loadcnt 0xf
	v_lshlrev_b32_e32 v65, 16, v63
	v_lshlrev_b32_e32 v66, 8, v63
	v_bfe_i32 v37, v37, 0, 8
	v_perm_b32 v59, v60, v59, 0xc0c0703
	v_bfe_i32 v58, v62, 0, 8
	v_ashrrev_i32_e32 v62, 24, v62
	v_perm_b32 v65, v66, v65, 0xc0c0703
	v_bfe_i32 v64, v63, 0, 8
	v_ashrrev_i32_e32 v63, 24, v63
	s_wait_loadcnt 0xd
	v_ashrrev_i32_e32 v39, v10, v39
	s_wait_loadcnt 0xc
	v_bfe_u32 v40, v40, v12, 4
	s_wait_loadcnt 0xb
	v_lshrrev_b32_e32 v41, v14, v41
	s_wait_loadcnt 0xa
	v_lshrrev_b32_e32 v69, 2, v42
	v_lshrrev_b32_e32 v61, 4, v42
	v_not_b32_e32 v39, v39
	s_wait_loadcnt 0x8
	v_lshrrev_b32_e32 v44, v20, v44
	v_lshlrev_b32_e32 v41, 4, v41
	s_wait_loadcnt 0x6
	v_lshrrev_b32_e32 v46, v26, v46
	v_and_b32_e32 v67, 0x3030303, v42
	v_lshlrev_b32_e32 v74, 1, v39
	v_bfe_u32 v68, v42, 24, 2
	v_and_or_b32 v40, v41, 48, v40
	v_lshlrev_b32_e32 v41, 2, v39
	v_bfe_u32 v43, v43, v17, 4
	v_bfe_u32 v45, v45, v23, 4
	s_wait_loadcnt 0x4
	v_lshrrev_b32_e32 v48, v33, v48
	v_lshrrev_b32_e32 v60, 6, v42
	v_and_b32_e32 v41, 0x4040404, v41
	v_lshlrev_b32_e32 v44, 4, v44
	v_and_b32_e32 v71, 0x3030303, v69
	v_lshlrev_b32_e32 v46, 4, v46
	v_bfe_u32 v72, v61, 24, 2
	v_and_b32_e32 v61, 0x3030303, v61
	v_and_b32_e32 v76, 0x4040404, v39
	v_lshrrev_b32_e32 v39, 1, v39
	v_and_b32_e32 v74, 0x4040404, v74
	v_lshrrev_b32_e32 v81, 24, v41
	v_bfe_u32 v47, v47, v31, 4
	v_lshrrev_b16 v66, 8, v67
	v_lshrrev_b32_e32 v70, 16, v67
	v_bfe_u32 v69, v69, 24, 2
	v_lshlrev_b32_e32 v48, 4, v48
	v_and_b32_e32 v60, 0x3030303, v60
	v_and_or_b32 v43, v44, 48, v43
	v_lshrrev_b16 v44, 8, v71
	v_lshrrev_b32_e32 v73, 16, v71
	v_and_or_b32 v45, v46, 48, v45
	v_lshrrev_b32_e32 v46, 16, v61
	v_lshrrev_b16 v75, 8, v61
	v_lshrrev_b32_e32 v78, 24, v76
	v_lshrrev_b32_e32 v79, 16, v76
	v_lshrrev_b16 v80, 8, v76
	v_sub_nc_u16 v61, v61, v76
	v_and_b32_e32 v39, 0x4040404, v39
	v_lshrrev_b16 v76, 8, v41
	v_lshrrev_b32_e32 v82, 16, v41
	v_sub_nc_u16 v41, v67, v41
	v_lshrrev_b16 v67, 8, v74
	v_lshrrev_b32_e32 v83, 16, v74
	v_lshrrev_b32_e32 v84, 24, v74
	v_sub_nc_u16 v68, v68, v81
	v_lshrrev_b32_e32 v42, 30, v42
	v_and_or_b32 v47, v48, 48, v47
	v_lshrrev_b32_e32 v48, 16, v60
	v_lshrrev_b16 v77, 8, v60
	v_sub_nc_u16 v71, v71, v74
	v_sub_nc_u16 v74, v75, v80
	;; [unrolled: 1-line block ×4, first 2 shown]
	v_lshrrev_b32_e32 v75, 24, v39
	v_lshrrev_b32_e32 v78, 16, v39
	v_lshrrev_b16 v79, 8, v39
	v_sub_nc_u16 v39, v60, v39
	v_sub_nc_u16 v60, v70, v82
	;; [unrolled: 1-line block ×3, first 2 shown]
	v_bfe_i32 v41, v41, 0, 8
	v_sub_nc_u16 v69, v69, v84
	v_sub_nc_u16 v70, v73, v83
	;; [unrolled: 1-line block ×3, first 2 shown]
	v_bfe_i32 v68, v68, 0, 16
	v_bfe_i32 v67, v71, 0, 8
	v_lshlrev_b16 v72, 8, v72
	v_sub_nc_u16 v42, v42, v75
	v_bfe_i32 v66, v66, 0, 16
	v_bfe_i32 v60, v60, 0, 8
	v_mul_i32_i24_e32 v41, v41, v54
	v_lshlrev_b16 v54, 8, v69
	v_and_b32_e32 v69, 0xff, v70
	v_lshlrev_b16 v44, 8, v44
	v_mul_i32_i24_e32 v52, v68, v52
	v_mul_i32_i24_e32 v55, v55, v67
	v_bfe_i32 v67, v72, 8, 8
	v_lshlrev_b16 v42, 8, v42
	v_mul_i32_i24_e32 v53, v60, v53
	v_bfe_i32 v44, v44, 8, 8
	v_or_b32_e32 v54, v69, v54
	v_mad_i32_i24 v37, v66, v37, v52
	v_subrev_nc_u32_e32 v40, 32, v40
	v_bfe_i32 v61, v61, 0, 8
	v_lshlrev_b16 v71, 8, v74
	v_sub_nc_u16 v73, v77, v79
	v_mul_i32_i24_e32 v52, v62, v67
	v_bfe_i32 v42, v42, 8, 8
	v_mad_i32_i24 v44, v56, v44, v55
	v_perm_b32 v54, v54, v70, 0xc0c0500
	v_add3_u32 v37, v41, v53, v37
	v_subrev_nc_u32_e32 v43, 32, v43
	v_sub_nc_u16 v48, v48, v78
	v_bfe_i32 v39, v39, 0, 8
	v_perm_b32 v46, v46, v71, 0xc0c0401
	v_lshlrev_b16 v41, 8, v73
	v_mad_i32_i24 v52, v58, v61, v52
	v_mul_i32_i24_e32 v42, v63, v42
	v_dot4_i32_iu8 v44, v57, v54, v44 neg_lo:[1,1,0]
	v_mul_lo_u32 v37, v40, v37
	v_subrev_nc_u32_e32 v45, 32, v45
	v_perm_b32 v40, v48, v41, 0xc0c0401
	v_dot4_i32_iu8 v41, v59, v46, v52 neg_lo:[1,1,0]
	v_mad_i32_i24 v39, v64, v39, v42
	v_mul_lo_u32 v42, v43, v44
	v_subrev_nc_u32_e32 v43, 32, v47
	v_cvt_f32_i32_e32 v37, v37
	v_mul_lo_u32 v41, v45, v41
	v_dot4_i32_iu8 v39, v65, v40, v39 neg_lo:[1,1,0]
	v_cvt_f32_i32_e32 v40, v42
	s_wait_loadcnt 0x3
	v_fma_mix_f32 v37, v49, v37, 0 op_sel_hi:[1,0,0]
	s_delay_alu instid0(VALU_DEP_3) | instskip(SKIP_2) | instid1(VALU_DEP_3)
	v_mul_lo_u32 v39, v43, v39
	v_cvt_f32_i32_e32 v41, v41
	s_wait_loadcnt 0x2
	v_fma_mix_f32 v37, v50, v40, v37 op_sel_hi:[1,0,0]
	s_delay_alu instid0(VALU_DEP_3) | instskip(SKIP_1) | instid1(VALU_DEP_2)
	v_cvt_f32_i32_e32 v39, v39
	s_wait_loadcnt 0x1
	v_fma_mix_f32 v37, v51, v41, v37 op_sel_hi:[1,0,0]
	s_wait_loadcnt 0x0
	s_delay_alu instid0(VALU_DEP_1) | instskip(NEXT) | instid1(VALU_DEP_1)
	v_fma_mix_f32 v36, v36, v39, v37 op_sel_hi:[1,0,0]
	v_fma_mix_f32 v3, v36, v38, v3 op_sel_hi:[0,1,0]
	s_wait_alu 0xfffe
	s_and_not1_b32 exec_lo, exec_lo, s5
	s_cbranch_execnz .LBB281_3
; %bb.4:
	s_or_b32 exec_lo, exec_lo, s5
.LBB281_5:
	s_delay_alu instid0(SALU_CYCLE_1) | instskip(SKIP_1) | instid1(VALU_DEP_1)
	s_or_b32 exec_lo, exec_lo, s14
	v_mbcnt_lo_u32_b32 v2, -1, 0
	v_xor_b32_e32 v4, 16, v2
	v_xor_b32_e32 v5, 8, v2
	s_delay_alu instid0(VALU_DEP_2) | instskip(SKIP_2) | instid1(VALU_DEP_3)
	v_cmp_gt_i32_e32 vcc_lo, 32, v4
	s_wait_alu 0xfffd
	v_cndmask_b32_e32 v4, v2, v4, vcc_lo
	v_cmp_gt_i32_e32 vcc_lo, 32, v5
	s_wait_alu 0xfffd
	v_cndmask_b32_e32 v5, v2, v5, vcc_lo
	s_delay_alu instid0(VALU_DEP_1)
	v_lshlrev_b32_e32 v5, 2, v5
	v_lshlrev_b32_e32 v4, 2, v4
	ds_bpermute_b32 v4, v4, v3
	s_wait_dscnt 0x0
	v_add_f32_e32 v3, v3, v4
	ds_bpermute_b32 v4, v5, v3
	v_xor_b32_e32 v5, 4, v2
	s_delay_alu instid0(VALU_DEP_1) | instskip(SKIP_2) | instid1(VALU_DEP_1)
	v_cmp_gt_i32_e32 vcc_lo, 32, v5
	s_wait_alu 0xfffd
	v_cndmask_b32_e32 v5, v2, v5, vcc_lo
	v_lshlrev_b32_e32 v5, 2, v5
	s_wait_dscnt 0x0
	v_add_f32_e32 v3, v3, v4
	ds_bpermute_b32 v4, v5, v3
	v_xor_b32_e32 v5, 2, v2
	s_delay_alu instid0(VALU_DEP_1) | instskip(SKIP_2) | instid1(VALU_DEP_1)
	v_cmp_gt_i32_e32 vcc_lo, 32, v5
	s_wait_alu 0xfffd
	v_cndmask_b32_e32 v5, v2, v5, vcc_lo
	v_lshlrev_b32_e32 v5, 2, v5
	s_wait_dscnt 0x0
	v_add_f32_e32 v3, v3, v4
	ds_bpermute_b32 v4, v5, v3
	v_xor_b32_e32 v5, 1, v2
	s_delay_alu instid0(VALU_DEP_1) | instskip(SKIP_4) | instid1(VALU_DEP_2)
	v_cmp_gt_i32_e32 vcc_lo, 32, v5
	s_wait_alu 0xfffd
	v_cndmask_b32_e32 v5, v2, v5, vcc_lo
	v_cmp_eq_u32_e32 vcc_lo, 0, v0
	s_wait_dscnt 0x0
	v_dual_add_f32 v2, v3, v4 :: v_dual_lshlrev_b32 v3, 2, v5
	ds_bpermute_b32 v3, v3, v2
	s_and_b32 exec_lo, exec_lo, vcc_lo
	s_cbranch_execz .LBB281_7
; %bb.6:
	s_wait_dscnt 0x0
	v_add_f32_e32 v2, v2, v3
	s_delay_alu instid0(VALU_DEP_1) | instskip(SKIP_3) | instid1(VALU_DEP_2)
	v_mad_co_u64_u32 v[0:1], null, s6, s12, v[1:2]
	v_mov_b32_e32 v1, 0
	v_bfe_u32 v3, v2, 16, 1
	v_cmp_o_f32_e32 vcc_lo, v2, v2
	v_add3_u32 v3, v2, v3, 0x7fff
	s_delay_alu instid0(VALU_DEP_4) | instskip(NEXT) | instid1(VALU_DEP_2)
	v_lshlrev_b64_e32 v[0:1], 1, v[0:1]
	v_lshrrev_b32_e32 v3, 16, v3
	s_wait_alu 0xfffd
	s_delay_alu instid0(VALU_DEP_1) | instskip(SKIP_1) | instid1(VALU_DEP_3)
	v_cndmask_b32_e32 v2, 0x7fc0, v3, vcc_lo
	s_wait_kmcnt 0x0
	v_add_co_u32 v0, vcc_lo, s8, v0
	s_wait_alu 0xfffd
	v_add_co_ci_u32_e64 v1, null, s9, v1, vcc_lo
	global_store_b16 v[0:1], v2, off
.LBB281_7:
	s_endpgm
	.section	.rodata,"a",@progbits
	.p2align	6, 0x0
	.amdhsa_kernel _ZL9moe_vec_qIN3c108BFloat16ELi256ELi16E10block_q3_KLi1EXadL_ZL17vec_dot_q3_K_q8_1PKvPK10block_q8_1RKiEEEvS4_S4_PT_PS8_iiii
		.amdhsa_group_segment_fixed_size 0
		.amdhsa_private_segment_fixed_size 0
		.amdhsa_kernarg_size 304
		.amdhsa_user_sgpr_count 2
		.amdhsa_user_sgpr_dispatch_ptr 0
		.amdhsa_user_sgpr_queue_ptr 0
		.amdhsa_user_sgpr_kernarg_segment_ptr 1
		.amdhsa_user_sgpr_dispatch_id 0
		.amdhsa_user_sgpr_private_segment_size 0
		.amdhsa_wavefront_size32 1
		.amdhsa_uses_dynamic_stack 0
		.amdhsa_enable_private_segment 0
		.amdhsa_system_sgpr_workgroup_id_x 1
		.amdhsa_system_sgpr_workgroup_id_y 0
		.amdhsa_system_sgpr_workgroup_id_z 1
		.amdhsa_system_sgpr_workgroup_info 0
		.amdhsa_system_vgpr_workitem_id 1
		.amdhsa_next_free_vgpr 85
		.amdhsa_next_free_sgpr 19
		.amdhsa_reserve_vcc 1
		.amdhsa_float_round_mode_32 0
		.amdhsa_float_round_mode_16_64 0
		.amdhsa_float_denorm_mode_32 3
		.amdhsa_float_denorm_mode_16_64 3
		.amdhsa_fp16_overflow 0
		.amdhsa_workgroup_processor_mode 1
		.amdhsa_memory_ordered 1
		.amdhsa_forward_progress 1
		.amdhsa_inst_pref_size 24
		.amdhsa_round_robin_scheduling 0
		.amdhsa_exception_fp_ieee_invalid_op 0
		.amdhsa_exception_fp_denorm_src 0
		.amdhsa_exception_fp_ieee_div_zero 0
		.amdhsa_exception_fp_ieee_overflow 0
		.amdhsa_exception_fp_ieee_underflow 0
		.amdhsa_exception_fp_ieee_inexact 0
		.amdhsa_exception_int_div_zero 0
	.end_amdhsa_kernel
	.section	.text._ZL9moe_vec_qIN3c108BFloat16ELi256ELi16E10block_q3_KLi1EXadL_ZL17vec_dot_q3_K_q8_1PKvPK10block_q8_1RKiEEEvS4_S4_PT_PS8_iiii,"axG",@progbits,_ZL9moe_vec_qIN3c108BFloat16ELi256ELi16E10block_q3_KLi1EXadL_ZL17vec_dot_q3_K_q8_1PKvPK10block_q8_1RKiEEEvS4_S4_PT_PS8_iiii,comdat
.Lfunc_end281:
	.size	_ZL9moe_vec_qIN3c108BFloat16ELi256ELi16E10block_q3_KLi1EXadL_ZL17vec_dot_q3_K_q8_1PKvPK10block_q8_1RKiEEEvS4_S4_PT_PS8_iiii, .Lfunc_end281-_ZL9moe_vec_qIN3c108BFloat16ELi256ELi16E10block_q3_KLi1EXadL_ZL17vec_dot_q3_K_q8_1PKvPK10block_q8_1RKiEEEvS4_S4_PT_PS8_iiii
                                        ; -- End function
	.set _ZL9moe_vec_qIN3c108BFloat16ELi256ELi16E10block_q3_KLi1EXadL_ZL17vec_dot_q3_K_q8_1PKvPK10block_q8_1RKiEEEvS4_S4_PT_PS8_iiii.num_vgpr, 85
	.set _ZL9moe_vec_qIN3c108BFloat16ELi256ELi16E10block_q3_KLi1EXadL_ZL17vec_dot_q3_K_q8_1PKvPK10block_q8_1RKiEEEvS4_S4_PT_PS8_iiii.num_agpr, 0
	.set _ZL9moe_vec_qIN3c108BFloat16ELi256ELi16E10block_q3_KLi1EXadL_ZL17vec_dot_q3_K_q8_1PKvPK10block_q8_1RKiEEEvS4_S4_PT_PS8_iiii.numbered_sgpr, 19
	.set _ZL9moe_vec_qIN3c108BFloat16ELi256ELi16E10block_q3_KLi1EXadL_ZL17vec_dot_q3_K_q8_1PKvPK10block_q8_1RKiEEEvS4_S4_PT_PS8_iiii.num_named_barrier, 0
	.set _ZL9moe_vec_qIN3c108BFloat16ELi256ELi16E10block_q3_KLi1EXadL_ZL17vec_dot_q3_K_q8_1PKvPK10block_q8_1RKiEEEvS4_S4_PT_PS8_iiii.private_seg_size, 0
	.set _ZL9moe_vec_qIN3c108BFloat16ELi256ELi16E10block_q3_KLi1EXadL_ZL17vec_dot_q3_K_q8_1PKvPK10block_q8_1RKiEEEvS4_S4_PT_PS8_iiii.uses_vcc, 1
	.set _ZL9moe_vec_qIN3c108BFloat16ELi256ELi16E10block_q3_KLi1EXadL_ZL17vec_dot_q3_K_q8_1PKvPK10block_q8_1RKiEEEvS4_S4_PT_PS8_iiii.uses_flat_scratch, 0
	.set _ZL9moe_vec_qIN3c108BFloat16ELi256ELi16E10block_q3_KLi1EXadL_ZL17vec_dot_q3_K_q8_1PKvPK10block_q8_1RKiEEEvS4_S4_PT_PS8_iiii.has_dyn_sized_stack, 0
	.set _ZL9moe_vec_qIN3c108BFloat16ELi256ELi16E10block_q3_KLi1EXadL_ZL17vec_dot_q3_K_q8_1PKvPK10block_q8_1RKiEEEvS4_S4_PT_PS8_iiii.has_recursion, 0
	.set _ZL9moe_vec_qIN3c108BFloat16ELi256ELi16E10block_q3_KLi1EXadL_ZL17vec_dot_q3_K_q8_1PKvPK10block_q8_1RKiEEEvS4_S4_PT_PS8_iiii.has_indirect_call, 0
	.section	.AMDGPU.csdata,"",@progbits
; Kernel info:
; codeLenInByte = 2996
; TotalNumSgprs: 21
; NumVgprs: 85
; ScratchSize: 0
; MemoryBound: 0
; FloatMode: 240
; IeeeMode: 1
; LDSByteSize: 0 bytes/workgroup (compile time only)
; SGPRBlocks: 0
; VGPRBlocks: 10
; NumSGPRsForWavesPerEU: 21
; NumVGPRsForWavesPerEU: 85
; Occupancy: 16
; WaveLimiterHint : 1
; COMPUTE_PGM_RSRC2:SCRATCH_EN: 0
; COMPUTE_PGM_RSRC2:USER_SGPR: 2
; COMPUTE_PGM_RSRC2:TRAP_HANDLER: 0
; COMPUTE_PGM_RSRC2:TGID_X_EN: 1
; COMPUTE_PGM_RSRC2:TGID_Y_EN: 0
; COMPUTE_PGM_RSRC2:TGID_Z_EN: 1
; COMPUTE_PGM_RSRC2:TIDIG_COMP_CNT: 1
	.section	.text._ZL9moe_vec_qIN3c108BFloat16ELi256ELi32E10block_q4_KLi2EXadL_ZL17vec_dot_q4_K_q8_1PKvPK10block_q8_1RKiEEEvS4_S4_PT_PS8_iiii,"axG",@progbits,_ZL9moe_vec_qIN3c108BFloat16ELi256ELi32E10block_q4_KLi2EXadL_ZL17vec_dot_q4_K_q8_1PKvPK10block_q8_1RKiEEEvS4_S4_PT_PS8_iiii,comdat
	.globl	_ZL9moe_vec_qIN3c108BFloat16ELi256ELi32E10block_q4_KLi2EXadL_ZL17vec_dot_q4_K_q8_1PKvPK10block_q8_1RKiEEEvS4_S4_PT_PS8_iiii ; -- Begin function _ZL9moe_vec_qIN3c108BFloat16ELi256ELi32E10block_q4_KLi2EXadL_ZL17vec_dot_q4_K_q8_1PKvPK10block_q8_1RKiEEEvS4_S4_PT_PS8_iiii
	.p2align	8
	.type	_ZL9moe_vec_qIN3c108BFloat16ELi256ELi32E10block_q4_KLi2EXadL_ZL17vec_dot_q4_K_q8_1PKvPK10block_q8_1RKiEEEvS4_S4_PT_PS8_iiii,@function
_ZL9moe_vec_qIN3c108BFloat16ELi256ELi32E10block_q4_KLi2EXadL_ZL17vec_dot_q4_K_q8_1PKvPK10block_q8_1RKiEEEvS4_S4_PT_PS8_iiii: ; @_ZL9moe_vec_qIN3c108BFloat16ELi256ELi32E10block_q4_KLi2EXadL_ZL17vec_dot_q4_K_q8_1PKvPK10block_q8_1RKiEEEvS4_S4_PT_PS8_iiii
; %bb.0:
	s_clause 0x1
	s_load_u16 s2, s[0:1], 0x3e
	s_load_b128 s[4:7], s[0:1], 0x20
	v_bfe_u32 v1, v0, 10, 10
	s_wait_kmcnt 0x0
	s_delay_alu instid0(VALU_DEP_1)
	v_mad_co_u64_u32 v[1:2], null, ttmp9, s2, v[1:2]
	s_mov_b32 s2, exec_lo
	v_cmpx_gt_u32_e64 s6, v1
	s_cbranch_execz .LBB282_11
; %bb.1:
	s_load_b64 s[8:9], s[0:1], 0x10
	s_ashr_i32 s2, s5, 31
	v_bfe_u32 v8, v0, 4, 6
	s_wait_alu 0xfffe
	s_lshr_b32 s2, s2, 24
	v_dual_mov_b32 v9, 0 :: v_dual_and_b32 v0, 0x3ff, v0
	s_wait_alu 0xfffe
	s_add_co_i32 s2, s5, s2
	s_lshr_b32 s10, ttmp7, 16
	s_wait_alu 0xfffe
	s_ashr_i32 s11, s2, 8
	s_mov_b32 s12, exec_lo
	v_cmpx_gt_u32_e64 s11, v8
	s_cbranch_execz .LBB282_9
; %bb.2:
	s_load_b64 s[2:3], s[0:1], 0x18
	s_cvt_f32_u32 s5, s4
	s_lshl_b32 s13, s10, 2
	s_sub_co_i32 s16, 0, s4
	s_mul_i32 s14, s11, s6
	v_rcp_iflag_f32_e32 v2, s5
	v_and_b32_e32 v4, 3, v0
	v_mul_lo_u32 v10, v1, s11
	v_lshlrev_b32_e32 v13, 3, v8
	v_mov_b32_e32 v9, 0
	s_delay_alu instid0(VALU_DEP_4) | instskip(SKIP_1) | instid1(TRANS32_DEP_1)
	v_lshlrev_b32_e32 v11, 2, v4
	v_lshlrev_b32_e32 v15, 2, v4
	v_readfirstlane_b32 s5, v2
	v_lshlrev_b32_e32 v2, 1, v0
	s_mul_f32 s5, s5, 0x4f7ffffe
	s_wait_kmcnt 0x0
	s_load_b32 s13, s[2:3], s13 offset:0x0
	s_load_b128 s[0:3], s[0:1], 0x0
	v_bfe_u32 v5, v2, 3, 2
	s_cvt_u32_f32 s15, s5
	s_mov_b32 s5, 0
	v_and_b32_e32 v3, 30, v2
	s_delay_alu instid0(SALU_CYCLE_1) | instskip(SKIP_2) | instid1(VALU_DEP_2)
	s_mul_i32 s16, s16, s15
	v_lshlrev_b32_e32 v2, 1, v5
	s_mul_hi_u32 s16, s15, s16
	v_cmp_lt_u32_e32 vcc_lo, 15, v3
	s_add_co_i32 s15, s15, s16
	v_lshlrev_b32_e32 v12, 5, v5
	s_mul_hi_u32 s16, s10, s15
	v_lshlrev_b32_e32 v14, 1, v5
	s_mul_i32 s15, s16, s4
	s_add_co_i32 s17, s16, 1
	s_sub_co_i32 s18, s10, s15
	s_wait_kmcnt 0x0
	s_mul_i32 s14, s14, s13
	s_sub_co_i32 s13, s18, s4
	s_ashr_i32 s15, s14, 31
	s_cmp_ge_u32 s18, s4
	s_mul_u64 s[14:15], s[14:15], 0x90
	s_cselect_b32 s16, s17, s16
	s_cselect_b32 s13, s13, s18
	s_add_co_i32 s17, s16, 1
	s_cmp_ge_u32 s13, s4
	s_cselect_b32 s4, s17, s16
	s_wait_alu 0xfffe
	s_mul_i32 s4, s4, s7
	s_wait_alu 0xfffe
	s_lshl_b64 s[16:17], s[4:5], 2
	s_delay_alu instid0(SALU_CYCLE_1)
	s_add_nc_u64 s[2:3], s[2:3], s[16:17]
	s_wait_alu 0xfffe
	v_mad_co_u64_u32 v[2:3], null, v2, 36, s[2:3]
	s_add_nc_u64 s[2:3], s[0:1], s[14:15]
	s_branch .LBB282_4
.LBB282_3:                              ;   in Loop: Header=BB282_4 Depth=1
	s_wait_alu 0xfffe
	s_or_b32 exec_lo, exec_lo, s0
	v_mad_co_i64_i32 v[6:7], null, v13, 36, v[2:3]
	s_wait_loadcnt 0x1
	v_and_b32_e32 v25, 0xf0f0f0f, v17
	s_wait_loadcnt 0x0
	v_and_b32_e32 v27, 0xf0f0f0f, v16
	v_lshrrev_b32_e32 v34, 4, v16
	v_bfe_u32 v28, v16, 24, 4
	v_bfe_u32 v36, v17, 4, 4
	v_lshrrev_b16 v25, 8, v25
	v_add_co_u32 v20, s0, v6, v15
	s_wait_alu 0xf1ff
	v_add_co_ci_u32_e64 v21, null, 0, v7, s0
	v_lshrrev_b16 v34, 8, v34
	v_lshrrev_b16 v27, 8, v27
	v_and_b32_e32 v25, 0xffff, v25
	s_clause 0x3
	global_load_b32 v22, v[20:21], off offset:4
	global_load_b32 v23, v[20:21], off offset:20
	;; [unrolled: 1-line block ×4, first 2 shown]
	global_load_b32 v4, v[4:5], off
	s_clause 0x1
	global_load_b32 v5, v[6:7], off
	global_load_b32 v6, v[6:7], off offset:36
	v_bfe_u32 v26, v17, 24, 4
	v_and_b32_e32 v31, 15, v16
	v_bfe_u32 v32, v16, 16, 4
	v_lshrrev_b32_e32 v35, 28, v16
	v_bfe_u32 v38, v16, 4, 4
	v_bfe_u32 v16, v16, 20, 4
	v_and_b32_e32 v34, 15, v34
	v_and_b32_e32 v27, 0xffff, v27
	v_lshrrev_b16 v7, 8, v19
	v_and_b32_e32 v29, 15, v17
	v_bfe_u32 v30, v17, 16, 4
	v_and_b32_e32 v19, 0xff, v19
	v_bfe_u32 v37, v17, 12, 4
	v_and_b32_e32 v34, 0xffff, v34
	v_lshrrev_b16 v21, 8, v18
	v_and_b32_e32 v18, 0xff, v18
	v_bfe_u32 v33, v17, 20, 4
	v_lshrrev_b32_e32 v17, 28, v17
	v_and_b32_e32 v19, 0xffff, v19
	v_and_b32_e32 v7, 0xffff, v7
	;; [unrolled: 1-line block ×4, first 2 shown]
	v_add_nc_u32_e32 v8, 2, v8
	v_add_nc_u32_e32 v13, 16, v13
	s_delay_alu instid0(VALU_DEP_2)
	v_cmp_le_u32_e64 s0, s11, v8
	s_or_b32 s5, s0, s5
	s_wait_loadcnt 0x6
	v_lshrrev_b16 v39, 8, v22
	v_bfe_i32 v43, v22, 0, 8
	s_wait_loadcnt 0x5
	v_lshrrev_b16 v40, 8, v23
	v_ashrrev_i32_e32 v42, 24, v22
	v_bfe_i32 v22, v22, 16, 8
	v_bfe_i32 v39, v39, 0, 8
	v_ashrrev_i32_e32 v44, 24, v23
	s_wait_loadcnt 0x3
	v_bfe_i32 v46, v20, 0, 8
	v_bfe_i32 v47, v20, 8, 8
	;; [unrolled: 1-line block ×3, first 2 shown]
	v_ashrrev_i32_e32 v20, 24, v20
	v_add_nc_u32_e32 v51, v39, v43
	v_lshrrev_b16 v41, 8, v24
	v_bfe_i32 v45, v23, 16, 8
	v_bfe_i32 v23, v23, 0, 8
	;; [unrolled: 1-line block ×3, first 2 shown]
	v_ashrrev_i32_e32 v50, 24, v24
	v_bfe_i32 v24, v24, 16, 8
	v_bfe_i32 v40, v40, 0, 8
	v_mul_i32_i24_e32 v28, v44, v28
	v_mul_i32_i24_e32 v36, v46, v36
	v_add_nc_u32_e32 v46, v46, v20
	v_mul_i32_i24_e32 v25, v39, v25
	v_add3_u32 v39, v51, v22, v42
	v_mul_i32_i24_e32 v31, v23, v31
	v_mul_i32_i24_e32 v32, v45, v32
	v_bfe_i32 v41, v41, 0, 8
	v_mul_i32_i24_e32 v16, v24, v16
	v_mul_i32_i24_e32 v35, v50, v35
	;; [unrolled: 1-line block ×3, first 2 shown]
	v_mad_i32_i24 v26, v42, v26, v28
	v_add3_u32 v28, v46, v47, v48
	v_add3_u32 v23, v39, v40, v23
	v_mul_i32_i24_e32 v37, v47, v37
	v_mad_i32_i24 v22, v22, v30, v32
	v_mad_i32_i24 v29, v43, v29, v31
	;; [unrolled: 1-line block ×4, first 2 shown]
	v_add3_u32 v25, v25, v27, v26
	v_add3_u32 v26, v28, v41, v49
	;; [unrolled: 1-line block ×3, first 2 shown]
	v_mul_i32_i24_e32 v33, v48, v33
	v_mad_i32_i24 v17, v20, v17, v37
	v_add3_u32 v16, v16, v30, v36
	v_add3_u32 v20, v29, v22, v25
	;; [unrolled: 1-line block ×3, first 2 shown]
	v_mul_lo_u32 v19, v23, v19
	s_delay_alu instid0(VALU_DEP_4) | instskip(NEXT) | instid1(VALU_DEP_4)
	v_add3_u32 v16, v16, v17, v33
	v_mul_lo_u32 v17, v20, v18
	s_delay_alu instid0(VALU_DEP_4) | instskip(NEXT) | instid1(VALU_DEP_3)
	v_mul_lo_u32 v7, v22, v7
	v_mul_lo_u32 v16, v16, v21
	v_cvt_f32_i32_e32 v18, v19
	s_wait_loadcnt 0x2
	v_lshrrev_b32_e32 v19, 16, v4
	v_cvt_f32_i32_e32 v17, v17
	v_cvt_f32_i32_e32 v7, v7
	s_wait_loadcnt 0x1
	v_fma_mix_f32 v18, v5, v18, 0 op_sel_hi:[1,0,0]
	v_cvt_f32_f16_e32 v19, v19
	v_cvt_f32_i32_e32 v16, v16
	v_fma_mix_f32 v5, v5, v17, 0 op_sel_hi:[1,0,0]
	s_wait_loadcnt 0x0
	v_fma_mix_f32 v7, v6, v7, v18 op_sel_hi:[1,0,0]
	s_delay_alu instid0(VALU_DEP_2) | instskip(NEXT) | instid1(VALU_DEP_2)
	v_fma_mix_f32 v5, v6, v16, v5 op_sel_hi:[1,0,0]
	v_mul_f32_e32 v6, v7, v19
	s_delay_alu instid0(VALU_DEP_1) | instskip(NEXT) | instid1(VALU_DEP_1)
	v_fma_mix_f32 v4, v5, v4, -v6 op_sel_hi:[0,1,0]
	v_add_f32_e32 v9, v9, v4
	s_wait_alu 0xfffe
	s_and_not1_b32 exec_lo, exec_lo, s5
	s_cbranch_execz .LBB282_8
.LBB282_4:                              ; =>This Inner Loop Header: Depth=1
	v_add_nc_u32_e32 v4, v10, v8
                                        ; implicit-def: $vgpr18
                                        ; implicit-def: $vgpr19
	s_wait_alu 0xfffe
	s_delay_alu instid0(VALU_DEP_1) | instskip(NEXT) | instid1(VALU_DEP_1)
	v_mad_co_i64_i32 v[4:5], null, 0x90, v4, s[2:3]
	v_add_co_u32 v6, s0, v4, v12
	s_wait_alu 0xf1ff
	s_delay_alu instid0(VALU_DEP_2) | instskip(NEXT) | instid1(VALU_DEP_2)
	v_add_co_ci_u32_e64 v7, null, 0, v5, s0
	v_add_co_u32 v6, s0, v6, v11
	s_wait_alu 0xf1ff
	s_delay_alu instid0(VALU_DEP_2)
	v_add_co_ci_u32_e64 v7, null, 0, v7, s0
	s_clause 0x1
	global_load_b32 v17, v[6:7], off offset:16
	global_load_b32 v16, v[6:7], off offset:32
	v_add_co_u32 v6, s0, v4, v14
	s_wait_alu 0xf1ff
	v_add_co_ci_u32_e64 v7, null, 0, v5, s0
	s_and_saveexec_b32 s0, vcc_lo
	s_wait_alu 0xfffe
	s_xor_b32 s0, exec_lo, s0
	s_cbranch_execz .LBB282_6
; %bb.5:                                ;   in Loop: Header=BB282_4 Depth=1
	s_clause 0x2
	global_load_u16 v18, v[6:7], off
	global_load_u16 v19, v[6:7], off offset:8
	global_load_u16 v6, v[6:7], off offset:4
	s_wait_loadcnt 0x2
	v_lshrrev_b16 v7, 2, v18
	s_wait_loadcnt 0x1
	v_lshrrev_b16 v18, 4, v19
	;; [unrolled: 2-line block ×3, first 2 shown]
	v_and_b32_e32 v19, 0xf0f, v19
	v_and_b32_e32 v7, 0x3030, v7
	;; [unrolled: 1-line block ×3, first 2 shown]
	s_delay_alu instid0(VALU_DEP_4) | instskip(NEXT) | instid1(VALU_DEP_3)
	v_and_b32_e32 v6, 0x3030, v6
	v_or_b32_e32 v18, v7, v19
	s_delay_alu instid0(VALU_DEP_2)
	v_or_b32_e32 v19, v6, v20
                                        ; implicit-def: $vgpr6_vgpr7
.LBB282_6:                              ;   in Loop: Header=BB282_4 Depth=1
	s_wait_alu 0xfffe
	s_and_not1_saveexec_b32 s0, s0
	s_cbranch_execz .LBB282_3
; %bb.7:                                ;   in Loop: Header=BB282_4 Depth=1
	s_clause 0x1
	global_load_u16 v18, v[6:7], off offset:4
	global_load_u16 v6, v[6:7], off offset:8
	s_wait_loadcnt 0x1
	v_and_b32_e32 v18, 0x3f3f, v18
	s_wait_loadcnt 0x0
	v_and_b32_e32 v19, 0x3f3f, v6
	s_branch .LBB282_3
.LBB282_8:
	s_or_b32 exec_lo, exec_lo, s5
.LBB282_9:
	s_delay_alu instid0(SALU_CYCLE_1) | instskip(SKIP_1) | instid1(VALU_DEP_1)
	s_or_b32 exec_lo, exec_lo, s12
	v_mbcnt_lo_u32_b32 v2, -1, 0
	v_xor_b32_e32 v3, 16, v2
	v_xor_b32_e32 v4, 8, v2
	;; [unrolled: 1-line block ×3, first 2 shown]
	s_delay_alu instid0(VALU_DEP_3) | instskip(SKIP_1) | instid1(VALU_DEP_4)
	v_cmp_gt_i32_e32 vcc_lo, 32, v3
	v_cndmask_b32_e32 v3, v2, v3, vcc_lo
	v_cmp_gt_i32_e32 vcc_lo, 32, v4
	s_wait_alu 0xfffd
	v_cndmask_b32_e32 v4, v2, v4, vcc_lo
	v_cmp_gt_i32_e32 vcc_lo, 32, v5
	s_delay_alu instid0(VALU_DEP_2)
	v_lshlrev_b32_e32 v4, 2, v4
	v_lshlrev_b32_e32 v3, 2, v3
	s_wait_alu 0xfffd
	v_cndmask_b32_e32 v5, v2, v5, vcc_lo
	ds_bpermute_b32 v3, v3, v9
	v_lshlrev_b32_e32 v5, 2, v5
	s_wait_dscnt 0x0
	v_add_f32_e32 v3, v9, v3
	ds_bpermute_b32 v4, v4, v3
	s_wait_dscnt 0x0
	v_add_f32_e32 v3, v3, v4
	ds_bpermute_b32 v4, v5, v3
	v_xor_b32_e32 v5, 2, v2
	s_delay_alu instid0(VALU_DEP_1) | instskip(SKIP_2) | instid1(VALU_DEP_1)
	v_cmp_gt_i32_e32 vcc_lo, 32, v5
	s_wait_alu 0xfffd
	v_cndmask_b32_e32 v5, v2, v5, vcc_lo
	v_lshlrev_b32_e32 v5, 2, v5
	s_wait_dscnt 0x0
	v_add_f32_e32 v3, v3, v4
	ds_bpermute_b32 v4, v5, v3
	v_xor_b32_e32 v5, 1, v2
	s_delay_alu instid0(VALU_DEP_1) | instskip(SKIP_4) | instid1(VALU_DEP_2)
	v_cmp_gt_i32_e32 vcc_lo, 32, v5
	s_wait_alu 0xfffd
	v_cndmask_b32_e32 v5, v2, v5, vcc_lo
	v_cmp_eq_u32_e32 vcc_lo, 0, v0
	s_wait_dscnt 0x0
	v_dual_add_f32 v2, v3, v4 :: v_dual_lshlrev_b32 v3, 2, v5
	ds_bpermute_b32 v3, v3, v2
	s_and_b32 exec_lo, exec_lo, vcc_lo
	s_cbranch_execz .LBB282_11
; %bb.10:
	s_wait_dscnt 0x0
	v_add_f32_e32 v2, v2, v3
	s_delay_alu instid0(VALU_DEP_1) | instskip(SKIP_3) | instid1(VALU_DEP_2)
	v_mad_co_u64_u32 v[0:1], null, s6, s10, v[1:2]
	v_mov_b32_e32 v1, 0
	v_bfe_u32 v3, v2, 16, 1
	v_cmp_o_f32_e32 vcc_lo, v2, v2
	v_add3_u32 v3, v2, v3, 0x7fff
	s_delay_alu instid0(VALU_DEP_4) | instskip(NEXT) | instid1(VALU_DEP_2)
	v_lshlrev_b64_e32 v[0:1], 1, v[0:1]
	v_lshrrev_b32_e32 v3, 16, v3
	s_wait_alu 0xfffd
	s_delay_alu instid0(VALU_DEP_1) | instskip(SKIP_1) | instid1(VALU_DEP_3)
	v_cndmask_b32_e32 v2, 0x7fc0, v3, vcc_lo
	s_wait_kmcnt 0x0
	v_add_co_u32 v0, vcc_lo, s8, v0
	s_wait_alu 0xfffd
	v_add_co_ci_u32_e64 v1, null, s9, v1, vcc_lo
	global_store_b16 v[0:1], v2, off
.LBB282_11:
	s_endpgm
	.section	.rodata,"a",@progbits
	.p2align	6, 0x0
	.amdhsa_kernel _ZL9moe_vec_qIN3c108BFloat16ELi256ELi32E10block_q4_KLi2EXadL_ZL17vec_dot_q4_K_q8_1PKvPK10block_q8_1RKiEEEvS4_S4_PT_PS8_iiii
		.amdhsa_group_segment_fixed_size 0
		.amdhsa_private_segment_fixed_size 0
		.amdhsa_kernarg_size 304
		.amdhsa_user_sgpr_count 2
		.amdhsa_user_sgpr_dispatch_ptr 0
		.amdhsa_user_sgpr_queue_ptr 0
		.amdhsa_user_sgpr_kernarg_segment_ptr 1
		.amdhsa_user_sgpr_dispatch_id 0
		.amdhsa_user_sgpr_private_segment_size 0
		.amdhsa_wavefront_size32 1
		.amdhsa_uses_dynamic_stack 0
		.amdhsa_enable_private_segment 0
		.amdhsa_system_sgpr_workgroup_id_x 1
		.amdhsa_system_sgpr_workgroup_id_y 0
		.amdhsa_system_sgpr_workgroup_id_z 1
		.amdhsa_system_sgpr_workgroup_info 0
		.amdhsa_system_vgpr_workitem_id 1
		.amdhsa_next_free_vgpr 52
		.amdhsa_next_free_sgpr 19
		.amdhsa_reserve_vcc 1
		.amdhsa_float_round_mode_32 0
		.amdhsa_float_round_mode_16_64 0
		.amdhsa_float_denorm_mode_32 3
		.amdhsa_float_denorm_mode_16_64 3
		.amdhsa_fp16_overflow 0
		.amdhsa_workgroup_processor_mode 1
		.amdhsa_memory_ordered 1
		.amdhsa_forward_progress 1
		.amdhsa_inst_pref_size 15
		.amdhsa_round_robin_scheduling 0
		.amdhsa_exception_fp_ieee_invalid_op 0
		.amdhsa_exception_fp_denorm_src 0
		.amdhsa_exception_fp_ieee_div_zero 0
		.amdhsa_exception_fp_ieee_overflow 0
		.amdhsa_exception_fp_ieee_underflow 0
		.amdhsa_exception_fp_ieee_inexact 0
		.amdhsa_exception_int_div_zero 0
	.end_amdhsa_kernel
	.section	.text._ZL9moe_vec_qIN3c108BFloat16ELi256ELi32E10block_q4_KLi2EXadL_ZL17vec_dot_q4_K_q8_1PKvPK10block_q8_1RKiEEEvS4_S4_PT_PS8_iiii,"axG",@progbits,_ZL9moe_vec_qIN3c108BFloat16ELi256ELi32E10block_q4_KLi2EXadL_ZL17vec_dot_q4_K_q8_1PKvPK10block_q8_1RKiEEEvS4_S4_PT_PS8_iiii,comdat
.Lfunc_end282:
	.size	_ZL9moe_vec_qIN3c108BFloat16ELi256ELi32E10block_q4_KLi2EXadL_ZL17vec_dot_q4_K_q8_1PKvPK10block_q8_1RKiEEEvS4_S4_PT_PS8_iiii, .Lfunc_end282-_ZL9moe_vec_qIN3c108BFloat16ELi256ELi32E10block_q4_KLi2EXadL_ZL17vec_dot_q4_K_q8_1PKvPK10block_q8_1RKiEEEvS4_S4_PT_PS8_iiii
                                        ; -- End function
	.set _ZL9moe_vec_qIN3c108BFloat16ELi256ELi32E10block_q4_KLi2EXadL_ZL17vec_dot_q4_K_q8_1PKvPK10block_q8_1RKiEEEvS4_S4_PT_PS8_iiii.num_vgpr, 52
	.set _ZL9moe_vec_qIN3c108BFloat16ELi256ELi32E10block_q4_KLi2EXadL_ZL17vec_dot_q4_K_q8_1PKvPK10block_q8_1RKiEEEvS4_S4_PT_PS8_iiii.num_agpr, 0
	.set _ZL9moe_vec_qIN3c108BFloat16ELi256ELi32E10block_q4_KLi2EXadL_ZL17vec_dot_q4_K_q8_1PKvPK10block_q8_1RKiEEEvS4_S4_PT_PS8_iiii.numbered_sgpr, 19
	.set _ZL9moe_vec_qIN3c108BFloat16ELi256ELi32E10block_q4_KLi2EXadL_ZL17vec_dot_q4_K_q8_1PKvPK10block_q8_1RKiEEEvS4_S4_PT_PS8_iiii.num_named_barrier, 0
	.set _ZL9moe_vec_qIN3c108BFloat16ELi256ELi32E10block_q4_KLi2EXadL_ZL17vec_dot_q4_K_q8_1PKvPK10block_q8_1RKiEEEvS4_S4_PT_PS8_iiii.private_seg_size, 0
	.set _ZL9moe_vec_qIN3c108BFloat16ELi256ELi32E10block_q4_KLi2EXadL_ZL17vec_dot_q4_K_q8_1PKvPK10block_q8_1RKiEEEvS4_S4_PT_PS8_iiii.uses_vcc, 1
	.set _ZL9moe_vec_qIN3c108BFloat16ELi256ELi32E10block_q4_KLi2EXadL_ZL17vec_dot_q4_K_q8_1PKvPK10block_q8_1RKiEEEvS4_S4_PT_PS8_iiii.uses_flat_scratch, 0
	.set _ZL9moe_vec_qIN3c108BFloat16ELi256ELi32E10block_q4_KLi2EXadL_ZL17vec_dot_q4_K_q8_1PKvPK10block_q8_1RKiEEEvS4_S4_PT_PS8_iiii.has_dyn_sized_stack, 0
	.set _ZL9moe_vec_qIN3c108BFloat16ELi256ELi32E10block_q4_KLi2EXadL_ZL17vec_dot_q4_K_q8_1PKvPK10block_q8_1RKiEEEvS4_S4_PT_PS8_iiii.has_recursion, 0
	.set _ZL9moe_vec_qIN3c108BFloat16ELi256ELi32E10block_q4_KLi2EXadL_ZL17vec_dot_q4_K_q8_1PKvPK10block_q8_1RKiEEEvS4_S4_PT_PS8_iiii.has_indirect_call, 0
	.section	.AMDGPU.csdata,"",@progbits
; Kernel info:
; codeLenInByte = 1904
; TotalNumSgprs: 21
; NumVgprs: 52
; ScratchSize: 0
; MemoryBound: 0
; FloatMode: 240
; IeeeMode: 1
; LDSByteSize: 0 bytes/workgroup (compile time only)
; SGPRBlocks: 0
; VGPRBlocks: 6
; NumSGPRsForWavesPerEU: 21
; NumVGPRsForWavesPerEU: 52
; Occupancy: 16
; WaveLimiterHint : 1
; COMPUTE_PGM_RSRC2:SCRATCH_EN: 0
; COMPUTE_PGM_RSRC2:USER_SGPR: 2
; COMPUTE_PGM_RSRC2:TRAP_HANDLER: 0
; COMPUTE_PGM_RSRC2:TGID_X_EN: 1
; COMPUTE_PGM_RSRC2:TGID_Y_EN: 0
; COMPUTE_PGM_RSRC2:TGID_Z_EN: 1
; COMPUTE_PGM_RSRC2:TIDIG_COMP_CNT: 1
	.section	.text._ZL9moe_vec_qIN3c108BFloat16ELi256ELi32E10block_q5_KLi2EXadL_ZL17vec_dot_q5_K_q8_1PKvPK10block_q8_1RKiEEEvS4_S4_PT_PS8_iiii,"axG",@progbits,_ZL9moe_vec_qIN3c108BFloat16ELi256ELi32E10block_q5_KLi2EXadL_ZL17vec_dot_q5_K_q8_1PKvPK10block_q8_1RKiEEEvS4_S4_PT_PS8_iiii,comdat
	.globl	_ZL9moe_vec_qIN3c108BFloat16ELi256ELi32E10block_q5_KLi2EXadL_ZL17vec_dot_q5_K_q8_1PKvPK10block_q8_1RKiEEEvS4_S4_PT_PS8_iiii ; -- Begin function _ZL9moe_vec_qIN3c108BFloat16ELi256ELi32E10block_q5_KLi2EXadL_ZL17vec_dot_q5_K_q8_1PKvPK10block_q8_1RKiEEEvS4_S4_PT_PS8_iiii
	.p2align	8
	.type	_ZL9moe_vec_qIN3c108BFloat16ELi256ELi32E10block_q5_KLi2EXadL_ZL17vec_dot_q5_K_q8_1PKvPK10block_q8_1RKiEEEvS4_S4_PT_PS8_iiii,@function
_ZL9moe_vec_qIN3c108BFloat16ELi256ELi32E10block_q5_KLi2EXadL_ZL17vec_dot_q5_K_q8_1PKvPK10block_q8_1RKiEEEvS4_S4_PT_PS8_iiii: ; @_ZL9moe_vec_qIN3c108BFloat16ELi256ELi32E10block_q5_KLi2EXadL_ZL17vec_dot_q5_K_q8_1PKvPK10block_q8_1RKiEEEvS4_S4_PT_PS8_iiii
; %bb.0:
	s_clause 0x1
	s_load_u16 s2, s[0:1], 0x3e
	s_load_b128 s[4:7], s[0:1], 0x20
	v_bfe_u32 v1, v0, 10, 10
	s_wait_kmcnt 0x0
	s_delay_alu instid0(VALU_DEP_1)
	v_mad_co_u64_u32 v[1:2], null, ttmp9, s2, v[1:2]
	s_mov_b32 s2, exec_lo
	v_cmpx_gt_u32_e64 s6, v1
	s_cbranch_execz .LBB283_11
; %bb.1:
	s_load_b64 s[8:9], s[0:1], 0x10
	s_ashr_i32 s2, s5, 31
	v_bfe_u32 v8, v0, 4, 6
	s_wait_alu 0xfffe
	s_lshr_b32 s2, s2, 24
	v_dual_mov_b32 v9, 0 :: v_dual_and_b32 v0, 0x3ff, v0
	s_wait_alu 0xfffe
	s_add_co_i32 s2, s5, s2
	s_lshr_b32 s10, ttmp7, 16
	s_wait_alu 0xfffe
	s_ashr_i32 s11, s2, 8
	s_mov_b32 s12, exec_lo
	v_cmpx_gt_u32_e64 s11, v8
	s_cbranch_execz .LBB283_9
; %bb.2:
	s_load_b64 s[2:3], s[0:1], 0x18
	s_cvt_f32_u32 s5, s4
	s_lshl_b32 s13, s10, 2
	s_sub_co_i32 s16, 0, s4
	s_mul_i32 s14, s11, s6
	v_rcp_iflag_f32_e32 v2, s5
	v_and_b32_e32 v4, 3, v0
	v_mul_lo_u32 v10, v1, s11
	v_dual_mov_b32 v9, 0 :: v_dual_lshlrev_b32 v14, 3, v8
	s_delay_alu instid0(VALU_DEP_3) | instskip(SKIP_1) | instid1(TRANS32_DEP_1)
	v_lshlrev_b32_e32 v11, 2, v4
	v_lshlrev_b32_e32 v16, 2, v4
	v_readfirstlane_b32 s5, v2
	v_lshlrev_b32_e32 v2, 1, v0
	s_mul_f32 s5, s5, 0x4f7ffffe
	s_wait_kmcnt 0x0
	s_load_b32 s13, s[2:3], s13 offset:0x0
	s_load_b128 s[0:3], s[0:1], 0x0
	v_bfe_u32 v5, v2, 3, 2
	s_cvt_u32_f32 s15, s5
	s_mov_b32 s5, 0
	v_and_b32_e32 v3, 30, v2
	s_delay_alu instid0(SALU_CYCLE_1) | instskip(SKIP_2) | instid1(VALU_DEP_2)
	s_mul_i32 s16, s16, s15
	v_lshlrev_b32_e32 v13, 1, v5
	s_mul_hi_u32 s16, s15, s16
	v_cmp_lt_u32_e32 vcc_lo, 15, v3
	s_add_co_i32 s15, s15, s16
	v_lshlrev_b32_e32 v12, 5, v5
	s_mul_hi_u32 s16, s10, s15
	v_lshlrev_b32_e32 v15, 1, v5
	s_mul_i32 s15, s16, s4
	s_add_co_i32 s17, s16, 1
	s_sub_co_i32 s18, s10, s15
	s_wait_kmcnt 0x0
	s_mul_i32 s14, s14, s13
	s_sub_co_i32 s13, s18, s4
	s_ashr_i32 s15, s14, 31
	s_cmp_ge_u32 s18, s4
	s_mul_u64 s[14:15], s[14:15], 0xb0
	s_cselect_b32 s16, s17, s16
	s_cselect_b32 s13, s13, s18
	s_add_co_i32 s17, s16, 1
	s_cmp_ge_u32 s13, s4
	s_cselect_b32 s4, s17, s16
	s_wait_alu 0xfffe
	s_mul_i32 s4, s4, s7
	s_wait_alu 0xfffe
	s_lshl_b64 s[16:17], s[4:5], 2
	s_delay_alu instid0(SALU_CYCLE_1)
	s_add_nc_u64 s[2:3], s[2:3], s[16:17]
	s_wait_alu 0xfffe
	v_mad_co_u64_u32 v[2:3], null, v13, 36, s[2:3]
	s_add_nc_u64 s[2:3], s[0:1], s[14:15]
	s_branch .LBB283_4
.LBB283_3:                              ;   in Loop: Header=BB283_4 Depth=1
	s_wait_alu 0xfffe
	s_or_b32 exec_lo, exec_lo, s0
	v_mad_co_i64_i32 v[6:7], null, v14, 36, v[2:3]
	s_wait_loadcnt 0x0
	v_ashrrev_i32_e32 v22, v13, v22
	v_ashrrev_i32_e32 v21, v13, v21
	v_and_b32_e32 v29, 0xf0f0f0f, v17
	v_and_b32_e32 v28, 0xf0f0f0f, v18
	v_lshrrev_b32_e32 v18, 4, v18
	v_lshlrev_b32_e32 v31, 4, v22
	v_add_co_u32 v23, s0, v6, v16
	s_wait_alu 0xf1ff
	v_add_co_ci_u32_e64 v24, null, 0, v7, s0
	v_lshrrev_b32_e32 v17, 4, v17
	v_lshlrev_b32_e32 v30, 4, v21
	v_and_or_b32 v29, 0x10101010, v31, v29
	s_clause 0x3
	global_load_b32 v25, v[23:24], off offset:4
	global_load_b32 v26, v[23:24], off offset:20
	;; [unrolled: 1-line block ×4, first 2 shown]
	global_load_b32 v4, v[4:5], off
	s_clause 0x1
	global_load_b32 v5, v[6:7], off
	global_load_b32 v6, v[6:7], off offset:36
	v_and_b32_e32 v18, 0xf0f0f0f, v18
	v_and_b32_e32 v17, 0xf0f0f0f, v17
	v_lshlrev_b32_e32 v21, 3, v21
	v_lshlrev_b32_e32 v22, 3, v22
	v_and_or_b32 v28, 0x10101010, v30, v28
	v_bfe_u32 v32, v29, 16, 5
	v_lshrrev_b32_e32 v30, 24, v29
	v_and_or_b32 v18, 0x10101010, v21, v18
	v_and_or_b32 v17, 0x10101010, v22, v17
	v_lshrrev_b32_e32 v21, 24, v28
	v_lshrrev_b16 v22, 8, v28
	v_lshrrev_b16 v31, 8, v29
	v_and_b32_e32 v33, 31, v28
	v_bfe_u32 v28, v28, 16, 5
	v_and_b32_e32 v29, 31, v29
	v_lshrrev_b16 v35, 8, v18
	v_lshrrev_b32_e32 v36, 24, v17
	v_lshrrev_b16 v37, 8, v17
	v_and_b32_e32 v31, 0xffff, v31
	v_and_b32_e32 v22, 0xffff, v22
	v_lshrrev_b16 v7, 8, v20
	v_and_b32_e32 v20, 0xff, v20
	v_lshrrev_b32_e32 v34, 24, v18
	v_bfe_u32 v38, v17, 16, 5
	v_and_b32_e32 v17, 31, v17
	v_and_b32_e32 v37, 0xffff, v37
	;; [unrolled: 1-line block ×3, first 2 shown]
	v_lshrrev_b16 v24, 8, v19
	v_and_b32_e32 v19, 0xff, v19
	v_and_b32_e32 v20, 0xffff, v20
	;; [unrolled: 1-line block ×3, first 2 shown]
	v_bfe_u32 v18, v18, 16, 5
	v_and_b32_e32 v7, 0xffff, v7
	v_and_b32_e32 v19, 0xffff, v19
	v_add_nc_u32_e32 v8, 2, v8
	v_add_nc_u32_e32 v14, 16, v14
	s_delay_alu instid0(VALU_DEP_2)
	v_cmp_le_u32_e64 s0, s11, v8
	s_or_b32 s5, s0, s5
	s_wait_loadcnt 0x6
	v_lshrrev_b16 v40, 8, v25
	s_wait_loadcnt 0x5
	v_bfe_i32 v44, v26, 16, 8
	s_wait_loadcnt 0x4
	v_lshrrev_b16 v42, 8, v27
	v_bfe_i32 v46, v25, 0, 8
	v_lshrrev_b16 v41, 8, v26
	v_bfe_i32 v40, v40, 0, 8
	v_ashrrev_i32_e32 v43, 24, v26
	v_ashrrev_i32_e32 v45, 24, v25
	v_bfe_i32 v25, v25, 16, 8
	v_bfe_i32 v51, v27, 0, 8
	v_mul_i32_i24_e32 v32, v44, v32
	v_bfe_i32 v42, v42, 0, 8
	v_add_nc_u32_e32 v52, v46, v40
	v_bfe_i32 v26, v26, 0, 8
	s_wait_loadcnt 0x3
	v_ashrrev_i32_e32 v47, 24, v23
	v_ashrrev_i32_e32 v50, 24, v27
	v_bfe_i32 v27, v27, 16, 8
	v_bfe_i32 v41, v41, 0, 8
	v_mul_i32_i24_e32 v30, v43, v30
	v_mad_i32_i24 v28, v25, v28, v32
	v_add_nc_u32_e32 v32, v51, v42
	v_add3_u32 v25, v52, v25, v45
	v_bfe_i32 v48, v23, 16, 8
	v_bfe_i32 v49, v23, 8, 8
	;; [unrolled: 1-line block ×3, first 2 shown]
	v_mul_i32_i24_e32 v29, v26, v29
	v_mul_i32_i24_e32 v36, v47, v36
	;; [unrolled: 1-line block ×4, first 2 shown]
	v_mad_i32_i24 v21, v45, v21, v30
	v_add3_u32 v32, v32, v27, v50
	v_add3_u32 v25, v25, v26, v41
	v_mul_i32_i24_e32 v17, v23, v17
	v_mul_i32_i24_e32 v37, v49, v37
	;; [unrolled: 1-line block ×3, first 2 shown]
	v_mad_i32_i24 v29, v46, v33, v29
	v_mul_i32_i24_e32 v30, v42, v35
	v_mad_i32_i24 v26, v50, v34, v36
	v_add3_u32 v21, v22, v31, v21
	v_add3_u32 v22, v32, v47, v23
	;; [unrolled: 1-line block ×3, first 2 shown]
	v_mad_i32_i24 v18, v27, v18, v38
	v_mad_i32_i24 v17, v51, v39, v17
	v_add3_u32 v25, v30, v37, v26
	v_add3_u32 v21, v29, v28, v21
	;; [unrolled: 1-line block ×3, first 2 shown]
	v_mul_lo_u32 v20, v23, v20
	v_and_b32_e32 v23, 0xffff, v24
	v_add3_u32 v17, v17, v18, v25
	v_mul_lo_u32 v18, v21, v19
	v_mul_lo_u32 v7, v22, v7
	s_delay_alu instid0(VALU_DEP_3)
	v_mul_lo_u32 v17, v17, v23
	v_cvt_f32_i32_e32 v19, v20
	s_wait_loadcnt 0x2
	v_lshrrev_b32_e32 v20, 16, v4
	v_cvt_f32_i32_e32 v18, v18
	v_cvt_f32_i32_e32 v7, v7
	s_wait_loadcnt 0x1
	v_fma_mix_f32 v19, v5, v19, 0 op_sel_hi:[1,0,0]
	v_cvt_f32_f16_e32 v20, v20
	v_cvt_f32_i32_e32 v17, v17
	v_fma_mix_f32 v5, v5, v18, 0 op_sel_hi:[1,0,0]
	s_wait_loadcnt 0x0
	v_fma_mix_f32 v7, v6, v7, v19 op_sel_hi:[1,0,0]
	s_delay_alu instid0(VALU_DEP_2) | instskip(NEXT) | instid1(VALU_DEP_2)
	v_fma_mix_f32 v5, v6, v17, v5 op_sel_hi:[1,0,0]
	v_mul_f32_e32 v6, v7, v20
	s_delay_alu instid0(VALU_DEP_1) | instskip(NEXT) | instid1(VALU_DEP_1)
	v_fma_mix_f32 v4, v5, v4, -v6 op_sel_hi:[0,1,0]
	v_add_f32_e32 v9, v9, v4
	s_wait_alu 0xfffe
	s_and_not1_b32 exec_lo, exec_lo, s5
	s_cbranch_execz .LBB283_8
.LBB283_4:                              ; =>This Inner Loop Header: Depth=1
	v_add_nc_u32_e32 v4, v10, v8
	s_wait_alu 0xfffe
	s_delay_alu instid0(VALU_DEP_1) | instskip(NEXT) | instid1(VALU_DEP_1)
	v_mad_co_i64_i32 v[4:5], null, 0xb0, v4, s[2:3]
	v_add_co_u32 v6, s0, v4, v12
	s_wait_alu 0xf1ff
	s_delay_alu instid0(VALU_DEP_2) | instskip(NEXT) | instid1(VALU_DEP_2)
	v_add_co_ci_u32_e64 v7, null, 0, v5, s0
	v_add_co_u32 v6, s0, v6, v11
	s_wait_alu 0xf1ff
	s_delay_alu instid0(VALU_DEP_2)
	v_add_co_ci_u32_e64 v7, null, 0, v7, s0
	v_add_co_u32 v19, s0, v4, v11
	s_wait_alu 0xf1ff
	v_add_co_ci_u32_e64 v20, null, 0, v5, s0
	s_clause 0x3
	global_load_b32 v18, v[6:7], off offset:48
	global_load_b32 v17, v[6:7], off offset:64
	;; [unrolled: 1-line block ×4, first 2 shown]
	v_add_co_u32 v6, s0, v4, v15
	s_wait_alu 0xf1ff
	v_add_co_ci_u32_e64 v7, null, 0, v5, s0
                                        ; implicit-def: $vgpr19
                                        ; implicit-def: $vgpr20
	s_and_saveexec_b32 s0, vcc_lo
	s_wait_alu 0xfffe
	s_xor_b32 s0, exec_lo, s0
	s_cbranch_execz .LBB283_6
; %bb.5:                                ;   in Loop: Header=BB283_4 Depth=1
	s_clause 0x2
	global_load_u16 v19, v[6:7], off
	global_load_u16 v20, v[6:7], off offset:8
	global_load_u16 v6, v[6:7], off offset:4
	s_wait_loadcnt 0x2
	v_lshrrev_b16 v7, 2, v19
	s_wait_loadcnt 0x1
	v_lshrrev_b16 v19, 4, v20
	;; [unrolled: 2-line block ×3, first 2 shown]
	v_and_b32_e32 v20, 0xf0f, v20
	v_and_b32_e32 v7, 0x3030, v7
	v_and_b32_e32 v23, 0xf0f, v19
	s_delay_alu instid0(VALU_DEP_4) | instskip(NEXT) | instid1(VALU_DEP_3)
	v_and_b32_e32 v6, 0x3030, v6
	v_or_b32_e32 v19, v7, v20
	s_delay_alu instid0(VALU_DEP_2)
	v_or_b32_e32 v20, v6, v23
                                        ; implicit-def: $vgpr6_vgpr7
.LBB283_6:                              ;   in Loop: Header=BB283_4 Depth=1
	s_wait_alu 0xfffe
	s_and_not1_saveexec_b32 s0, s0
	s_cbranch_execz .LBB283_3
; %bb.7:                                ;   in Loop: Header=BB283_4 Depth=1
	s_clause 0x1
	global_load_u16 v19, v[6:7], off offset:4
	global_load_u16 v6, v[6:7], off offset:8
	s_wait_loadcnt 0x1
	v_and_b32_e32 v19, 0x3f3f, v19
	s_wait_loadcnt 0x0
	v_and_b32_e32 v20, 0x3f3f, v6
	s_branch .LBB283_3
.LBB283_8:
	s_or_b32 exec_lo, exec_lo, s5
.LBB283_9:
	s_delay_alu instid0(SALU_CYCLE_1) | instskip(SKIP_1) | instid1(VALU_DEP_1)
	s_or_b32 exec_lo, exec_lo, s12
	v_mbcnt_lo_u32_b32 v2, -1, 0
	v_xor_b32_e32 v3, 16, v2
	v_xor_b32_e32 v4, 8, v2
	;; [unrolled: 1-line block ×3, first 2 shown]
	s_delay_alu instid0(VALU_DEP_3) | instskip(SKIP_1) | instid1(VALU_DEP_4)
	v_cmp_gt_i32_e32 vcc_lo, 32, v3
	v_cndmask_b32_e32 v3, v2, v3, vcc_lo
	v_cmp_gt_i32_e32 vcc_lo, 32, v4
	s_wait_alu 0xfffd
	v_cndmask_b32_e32 v4, v2, v4, vcc_lo
	v_cmp_gt_i32_e32 vcc_lo, 32, v5
	s_delay_alu instid0(VALU_DEP_2)
	v_lshlrev_b32_e32 v4, 2, v4
	v_lshlrev_b32_e32 v3, 2, v3
	s_wait_alu 0xfffd
	v_cndmask_b32_e32 v5, v2, v5, vcc_lo
	ds_bpermute_b32 v3, v3, v9
	v_lshlrev_b32_e32 v5, 2, v5
	s_wait_dscnt 0x0
	v_add_f32_e32 v3, v9, v3
	ds_bpermute_b32 v4, v4, v3
	s_wait_dscnt 0x0
	v_add_f32_e32 v3, v3, v4
	ds_bpermute_b32 v4, v5, v3
	v_xor_b32_e32 v5, 2, v2
	s_delay_alu instid0(VALU_DEP_1) | instskip(SKIP_2) | instid1(VALU_DEP_1)
	v_cmp_gt_i32_e32 vcc_lo, 32, v5
	s_wait_alu 0xfffd
	v_cndmask_b32_e32 v5, v2, v5, vcc_lo
	v_lshlrev_b32_e32 v5, 2, v5
	s_wait_dscnt 0x0
	v_add_f32_e32 v3, v3, v4
	ds_bpermute_b32 v4, v5, v3
	v_xor_b32_e32 v5, 1, v2
	s_delay_alu instid0(VALU_DEP_1) | instskip(SKIP_4) | instid1(VALU_DEP_2)
	v_cmp_gt_i32_e32 vcc_lo, 32, v5
	s_wait_alu 0xfffd
	v_cndmask_b32_e32 v5, v2, v5, vcc_lo
	v_cmp_eq_u32_e32 vcc_lo, 0, v0
	s_wait_dscnt 0x0
	v_dual_add_f32 v2, v3, v4 :: v_dual_lshlrev_b32 v3, 2, v5
	ds_bpermute_b32 v3, v3, v2
	s_and_b32 exec_lo, exec_lo, vcc_lo
	s_cbranch_execz .LBB283_11
; %bb.10:
	s_wait_dscnt 0x0
	v_add_f32_e32 v2, v2, v3
	s_delay_alu instid0(VALU_DEP_1) | instskip(SKIP_3) | instid1(VALU_DEP_2)
	v_mad_co_u64_u32 v[0:1], null, s6, s10, v[1:2]
	v_mov_b32_e32 v1, 0
	v_bfe_u32 v3, v2, 16, 1
	v_cmp_o_f32_e32 vcc_lo, v2, v2
	v_add3_u32 v3, v2, v3, 0x7fff
	s_delay_alu instid0(VALU_DEP_4) | instskip(NEXT) | instid1(VALU_DEP_2)
	v_lshlrev_b64_e32 v[0:1], 1, v[0:1]
	v_lshrrev_b32_e32 v3, 16, v3
	s_wait_alu 0xfffd
	s_delay_alu instid0(VALU_DEP_1) | instskip(SKIP_1) | instid1(VALU_DEP_3)
	v_cndmask_b32_e32 v2, 0x7fc0, v3, vcc_lo
	s_wait_kmcnt 0x0
	v_add_co_u32 v0, vcc_lo, s8, v0
	s_wait_alu 0xfffd
	v_add_co_ci_u32_e64 v1, null, s9, v1, vcc_lo
	global_store_b16 v[0:1], v2, off
.LBB283_11:
	s_endpgm
	.section	.rodata,"a",@progbits
	.p2align	6, 0x0
	.amdhsa_kernel _ZL9moe_vec_qIN3c108BFloat16ELi256ELi32E10block_q5_KLi2EXadL_ZL17vec_dot_q5_K_q8_1PKvPK10block_q8_1RKiEEEvS4_S4_PT_PS8_iiii
		.amdhsa_group_segment_fixed_size 0
		.amdhsa_private_segment_fixed_size 0
		.amdhsa_kernarg_size 304
		.amdhsa_user_sgpr_count 2
		.amdhsa_user_sgpr_dispatch_ptr 0
		.amdhsa_user_sgpr_queue_ptr 0
		.amdhsa_user_sgpr_kernarg_segment_ptr 1
		.amdhsa_user_sgpr_dispatch_id 0
		.amdhsa_user_sgpr_private_segment_size 0
		.amdhsa_wavefront_size32 1
		.amdhsa_uses_dynamic_stack 0
		.amdhsa_enable_private_segment 0
		.amdhsa_system_sgpr_workgroup_id_x 1
		.amdhsa_system_sgpr_workgroup_id_y 0
		.amdhsa_system_sgpr_workgroup_id_z 1
		.amdhsa_system_sgpr_workgroup_info 0
		.amdhsa_system_vgpr_workitem_id 1
		.amdhsa_next_free_vgpr 53
		.amdhsa_next_free_sgpr 19
		.amdhsa_reserve_vcc 1
		.amdhsa_float_round_mode_32 0
		.amdhsa_float_round_mode_16_64 0
		.amdhsa_float_denorm_mode_32 3
		.amdhsa_float_denorm_mode_16_64 3
		.amdhsa_fp16_overflow 0
		.amdhsa_workgroup_processor_mode 1
		.amdhsa_memory_ordered 1
		.amdhsa_forward_progress 1
		.amdhsa_inst_pref_size 16
		.amdhsa_round_robin_scheduling 0
		.amdhsa_exception_fp_ieee_invalid_op 0
		.amdhsa_exception_fp_denorm_src 0
		.amdhsa_exception_fp_ieee_div_zero 0
		.amdhsa_exception_fp_ieee_overflow 0
		.amdhsa_exception_fp_ieee_underflow 0
		.amdhsa_exception_fp_ieee_inexact 0
		.amdhsa_exception_int_div_zero 0
	.end_amdhsa_kernel
	.section	.text._ZL9moe_vec_qIN3c108BFloat16ELi256ELi32E10block_q5_KLi2EXadL_ZL17vec_dot_q5_K_q8_1PKvPK10block_q8_1RKiEEEvS4_S4_PT_PS8_iiii,"axG",@progbits,_ZL9moe_vec_qIN3c108BFloat16ELi256ELi32E10block_q5_KLi2EXadL_ZL17vec_dot_q5_K_q8_1PKvPK10block_q8_1RKiEEEvS4_S4_PT_PS8_iiii,comdat
.Lfunc_end283:
	.size	_ZL9moe_vec_qIN3c108BFloat16ELi256ELi32E10block_q5_KLi2EXadL_ZL17vec_dot_q5_K_q8_1PKvPK10block_q8_1RKiEEEvS4_S4_PT_PS8_iiii, .Lfunc_end283-_ZL9moe_vec_qIN3c108BFloat16ELi256ELi32E10block_q5_KLi2EXadL_ZL17vec_dot_q5_K_q8_1PKvPK10block_q8_1RKiEEEvS4_S4_PT_PS8_iiii
                                        ; -- End function
	.set _ZL9moe_vec_qIN3c108BFloat16ELi256ELi32E10block_q5_KLi2EXadL_ZL17vec_dot_q5_K_q8_1PKvPK10block_q8_1RKiEEEvS4_S4_PT_PS8_iiii.num_vgpr, 53
	.set _ZL9moe_vec_qIN3c108BFloat16ELi256ELi32E10block_q5_KLi2EXadL_ZL17vec_dot_q5_K_q8_1PKvPK10block_q8_1RKiEEEvS4_S4_PT_PS8_iiii.num_agpr, 0
	.set _ZL9moe_vec_qIN3c108BFloat16ELi256ELi32E10block_q5_KLi2EXadL_ZL17vec_dot_q5_K_q8_1PKvPK10block_q8_1RKiEEEvS4_S4_PT_PS8_iiii.numbered_sgpr, 19
	.set _ZL9moe_vec_qIN3c108BFloat16ELi256ELi32E10block_q5_KLi2EXadL_ZL17vec_dot_q5_K_q8_1PKvPK10block_q8_1RKiEEEvS4_S4_PT_PS8_iiii.num_named_barrier, 0
	.set _ZL9moe_vec_qIN3c108BFloat16ELi256ELi32E10block_q5_KLi2EXadL_ZL17vec_dot_q5_K_q8_1PKvPK10block_q8_1RKiEEEvS4_S4_PT_PS8_iiii.private_seg_size, 0
	.set _ZL9moe_vec_qIN3c108BFloat16ELi256ELi32E10block_q5_KLi2EXadL_ZL17vec_dot_q5_K_q8_1PKvPK10block_q8_1RKiEEEvS4_S4_PT_PS8_iiii.uses_vcc, 1
	.set _ZL9moe_vec_qIN3c108BFloat16ELi256ELi32E10block_q5_KLi2EXadL_ZL17vec_dot_q5_K_q8_1PKvPK10block_q8_1RKiEEEvS4_S4_PT_PS8_iiii.uses_flat_scratch, 0
	.set _ZL9moe_vec_qIN3c108BFloat16ELi256ELi32E10block_q5_KLi2EXadL_ZL17vec_dot_q5_K_q8_1PKvPK10block_q8_1RKiEEEvS4_S4_PT_PS8_iiii.has_dyn_sized_stack, 0
	.set _ZL9moe_vec_qIN3c108BFloat16ELi256ELi32E10block_q5_KLi2EXadL_ZL17vec_dot_q5_K_q8_1PKvPK10block_q8_1RKiEEEvS4_S4_PT_PS8_iiii.has_recursion, 0
	.set _ZL9moe_vec_qIN3c108BFloat16ELi256ELi32E10block_q5_KLi2EXadL_ZL17vec_dot_q5_K_q8_1PKvPK10block_q8_1RKiEEEvS4_S4_PT_PS8_iiii.has_indirect_call, 0
	.section	.AMDGPU.csdata,"",@progbits
; Kernel info:
; codeLenInByte = 2024
; TotalNumSgprs: 21
; NumVgprs: 53
; ScratchSize: 0
; MemoryBound: 0
; FloatMode: 240
; IeeeMode: 1
; LDSByteSize: 0 bytes/workgroup (compile time only)
; SGPRBlocks: 0
; VGPRBlocks: 6
; NumSGPRsForWavesPerEU: 21
; NumVGPRsForWavesPerEU: 53
; Occupancy: 16
; WaveLimiterHint : 1
; COMPUTE_PGM_RSRC2:SCRATCH_EN: 0
; COMPUTE_PGM_RSRC2:USER_SGPR: 2
; COMPUTE_PGM_RSRC2:TRAP_HANDLER: 0
; COMPUTE_PGM_RSRC2:TGID_X_EN: 1
; COMPUTE_PGM_RSRC2:TGID_Y_EN: 0
; COMPUTE_PGM_RSRC2:TGID_Z_EN: 1
; COMPUTE_PGM_RSRC2:TIDIG_COMP_CNT: 1
	.section	.text._ZL9moe_vec_qIN3c108BFloat16ELi256ELi32E10block_q6_KLi1EXadL_ZL17vec_dot_q6_K_q8_1PKvPK10block_q8_1RKiEEEvS4_S4_PT_PS8_iiii,"axG",@progbits,_ZL9moe_vec_qIN3c108BFloat16ELi256ELi32E10block_q6_KLi1EXadL_ZL17vec_dot_q6_K_q8_1PKvPK10block_q8_1RKiEEEvS4_S4_PT_PS8_iiii,comdat
	.globl	_ZL9moe_vec_qIN3c108BFloat16ELi256ELi32E10block_q6_KLi1EXadL_ZL17vec_dot_q6_K_q8_1PKvPK10block_q8_1RKiEEEvS4_S4_PT_PS8_iiii ; -- Begin function _ZL9moe_vec_qIN3c108BFloat16ELi256ELi32E10block_q6_KLi1EXadL_ZL17vec_dot_q6_K_q8_1PKvPK10block_q8_1RKiEEEvS4_S4_PT_PS8_iiii
	.p2align	8
	.type	_ZL9moe_vec_qIN3c108BFloat16ELi256ELi32E10block_q6_KLi1EXadL_ZL17vec_dot_q6_K_q8_1PKvPK10block_q8_1RKiEEEvS4_S4_PT_PS8_iiii,@function
_ZL9moe_vec_qIN3c108BFloat16ELi256ELi32E10block_q6_KLi1EXadL_ZL17vec_dot_q6_K_q8_1PKvPK10block_q8_1RKiEEEvS4_S4_PT_PS8_iiii: ; @_ZL9moe_vec_qIN3c108BFloat16ELi256ELi32E10block_q6_KLi1EXadL_ZL17vec_dot_q6_K_q8_1PKvPK10block_q8_1RKiEEEvS4_S4_PT_PS8_iiii
; %bb.0:
	s_clause 0x1
	s_load_u16 s2, s[0:1], 0x3e
	s_load_b128 s[4:7], s[0:1], 0x20
	v_bfe_u32 v1, v0, 10, 10
	s_wait_kmcnt 0x0
	s_delay_alu instid0(VALU_DEP_1)
	v_mad_co_u64_u32 v[1:2], null, ttmp9, s2, v[1:2]
	s_mov_b32 s2, exec_lo
	v_cmpx_gt_u32_e64 s6, v1
	s_cbranch_execz .LBB284_7
; %bb.1:
	s_load_b64 s[2:3], s[0:1], 0x10
	s_ashr_i32 s8, s5, 31
	v_bfe_u32 v4, v0, 5, 5
	s_lshr_b32 s8, s8, 24
	v_dual_mov_b32 v7, 0 :: v_dual_and_b32 v0, 0x3ff, v0
	s_add_co_i32 s5, s5, s8
	s_lshr_b32 s12, ttmp7, 16
	s_ashr_i32 s13, s5, 8
	s_mov_b32 s14, exec_lo
	v_cmpx_gt_u32_e64 s13, v4
	s_cbranch_execz .LBB284_5
; %bb.2:
	s_load_b64 s[8:9], s[0:1], 0x18
	s_cvt_f32_u32 s5, s4
	s_lshl_b32 s10, s12, 2
	s_sub_co_i32 s16, 0, s4
	v_and_b32_e32 v9, 7, v0
	v_rcp_iflag_f32_e32 v2, s5
	v_mul_lo_u32 v5, v1, s13
	v_mov_b32_e32 v7, 0
	s_delay_alu instid0(TRANS32_DEP_1)
	v_readfirstlane_b32 s5, v2
	v_and_b32_e32 v2, 31, v0
	s_mul_f32 s5, s5, 0x4f7ffffe
	s_wait_kmcnt 0x0
	s_load_b32 s15, s[8:9], s10 offset:0x0
	s_load_b128 s[8:11], s[0:1], 0x0
	s_mul_i32 s0, s13, s6
	s_cvt_u32_f32 s5, s5
	v_add_nc_u32_e32 v3, 0xf0, v2
	v_cmp_lt_u32_e32 vcc_lo, 15, v2
	s_mov_b32 s1, 0
	s_wait_alu 0xfffe
	s_mul_i32 s16, s16, s5
	v_lshlrev_b32_e32 v6, 2, v2
	s_mul_hi_u32 s16, s5, s16
	v_cndmask_b32_e64 v11, 0, 8, vcc_lo
	s_add_co_i32 s5, s5, s16
	s_wait_alu 0xfffe
	s_mul_hi_u32 s5, s12, s5
	s_wait_alu 0xfffe
	s_mul_i32 s16, s5, s4
	s_add_co_i32 s18, s5, 1
	s_sub_co_i32 s19, s12, s16
	v_or_b32_e32 v12, v11, v9
	v_lshlrev_b32_e32 v9, 2, v9
	s_wait_kmcnt 0x0
	s_mul_i32 s16, s0, s15
	v_cmp_gt_u32_e64 s0, 16, v2
	s_sub_co_i32 s15, s19, s4
	s_ashr_i32 s17, s16, 31
	s_cmp_ge_u32 s19, s4
	s_mul_u64 s[16:17], s[16:17], 0xd2
	v_cndmask_b32_e64 v10, v3, v2, s0
	s_cselect_b32 s0, s18, s5
	s_cselect_b32 s5, s15, s19
	s_wait_alu 0xfffe
	s_add_co_i32 s15, s0, 1
	s_cmp_ge_u32 s5, s4
	v_and_b32_e32 v8, 0xf8, v10
	s_cselect_b32 s0, s15, s0
	v_cndmask_b32_e64 v2, 0, 4, vcc_lo
	s_wait_alu 0xfffe
	s_mul_i32 s0, s0, s7
	s_wait_alu 0xfffe
	s_lshl_b64 s[4:5], s[0:1], 2
	v_cmp_ne_u32_e32 vcc_lo, 0, v8
	s_wait_alu 0xfffe
	s_add_nc_u64 s[4:5], s[10:11], s[4:5]
	v_lshlrev_b32_e32 v8, 2, v12
	s_wait_alu 0xfffe
	v_mad_co_u64_u32 v[2:3], null, v2, 36, s[4:5]
	s_wait_alu 0xfffd
	v_cndmask_b32_e64 v13, 0, 1, vcc_lo
	v_bfe_u32 v12, v10, 2, 6
	v_cndmask_b32_e64 v10, 0, 2, vcc_lo
	s_add_nc_u64 s[4:5], s[8:9], s[16:17]
	s_delay_alu instid0(VALU_DEP_3) | instskip(NEXT) | instid1(VALU_DEP_3)
	v_mad_co_u64_u32 v[2:3], null, v13, 36, v[2:3]
	v_add_nc_u32_e32 v11, v12, v11
	v_lshlrev_b32_e32 v12, 3, v4
.LBB284_3:                              ; =>This Inner Loop Header: Depth=1
	v_add_nc_u32_e32 v15, v5, v4
	s_delay_alu instid0(VALU_DEP_2) | instskip(SKIP_4) | instid1(VALU_DEP_4)
	v_mad_co_i64_i32 v[13:14], null, v12, 36, v[2:3]
	v_add_nc_u32_e32 v4, 1, v4
	v_add_nc_u32_e32 v12, 8, v12
	s_wait_alu 0xfffe
	v_mad_co_i64_i32 v[15:16], null, 0xd2, v15, s[4:5]
	v_add_co_u32 v17, vcc_lo, v13, v9
	s_wait_alu 0xfffd
	v_add_co_ci_u32_e64 v18, null, 0, v14, vcc_lo
	s_delay_alu instid0(VALU_DEP_3) | instskip(SKIP_1) | instid1(VALU_DEP_4)
	v_add_co_u32 v19, vcc_lo, v15, v6
	s_wait_alu 0xfffd
	v_add_co_ci_u32_e64 v20, null, 0, v16, vcc_lo
	v_add_co_u32 v21, vcc_lo, v15, v8
	s_wait_alu 0xfffd
	v_add_co_ci_u32_e64 v22, null, 0, v16, vcc_lo
	global_load_b32 v23, v[17:18], off offset:4
	s_clause 0x1
	global_load_b32 v19, v[19:20], off
	global_load_b32 v20, v[21:22], off offset:128
	global_load_b32 v21, v[17:18], off offset:76
	v_add_co_u32 v17, vcc_lo, v15, v11
	s_wait_alu 0xfffd
	v_add_co_ci_u32_e64 v18, null, 0, v16, vcc_lo
	s_clause 0x1
	global_load_i8 v22, v[17:18], off offset:192
	global_load_i8 v17, v[17:18], off offset:196
	s_clause 0x1
	global_load_b32 v18, v[13:14], off
	global_load_b32 v13, v[13:14], off offset:72
	global_load_u16 v14, v[15:16], off offset:208
	v_cmp_le_u32_e32 vcc_lo, s13, v4
	s_or_b32 s1, vcc_lo, s1
	s_wait_loadcnt 0x8
	v_lshrrev_b16 v15, 8, v23
	s_wait_loadcnt 0x7
	v_and_b32_e32 v28, 0xf0f0f0f, v19
	s_wait_loadcnt 0x6
	v_ashrrev_i32_e32 v20, v10, v20
	v_lshrrev_b32_e32 v19, 4, v19
	v_ashrrev_i32_e32 v16, 24, v23
	v_bfe_i32 v24, v23, 16, 8
	v_bfe_i32 v23, v23, 0, 8
	v_lshlrev_b32_e32 v29, 4, v20
	v_and_b32_e32 v19, 0xf0f0f0f, v19
	s_wait_loadcnt 0x5
	v_bfe_i32 v25, v21, 0, 8
	v_bfe_i32 v15, v15, 0, 8
	v_bfe_i32 v26, v21, 8, 8
	v_and_or_b32 v28, 0x30303030, v29, v28
	v_and_or_b32 v19, 0x30303030, v20, v19
	v_bfe_i32 v27, v21, 16, 8
	v_ashrrev_i32_e32 v21, 24, v21
	s_delay_alu instid0(VALU_DEP_4) | instskip(NEXT) | instid1(VALU_DEP_4)
	v_lshrrev_b32_e32 v20, 16, v28
	v_lshrrev_b32_e32 v30, 16, v19
	v_and_b32_e32 v31, 0x3f00, v19
	v_lshlrev_b16 v19, 8, v19
	v_lshlrev_b16 v29, 8, v28
	;; [unrolled: 1-line block ×3, first 2 shown]
	v_and_b32_e32 v20, 0x3f00, v20
	v_and_b32_e32 v33, 0x3f00, v30
	v_lshlrev_b16 v30, 8, v30
	v_add_nc_u16 v19, 0xe000, v19
	v_and_b32_e32 v28, 0x3f00, v28
	v_add_nc_u16 v29, 0xe000, v29
	v_add_nc_u16 v20, 0xe000, v20
	;; [unrolled: 1-line block ×3, first 2 shown]
	v_lshrrev_b16 v19, 8, v19
	v_add_nc_u16 v28, 0xe000, v28
	v_ashrrev_i16 v29, 8, v29
	v_add_nc_u16 v32, 0xe000, v32
	v_ashrrev_i16 v20, 8, v20
	v_lshrrev_b16 v30, 8, v30
	v_or_b32_e32 v19, v31, v19
	v_ashrrev_i16 v28, 8, v28
	v_ashrrev_i16 v32, 8, v32
	v_bfe_i32 v29, v29, 0, 16
	v_bfe_i32 v20, v20, 0, 16
	v_or_b32_e32 v30, v33, v30
	v_add_nc_u16 v19, 0xe000, v19
	v_bfe_i32 v28, v28, 0, 16
	v_bfe_i32 v31, v32, 0, 16
	v_mul_i32_i24_e32 v23, v29, v23
	v_mul_i32_i24_e32 v16, v20, v16
	v_add_nc_u16 v20, 0xe000, v30
	v_bfe_i32 v29, v19, 0, 8
	v_mul_i32_i24_e32 v24, v31, v24
	v_bfe_i32 v19, v19, 8, 8
	v_mad_i32_i24 v15, v28, v15, v16
	v_bfe_i32 v16, v20, 0, 8
	v_bfe_i32 v20, v20, 8, 8
	v_mul_i32_i24_e32 v25, v25, v29
	s_delay_alu instid0(VALU_DEP_4) | instskip(NEXT) | instid1(VALU_DEP_4)
	v_add3_u32 v15, v23, v24, v15
	v_mul_i32_i24_e32 v16, v27, v16
	s_delay_alu instid0(VALU_DEP_4) | instskip(NEXT) | instid1(VALU_DEP_4)
	v_mul_i32_i24_e32 v20, v21, v20
	v_mad_i32_i24 v19, v26, v19, v25
	s_wait_loadcnt 0x4
	v_mul_lo_u32 v15, v15, v22
	s_delay_alu instid0(VALU_DEP_2) | instskip(SKIP_1) | instid1(VALU_DEP_1)
	v_add3_u32 v16, v19, v16, v20
	s_wait_loadcnt 0x3
	v_mul_lo_u32 v16, v16, v17
	s_delay_alu instid0(VALU_DEP_3) | instskip(SKIP_1) | instid1(VALU_DEP_1)
	v_cvt_f32_i32_e32 v15, v15
	s_wait_loadcnt 0x2
	v_fma_mix_f32 v15, v18, v15, 0 op_sel_hi:[1,0,0]
	s_delay_alu instid0(VALU_DEP_3) | instskip(SKIP_1) | instid1(VALU_DEP_1)
	v_cvt_f32_i32_e32 v16, v16
	s_wait_loadcnt 0x1
	v_fma_mix_f32 v13, v13, v16, v15 op_sel_hi:[1,0,0]
	s_wait_loadcnt 0x0
	s_delay_alu instid0(VALU_DEP_1)
	v_fma_mix_f32 v7, v13, v14, v7 op_sel_hi:[0,1,0]
	s_wait_alu 0xfffe
	s_and_not1_b32 exec_lo, exec_lo, s1
	s_cbranch_execnz .LBB284_3
; %bb.4:
	s_or_b32 exec_lo, exec_lo, s1
.LBB284_5:
	s_delay_alu instid0(SALU_CYCLE_1) | instskip(SKIP_1) | instid1(VALU_DEP_1)
	s_or_b32 exec_lo, exec_lo, s14
	v_mbcnt_lo_u32_b32 v2, -1, 0
	v_xor_b32_e32 v3, 16, v2
	v_xor_b32_e32 v4, 8, v2
	;; [unrolled: 1-line block ×3, first 2 shown]
	s_delay_alu instid0(VALU_DEP_3)
	v_cmp_gt_i32_e32 vcc_lo, 32, v3
	s_wait_alu 0xfffd
	v_cndmask_b32_e32 v3, v2, v3, vcc_lo
	v_cmp_gt_i32_e32 vcc_lo, 32, v4
	s_wait_alu 0xfffd
	v_cndmask_b32_e32 v4, v2, v4, vcc_lo
	v_cmp_gt_i32_e32 vcc_lo, 32, v5
	s_delay_alu instid0(VALU_DEP_2)
	v_lshlrev_b32_e32 v4, 2, v4
	v_lshlrev_b32_e32 v3, 2, v3
	s_wait_alu 0xfffd
	v_cndmask_b32_e32 v5, v2, v5, vcc_lo
	ds_bpermute_b32 v3, v3, v7
	v_lshlrev_b32_e32 v5, 2, v5
	s_wait_dscnt 0x0
	v_add_f32_e32 v3, v7, v3
	ds_bpermute_b32 v4, v4, v3
	s_wait_dscnt 0x0
	v_add_f32_e32 v3, v3, v4
	ds_bpermute_b32 v4, v5, v3
	v_xor_b32_e32 v5, 2, v2
	s_delay_alu instid0(VALU_DEP_1) | instskip(SKIP_2) | instid1(VALU_DEP_1)
	v_cmp_gt_i32_e32 vcc_lo, 32, v5
	s_wait_alu 0xfffd
	v_cndmask_b32_e32 v5, v2, v5, vcc_lo
	v_lshlrev_b32_e32 v5, 2, v5
	s_wait_dscnt 0x0
	v_add_f32_e32 v3, v3, v4
	ds_bpermute_b32 v4, v5, v3
	v_xor_b32_e32 v5, 1, v2
	s_delay_alu instid0(VALU_DEP_1) | instskip(SKIP_4) | instid1(VALU_DEP_2)
	v_cmp_gt_i32_e32 vcc_lo, 32, v5
	s_wait_alu 0xfffd
	v_cndmask_b32_e32 v5, v2, v5, vcc_lo
	v_cmp_eq_u32_e32 vcc_lo, 0, v0
	s_wait_dscnt 0x0
	v_dual_add_f32 v2, v3, v4 :: v_dual_lshlrev_b32 v3, 2, v5
	ds_bpermute_b32 v3, v3, v2
	s_and_b32 exec_lo, exec_lo, vcc_lo
	s_cbranch_execz .LBB284_7
; %bb.6:
	s_wait_dscnt 0x0
	v_add_f32_e32 v2, v2, v3
	s_delay_alu instid0(VALU_DEP_1) | instskip(SKIP_3) | instid1(VALU_DEP_2)
	v_mad_co_u64_u32 v[0:1], null, s6, s12, v[1:2]
	v_mov_b32_e32 v1, 0
	v_bfe_u32 v3, v2, 16, 1
	v_cmp_o_f32_e32 vcc_lo, v2, v2
	v_add3_u32 v3, v2, v3, 0x7fff
	s_delay_alu instid0(VALU_DEP_4) | instskip(NEXT) | instid1(VALU_DEP_2)
	v_lshlrev_b64_e32 v[0:1], 1, v[0:1]
	v_lshrrev_b32_e32 v3, 16, v3
	s_wait_alu 0xfffd
	s_delay_alu instid0(VALU_DEP_1) | instskip(SKIP_1) | instid1(VALU_DEP_3)
	v_cndmask_b32_e32 v2, 0x7fc0, v3, vcc_lo
	s_wait_kmcnt 0x0
	v_add_co_u32 v0, vcc_lo, s2, v0
	s_wait_alu 0xfffd
	v_add_co_ci_u32_e64 v1, null, s3, v1, vcc_lo
	global_store_b16 v[0:1], v2, off
.LBB284_7:
	s_endpgm
	.section	.rodata,"a",@progbits
	.p2align	6, 0x0
	.amdhsa_kernel _ZL9moe_vec_qIN3c108BFloat16ELi256ELi32E10block_q6_KLi1EXadL_ZL17vec_dot_q6_K_q8_1PKvPK10block_q8_1RKiEEEvS4_S4_PT_PS8_iiii
		.amdhsa_group_segment_fixed_size 0
		.amdhsa_private_segment_fixed_size 0
		.amdhsa_kernarg_size 304
		.amdhsa_user_sgpr_count 2
		.amdhsa_user_sgpr_dispatch_ptr 0
		.amdhsa_user_sgpr_queue_ptr 0
		.amdhsa_user_sgpr_kernarg_segment_ptr 1
		.amdhsa_user_sgpr_dispatch_id 0
		.amdhsa_user_sgpr_private_segment_size 0
		.amdhsa_wavefront_size32 1
		.amdhsa_uses_dynamic_stack 0
		.amdhsa_enable_private_segment 0
		.amdhsa_system_sgpr_workgroup_id_x 1
		.amdhsa_system_sgpr_workgroup_id_y 0
		.amdhsa_system_sgpr_workgroup_id_z 1
		.amdhsa_system_sgpr_workgroup_info 0
		.amdhsa_system_vgpr_workitem_id 1
		.amdhsa_next_free_vgpr 34
		.amdhsa_next_free_sgpr 20
		.amdhsa_reserve_vcc 1
		.amdhsa_float_round_mode_32 0
		.amdhsa_float_round_mode_16_64 0
		.amdhsa_float_denorm_mode_32 3
		.amdhsa_float_denorm_mode_16_64 3
		.amdhsa_fp16_overflow 0
		.amdhsa_workgroup_processor_mode 1
		.amdhsa_memory_ordered 1
		.amdhsa_forward_progress 1
		.amdhsa_inst_pref_size 13
		.amdhsa_round_robin_scheduling 0
		.amdhsa_exception_fp_ieee_invalid_op 0
		.amdhsa_exception_fp_denorm_src 0
		.amdhsa_exception_fp_ieee_div_zero 0
		.amdhsa_exception_fp_ieee_overflow 0
		.amdhsa_exception_fp_ieee_underflow 0
		.amdhsa_exception_fp_ieee_inexact 0
		.amdhsa_exception_int_div_zero 0
	.end_amdhsa_kernel
	.section	.text._ZL9moe_vec_qIN3c108BFloat16ELi256ELi32E10block_q6_KLi1EXadL_ZL17vec_dot_q6_K_q8_1PKvPK10block_q8_1RKiEEEvS4_S4_PT_PS8_iiii,"axG",@progbits,_ZL9moe_vec_qIN3c108BFloat16ELi256ELi32E10block_q6_KLi1EXadL_ZL17vec_dot_q6_K_q8_1PKvPK10block_q8_1RKiEEEvS4_S4_PT_PS8_iiii,comdat
.Lfunc_end284:
	.size	_ZL9moe_vec_qIN3c108BFloat16ELi256ELi32E10block_q6_KLi1EXadL_ZL17vec_dot_q6_K_q8_1PKvPK10block_q8_1RKiEEEvS4_S4_PT_PS8_iiii, .Lfunc_end284-_ZL9moe_vec_qIN3c108BFloat16ELi256ELi32E10block_q6_KLi1EXadL_ZL17vec_dot_q6_K_q8_1PKvPK10block_q8_1RKiEEEvS4_S4_PT_PS8_iiii
                                        ; -- End function
	.set _ZL9moe_vec_qIN3c108BFloat16ELi256ELi32E10block_q6_KLi1EXadL_ZL17vec_dot_q6_K_q8_1PKvPK10block_q8_1RKiEEEvS4_S4_PT_PS8_iiii.num_vgpr, 34
	.set _ZL9moe_vec_qIN3c108BFloat16ELi256ELi32E10block_q6_KLi1EXadL_ZL17vec_dot_q6_K_q8_1PKvPK10block_q8_1RKiEEEvS4_S4_PT_PS8_iiii.num_agpr, 0
	.set _ZL9moe_vec_qIN3c108BFloat16ELi256ELi32E10block_q6_KLi1EXadL_ZL17vec_dot_q6_K_q8_1PKvPK10block_q8_1RKiEEEvS4_S4_PT_PS8_iiii.numbered_sgpr, 20
	.set _ZL9moe_vec_qIN3c108BFloat16ELi256ELi32E10block_q6_KLi1EXadL_ZL17vec_dot_q6_K_q8_1PKvPK10block_q8_1RKiEEEvS4_S4_PT_PS8_iiii.num_named_barrier, 0
	.set _ZL9moe_vec_qIN3c108BFloat16ELi256ELi32E10block_q6_KLi1EXadL_ZL17vec_dot_q6_K_q8_1PKvPK10block_q8_1RKiEEEvS4_S4_PT_PS8_iiii.private_seg_size, 0
	.set _ZL9moe_vec_qIN3c108BFloat16ELi256ELi32E10block_q6_KLi1EXadL_ZL17vec_dot_q6_K_q8_1PKvPK10block_q8_1RKiEEEvS4_S4_PT_PS8_iiii.uses_vcc, 1
	.set _ZL9moe_vec_qIN3c108BFloat16ELi256ELi32E10block_q6_KLi1EXadL_ZL17vec_dot_q6_K_q8_1PKvPK10block_q8_1RKiEEEvS4_S4_PT_PS8_iiii.uses_flat_scratch, 0
	.set _ZL9moe_vec_qIN3c108BFloat16ELi256ELi32E10block_q6_KLi1EXadL_ZL17vec_dot_q6_K_q8_1PKvPK10block_q8_1RKiEEEvS4_S4_PT_PS8_iiii.has_dyn_sized_stack, 0
	.set _ZL9moe_vec_qIN3c108BFloat16ELi256ELi32E10block_q6_KLi1EXadL_ZL17vec_dot_q6_K_q8_1PKvPK10block_q8_1RKiEEEvS4_S4_PT_PS8_iiii.has_recursion, 0
	.set _ZL9moe_vec_qIN3c108BFloat16ELi256ELi32E10block_q6_KLi1EXadL_ZL17vec_dot_q6_K_q8_1PKvPK10block_q8_1RKiEEEvS4_S4_PT_PS8_iiii.has_indirect_call, 0
	.section	.AMDGPU.csdata,"",@progbits
; Kernel info:
; codeLenInByte = 1640
; TotalNumSgprs: 22
; NumVgprs: 34
; ScratchSize: 0
; MemoryBound: 0
; FloatMode: 240
; IeeeMode: 1
; LDSByteSize: 0 bytes/workgroup (compile time only)
; SGPRBlocks: 0
; VGPRBlocks: 4
; NumSGPRsForWavesPerEU: 22
; NumVGPRsForWavesPerEU: 34
; Occupancy: 16
; WaveLimiterHint : 1
; COMPUTE_PGM_RSRC2:SCRATCH_EN: 0
; COMPUTE_PGM_RSRC2:USER_SGPR: 2
; COMPUTE_PGM_RSRC2:TRAP_HANDLER: 0
; COMPUTE_PGM_RSRC2:TGID_X_EN: 1
; COMPUTE_PGM_RSRC2:TGID_Y_EN: 0
; COMPUTE_PGM_RSRC2:TGID_Z_EN: 1
; COMPUTE_PGM_RSRC2:TIDIG_COMP_CNT: 1
	.section	.text._ZL9moe_vec_qIN3c108BFloat16ELi256ELi8E13block_iq2_xxsLi1EXadL_ZL20vec_dot_iq2_xxs_q8_1PKvPK10block_q8_1RKiEEEvS4_S4_PT_PS8_iiii,"axG",@progbits,_ZL9moe_vec_qIN3c108BFloat16ELi256ELi8E13block_iq2_xxsLi1EXadL_ZL20vec_dot_iq2_xxs_q8_1PKvPK10block_q8_1RKiEEEvS4_S4_PT_PS8_iiii,comdat
	.globl	_ZL9moe_vec_qIN3c108BFloat16ELi256ELi8E13block_iq2_xxsLi1EXadL_ZL20vec_dot_iq2_xxs_q8_1PKvPK10block_q8_1RKiEEEvS4_S4_PT_PS8_iiii ; -- Begin function _ZL9moe_vec_qIN3c108BFloat16ELi256ELi8E13block_iq2_xxsLi1EXadL_ZL20vec_dot_iq2_xxs_q8_1PKvPK10block_q8_1RKiEEEvS4_S4_PT_PS8_iiii
	.p2align	8
	.type	_ZL9moe_vec_qIN3c108BFloat16ELi256ELi8E13block_iq2_xxsLi1EXadL_ZL20vec_dot_iq2_xxs_q8_1PKvPK10block_q8_1RKiEEEvS4_S4_PT_PS8_iiii,@function
_ZL9moe_vec_qIN3c108BFloat16ELi256ELi8E13block_iq2_xxsLi1EXadL_ZL20vec_dot_iq2_xxs_q8_1PKvPK10block_q8_1RKiEEEvS4_S4_PT_PS8_iiii: ; @_ZL9moe_vec_qIN3c108BFloat16ELi256ELi8E13block_iq2_xxsLi1EXadL_ZL20vec_dot_iq2_xxs_q8_1PKvPK10block_q8_1RKiEEEvS4_S4_PT_PS8_iiii
; %bb.0:
	s_clause 0x1
	s_load_u16 s2, s[0:1], 0x3e
	s_load_b128 s[12:15], s[0:1], 0x20
	v_bfe_u32 v1, v0, 10, 10
	s_wait_kmcnt 0x0
	s_delay_alu instid0(VALU_DEP_1)
	v_mad_co_u64_u32 v[1:2], null, ttmp9, s2, v[1:2]
	s_mov_b32 s2, exec_lo
	v_cmpx_gt_u32_e64 s14, v1
	s_cbranch_execz .LBB285_7
; %bb.1:
	s_load_b64 s[16:17], s[0:1], 0x10
	s_ashr_i32 s2, s13, 31
	v_bfe_u32 v4, v0, 3, 7
	s_wait_alu 0xfffe
	s_lshr_b32 s2, s2, 24
	v_dual_mov_b32 v5, 0 :: v_dual_and_b32 v0, 0x3ff, v0
	s_wait_alu 0xfffe
	s_add_co_i32 s2, s13, s2
	s_lshr_b32 s18, ttmp7, 16
	s_wait_alu 0xfffe
	s_ashr_i32 s19, s2, 8
	s_mov_b32 s20, exec_lo
	v_cmpx_gt_u32_e64 s19, v4
	s_cbranch_execz .LBB285_5
; %bb.2:
	s_load_b64 s[2:3], s[0:1], 0x18
	s_cvt_f32_u32 s4, s12
	s_lshl_b32 s5, s18, 2
	s_mov_b32 s11, 0
	v_mul_lo_u32 v6, v1, s19
	v_rcp_iflag_f32_e32 v2, s4
	v_lshlrev_b32_e32 v7, 3, v4
	v_mov_b32_e32 v5, 0
	s_delay_alu instid0(TRANS32_DEP_1)
	v_readfirstlane_b32 s4, v2
	v_and_b32_e32 v2, 7, v0
	s_wait_kmcnt 0x0
	s_load_b32 s5, s[2:3], s5 offset:0x0
	s_mul_f32 s2, s4, 0x4f7ffffe
	s_sub_co_i32 s3, 0, s12
	v_lshlrev_b32_e32 v8, 2, v2
	s_wait_alu 0xfffe
	s_cvt_u32_f32 s2, s2
	s_delay_alu instid0(VALU_DEP_1) | instskip(SKIP_1) | instid1(SALU_CYCLE_1)
	v_lshlrev_b32_e32 v8, 1, v8
	s_wait_alu 0xfffe
	s_mul_i32 s3, s3, s2
	s_wait_alu 0xfffe
	s_mul_hi_u32 s3, s2, s3
	s_wait_alu 0xfffe
	s_add_co_i32 s4, s2, s3
	s_load_b128 s[0:3], s[0:1], 0x0
	s_mul_hi_u32 s6, s18, s4
	s_mul_i32 s4, s19, s14
	s_mul_i32 s7, s6, s12
	s_add_co_i32 s8, s6, 1
	s_sub_co_i32 s7, s18, s7
	s_wait_kmcnt 0x0
	s_wait_alu 0xfffe
	s_mul_i32 s4, s4, s5
	s_sub_co_i32 s9, s7, s12
	s_wait_alu 0xfffe
	s_ashr_i32 s5, s4, 31
	s_cmp_ge_u32 s7, s12
	s_wait_alu 0xfffe
	s_mul_u64 s[4:5], s[4:5], 0x42
	s_cselect_b32 s6, s8, s6
	s_cselect_b32 s7, s9, s7
	s_add_co_i32 s8, s6, 1
	s_cmp_ge_u32 s7, s12
	s_cselect_b32 s6, s8, s6
	s_delay_alu instid0(SALU_CYCLE_1) | instskip(SKIP_3) | instid1(SALU_CYCLE_1)
	s_mul_i32 s10, s6, s15
	s_wait_alu 0xfffe
	s_add_nc_u64 s[12:13], s[0:1], s[4:5]
	s_lshl_b64 s[6:7], s[10:11], 2
	s_add_nc_u64 s[2:3], s[2:3], s[6:7]
	s_wait_alu 0xfffe
	v_mad_co_u64_u32 v[2:3], null, v2, 36, s[2:3]
.LBB285_3:                              ; =>This Inner Loop Header: Depth=1
	v_add_nc_u32_e32 v9, v6, v4
	s_delay_alu instid0(VALU_DEP_2)
	v_mad_co_i64_i32 v[19:20], null, v7, 36, v[2:3]
	s_getpc_b64 s[0:1]
	s_wait_alu 0xfffe
	s_sext_i32_i16 s1, s1
	s_add_co_u32 s0, s0, _ZL11iq2xxs_grid@rel32@lo+12
	s_wait_alu 0xfffe
	s_add_co_ci_u32 s1, s1, _ZL11iq2xxs_grid@rel32@hi+24
	s_getpc_b64 s[2:3]
	s_wait_alu 0xfffe
	s_sext_i32_i16 s3, s3
	s_add_co_u32 s2, s2, _ZL12ksigns_iq2xs@rel32@lo+12
	s_wait_alu 0xfffe
	s_add_co_ci_u32 s3, s3, _ZL12ksigns_iq2xs@rel32@hi+24
	v_mad_co_i64_i32 v[17:18], null, 0x42, v9, s[12:13]
	v_add_nc_u32_e32 v4, 4, v4
	v_add_nc_u32_e32 v7, 32, v7
	s_delay_alu instid0(VALU_DEP_3) | instskip(SKIP_1) | instid1(VALU_DEP_4)
	v_add_co_u32 v9, vcc_lo, v17, v8
	s_wait_alu 0xfffd
	v_add_co_ci_u32_e64 v10, null, 0, v18, vcc_lo
	s_clause 0x1
	global_load_b32 v21, v[9:10], off offset:2
	global_load_b32 v27, v[9:10], off offset:6
	s_clause 0x1
	global_load_b128 v[9:12], v[19:20], off offset:4
	global_load_b128 v[13:16], v[19:20], off offset:20
	global_load_u16 v28, v[17:18], off
	s_wait_loadcnt 0x2
	v_bfe_i32 v39, v10, 0, 8
	v_and_b32_e32 v29, 0x7f, v27
	v_bfe_u32 v30, v27, 7, 7
	v_bfe_u32 v31, v27, 14, 7
	;; [unrolled: 1-line block ×3, first 2 shown]
	v_lshrrev_b32_e32 v27, 28, v27
	s_clause 0x2
	global_load_i8 v33, v29, s[2:3]
	global_load_i8 v34, v30, s[2:3]
	;; [unrolled: 1-line block ×3, first 2 shown]
	v_lshrrev_b32_e32 v22, 13, v21
	v_cvt_f32_ubyte0_e32 v27, v27
	v_and_b32_e32 v17, 0xff, v21
	v_lshrrev_b32_e32 v18, 5, v21
	s_wait_loadcnt 0x3
	v_cvt_f32_f16_e32 v28, v28
	v_dual_add_f32 v27, 0.5, v27 :: v_dual_and_b32 v24, 0x7f8, v22
	v_lshrrev_b32_e32 v21, 21, v21
	v_lshlrev_b32_e32 v17, 3, v17
	v_bfe_i32 v37, v9, 8, 8
	v_bfe_i32 v59, v16, 16, 8
	v_mul_f32_e32 v27, v27, v28
	v_and_b32_e32 v25, 0x7f8, v21
	v_bfe_i32 v38, v9, 16, 8
	v_bfe_i32 v50, v13, 16, 8
	v_bfe_i32 v52, v14, 8, 8
	v_bfe_i32 v55, v15, 8, 8
	v_bfe_i32 v56, v15, 16, 8
	v_bfe_i32 v40, v10, 8, 8
	v_bfe_i32 v47, v12, 16, 8
	v_bfe_i32 v48, v13, 0, 8
	v_bfe_i32 v49, v13, 8, 8
	v_bfe_i32 v51, v14, 0, 8
	v_bfe_i32 v53, v14, 16, 8
	v_bfe_i32 v54, v15, 0, 8
	v_bfe_i32 v57, v16, 0, 8
	v_bfe_i32 v58, v16, 8, 8
	v_bfe_i32 v41, v10, 16, 8
	v_ashrrev_i32_e32 v10, 24, v10
	v_bfe_i32 v42, v11, 0, 8
	v_bfe_i32 v43, v11, 8, 8
	;; [unrolled: 1-line block ×3, first 2 shown]
	v_ashrrev_i32_e32 v11, 24, v11
	v_bfe_i32 v45, v12, 0, 8
	v_bfe_i32 v46, v12, 8, 8
	v_ashrrev_i32_e32 v12, 24, v12
	v_ashrrev_i32_e32 v13, 24, v13
	;; [unrolled: 1-line block ×5, first 2 shown]
	s_wait_loadcnt 0x2
	v_and_b32_e32 v28, 1, v33
	v_and_b32_e32 v23, 0x7f8, v18
	;; [unrolled: 1-line block ×3, first 2 shown]
	global_load_i8 v36, v32, s[2:3]
	s_clause 0x3
	global_load_b64 v[17:18], v17, s[0:1]
	global_load_b64 v[21:22], v23, s[0:1]
	;; [unrolled: 1-line block ×4, first 2 shown]
	global_load_u16 v19, v[19:20], off
	v_bfe_i32 v20, v9, 0, 8
	v_ashrrev_i32_e32 v9, 24, v9
	v_and_b32_e32 v62, 8, v33
	v_cmp_eq_u16_e64 s10, 0, v28
	v_and_b32_e32 v63, 16, v33
	v_and_b32_e32 v64, 32, v33
	s_wait_loadcnt 0x7
	v_and_b32_e32 v65, 1, v34
	v_cmp_eq_u16_e64 s0, 0, v62
	v_cmp_gt_i16_e64 s2, 0, v33
	v_and_b32_e32 v67, 4, v34
	v_cmp_eq_u16_e64 s1, 0, v64
	v_and_b32_e32 v68, 8, v34
	v_and_b32_e32 v93, 16, v34
	v_cmp_gt_i16_e64 s6, 0, v34
	s_delay_alu instid0(VALU_DEP_3)
	v_cmp_eq_u16_e64 s4, 0, v68
	s_wait_loadcnt 0x4
	v_and_b32_e32 v73, 0xff, v18
	v_and_b32_e32 v71, 0xff, v17
	v_bfe_u32 v72, v17, 8, 8
	s_wait_loadcnt 0x1
	v_lshrrev_b32_e32 v88, 24, v26
	v_and_b32_e32 v91, 0xff, v26
	v_bfe_u32 v92, v26, 8, 8
	v_bfe_u32 v26, v26, 16, 8
	v_mul_i32_i24_e32 v39, v73, v39
	v_lshrrev_b32_e32 v69, 24, v17
	v_bfe_u32 v17, v17, 16, 8
	v_lshrrev_b32_e32 v81, 24, v23
	v_and_b32_e32 v83, 0xff, v23
	v_bfe_u32 v84, v23, 8, 8
	v_bfe_u32 v23, v23, 16, 8
	;; [unrolled: 1-line block ×3, first 2 shown]
	v_lshrrev_b32_e32 v87, 24, v25
	v_and_b32_e32 v89, 0xff, v25
	v_bfe_u32 v90, v25, 8, 8
	v_bfe_u32 v25, v25, 16, 8
	v_mul_i32_i24_e32 v20, v71, v20
	v_mul_i32_i24_e32 v37, v72, v37
	;; [unrolled: 1-line block ×3, first 2 shown]
	v_sub_nc_u32_e32 v59, 0, v39
	v_and_b32_e32 v60, 2, v33
	v_bfe_u32 v74, v18, 8, 8
	v_lshrrev_b32_e32 v76, 24, v22
	v_and_b32_e32 v79, 0xff, v22
	v_bfe_u32 v80, v22, 8, 8
	v_bfe_u32 v22, v22, 16, 8
	v_lshrrev_b32_e32 v82, 24, v24
	v_and_b32_e32 v85, 0xff, v24
	v_bfe_u32 v24, v24, 16, 8
	v_mul_i32_i24_e32 v17, v17, v38
	v_mul_i32_i24_e32 v9, v69, v9
	;; [unrolled: 1-line block ×6, first 2 shown]
	v_sub_nc_u32_e32 v55, 0, v20
	v_sub_nc_u32_e32 v56, 0, v37
	v_cmp_eq_u16_e32 vcc_lo, 0, v60
	v_lshrrev_b32_e32 v70, 24, v18
	v_bfe_u32 v18, v18, 16, 8
	v_mul_i32_i24_e32 v40, v74, v40
	v_mul_i32_i24_e32 v22, v22, v47
	;; [unrolled: 1-line block ×9, first 2 shown]
	v_sub_nc_u32_e32 v57, 0, v17
	v_sub_nc_u32_e32 v58, 0, v9
	s_wait_alu 0xf1ff
	v_cndmask_b32_e64 v20, v55, v20, s10
	s_wait_alu 0xfffd
	v_cndmask_b32_e32 v28, v56, v37, vcc_lo
	v_cmp_eq_u16_e32 vcc_lo, 0, v61
	v_and_b32_e32 v66, 2, v34
	v_and_b32_e32 v77, 0xff, v21
	v_bfe_u32 v78, v21, 8, 8
	v_mul_i32_i24_e32 v18, v18, v41
	v_mul_i32_i24_e32 v10, v70, v10
	v_sub_nc_u32_e32 v60, 0, v40
	s_wait_alu 0xfffd
	v_cndmask_b32_e32 v17, v57, v17, vcc_lo
	v_cndmask_b32_e64 v9, v58, v9, s0
	v_add_nc_u32_e32 v20, v28, v20
	v_cmp_eq_u16_e32 vcc_lo, 0, v63
	v_lshrrev_b32_e32 v75, 24, v21
	v_bfe_u32 v21, v21, 16, 8
	v_mul_i32_i24_e32 v42, v77, v42
	v_mul_i32_i24_e32 v43, v78, v43
	v_sub_nc_u32_e32 v62, 0, v18
	v_sub_nc_u32_e32 v64, 0, v10
	s_wait_alu 0xfffd
	v_cndmask_b32_e32 v39, v59, v39, vcc_lo
	v_cndmask_b32_e64 v40, v60, v40, s1
	v_add3_u32 v9, v20, v17, v9
	v_cmp_gt_u32_e64 s0, 64, v29
	v_mul_i32_i24_e32 v21, v21, v44
	v_mul_i32_i24_e32 v11, v75, v11
	;; [unrolled: 1-line block ×3, first 2 shown]
	v_sub_nc_u32_e32 v33, 0, v42
	v_sub_nc_u32_e32 v76, 0, v43
	v_cmp_eq_u16_e64 s3, 0, v66
	s_wait_alu 0xf1ff
	v_cndmask_b32_e64 v17, v62, v18, s0
	v_cndmask_b32_e64 v10, v10, v64, s2
	v_add3_u32 v9, v9, v39, v40
	v_cmp_eq_u16_e64 s0, 0, v65
	v_and_b32_e32 v71, 32, v34
	v_mul_i32_i24_e32 v45, v79, v45
	v_mul_i32_i24_e32 v46, v80, v46
	v_sub_nc_u32_e32 v66, 0, v21
	v_sub_nc_u32_e32 v80, 0, v11
	s_wait_alu 0xf1ff
	v_cndmask_b32_e64 v20, v33, v42, s0
	s_wait_alu 0xfffe
	v_cndmask_b32_e64 v29, v76, v43, s3
	v_add3_u32 v9, v9, v17, v10
	v_cmp_eq_u16_e64 s0, 0, v67
	v_mul_i32_i24_e32 v13, v81, v13
	v_sub_nc_u32_e32 v68, 0, v45
	v_sub_nc_u32_e32 v81, 0, v46
	v_cmp_eq_u16_e64 s5, 0, v71
	s_wait_alu 0xf1ff
	v_cndmask_b32_e64 v17, v66, v21, s0
	v_cndmask_b32_e64 v11, v80, v11, s4
	v_add3_u32 v9, v9, v20, v29
	v_cmp_eq_u16_e64 s1, 0, v93
	v_and_b32_e32 v72, 1, v35
	v_and_b32_e32 v38, 2, v35
	v_mul_i32_i24_e32 v14, v82, v14
	v_sub_nc_u32_e32 v71, 0, v22
	v_sub_nc_u32_e32 v82, 0, v12
	s_wait_alu 0xf1ff
	v_cndmask_b32_e64 v20, v68, v45, s1
	v_cndmask_b32_e64 v21, v81, v46, s5
	v_add3_u32 v9, v9, v17, v11
	v_cmp_gt_u32_e64 s1, 64, v30
	v_and_b32_e32 v69, 4, v35
	v_and_b32_e32 v73, 8, v35
	v_sub_nc_u32_e32 v34, 0, v47
	v_sub_nc_u32_e32 v83, 0, v48
	v_cmp_eq_u16_e64 s7, 0, v38
	s_wait_alu 0xf1ff
	v_cndmask_b32_e64 v17, v71, v22, s1
	v_cndmask_b32_e64 v12, v12, v82, s6
	v_add3_u32 v9, v9, v20, v21
	v_cmp_eq_u16_e64 s1, 0, v72
	v_and_b32_e32 v74, 16, v35
	v_and_b32_e32 v41, 32, v35
	v_sub_nc_u32_e32 v38, 0, v23
	v_sub_nc_u32_e32 v84, 0, v13
	v_cmp_eq_u16_e64 s8, 0, v73
	s_wait_alu 0xf1ff
	v_cndmask_b32_e64 v21, v34, v47, s1
	v_cndmask_b32_e64 v22, v83, v48, s7
	v_add3_u32 v9, v9, v17, v12
	v_cmp_eq_u16_e64 s2, 0, v69
	v_sub_nc_u32_e32 v73, 0, v49
	v_sub_nc_u32_e32 v85, 0, v50
	v_cmp_eq_u16_e64 s9, 0, v41
	v_cndmask_b32_e64 v13, v84, v13, s8
	s_wait_alu 0xf1ff
	v_cndmask_b32_e64 v12, v38, v23, s2
	v_add3_u32 v9, v9, v21, v22
	v_cmp_eq_u16_e64 s2, 0, v74
	v_and_b32_e32 v70, 1, v36
	v_and_b32_e32 v77, 2, v36
	v_sub_nc_u32_e32 v37, 0, v24
	v_sub_nc_u32_e32 v28, 0, v14
	v_cmp_gt_i16_e32 vcc_lo, 0, v35
	s_wait_alu 0xf1ff
	v_cndmask_b32_e64 v21, v73, v49, s2
	v_cndmask_b32_e64 v22, v85, v50, s9
	v_add3_u32 v9, v9, v12, v13
	v_cmp_gt_u32_e64 s2, 64, v31
	v_and_b32_e32 v78, 4, v36
	v_and_b32_e32 v44, 8, v36
	v_mul_i32_i24_e32 v15, v87, v15
	v_sub_nc_u32_e32 v18, 0, v51
	v_sub_nc_u32_e32 v10, 0, v52
	v_cmp_eq_u16_e64 s0, 0, v77
	s_wait_alu 0xf1ff
	v_cndmask_b32_e64 v13, v37, v24, s2
	s_wait_alu 0xfffd
	v_cndmask_b32_e32 v14, v14, v28, vcc_lo
	v_add3_u32 v9, v9, v21, v22
	v_cmp_eq_u16_e64 s2, 0, v70
	v_and_b32_e32 v75, 16, v36
	v_and_b32_e32 v79, 32, v36
	v_sub_nc_u32_e32 v11, 0, v25
	v_sub_nc_u32_e32 v20, 0, v15
	v_cmp_eq_u16_e64 s1, 0, v44
	s_wait_alu 0xf1ff
	v_cndmask_b32_e64 v18, v18, v51, s2
	v_cndmask_b32_e64 v10, v10, v52, s0
	v_add3_u32 v9, v9, v13, v14
	v_cmp_eq_u16_e64 s0, 0, v78
	v_mul_i32_i24_e32 v16, v88, v16
	v_sub_nc_u32_e32 v17, 0, v53
	v_sub_nc_u32_e32 v12, 0, v54
	v_cmp_eq_u16_e32 vcc_lo, 0, v79
	s_wait_alu 0xf1ff
	v_cndmask_b32_e64 v11, v11, v25, s0
	v_cndmask_b32_e64 v14, v20, v15, s1
	v_add3_u32 v9, v9, v18, v10
	v_cmp_eq_u16_e64 s0, 0, v75
	v_sub_nc_u32_e32 v13, 0, v26
	v_sub_nc_u32_e32 v10, 0, v16
	s_wait_alu 0xfffd
	v_cndmask_b32_e32 v12, v12, v54, vcc_lo
	v_add3_u32 v9, v9, v11, v14
	s_wait_alu 0xf1ff
	v_cndmask_b32_e64 v15, v17, v53, s0
	v_cmp_gt_i16_e32 vcc_lo, 0, v36
	v_cmp_gt_u32_e64 s0, 64, v32
	s_wait_loadcnt 0x0
	v_cvt_f32_f16_e32 v19, v19
	v_add3_u32 v9, v9, v15, v12
	s_wait_alu 0xfffd
	v_cndmask_b32_e32 v10, v16, v10, vcc_lo
	s_wait_alu 0xf1ff
	v_cndmask_b32_e64 v11, v13, v26, s0
	v_mul_f32_e32 v12, v27, v19
	v_cmp_le_u32_e32 vcc_lo, s19, v4
	s_delay_alu instid0(VALU_DEP_3) | instskip(NEXT) | instid1(VALU_DEP_3)
	v_add3_u32 v9, v9, v11, v10
	v_mul_f32_e32 v10, 0x3e800000, v12
	s_or_b32 s11, vcc_lo, s11
	s_delay_alu instid0(VALU_DEP_2) | instskip(NEXT) | instid1(VALU_DEP_1)
	v_cvt_f32_i32_e32 v9, v9
	v_fmac_f32_e32 v5, v10, v9
	s_wait_alu 0xfffe
	s_and_not1_b32 exec_lo, exec_lo, s11
	s_cbranch_execnz .LBB285_3
; %bb.4:
	s_or_b32 exec_lo, exec_lo, s11
.LBB285_5:
	s_delay_alu instid0(SALU_CYCLE_1) | instskip(SKIP_1) | instid1(VALU_DEP_1)
	s_or_b32 exec_lo, exec_lo, s20
	v_mbcnt_lo_u32_b32 v2, -1, 0
	v_xor_b32_e32 v3, 16, v2
	v_xor_b32_e32 v4, 8, v2
	s_delay_alu instid0(VALU_DEP_2) | instskip(SKIP_2) | instid1(VALU_DEP_3)
	v_cmp_gt_i32_e32 vcc_lo, 32, v3
	s_wait_alu 0xfffd
	v_cndmask_b32_e32 v3, v2, v3, vcc_lo
	v_cmp_gt_i32_e32 vcc_lo, 32, v4
	s_wait_alu 0xfffd
	v_cndmask_b32_e32 v4, v2, v4, vcc_lo
	s_delay_alu instid0(VALU_DEP_1)
	v_lshlrev_b32_e32 v4, 2, v4
	v_lshlrev_b32_e32 v3, 2, v3
	ds_bpermute_b32 v3, v3, v5
	s_wait_dscnt 0x0
	v_add_f32_e32 v3, v5, v3
	v_xor_b32_e32 v5, 4, v2
	ds_bpermute_b32 v4, v4, v3
	v_cmp_gt_i32_e32 vcc_lo, 32, v5
	s_wait_alu 0xfffd
	v_cndmask_b32_e32 v5, v2, v5, vcc_lo
	s_delay_alu instid0(VALU_DEP_1) | instskip(SKIP_4) | instid1(VALU_DEP_1)
	v_lshlrev_b32_e32 v5, 2, v5
	s_wait_dscnt 0x0
	v_add_f32_e32 v3, v3, v4
	ds_bpermute_b32 v4, v5, v3
	v_xor_b32_e32 v5, 2, v2
	v_cmp_gt_i32_e32 vcc_lo, 32, v5
	s_wait_alu 0xfffd
	v_cndmask_b32_e32 v5, v2, v5, vcc_lo
	s_delay_alu instid0(VALU_DEP_1) | instskip(SKIP_4) | instid1(VALU_DEP_1)
	v_lshlrev_b32_e32 v5, 2, v5
	s_wait_dscnt 0x0
	v_add_f32_e32 v3, v3, v4
	ds_bpermute_b32 v4, v5, v3
	v_xor_b32_e32 v5, 1, v2
	v_cmp_gt_i32_e32 vcc_lo, 32, v5
	s_wait_alu 0xfffd
	v_cndmask_b32_e32 v5, v2, v5, vcc_lo
	v_cmp_eq_u32_e32 vcc_lo, 0, v0
	s_wait_dscnt 0x0
	s_delay_alu instid0(VALU_DEP_2)
	v_dual_add_f32 v2, v3, v4 :: v_dual_lshlrev_b32 v3, 2, v5
	ds_bpermute_b32 v3, v3, v2
	s_and_b32 exec_lo, exec_lo, vcc_lo
	s_cbranch_execz .LBB285_7
; %bb.6:
	s_wait_dscnt 0x0
	v_add_f32_e32 v2, v2, v3
	s_delay_alu instid0(VALU_DEP_1) | instskip(SKIP_3) | instid1(VALU_DEP_2)
	v_mad_co_u64_u32 v[0:1], null, s14, s18, v[1:2]
	v_mov_b32_e32 v1, 0
	v_bfe_u32 v3, v2, 16, 1
	v_cmp_o_f32_e32 vcc_lo, v2, v2
	v_add3_u32 v3, v2, v3, 0x7fff
	s_delay_alu instid0(VALU_DEP_4) | instskip(NEXT) | instid1(VALU_DEP_2)
	v_lshlrev_b64_e32 v[0:1], 1, v[0:1]
	v_lshrrev_b32_e32 v3, 16, v3
	s_wait_alu 0xfffd
	s_delay_alu instid0(VALU_DEP_1) | instskip(SKIP_1) | instid1(VALU_DEP_3)
	v_cndmask_b32_e32 v2, 0x7fc0, v3, vcc_lo
	s_wait_kmcnt 0x0
	v_add_co_u32 v0, vcc_lo, s16, v0
	s_wait_alu 0xfffd
	v_add_co_ci_u32_e64 v1, null, s17, v1, vcc_lo
	global_store_b16 v[0:1], v2, off
.LBB285_7:
	s_endpgm
	.section	.rodata,"a",@progbits
	.p2align	6, 0x0
	.amdhsa_kernel _ZL9moe_vec_qIN3c108BFloat16ELi256ELi8E13block_iq2_xxsLi1EXadL_ZL20vec_dot_iq2_xxs_q8_1PKvPK10block_q8_1RKiEEEvS4_S4_PT_PS8_iiii
		.amdhsa_group_segment_fixed_size 0
		.amdhsa_private_segment_fixed_size 0
		.amdhsa_kernarg_size 304
		.amdhsa_user_sgpr_count 2
		.amdhsa_user_sgpr_dispatch_ptr 0
		.amdhsa_user_sgpr_queue_ptr 0
		.amdhsa_user_sgpr_kernarg_segment_ptr 1
		.amdhsa_user_sgpr_dispatch_id 0
		.amdhsa_user_sgpr_private_segment_size 0
		.amdhsa_wavefront_size32 1
		.amdhsa_uses_dynamic_stack 0
		.amdhsa_enable_private_segment 0
		.amdhsa_system_sgpr_workgroup_id_x 1
		.amdhsa_system_sgpr_workgroup_id_y 0
		.amdhsa_system_sgpr_workgroup_id_z 1
		.amdhsa_system_sgpr_workgroup_info 0
		.amdhsa_system_vgpr_workitem_id 1
		.amdhsa_next_free_vgpr 94
		.amdhsa_next_free_sgpr 21
		.amdhsa_reserve_vcc 1
		.amdhsa_float_round_mode_32 0
		.amdhsa_float_round_mode_16_64 0
		.amdhsa_float_denorm_mode_32 3
		.amdhsa_float_denorm_mode_16_64 3
		.amdhsa_fp16_overflow 0
		.amdhsa_workgroup_processor_mode 1
		.amdhsa_memory_ordered 1
		.amdhsa_forward_progress 1
		.amdhsa_inst_pref_size 21
		.amdhsa_round_robin_scheduling 0
		.amdhsa_exception_fp_ieee_invalid_op 0
		.amdhsa_exception_fp_denorm_src 0
		.amdhsa_exception_fp_ieee_div_zero 0
		.amdhsa_exception_fp_ieee_overflow 0
		.amdhsa_exception_fp_ieee_underflow 0
		.amdhsa_exception_fp_ieee_inexact 0
		.amdhsa_exception_int_div_zero 0
	.end_amdhsa_kernel
	.section	.text._ZL9moe_vec_qIN3c108BFloat16ELi256ELi8E13block_iq2_xxsLi1EXadL_ZL20vec_dot_iq2_xxs_q8_1PKvPK10block_q8_1RKiEEEvS4_S4_PT_PS8_iiii,"axG",@progbits,_ZL9moe_vec_qIN3c108BFloat16ELi256ELi8E13block_iq2_xxsLi1EXadL_ZL20vec_dot_iq2_xxs_q8_1PKvPK10block_q8_1RKiEEEvS4_S4_PT_PS8_iiii,comdat
.Lfunc_end285:
	.size	_ZL9moe_vec_qIN3c108BFloat16ELi256ELi8E13block_iq2_xxsLi1EXadL_ZL20vec_dot_iq2_xxs_q8_1PKvPK10block_q8_1RKiEEEvS4_S4_PT_PS8_iiii, .Lfunc_end285-_ZL9moe_vec_qIN3c108BFloat16ELi256ELi8E13block_iq2_xxsLi1EXadL_ZL20vec_dot_iq2_xxs_q8_1PKvPK10block_q8_1RKiEEEvS4_S4_PT_PS8_iiii
                                        ; -- End function
	.set _ZL9moe_vec_qIN3c108BFloat16ELi256ELi8E13block_iq2_xxsLi1EXadL_ZL20vec_dot_iq2_xxs_q8_1PKvPK10block_q8_1RKiEEEvS4_S4_PT_PS8_iiii.num_vgpr, 94
	.set _ZL9moe_vec_qIN3c108BFloat16ELi256ELi8E13block_iq2_xxsLi1EXadL_ZL20vec_dot_iq2_xxs_q8_1PKvPK10block_q8_1RKiEEEvS4_S4_PT_PS8_iiii.num_agpr, 0
	.set _ZL9moe_vec_qIN3c108BFloat16ELi256ELi8E13block_iq2_xxsLi1EXadL_ZL20vec_dot_iq2_xxs_q8_1PKvPK10block_q8_1RKiEEEvS4_S4_PT_PS8_iiii.numbered_sgpr, 21
	.set _ZL9moe_vec_qIN3c108BFloat16ELi256ELi8E13block_iq2_xxsLi1EXadL_ZL20vec_dot_iq2_xxs_q8_1PKvPK10block_q8_1RKiEEEvS4_S4_PT_PS8_iiii.num_named_barrier, 0
	.set _ZL9moe_vec_qIN3c108BFloat16ELi256ELi8E13block_iq2_xxsLi1EXadL_ZL20vec_dot_iq2_xxs_q8_1PKvPK10block_q8_1RKiEEEvS4_S4_PT_PS8_iiii.private_seg_size, 0
	.set _ZL9moe_vec_qIN3c108BFloat16ELi256ELi8E13block_iq2_xxsLi1EXadL_ZL20vec_dot_iq2_xxs_q8_1PKvPK10block_q8_1RKiEEEvS4_S4_PT_PS8_iiii.uses_vcc, 1
	.set _ZL9moe_vec_qIN3c108BFloat16ELi256ELi8E13block_iq2_xxsLi1EXadL_ZL20vec_dot_iq2_xxs_q8_1PKvPK10block_q8_1RKiEEEvS4_S4_PT_PS8_iiii.uses_flat_scratch, 0
	.set _ZL9moe_vec_qIN3c108BFloat16ELi256ELi8E13block_iq2_xxsLi1EXadL_ZL20vec_dot_iq2_xxs_q8_1PKvPK10block_q8_1RKiEEEvS4_S4_PT_PS8_iiii.has_dyn_sized_stack, 0
	.set _ZL9moe_vec_qIN3c108BFloat16ELi256ELi8E13block_iq2_xxsLi1EXadL_ZL20vec_dot_iq2_xxs_q8_1PKvPK10block_q8_1RKiEEEvS4_S4_PT_PS8_iiii.has_recursion, 0
	.set _ZL9moe_vec_qIN3c108BFloat16ELi256ELi8E13block_iq2_xxsLi1EXadL_ZL20vec_dot_iq2_xxs_q8_1PKvPK10block_q8_1RKiEEEvS4_S4_PT_PS8_iiii.has_indirect_call, 0
	.section	.AMDGPU.csdata,"",@progbits
; Kernel info:
; codeLenInByte = 2684
; TotalNumSgprs: 23
; NumVgprs: 94
; ScratchSize: 0
; MemoryBound: 0
; FloatMode: 240
; IeeeMode: 1
; LDSByteSize: 0 bytes/workgroup (compile time only)
; SGPRBlocks: 0
; VGPRBlocks: 11
; NumSGPRsForWavesPerEU: 23
; NumVGPRsForWavesPerEU: 94
; Occupancy: 16
; WaveLimiterHint : 1
; COMPUTE_PGM_RSRC2:SCRATCH_EN: 0
; COMPUTE_PGM_RSRC2:USER_SGPR: 2
; COMPUTE_PGM_RSRC2:TRAP_HANDLER: 0
; COMPUTE_PGM_RSRC2:TGID_X_EN: 1
; COMPUTE_PGM_RSRC2:TGID_Y_EN: 0
; COMPUTE_PGM_RSRC2:TGID_Z_EN: 1
; COMPUTE_PGM_RSRC2:TIDIG_COMP_CNT: 1
	.section	.text._ZL9moe_vec_qIN3c108BFloat16ELi256ELi8E12block_iq2_xsLi1EXadL_ZL19vec_dot_iq2_xs_q8_1PKvPK10block_q8_1RKiEEEvS4_S4_PT_PS8_iiii,"axG",@progbits,_ZL9moe_vec_qIN3c108BFloat16ELi256ELi8E12block_iq2_xsLi1EXadL_ZL19vec_dot_iq2_xs_q8_1PKvPK10block_q8_1RKiEEEvS4_S4_PT_PS8_iiii,comdat
	.globl	_ZL9moe_vec_qIN3c108BFloat16ELi256ELi8E12block_iq2_xsLi1EXadL_ZL19vec_dot_iq2_xs_q8_1PKvPK10block_q8_1RKiEEEvS4_S4_PT_PS8_iiii ; -- Begin function _ZL9moe_vec_qIN3c108BFloat16ELi256ELi8E12block_iq2_xsLi1EXadL_ZL19vec_dot_iq2_xs_q8_1PKvPK10block_q8_1RKiEEEvS4_S4_PT_PS8_iiii
	.p2align	8
	.type	_ZL9moe_vec_qIN3c108BFloat16ELi256ELi8E12block_iq2_xsLi1EXadL_ZL19vec_dot_iq2_xs_q8_1PKvPK10block_q8_1RKiEEEvS4_S4_PT_PS8_iiii,@function
_ZL9moe_vec_qIN3c108BFloat16ELi256ELi8E12block_iq2_xsLi1EXadL_ZL19vec_dot_iq2_xs_q8_1PKvPK10block_q8_1RKiEEEvS4_S4_PT_PS8_iiii: ; @_ZL9moe_vec_qIN3c108BFloat16ELi256ELi8E12block_iq2_xsLi1EXadL_ZL19vec_dot_iq2_xs_q8_1PKvPK10block_q8_1RKiEEEvS4_S4_PT_PS8_iiii
; %bb.0:
	s_clause 0x1
	s_load_u16 s2, s[0:1], 0x3e
	s_load_b128 s[28:31], s[0:1], 0x20
	v_bfe_u32 v1, v0, 10, 10
	s_wait_kmcnt 0x0
	s_delay_alu instid0(VALU_DEP_1)
	v_mad_co_u64_u32 v[1:2], null, ttmp9, s2, v[1:2]
	s_mov_b32 s2, exec_lo
	v_cmpx_gt_u32_e64 s30, v1
	s_cbranch_execz .LBB286_7
; %bb.1:
	s_load_b64 s[34:35], s[0:1], 0x10
	s_ashr_i32 s2, s29, 31
	v_bfe_u32 v6, v0, 3, 7
	s_wait_alu 0xfffe
	s_lshr_b32 s2, s2, 24
	v_dual_mov_b32 v7, 0 :: v_dual_and_b32 v0, 0x3ff, v0
	s_wait_alu 0xfffe
	s_add_co_i32 s2, s29, s2
	s_lshr_b32 s33, ttmp7, 16
	s_wait_alu 0xfffe
	s_ashr_i32 s40, s2, 8
	s_mov_b32 s41, exec_lo
	v_cmpx_gt_u32_e64 s40, v6
	s_cbranch_execz .LBB286_5
; %bb.2:
	s_load_b64 s[2:3], s[0:1], 0x18
	s_cvt_f32_u32 s4, s28
	s_lshl_b32 s5, s33, 2
	v_dual_mov_b32 v7, 0 :: v_dual_and_b32 v8, 7, v0
	s_delay_alu instid0(SALU_CYCLE_1) | instskip(SKIP_2) | instid1(VALU_DEP_2)
	v_rcp_iflag_f32_e32 v2, s4
	s_mov_b32 s37, 0
	v_mul_lo_u32 v9, v1, s40
	v_lshlrev_b32_e32 v4, 2, v8
	v_lshlrev_b32_e32 v10, 3, v6
	s_delay_alu instid0(VALU_DEP_2) | instskip(NEXT) | instid1(TRANS32_DEP_1)
	v_lshlrev_b32_e32 v11, 1, v4
	v_readfirstlane_b32 s4, v2
	s_wait_kmcnt 0x0
	s_load_b32 s5, s[2:3], s5 offset:0x0
	s_mul_f32 s2, s4, 0x4f7ffffe
	s_sub_co_i32 s3, 0, s28
	s_wait_alu 0xfffe
	s_delay_alu instid0(SALU_CYCLE_1) | instskip(SKIP_1) | instid1(SALU_CYCLE_2)
	s_cvt_u32_f32 s2, s2
	s_wait_alu 0xfffe
	s_mul_i32 s3, s3, s2
	s_wait_alu 0xfffe
	s_mul_hi_u32 s3, s2, s3
	s_wait_alu 0xfffe
	s_add_co_i32 s4, s2, s3
	s_load_b128 s[0:3], s[0:1], 0x0
	s_mul_hi_u32 s6, s33, s4
	s_mul_i32 s4, s40, s30
	s_mul_i32 s7, s6, s28
	s_add_co_i32 s8, s6, 1
	s_sub_co_i32 s7, s33, s7
	s_wait_kmcnt 0x0
	s_wait_alu 0xfffe
	s_mul_i32 s4, s4, s5
	s_sub_co_i32 s9, s7, s28
	s_wait_alu 0xfffe
	s_ashr_i32 s5, s4, 31
	s_cmp_ge_u32 s7, s28
	s_wait_alu 0xfffe
	s_mul_u64 s[4:5], s[4:5], 0x4a
	s_cselect_b32 s6, s8, s6
	s_cselect_b32 s7, s9, s7
	s_add_co_i32 s8, s6, 1
	s_cmp_ge_u32 s7, s28
	s_cselect_b32 s6, s8, s6
	s_delay_alu instid0(SALU_CYCLE_1) | instskip(SKIP_3) | instid1(SALU_CYCLE_1)
	s_mul_i32 s36, s6, s31
	s_wait_alu 0xfffe
	s_add_nc_u64 s[38:39], s[0:1], s[4:5]
	s_lshl_b64 s[6:7], s[36:37], 2
	s_add_nc_u64 s[2:3], s[2:3], s[6:7]
	s_wait_alu 0xfffe
	v_mad_co_u64_u32 v[2:3], null, v8, 36, s[2:3]
.LBB286_3:                              ; =>This Inner Loop Header: Depth=1
	v_add_nc_u32_e32 v4, v9, v6
	s_delay_alu instid0(VALU_DEP_2)
	v_mad_co_i64_i32 v[22:23], null, v10, 36, v[2:3]
	s_getpc_b64 s[0:1]
	s_wait_alu 0xfffe
	s_sext_i32_i16 s1, s1
	s_add_co_u32 s0, s0, _ZL10iq2xs_grid@rel32@lo+12
	s_wait_alu 0xfffe
	s_add_co_ci_u32 s1, s1, _ZL10iq2xs_grid@rel32@hi+24
	s_getpc_b64 s[2:3]
	s_wait_alu 0xfffe
	s_sext_i32_i16 s3, s3
	s_add_co_u32 s2, s2, _ZL12ksigns_iq2xs@rel32@lo+12
	s_wait_alu 0xfffe
	s_add_co_ci_u32 s3, s3, _ZL12ksigns_iq2xs@rel32@hi+24
	v_mad_co_i64_i32 v[20:21], null, 0x4a, v4, s[38:39]
	v_add_nc_u32_e32 v6, 4, v6
	v_add_nc_u32_e32 v10, 32, v10
	s_delay_alu instid0(VALU_DEP_3) | instskip(SKIP_1) | instid1(VALU_DEP_4)
	v_add_co_u32 v4, vcc_lo, v20, v11
	s_wait_alu 0xfffd
	v_add_co_ci_u32_e64 v5, null, 0, v21, vcc_lo
	v_add_co_u32 v24, vcc_lo, v20, v8
	s_wait_alu 0xfffd
	v_add_co_ci_u32_e64 v25, null, 0, v21, vcc_lo
	global_load_b64 v[4:5], v[4:5], off offset:2
	s_clause 0x1
	global_load_b128 v[12:15], v[22:23], off offset:4
	global_load_b128 v[16:19], v[22:23], off offset:20
	s_clause 0x1
	global_load_u8 v30, v[24:25], off offset:66
	global_load_u16 v31, v[20:21], off
	s_wait_loadcnt 0x3
	v_bfe_i32 v36, v12, 8, 8
	v_and_b32_e32 v20, 0x1ff, v4
	v_lshrrev_b32_e32 v24, 13, v4
	v_and_b32_e32 v26, 0x1ff, v5
	v_lshrrev_b32_e32 v28, 13, v5
	v_bfe_u32 v21, v4, 9, 7
	v_lshrrev_b32_e32 v25, 25, v4
	v_bfe_u32 v27, v5, 9, 7
	v_lshrrev_b32_e32 v29, 25, v5
	v_lshlrev_b32_e32 v20, 3, v20
	v_and_b32_e32 v24, 0xff8, v24
	v_lshlrev_b32_e32 v26, 3, v26
	v_and_b32_e32 v28, 0xff8, v28
	s_clause 0x3
	global_load_i8 v32, v21, s[2:3]
	global_load_i8 v33, v25, s[2:3]
	global_load_i8 v34, v27, s[2:3]
	global_load_i8 v35, v29, s[2:3]
	s_clause 0x3
	global_load_b64 v[20:21], v20, s[0:1]
	global_load_b64 v[24:25], v24, s[0:1]
	;; [unrolled: 1-line block ×4, first 2 shown]
	global_load_u16 v22, v[22:23], off
	v_bfe_i32 v38, v13, 0, 8
	v_bfe_i32 v39, v13, 8, 8
	s_wait_loadcnt 0xb
	v_bfe_i32 v47, v16, 0, 8
	v_bfe_i32 v48, v16, 8, 8
	s_wait_loadcnt 0xa
	v_lshrrev_b16 v59, 4, v30
	v_bfe_i32 v23, v12, 0, 8
	v_bfe_i32 v37, v12, 16, 8
	v_ashrrev_i32_e32 v12, 24, v12
	v_bfe_i32 v40, v13, 16, 8
	v_ashrrev_i32_e32 v13, 24, v13
	;; [unrolled: 2-line block ×3, first 2 shown]
	v_bfe_i32 v50, v17, 0, 8
	v_bfe_i32 v51, v17, 8, 8
	;; [unrolled: 1-line block ×4, first 2 shown]
	v_cvt_f32_ubyte0_e32 v59, v59
	v_bfe_i32 v41, v14, 0, 8
	v_bfe_i32 v42, v14, 8, 8
	;; [unrolled: 1-line block ×3, first 2 shown]
	v_ashrrev_i32_e32 v14, 24, v14
	v_bfe_i32 v44, v15, 0, 8
	v_bfe_i32 v45, v15, 8, 8
	;; [unrolled: 1-line block ×3, first 2 shown]
	v_ashrrev_i32_e32 v15, 24, v15
	v_bfe_i32 v55, v18, 16, 8
	v_bfe_i32 v52, v17, 16, 8
	v_ashrrev_i32_e32 v17, 24, v17
	v_bfe_i32 v54, v18, 8, 8
	v_bfe_i32 v57, v19, 8, 8
	;; [unrolled: 1-line block ×3, first 2 shown]
	v_lshrrev_b32_e32 v60, 16, v4
	v_cmp_gt_i16_e64 s4, 0, v4
	v_ashrrev_i32_e32 v18, 24, v18
	v_lshrrev_b32_e32 v61, 16, v5
	v_cmp_gt_i16_e64 s19, 0, v5
	v_ashrrev_i32_e32 v19, 24, v19
	v_and_b32_e32 v30, 15, v30
	s_delay_alu instid0(VALU_DEP_4)
	v_cmp_gt_i16_e64 s27, 0, v61
	s_wait_loadcnt 0x5
	v_cmp_gt_i16_e64 s28, 0, v35
	s_wait_loadcnt 0x4
	v_bfe_u32 v72, v20, 8, 8
	v_and_b32_e32 v73, 0xff, v21
	v_bfe_u32 v74, v21, 8, 8
	s_wait_loadcnt 0x2
	v_and_b32_e32 v83, 0xff, v26
	v_bfe_u32 v84, v26, 8, 8
	v_and_b32_e32 v63, 2, v32
	v_and_b32_e32 v64, 4, v32
	v_and_b32_e32 v66, 16, v32
	v_and_b32_e32 v67, 32, v32
	v_lshrrev_b32_e32 v69, 24, v20
	v_lshrrev_b32_e32 v70, 24, v21
	v_and_b32_e32 v71, 0xff, v20
	v_bfe_u32 v20, v20, 16, 8
	v_bfe_u32 v21, v21, 16, 8
	v_lshrrev_b32_e32 v81, 24, v26
	v_bfe_u32 v26, v26, 16, 8
	v_and_b32_e32 v85, 0xff, v27
	v_bfe_u32 v86, v27, 8, 8
	s_wait_loadcnt 0x1
	v_and_b32_e32 v89, 0xff, v28
	v_and_b32_e32 v91, 0xff, v29
	v_mul_i32_i24_e32 v36, v72, v36
	v_mul_i32_i24_e32 v38, v73, v38
	v_and_b32_e32 v73, 1, v34
	v_mul_i32_i24_e32 v39, v74, v39
	v_and_b32_e32 v74, 2, v34
	v_mul_i32_i24_e32 v47, v83, v47
	v_mul_i32_i24_e32 v48, v84, v48
	v_and_b32_e32 v62, 1, v32
	v_and_b32_e32 v68, 1, v33
	v_lshrrev_b32_e32 v75, 24, v24
	v_lshrrev_b32_e32 v76, 24, v25
	v_and_b32_e32 v77, 0xff, v24
	v_bfe_u32 v78, v24, 8, 8
	v_bfe_u32 v24, v24, 16, 8
	v_and_b32_e32 v79, 0xff, v25
	v_bfe_u32 v80, v25, 8, 8
	v_bfe_u32 v25, v25, 16, 8
	v_lshrrev_b32_e32 v87, 24, v28
	v_bfe_u32 v90, v28, 8, 8
	v_bfe_u32 v28, v28, 16, 8
	v_and_b32_e32 v93, 2, v33
	v_mul_i32_i24_e32 v23, v71, v23
	v_and_b32_e32 v71, 4, v33
	v_and_b32_e32 v72, 8, v33
	v_mul_i32_i24_e32 v20, v20, v37
	v_and_b32_e32 v37, 16, v33
	v_mul_i32_i24_e32 v12, v69, v12
	;; [unrolled: 2-line block ×5, first 2 shown]
	v_mul_i32_i24_e32 v16, v81, v16
	v_mul_i32_i24_e32 v49, v85, v50
	;; [unrolled: 1-line block ×5, first 2 shown]
	v_sub_nc_u32_e32 v56, 0, v36
	v_cmp_eq_u16_e32 vcc_lo, 0, v63
	v_cmp_eq_u16_e64 s0, 0, v64
	v_sub_nc_u32_e32 v63, 0, v38
	v_cmp_eq_u16_e64 s2, 0, v66
	v_sub_nc_u32_e32 v64, 0, v39
	v_cmp_eq_u16_e64 s3, 0, v67
	v_cmp_gt_i16_e64 s12, 0, v33
	v_sub_nc_u32_e32 v33, 0, v47
	v_cmp_eq_u16_e64 s13, 0, v73
	v_sub_nc_u32_e32 v73, 0, v48
	v_cmp_eq_u16_e64 s14, 0, v74
	s_wait_loadcnt 0x0
	v_cvt_f32_f16_e32 v22, v22
	v_and_b32_e32 v65, 8, v32
	v_lshrrev_b32_e32 v82, 24, v27
	v_bfe_u32 v27, v27, 16, 8
	v_lshrrev_b32_e32 v88, 24, v29
	v_bfe_u32 v92, v29, 8, 8
	v_bfe_u32 v29, v29, 16, 8
	v_mul_i32_i24_e32 v41, v77, v41
	v_and_b32_e32 v77, 16, v34
	v_mul_i32_i24_e32 v42, v78, v42
	v_and_b32_e32 v78, 32, v34
	;; [unrolled: 2-line block ×8, first 2 shown]
	v_mul_i32_i24_e32 v28, v28, v55
	v_sub_nc_u32_e32 v55, 0, v23
	v_sub_nc_u32_e32 v4, 0, v13
	v_cmp_gt_i16_e64 s5, 0, v32
	v_sub_nc_u32_e32 v74, 0, v26
	v_cmp_eq_u16_e64 s15, 0, v40
	v_sub_nc_u32_e32 v40, 0, v16
	v_cmp_eq_u16_e64 s16, 0, v70
	v_cmp_eq_u16_e64 s29, 0, v62
	s_wait_alu 0xfffd
	v_cndmask_b32_e32 v35, v56, v36, vcc_lo
	s_wait_alu 0xf1ff
	v_cndmask_b32_e64 v36, v63, v38, s2
	s_wait_alu 0xfffe
	v_cndmask_b32_e64 v38, v64, v39, s3
	v_cndmask_b32_e64 v33, v33, v47, s13
	;; [unrolled: 1-line block ×3, first 2 shown]
	v_mul_i32_i24_e32 v27, v27, v52
	v_mul_i32_i24_e32 v17, v82, v17
	;; [unrolled: 1-line block ×5, first 2 shown]
	v_sub_nc_u32_e32 v57, 0, v20
	v_sub_nc_u32_e32 v58, 0, v12
	v_cmp_eq_u16_e64 s1, 0, v65
	v_sub_nc_u32_e32 v70, 0, v49
	v_cmp_eq_u16_e64 s17, 0, v77
	;; [unrolled: 2-line block ×3, first 2 shown]
	v_cndmask_b32_e64 v23, v55, v23, s29
	v_cndmask_b32_e64 v4, v13, v4, s5
	;; [unrolled: 1-line block ×4, first 2 shown]
	v_add_nc_u32_e32 v26, v39, v33
	v_sub_nc_u32_e32 v78, 0, v27
	v_sub_nc_u32_e32 v5, 0, v17
	v_cmp_gt_i16_e64 s20, 0, v34
	v_cndmask_b32_e64 v20, v57, v20, s0
	s_wait_alu 0xf1ff
	v_cndmask_b32_e64 v12, v58, v12, s1
	v_cndmask_b32_e64 v33, v70, v49, s17
	v_cndmask_b32_e64 v39, v77, v50, s18
	v_add_nc_u32_e32 v23, v35, v23
	v_add3_u32 v13, v26, v13, v16
	v_mul_i32_i24_e32 v18, v87, v18
	v_sub_nc_u32_e32 v65, 0, v21
	v_sub_nc_u32_e32 v34, 0, v51
	v_cmp_eq_u16_e64 s21, 0, v43
	v_sub_nc_u32_e32 v43, 0, v52
	v_cmp_eq_u16_e64 s22, 0, v75
	v_cndmask_b32_e64 v26, v27, v78, s19
	v_cndmask_b32_e64 v5, v17, v5, s20
	v_add3_u32 v12, v23, v20, v12
	v_add3_u32 v13, v13, v33, v39
	v_sub_nc_u32_e32 v32, 0, v41
	v_cmp_eq_u16_e64 s6, 0, v68
	v_sub_nc_u32_e32 v66, 0, v42
	v_cmp_eq_u16_e64 s7, 0, v93
	;; [unrolled: 2-line block ×5, first 2 shown]
	v_cndmask_b32_e64 v21, v21, v65, s4
	s_wait_alu 0xf1ff
	v_cndmask_b32_e64 v20, v34, v51, s21
	v_cndmask_b32_e64 v23, v43, v52, s22
	v_add3_u32 v12, v12, v36, v38
	v_add3_u32 v5, v13, v26, v5
	v_mul_i32_i24_e32 v19, v88, v19
	v_sub_nc_u32_e32 v67, 0, v24
	v_cmp_eq_u16_e64 s8, 0, v71
	v_sub_nc_u32_e32 v80, 0, v53
	v_cmp_eq_u16_e64 s25, 0, v46
	;; [unrolled: 2-line block ×3, first 2 shown]
	v_cndmask_b32_e64 v32, v32, v41, s6
	v_cndmask_b32_e64 v16, v66, v42, s7
	;; [unrolled: 1-line block ×5, first 2 shown]
	v_add3_u32 v4, v12, v21, v4
	v_add3_u32 v5, v5, v20, v23
	v_sub_nc_u32_e32 v71, 0, v44
	v_cmp_eq_u16_e64 s10, 0, v37
	v_sub_nc_u32_e32 v37, 0, v45
	v_cmp_eq_u16_e64 s11, 0, v69
	v_sub_nc_u32_e32 v76, 0, v29
	v_sub_nc_u32_e32 v61, 0, v19
	s_wait_alu 0xf1ff
	v_cndmask_b32_e64 v17, v67, v24, s8
	v_cndmask_b32_e64 v20, v80, v53, s25
	;; [unrolled: 1-line block ×3, first 2 shown]
	v_add3_u32 v4, v4, v32, v16
	v_add3_u32 v5, v5, v14, v18
	v_sub_nc_u32_e32 v69, 0, v25
	v_sub_nc_u32_e32 v72, 0, v15
	v_cndmask_b32_e64 v12, v71, v44, s10
	v_cndmask_b32_e64 v14, v37, v45, s11
	;; [unrolled: 1-line block ×4, first 2 shown]
	v_add3_u32 v4, v4, v17, v13
	v_add3_u32 v5, v5, v20, v21
	v_cmp_gt_i16_e32 vcc_lo, 0, v60
	v_cndmask_b32_e64 v15, v15, v72, s12
	s_delay_alu instid0(VALU_DEP_4) | instskip(NEXT) | instid1(VALU_DEP_4)
	v_add3_u32 v4, v4, v12, v14
	v_add3_u32 v5, v5, v16, v18
	s_wait_alu 0xfffd
	v_cndmask_b32_e32 v13, v25, v69, vcc_lo
	v_cvt_f32_f16_e32 v12, v31
	v_cvt_f32_ubyte0_e32 v14, v30
	v_add_f32_e32 v16, 0.5, v59
	v_cvt_f32_i32_e32 v5, v5
	v_add3_u32 v4, v4, v13, v15
	v_mul_f32_e32 v12, v12, v22
	v_add_f32_e32 v13, 0.5, v14
	v_cmp_le_u32_e32 vcc_lo, s40, v6
	v_mul_f32_e32 v5, v16, v5
	v_cvt_f32_i32_e32 v4, v4
	v_mul_f32_e32 v12, 0x3e800000, v12
	s_or_b32 s37, vcc_lo, s37
	s_delay_alu instid0(VALU_DEP_2) | instskip(NEXT) | instid1(VALU_DEP_1)
	v_fmac_f32_e32 v5, v13, v4
	v_fmac_f32_e32 v7, v12, v5
	s_and_not1_b32 exec_lo, exec_lo, s37
	s_cbranch_execnz .LBB286_3
; %bb.4:
	s_or_b32 exec_lo, exec_lo, s37
.LBB286_5:
	s_delay_alu instid0(SALU_CYCLE_1) | instskip(SKIP_1) | instid1(VALU_DEP_1)
	s_or_b32 exec_lo, exec_lo, s41
	v_mbcnt_lo_u32_b32 v2, -1, 0
	v_xor_b32_e32 v3, 16, v2
	v_xor_b32_e32 v4, 8, v2
	;; [unrolled: 1-line block ×3, first 2 shown]
	s_delay_alu instid0(VALU_DEP_3)
	v_cmp_gt_i32_e32 vcc_lo, 32, v3
	s_wait_alu 0xfffd
	v_cndmask_b32_e32 v3, v2, v3, vcc_lo
	v_cmp_gt_i32_e32 vcc_lo, 32, v4
	s_wait_alu 0xfffd
	v_cndmask_b32_e32 v4, v2, v4, vcc_lo
	v_cmp_gt_i32_e32 vcc_lo, 32, v5
	s_delay_alu instid0(VALU_DEP_2)
	v_lshlrev_b32_e32 v4, 2, v4
	v_lshlrev_b32_e32 v3, 2, v3
	s_wait_alu 0xfffd
	v_cndmask_b32_e32 v5, v2, v5, vcc_lo
	ds_bpermute_b32 v3, v3, v7
	v_lshlrev_b32_e32 v5, 2, v5
	s_wait_dscnt 0x0
	v_add_f32_e32 v3, v7, v3
	ds_bpermute_b32 v4, v4, v3
	s_wait_dscnt 0x0
	v_add_f32_e32 v3, v3, v4
	ds_bpermute_b32 v4, v5, v3
	v_xor_b32_e32 v5, 2, v2
	s_delay_alu instid0(VALU_DEP_1) | instskip(SKIP_2) | instid1(VALU_DEP_1)
	v_cmp_gt_i32_e32 vcc_lo, 32, v5
	s_wait_alu 0xfffd
	v_cndmask_b32_e32 v5, v2, v5, vcc_lo
	v_lshlrev_b32_e32 v5, 2, v5
	s_wait_dscnt 0x0
	v_add_f32_e32 v3, v3, v4
	ds_bpermute_b32 v4, v5, v3
	v_xor_b32_e32 v5, 1, v2
	s_delay_alu instid0(VALU_DEP_1) | instskip(SKIP_4) | instid1(VALU_DEP_2)
	v_cmp_gt_i32_e32 vcc_lo, 32, v5
	s_wait_alu 0xfffd
	v_cndmask_b32_e32 v5, v2, v5, vcc_lo
	v_cmp_eq_u32_e32 vcc_lo, 0, v0
	s_wait_dscnt 0x0
	v_dual_add_f32 v2, v3, v4 :: v_dual_lshlrev_b32 v3, 2, v5
	ds_bpermute_b32 v3, v3, v2
	s_and_b32 exec_lo, exec_lo, vcc_lo
	s_cbranch_execz .LBB286_7
; %bb.6:
	s_wait_dscnt 0x0
	v_add_f32_e32 v2, v2, v3
	s_delay_alu instid0(VALU_DEP_1) | instskip(SKIP_3) | instid1(VALU_DEP_2)
	v_mad_co_u64_u32 v[0:1], null, s30, s33, v[1:2]
	v_mov_b32_e32 v1, 0
	v_bfe_u32 v3, v2, 16, 1
	v_cmp_o_f32_e32 vcc_lo, v2, v2
	v_add3_u32 v3, v2, v3, 0x7fff
	s_delay_alu instid0(VALU_DEP_4) | instskip(NEXT) | instid1(VALU_DEP_2)
	v_lshlrev_b64_e32 v[0:1], 1, v[0:1]
	v_lshrrev_b32_e32 v3, 16, v3
	s_wait_alu 0xfffd
	s_delay_alu instid0(VALU_DEP_1) | instskip(SKIP_1) | instid1(VALU_DEP_3)
	v_cndmask_b32_e32 v2, 0x7fc0, v3, vcc_lo
	s_wait_kmcnt 0x0
	v_add_co_u32 v0, vcc_lo, s34, v0
	s_wait_alu 0xfffd
	v_add_co_ci_u32_e64 v1, null, s35, v1, vcc_lo
	global_store_b16 v[0:1], v2, off
.LBB286_7:
	s_endpgm
	.section	.rodata,"a",@progbits
	.p2align	6, 0x0
	.amdhsa_kernel _ZL9moe_vec_qIN3c108BFloat16ELi256ELi8E12block_iq2_xsLi1EXadL_ZL19vec_dot_iq2_xs_q8_1PKvPK10block_q8_1RKiEEEvS4_S4_PT_PS8_iiii
		.amdhsa_group_segment_fixed_size 0
		.amdhsa_private_segment_fixed_size 0
		.amdhsa_kernarg_size 304
		.amdhsa_user_sgpr_count 2
		.amdhsa_user_sgpr_dispatch_ptr 0
		.amdhsa_user_sgpr_queue_ptr 0
		.amdhsa_user_sgpr_kernarg_segment_ptr 1
		.amdhsa_user_sgpr_dispatch_id 0
		.amdhsa_user_sgpr_private_segment_size 0
		.amdhsa_wavefront_size32 1
		.amdhsa_uses_dynamic_stack 0
		.amdhsa_enable_private_segment 0
		.amdhsa_system_sgpr_workgroup_id_x 1
		.amdhsa_system_sgpr_workgroup_id_y 0
		.amdhsa_system_sgpr_workgroup_id_z 1
		.amdhsa_system_sgpr_workgroup_info 0
		.amdhsa_system_vgpr_workitem_id 1
		.amdhsa_next_free_vgpr 94
		.amdhsa_next_free_sgpr 42
		.amdhsa_reserve_vcc 1
		.amdhsa_float_round_mode_32 0
		.amdhsa_float_round_mode_16_64 0
		.amdhsa_float_denorm_mode_32 3
		.amdhsa_float_denorm_mode_16_64 3
		.amdhsa_fp16_overflow 0
		.amdhsa_workgroup_processor_mode 1
		.amdhsa_memory_ordered 1
		.amdhsa_forward_progress 1
		.amdhsa_inst_pref_size 22
		.amdhsa_round_robin_scheduling 0
		.amdhsa_exception_fp_ieee_invalid_op 0
		.amdhsa_exception_fp_denorm_src 0
		.amdhsa_exception_fp_ieee_div_zero 0
		.amdhsa_exception_fp_ieee_overflow 0
		.amdhsa_exception_fp_ieee_underflow 0
		.amdhsa_exception_fp_ieee_inexact 0
		.amdhsa_exception_int_div_zero 0
	.end_amdhsa_kernel
	.section	.text._ZL9moe_vec_qIN3c108BFloat16ELi256ELi8E12block_iq2_xsLi1EXadL_ZL19vec_dot_iq2_xs_q8_1PKvPK10block_q8_1RKiEEEvS4_S4_PT_PS8_iiii,"axG",@progbits,_ZL9moe_vec_qIN3c108BFloat16ELi256ELi8E12block_iq2_xsLi1EXadL_ZL19vec_dot_iq2_xs_q8_1PKvPK10block_q8_1RKiEEEvS4_S4_PT_PS8_iiii,comdat
.Lfunc_end286:
	.size	_ZL9moe_vec_qIN3c108BFloat16ELi256ELi8E12block_iq2_xsLi1EXadL_ZL19vec_dot_iq2_xs_q8_1PKvPK10block_q8_1RKiEEEvS4_S4_PT_PS8_iiii, .Lfunc_end286-_ZL9moe_vec_qIN3c108BFloat16ELi256ELi8E12block_iq2_xsLi1EXadL_ZL19vec_dot_iq2_xs_q8_1PKvPK10block_q8_1RKiEEEvS4_S4_PT_PS8_iiii
                                        ; -- End function
	.set _ZL9moe_vec_qIN3c108BFloat16ELi256ELi8E12block_iq2_xsLi1EXadL_ZL19vec_dot_iq2_xs_q8_1PKvPK10block_q8_1RKiEEEvS4_S4_PT_PS8_iiii.num_vgpr, 94
	.set _ZL9moe_vec_qIN3c108BFloat16ELi256ELi8E12block_iq2_xsLi1EXadL_ZL19vec_dot_iq2_xs_q8_1PKvPK10block_q8_1RKiEEEvS4_S4_PT_PS8_iiii.num_agpr, 0
	.set _ZL9moe_vec_qIN3c108BFloat16ELi256ELi8E12block_iq2_xsLi1EXadL_ZL19vec_dot_iq2_xs_q8_1PKvPK10block_q8_1RKiEEEvS4_S4_PT_PS8_iiii.numbered_sgpr, 42
	.set _ZL9moe_vec_qIN3c108BFloat16ELi256ELi8E12block_iq2_xsLi1EXadL_ZL19vec_dot_iq2_xs_q8_1PKvPK10block_q8_1RKiEEEvS4_S4_PT_PS8_iiii.num_named_barrier, 0
	.set _ZL9moe_vec_qIN3c108BFloat16ELi256ELi8E12block_iq2_xsLi1EXadL_ZL19vec_dot_iq2_xs_q8_1PKvPK10block_q8_1RKiEEEvS4_S4_PT_PS8_iiii.private_seg_size, 0
	.set _ZL9moe_vec_qIN3c108BFloat16ELi256ELi8E12block_iq2_xsLi1EXadL_ZL19vec_dot_iq2_xs_q8_1PKvPK10block_q8_1RKiEEEvS4_S4_PT_PS8_iiii.uses_vcc, 1
	.set _ZL9moe_vec_qIN3c108BFloat16ELi256ELi8E12block_iq2_xsLi1EXadL_ZL19vec_dot_iq2_xs_q8_1PKvPK10block_q8_1RKiEEEvS4_S4_PT_PS8_iiii.uses_flat_scratch, 0
	.set _ZL9moe_vec_qIN3c108BFloat16ELi256ELi8E12block_iq2_xsLi1EXadL_ZL19vec_dot_iq2_xs_q8_1PKvPK10block_q8_1RKiEEEvS4_S4_PT_PS8_iiii.has_dyn_sized_stack, 0
	.set _ZL9moe_vec_qIN3c108BFloat16ELi256ELi8E12block_iq2_xsLi1EXadL_ZL19vec_dot_iq2_xs_q8_1PKvPK10block_q8_1RKiEEEvS4_S4_PT_PS8_iiii.has_recursion, 0
	.set _ZL9moe_vec_qIN3c108BFloat16ELi256ELi8E12block_iq2_xsLi1EXadL_ZL19vec_dot_iq2_xs_q8_1PKvPK10block_q8_1RKiEEEvS4_S4_PT_PS8_iiii.has_indirect_call, 0
	.section	.AMDGPU.csdata,"",@progbits
; Kernel info:
; codeLenInByte = 2700
; TotalNumSgprs: 44
; NumVgprs: 94
; ScratchSize: 0
; MemoryBound: 0
; FloatMode: 240
; IeeeMode: 1
; LDSByteSize: 0 bytes/workgroup (compile time only)
; SGPRBlocks: 0
; VGPRBlocks: 11
; NumSGPRsForWavesPerEU: 44
; NumVGPRsForWavesPerEU: 94
; Occupancy: 16
; WaveLimiterHint : 1
; COMPUTE_PGM_RSRC2:SCRATCH_EN: 0
; COMPUTE_PGM_RSRC2:USER_SGPR: 2
; COMPUTE_PGM_RSRC2:TRAP_HANDLER: 0
; COMPUTE_PGM_RSRC2:TGID_X_EN: 1
; COMPUTE_PGM_RSRC2:TGID_Y_EN: 0
; COMPUTE_PGM_RSRC2:TGID_Z_EN: 1
; COMPUTE_PGM_RSRC2:TIDIG_COMP_CNT: 1
	.section	.text._ZL9moe_vec_qIN3c108BFloat16ELi256ELi8E13block_iq3_xxsLi1EXadL_ZL20vec_dot_iq3_xxs_q8_1PKvPK10block_q8_1RKiEEEvS4_S4_PT_PS8_iiii,"axG",@progbits,_ZL9moe_vec_qIN3c108BFloat16ELi256ELi8E13block_iq3_xxsLi1EXadL_ZL20vec_dot_iq3_xxs_q8_1PKvPK10block_q8_1RKiEEEvS4_S4_PT_PS8_iiii,comdat
	.globl	_ZL9moe_vec_qIN3c108BFloat16ELi256ELi8E13block_iq3_xxsLi1EXadL_ZL20vec_dot_iq3_xxs_q8_1PKvPK10block_q8_1RKiEEEvS4_S4_PT_PS8_iiii ; -- Begin function _ZL9moe_vec_qIN3c108BFloat16ELi256ELi8E13block_iq3_xxsLi1EXadL_ZL20vec_dot_iq3_xxs_q8_1PKvPK10block_q8_1RKiEEEvS4_S4_PT_PS8_iiii
	.p2align	8
	.type	_ZL9moe_vec_qIN3c108BFloat16ELi256ELi8E13block_iq3_xxsLi1EXadL_ZL20vec_dot_iq3_xxs_q8_1PKvPK10block_q8_1RKiEEEvS4_S4_PT_PS8_iiii,@function
_ZL9moe_vec_qIN3c108BFloat16ELi256ELi8E13block_iq3_xxsLi1EXadL_ZL20vec_dot_iq3_xxs_q8_1PKvPK10block_q8_1RKiEEEvS4_S4_PT_PS8_iiii: ; @_ZL9moe_vec_qIN3c108BFloat16ELi256ELi8E13block_iq3_xxsLi1EXadL_ZL20vec_dot_iq3_xxs_q8_1PKvPK10block_q8_1RKiEEEvS4_S4_PT_PS8_iiii
; %bb.0:
	s_clause 0x1
	s_load_u16 s2, s[0:1], 0x3e
	s_load_b128 s[4:7], s[0:1], 0x20
	v_bfe_u32 v1, v0, 10, 10
	s_wait_kmcnt 0x0
	s_delay_alu instid0(VALU_DEP_1)
	v_mad_co_u64_u32 v[1:2], null, ttmp9, s2, v[1:2]
	s_mov_b32 s2, exec_lo
	v_cmpx_gt_u32_e64 s6, v1
	s_cbranch_execz .LBB287_9
; %bb.1:
	s_load_b64 s[8:9], s[0:1], 0x10
	s_ashr_i32 s2, s5, 31
	v_bfe_u32 v14, v0, 3, 7
	s_wait_alu 0xfffe
	s_lshr_b32 s2, s2, 24
	v_dual_mov_b32 v15, 0 :: v_dual_and_b32 v0, 0x3ff, v0
	s_wait_alu 0xfffe
	s_add_co_i32 s2, s5, s2
	s_lshr_b32 s10, ttmp7, 16
	s_wait_alu 0xfffe
	s_ashr_i32 s11, s2, 8
	s_mov_b32 s12, exec_lo
	v_cmpx_gt_u32_e64 s11, v14
	s_cbranch_execz .LBB287_7
; %bb.2:
	s_load_b64 s[2:3], s[0:1], 0x18
	s_cvt_f32_u32 s5, s4
	s_lshl_b32 s13, s10, 2
	s_mul_i32 s15, s11, s6
	v_mul_lo_u32 v16, v1, s11
	v_rcp_iflag_f32_e32 v2, s5
	v_lshlrev_b32_e32 v17, 3, v14
	s_delay_alu instid0(VALU_DEP_2) | instskip(NEXT) | instid1(TRANS32_DEP_1)
	v_dual_mov_b32 v15, 0 :: v_dual_add_nc_u32 v18, v14, v16
	v_readfirstlane_b32 s5, v2
	v_and_b32_e32 v2, 7, v0
	s_wait_kmcnt 0x0
	s_load_b32 s13, s[2:3], s13 offset:0x0
	s_mul_f32 s2, s5, 0x4f7ffffe
	s_sub_co_i32 s5, 0, s4
	v_lshlrev_b32_e32 v4, 3, v2
	v_lshlrev_b32_e32 v8, 1, v2
	s_wait_alu 0xfffe
	s_cvt_u32_f32 s14, s2
	s_load_b128 s[0:3], s[0:1], 0x0
	s_delay_alu instid0(VALU_DEP_1) | instskip(NEXT) | instid1(SALU_CYCLE_1)
	v_lshlrev_b32_e32 v19, 1, v8
	s_mul_i32 s16, s5, s14
	s_mov_b32 s5, 0
	s_mul_hi_u32 s16, s14, s16
	s_delay_alu instid0(SALU_CYCLE_1) | instskip(NEXT) | instid1(SALU_CYCLE_1)
	s_add_co_i32 s14, s14, s16
	s_mul_hi_u32 s16, s10, s14
	s_delay_alu instid0(SALU_CYCLE_1)
	s_mul_i32 s14, s16, s4
	s_add_co_i32 s17, s16, 1
	s_sub_co_i32 s18, s10, s14
	s_wait_kmcnt 0x0
	s_mul_i32 s14, s15, s13
	s_sub_co_i32 s13, s18, s4
	s_ashr_i32 s15, s14, 31
	s_cmp_ge_u32 s18, s4
	s_mul_u64 s[14:15], s[14:15], 0x62
	s_cselect_b32 s16, s17, s16
	s_cselect_b32 s13, s13, s18
	s_add_co_i32 s17, s16, 1
	s_cmp_ge_u32 s13, s4
	s_add_nc_u64 s[0:1], s[0:1], s[14:15]
	s_cselect_b32 s4, s17, s16
	s_wait_alu 0xfffe
	s_mul_i32 s4, s4, s7
	s_wait_alu 0xfffe
	s_lshl_b64 s[16:17], s[4:5], 2
	s_getpc_b64 s[14:15]
	s_sext_i32_i16 s15, s15
	s_add_co_u32 s14, s14, _ZL11iq3xxs_grid@rel32@lo+8
	s_add_co_ci_u32 s15, s15, _ZL11iq3xxs_grid@rel32@hi+16
	s_add_nc_u64 s[2:3], s[2:3], s[16:17]
	s_wait_alu 0xfffe
	v_mad_co_u64_u32 v[2:3], null, v2, 36, s[2:3]
	v_add_co_u32 v4, s2, s0, v4
	s_wait_alu 0xf1ff
	v_add_co_ci_u32_e64 v5, null, s1, 0, s2
	s_delay_alu instid0(VALU_DEP_2) | instskip(NEXT) | instid1(VALU_DEP_1)
	v_add_co_u32 v4, vcc_lo, v4, 2
	v_add_co_ci_u32_e64 v5, null, 0, v5, vcc_lo
	v_add_co_u32 v6, vcc_lo, v2, 4
	s_wait_alu 0xfffd
	v_add_co_ci_u32_e64 v7, null, 0, v3, vcc_lo
.LBB287_3:                              ; =>This Loop Header: Depth=1
                                        ;     Child Loop BB287_4 Depth 2
	v_add_nc_u32_e32 v8, v14, v16
	v_mad_co_i64_i32 v[12:13], null, 0x62, v18, v[4:5]
	v_mov_b32_e32 v20, 0
	s_mov_b64 s[2:3], 0
	s_delay_alu instid0(VALU_DEP_3) | instskip(NEXT) | instid1(VALU_DEP_1)
	v_mad_co_i64_i32 v[8:9], null, 0x62, v8, s[0:1]
	v_add_co_u32 v10, vcc_lo, v8, v19
	s_wait_alu 0xfffd
	s_delay_alu instid0(VALU_DEP_2)
	v_add_co_ci_u32_e64 v11, null, 0, v9, vcc_lo
	global_load_b32 v21, v[10:11], off offset:66
	v_mad_co_i64_i32 v[10:11], null, v17, 36, v[6:7]
.LBB287_4:                              ;   Parent Loop BB287_3 Depth=1
                                        ; =>  This Inner Loop Header: Depth=2
	global_load_u16 v26, v[12:13], off
	s_wait_loadcnt 0x1
	v_and_b32_e32 v24, 0x7f, v21
	s_wait_alu 0xfffe
	v_add_co_u32 v22, vcc_lo, v10, s2
	s_getpc_b64 s[16:17]
	s_sext_i32_i16 s17, s17
	s_add_co_u32 s16, s16, _ZL8ksigns64@rel32@lo+8
	s_add_co_ci_u32 s17, s17, _ZL8ksigns64@rel32@hi+16
	s_wait_alu 0xfffd
	v_add_co_ci_u32_e64 v23, null, s3, v11, vcc_lo
	v_lshlrev_b32_e32 v24, 3, v24
	v_add_co_u32 v12, vcc_lo, v12, 2
	v_lshrrev_b32_e32 v21, 7, v21
	s_wait_alu 0xfffd
	v_add_co_ci_u32_e64 v13, null, 0, v13, vcc_lo
	global_load_b64 v[24:25], v24, s[16:17]
	s_add_nc_u64 s[2:3], s[2:3], 8
	s_wait_alu 0xfffe
	s_cmp_lg_u32 s2, 32
	s_wait_loadcnt 0x1
	v_lshrrev_b16 v27, 8, v26
	v_and_b32_e32 v26, 0xff, v26
	s_delay_alu instid0(VALU_DEP_2) | instskip(NEXT) | instid1(VALU_DEP_2)
	v_and_b32_e32 v27, 0xffff, v27
	v_lshlrev_b32_e32 v26, 2, v26
	s_delay_alu instid0(VALU_DEP_2)
	v_lshlrev_b32_e32 v27, 2, v27
	s_clause 0x1
	global_load_b32 v26, v26, s[14:15]
	global_load_b32 v27, v27, s[14:15]
	global_load_b64 v[22:23], v[22:23], off
	s_wait_loadcnt 0x3
	v_and_b32_e32 v35, 0xff0000, v24
	v_and_b32_e32 v34, 0xff000000, v24
	;; [unrolled: 1-line block ×6, first 2 shown]
	s_wait_loadcnt 0x2
	v_xor_b32_e32 v26, v24, v26
	s_wait_loadcnt 0x1
	v_xor_b32_e32 v27, v25, v27
	s_wait_loadcnt 0x0
	v_lshrrev_b16 v28, 8, v22
	v_lshrrev_b16 v29, 8, v23
	v_ashrrev_i32_e32 v32, 24, v23
	v_sub_nc_u32_e32 v35, v26, v35
	v_sub_nc_u32_e32 v24, v26, v24
	;; [unrolled: 1-line block ×6, first 2 shown]
	v_perm_b32 v24, v35, v24, 0xc060c00
	v_sub_nc_u32_e32 v35, v27, v38
	v_sub_nc_u32_e32 v27, v27, v37
	v_bfe_i32 v33, v23, 16, 8
	v_lshrrev_b16 v26, 8, v26
	v_ashrrev_i32_e32 v30, 24, v22
	v_perm_b32 v25, v35, v25, 0xc060c00
	v_lshrrev_b16 v35, 8, v36
	v_ashrrev_i32_e32 v27, 24, v27
	v_bfe_i32 v31, v22, 16, 8
	v_bfe_i32 v22, v22, 0, 8
	;; [unrolled: 1-line block ×6, first 2 shown]
	v_ashrrev_i32_e32 v34, 24, v34
	v_bfe_i32 v36, v24, 0, 8
	v_bfe_i32 v24, v24, 16, 8
	;; [unrolled: 1-line block ×5, first 2 shown]
	v_mul_i32_i24_e32 v27, v27, v32
	v_mul_i32_i24_e32 v32, v37, v33
	;; [unrolled: 1-line block ×6, first 2 shown]
	v_mad_i32_i24 v27, v34, v30, v27
	v_mad_i32_i24 v24, v24, v31, v32
	s_delay_alu instid0(VALU_DEP_2) | instskip(NEXT) | instid1(VALU_DEP_2)
	v_add3_u32 v25, v26, v25, v27
	v_add3_u32 v22, v22, v23, v24
	s_delay_alu instid0(VALU_DEP_1)
	v_add3_u32 v20, v22, v25, v20
	s_cbranch_scc1 .LBB287_4
; %bb.5:                                ;   in Loop: Header=BB287_3 Depth=1
	v_lshlrev_b32_e32 v10, 3, v14
	v_add_nc_u32_e32 v14, 4, v14
	v_add_nc_u32_e32 v18, 4, v18
	;; [unrolled: 1-line block ×3, first 2 shown]
	s_delay_alu instid0(VALU_DEP_4) | instskip(SKIP_4) | instid1(VALU_DEP_2)
	v_mad_co_i64_i32 v[10:11], null, v10, 36, v[2:3]
	global_load_u16 v8, v[8:9], off
	global_load_b32 v9, v[10:11], off
	v_cvt_f32_u32_e32 v10, v21
	v_cmp_le_u32_e32 vcc_lo, s11, v14
	v_add_f32_e32 v10, 0.5, v10
	s_or_b32 s5, vcc_lo, s5
	s_wait_loadcnt 0x1
	v_cvt_f32_f16_e32 v8, v8
	s_wait_loadcnt 0x0
	v_cvt_f32_f16_e32 v9, v9
	s_delay_alu instid0(VALU_DEP_2) | instskip(NEXT) | instid1(VALU_DEP_1)
	v_mul_f32_e32 v8, v10, v8
	v_mul_f32_e32 v8, v8, v9
	v_cvt_f32_i32_e32 v9, v20
	s_delay_alu instid0(VALU_DEP_2) | instskip(NEXT) | instid1(VALU_DEP_1)
	v_mul_f32_e32 v8, 0.5, v8
	v_fmac_f32_e32 v15, v8, v9
	s_wait_alu 0xfffe
	s_and_not1_b32 exec_lo, exec_lo, s5
	s_cbranch_execnz .LBB287_3
; %bb.6:
	s_or_b32 exec_lo, exec_lo, s5
.LBB287_7:
	s_delay_alu instid0(SALU_CYCLE_1) | instskip(SKIP_1) | instid1(VALU_DEP_1)
	s_or_b32 exec_lo, exec_lo, s12
	v_mbcnt_lo_u32_b32 v2, -1, 0
	v_xor_b32_e32 v3, 16, v2
	v_xor_b32_e32 v4, 8, v2
	;; [unrolled: 1-line block ×3, first 2 shown]
	s_delay_alu instid0(VALU_DEP_3)
	v_cmp_gt_i32_e32 vcc_lo, 32, v3
	s_wait_alu 0xfffd
	v_cndmask_b32_e32 v3, v2, v3, vcc_lo
	v_cmp_gt_i32_e32 vcc_lo, 32, v4
	s_wait_alu 0xfffd
	v_cndmask_b32_e32 v4, v2, v4, vcc_lo
	v_cmp_gt_i32_e32 vcc_lo, 32, v5
	s_delay_alu instid0(VALU_DEP_2)
	v_lshlrev_b32_e32 v4, 2, v4
	v_lshlrev_b32_e32 v3, 2, v3
	s_wait_alu 0xfffd
	v_cndmask_b32_e32 v5, v2, v5, vcc_lo
	ds_bpermute_b32 v3, v3, v15
	v_lshlrev_b32_e32 v5, 2, v5
	s_wait_dscnt 0x0
	v_add_f32_e32 v3, v15, v3
	ds_bpermute_b32 v4, v4, v3
	s_wait_dscnt 0x0
	v_add_f32_e32 v3, v3, v4
	ds_bpermute_b32 v4, v5, v3
	v_xor_b32_e32 v5, 2, v2
	s_delay_alu instid0(VALU_DEP_1) | instskip(SKIP_2) | instid1(VALU_DEP_1)
	v_cmp_gt_i32_e32 vcc_lo, 32, v5
	s_wait_alu 0xfffd
	v_cndmask_b32_e32 v5, v2, v5, vcc_lo
	v_lshlrev_b32_e32 v5, 2, v5
	s_wait_dscnt 0x0
	v_add_f32_e32 v3, v3, v4
	ds_bpermute_b32 v4, v5, v3
	v_xor_b32_e32 v5, 1, v2
	s_delay_alu instid0(VALU_DEP_1) | instskip(SKIP_4) | instid1(VALU_DEP_2)
	v_cmp_gt_i32_e32 vcc_lo, 32, v5
	s_wait_alu 0xfffd
	v_cndmask_b32_e32 v5, v2, v5, vcc_lo
	v_cmp_eq_u32_e32 vcc_lo, 0, v0
	s_wait_dscnt 0x0
	v_dual_add_f32 v2, v3, v4 :: v_dual_lshlrev_b32 v3, 2, v5
	ds_bpermute_b32 v3, v3, v2
	s_and_b32 exec_lo, exec_lo, vcc_lo
	s_cbranch_execz .LBB287_9
; %bb.8:
	s_wait_dscnt 0x0
	v_add_f32_e32 v2, v2, v3
	s_delay_alu instid0(VALU_DEP_1) | instskip(SKIP_3) | instid1(VALU_DEP_2)
	v_mad_co_u64_u32 v[0:1], null, s6, s10, v[1:2]
	v_mov_b32_e32 v1, 0
	v_bfe_u32 v3, v2, 16, 1
	v_cmp_o_f32_e32 vcc_lo, v2, v2
	v_add3_u32 v3, v2, v3, 0x7fff
	s_delay_alu instid0(VALU_DEP_4) | instskip(NEXT) | instid1(VALU_DEP_2)
	v_lshlrev_b64_e32 v[0:1], 1, v[0:1]
	v_lshrrev_b32_e32 v3, 16, v3
	s_wait_alu 0xfffd
	s_delay_alu instid0(VALU_DEP_1) | instskip(SKIP_1) | instid1(VALU_DEP_3)
	v_cndmask_b32_e32 v2, 0x7fc0, v3, vcc_lo
	s_wait_kmcnt 0x0
	v_add_co_u32 v0, vcc_lo, s8, v0
	s_wait_alu 0xfffd
	v_add_co_ci_u32_e64 v1, null, s9, v1, vcc_lo
	global_store_b16 v[0:1], v2, off
.LBB287_9:
	s_endpgm
	.section	.rodata,"a",@progbits
	.p2align	6, 0x0
	.amdhsa_kernel _ZL9moe_vec_qIN3c108BFloat16ELi256ELi8E13block_iq3_xxsLi1EXadL_ZL20vec_dot_iq3_xxs_q8_1PKvPK10block_q8_1RKiEEEvS4_S4_PT_PS8_iiii
		.amdhsa_group_segment_fixed_size 0
		.amdhsa_private_segment_fixed_size 0
		.amdhsa_kernarg_size 304
		.amdhsa_user_sgpr_count 2
		.amdhsa_user_sgpr_dispatch_ptr 0
		.amdhsa_user_sgpr_queue_ptr 0
		.amdhsa_user_sgpr_kernarg_segment_ptr 1
		.amdhsa_user_sgpr_dispatch_id 0
		.amdhsa_user_sgpr_private_segment_size 0
		.amdhsa_wavefront_size32 1
		.amdhsa_uses_dynamic_stack 0
		.amdhsa_enable_private_segment 0
		.amdhsa_system_sgpr_workgroup_id_x 1
		.amdhsa_system_sgpr_workgroup_id_y 0
		.amdhsa_system_sgpr_workgroup_id_z 1
		.amdhsa_system_sgpr_workgroup_info 0
		.amdhsa_system_vgpr_workitem_id 1
		.amdhsa_next_free_vgpr 40
		.amdhsa_next_free_sgpr 19
		.amdhsa_reserve_vcc 1
		.amdhsa_float_round_mode_32 0
		.amdhsa_float_round_mode_16_64 0
		.amdhsa_float_denorm_mode_32 3
		.amdhsa_float_denorm_mode_16_64 3
		.amdhsa_fp16_overflow 0
		.amdhsa_workgroup_processor_mode 1
		.amdhsa_memory_ordered 1
		.amdhsa_forward_progress 1
		.amdhsa_inst_pref_size 13
		.amdhsa_round_robin_scheduling 0
		.amdhsa_exception_fp_ieee_invalid_op 0
		.amdhsa_exception_fp_denorm_src 0
		.amdhsa_exception_fp_ieee_div_zero 0
		.amdhsa_exception_fp_ieee_overflow 0
		.amdhsa_exception_fp_ieee_underflow 0
		.amdhsa_exception_fp_ieee_inexact 0
		.amdhsa_exception_int_div_zero 0
	.end_amdhsa_kernel
	.section	.text._ZL9moe_vec_qIN3c108BFloat16ELi256ELi8E13block_iq3_xxsLi1EXadL_ZL20vec_dot_iq3_xxs_q8_1PKvPK10block_q8_1RKiEEEvS4_S4_PT_PS8_iiii,"axG",@progbits,_ZL9moe_vec_qIN3c108BFloat16ELi256ELi8E13block_iq3_xxsLi1EXadL_ZL20vec_dot_iq3_xxs_q8_1PKvPK10block_q8_1RKiEEEvS4_S4_PT_PS8_iiii,comdat
.Lfunc_end287:
	.size	_ZL9moe_vec_qIN3c108BFloat16ELi256ELi8E13block_iq3_xxsLi1EXadL_ZL20vec_dot_iq3_xxs_q8_1PKvPK10block_q8_1RKiEEEvS4_S4_PT_PS8_iiii, .Lfunc_end287-_ZL9moe_vec_qIN3c108BFloat16ELi256ELi8E13block_iq3_xxsLi1EXadL_ZL20vec_dot_iq3_xxs_q8_1PKvPK10block_q8_1RKiEEEvS4_S4_PT_PS8_iiii
                                        ; -- End function
	.set _ZL9moe_vec_qIN3c108BFloat16ELi256ELi8E13block_iq3_xxsLi1EXadL_ZL20vec_dot_iq3_xxs_q8_1PKvPK10block_q8_1RKiEEEvS4_S4_PT_PS8_iiii.num_vgpr, 40
	.set _ZL9moe_vec_qIN3c108BFloat16ELi256ELi8E13block_iq3_xxsLi1EXadL_ZL20vec_dot_iq3_xxs_q8_1PKvPK10block_q8_1RKiEEEvS4_S4_PT_PS8_iiii.num_agpr, 0
	.set _ZL9moe_vec_qIN3c108BFloat16ELi256ELi8E13block_iq3_xxsLi1EXadL_ZL20vec_dot_iq3_xxs_q8_1PKvPK10block_q8_1RKiEEEvS4_S4_PT_PS8_iiii.numbered_sgpr, 19
	.set _ZL9moe_vec_qIN3c108BFloat16ELi256ELi8E13block_iq3_xxsLi1EXadL_ZL20vec_dot_iq3_xxs_q8_1PKvPK10block_q8_1RKiEEEvS4_S4_PT_PS8_iiii.num_named_barrier, 0
	.set _ZL9moe_vec_qIN3c108BFloat16ELi256ELi8E13block_iq3_xxsLi1EXadL_ZL20vec_dot_iq3_xxs_q8_1PKvPK10block_q8_1RKiEEEvS4_S4_PT_PS8_iiii.private_seg_size, 0
	.set _ZL9moe_vec_qIN3c108BFloat16ELi256ELi8E13block_iq3_xxsLi1EXadL_ZL20vec_dot_iq3_xxs_q8_1PKvPK10block_q8_1RKiEEEvS4_S4_PT_PS8_iiii.uses_vcc, 1
	.set _ZL9moe_vec_qIN3c108BFloat16ELi256ELi8E13block_iq3_xxsLi1EXadL_ZL20vec_dot_iq3_xxs_q8_1PKvPK10block_q8_1RKiEEEvS4_S4_PT_PS8_iiii.uses_flat_scratch, 0
	.set _ZL9moe_vec_qIN3c108BFloat16ELi256ELi8E13block_iq3_xxsLi1EXadL_ZL20vec_dot_iq3_xxs_q8_1PKvPK10block_q8_1RKiEEEvS4_S4_PT_PS8_iiii.has_dyn_sized_stack, 0
	.set _ZL9moe_vec_qIN3c108BFloat16ELi256ELi8E13block_iq3_xxsLi1EXadL_ZL20vec_dot_iq3_xxs_q8_1PKvPK10block_q8_1RKiEEEvS4_S4_PT_PS8_iiii.has_recursion, 0
	.set _ZL9moe_vec_qIN3c108BFloat16ELi256ELi8E13block_iq3_xxsLi1EXadL_ZL20vec_dot_iq3_xxs_q8_1PKvPK10block_q8_1RKiEEEvS4_S4_PT_PS8_iiii.has_indirect_call, 0
	.section	.AMDGPU.csdata,"",@progbits
; Kernel info:
; codeLenInByte = 1556
; TotalNumSgprs: 21
; NumVgprs: 40
; ScratchSize: 0
; MemoryBound: 0
; FloatMode: 240
; IeeeMode: 1
; LDSByteSize: 0 bytes/workgroup (compile time only)
; SGPRBlocks: 0
; VGPRBlocks: 4
; NumSGPRsForWavesPerEU: 21
; NumVGPRsForWavesPerEU: 40
; Occupancy: 16
; WaveLimiterHint : 1
; COMPUTE_PGM_RSRC2:SCRATCH_EN: 0
; COMPUTE_PGM_RSRC2:USER_SGPR: 2
; COMPUTE_PGM_RSRC2:TRAP_HANDLER: 0
; COMPUTE_PGM_RSRC2:TGID_X_EN: 1
; COMPUTE_PGM_RSRC2:TGID_Y_EN: 0
; COMPUTE_PGM_RSRC2:TGID_Z_EN: 1
; COMPUTE_PGM_RSRC2:TIDIG_COMP_CNT: 1
	.section	.text._ZL9moe_vec_qIN3c108BFloat16ELi256ELi8E11block_iq1_sLi1EXadL_ZL18vec_dot_iq1_s_q8_1PKvPK10block_q8_1RKiEEEvS4_S4_PT_PS8_iiii,"axG",@progbits,_ZL9moe_vec_qIN3c108BFloat16ELi256ELi8E11block_iq1_sLi1EXadL_ZL18vec_dot_iq1_s_q8_1PKvPK10block_q8_1RKiEEEvS4_S4_PT_PS8_iiii,comdat
	.globl	_ZL9moe_vec_qIN3c108BFloat16ELi256ELi8E11block_iq1_sLi1EXadL_ZL18vec_dot_iq1_s_q8_1PKvPK10block_q8_1RKiEEEvS4_S4_PT_PS8_iiii ; -- Begin function _ZL9moe_vec_qIN3c108BFloat16ELi256ELi8E11block_iq1_sLi1EXadL_ZL18vec_dot_iq1_s_q8_1PKvPK10block_q8_1RKiEEEvS4_S4_PT_PS8_iiii
	.p2align	8
	.type	_ZL9moe_vec_qIN3c108BFloat16ELi256ELi8E11block_iq1_sLi1EXadL_ZL18vec_dot_iq1_s_q8_1PKvPK10block_q8_1RKiEEEvS4_S4_PT_PS8_iiii,@function
_ZL9moe_vec_qIN3c108BFloat16ELi256ELi8E11block_iq1_sLi1EXadL_ZL18vec_dot_iq1_s_q8_1PKvPK10block_q8_1RKiEEEvS4_S4_PT_PS8_iiii: ; @_ZL9moe_vec_qIN3c108BFloat16ELi256ELi8E11block_iq1_sLi1EXadL_ZL18vec_dot_iq1_s_q8_1PKvPK10block_q8_1RKiEEEvS4_S4_PT_PS8_iiii
; %bb.0:
	s_clause 0x1
	s_load_u16 s2, s[0:1], 0x3e
	s_load_b128 s[4:7], s[0:1], 0x20
	v_bfe_u32 v1, v0, 10, 10
	s_wait_kmcnt 0x0
	s_delay_alu instid0(VALU_DEP_1)
	v_mad_co_u64_u32 v[1:2], null, ttmp9, s2, v[1:2]
	s_mov_b32 s2, exec_lo
	v_cmpx_gt_u32_e64 s6, v1
	s_cbranch_execz .LBB288_7
; %bb.1:
	s_load_b64 s[2:3], s[0:1], 0x10
	s_ashr_i32 s8, s5, 31
	v_bfe_u32 v4, v0, 3, 7
	s_lshr_b32 s8, s8, 24
	v_dual_mov_b32 v5, 0 :: v_dual_and_b32 v0, 0x3ff, v0
	s_add_co_i32 s5, s5, s8
	s_lshr_b32 s10, ttmp7, 16
	s_ashr_i32 s11, s5, 8
	s_mov_b32 s12, exec_lo
	v_cmpx_gt_u32_e64 s11, v4
	s_cbranch_execz .LBB288_5
; %bb.2:
	s_clause 0x1
	s_load_b64 s[8:9], s[0:1], 0x18
	s_load_b128 s[16:19], s[0:1], 0x0
	s_cvt_f32_u32 s5, s4
	s_lshl_b32 s13, s10, 2
	s_mul_i32 s1, s11, s6
	v_and_b32_e32 v9, 7, v0
	v_rcp_iflag_f32_e32 v2, s5
	v_mul_lo_u32 v6, v1, s11
	v_mov_b32_e32 v5, 0
	v_lshlrev_b32_e32 v7, 3, v4
	v_lshlrev_b32_e32 v8, 1, v9
	s_delay_alu instid0(VALU_DEP_1) | instskip(NEXT) | instid1(TRANS32_DEP_1)
	v_lshlrev_b32_e32 v8, 1, v8
	v_readfirstlane_b32 s5, v2
	s_wait_kmcnt 0x0
	s_load_b32 s8, s[8:9], s13 offset:0x0
	s_mul_f32 s5, s5, 0x4f7ffffe
	s_sub_co_i32 s9, 0, s4
	s_wait_alu 0xfffe
	s_delay_alu instid0(SALU_CYCLE_1) | instskip(SKIP_1) | instid1(SALU_CYCLE_2)
	s_cvt_u32_f32 s5, s5
	s_wait_alu 0xfffe
	s_mul_i32 s9, s9, s5
	s_delay_alu instid0(SALU_CYCLE_1) | instskip(NEXT) | instid1(SALU_CYCLE_1)
	s_mul_hi_u32 s9, s5, s9
	s_add_co_i32 s5, s5, s9
	s_wait_alu 0xfffe
	s_mul_hi_u32 s0, s10, s5
	s_wait_alu 0xfffe
	s_mul_i32 s5, s0, s4
	s_add_co_i32 s13, s0, 1
	s_wait_alu 0xfffe
	s_sub_co_i32 s5, s10, s5
	s_wait_kmcnt 0x0
	s_mul_i32 s8, s1, s8
	s_wait_alu 0xfffe
	s_sub_co_i32 s1, s5, s4
	s_ashr_i32 s9, s8, 31
	s_cmp_ge_u32 s5, s4
	s_mul_u64 s[8:9], s[8:9], 50
	s_cselect_b32 s0, s13, s0
	s_wait_alu 0xfffe
	s_cselect_b32 s1, s1, s5
	s_add_co_i32 s5, s0, 1
	s_wait_alu 0xfffe
	s_cmp_ge_u32 s1, s4
	s_mov_b32 s1, 0
	s_cselect_b32 s0, s5, s0
	s_wait_alu 0xfffe
	s_mul_i32 s0, s0, s7
	s_wait_alu 0xfffe
	s_lshl_b64 s[4:5], s[0:1], 2
	s_mov_b32 s0, 0xb7000000
	s_wait_alu 0xfffe
	s_add_nc_u64 s[4:5], s[18:19], s[4:5]
	s_wait_alu 0xfffe
	v_mad_co_u64_u32 v[2:3], null, v9, 36, s[4:5]
	v_lshlrev_b32_e32 v9, 1, v9
	s_add_nc_u64 s[4:5], s[16:17], s[8:9]
	s_getpc_b64 s[8:9]
	s_sext_i32_i16 s9, s9
	s_add_co_u32 s8, s8, _ZL13iq1s_grid_gpu@rel32@lo+8
	s_add_co_ci_u32 s9, s9, _ZL13iq1s_grid_gpu@rel32@hi+16
.LBB288_3:                              ; =>This Inner Loop Header: Depth=1
	v_add_nc_u32_e32 v10, v6, v4
	v_mad_co_i64_i32 v[20:21], null, v7, 36, v[2:3]
	v_add_nc_u32_e32 v4, 4, v4
	v_add_nc_u32_e32 v7, 32, v7
	s_wait_alu 0xfffe
	v_mad_co_i64_i32 v[18:19], null, v10, 50, s[4:5]
	s_delay_alu instid0(VALU_DEP_1) | instskip(SKIP_1) | instid1(VALU_DEP_2)
	v_add_co_u32 v10, vcc_lo, v18, v8
	s_wait_alu 0xfffd
	v_add_co_ci_u32_e64 v11, null, 0, v19, vcc_lo
	v_add_co_u32 v12, vcc_lo, v18, v9
	s_wait_alu 0xfffd
	v_add_co_ci_u32_e64 v13, null, 0, v19, vcc_lo
	s_clause 0x1
	global_load_b32 v22, v[10:11], off offset:2
	global_load_u16 v23, v[12:13], off offset:34
	s_clause 0x1
	global_load_b128 v[10:13], v[20:21], off offset:4
	global_load_b128 v[14:17], v[20:21], off offset:20
	global_load_u16 v18, v[18:19], off
	v_cmp_le_u32_e32 vcc_lo, s11, v4
	s_or_b32 s1, vcc_lo, s1
	s_wait_loadcnt 0x2
	v_ashrrev_i32_e32 v31, 24, v11
	v_and_b32_e32 v24, 0xff, v22
	v_lshlrev_b32_e32 v25, 8, v23
	v_bfe_u32 v26, v22, 8, 8
	v_lshlrev_b32_e32 v27, 5, v23
	v_lshrrev_b32_e32 v19, 24, v22
	v_bfe_u32 v22, v22, 16, 8
	v_lshlrev_b32_e32 v28, 2, v23
	v_lshrrev_b32_e32 v29, 1, v23
	v_and_or_b32 v24, 0x700, v25, v24
	v_and_or_b32 v25, 0x700, v27, v26
	v_lshrrev_b16 v26, 8, v11
	v_and_or_b32 v22, 0x700, v28, v22
	v_and_or_b32 v19, 0x700, v29, v19
	v_lshlrev_b32_e32 v24, 3, v24
	v_lshlrev_b32_e32 v25, 3, v25
	v_bfe_i32 v32, v11, 16, 8
	v_lshlrev_b32_e32 v22, 3, v22
	v_lshlrev_b32_e32 v19, 3, v19
	s_clause 0x3
	global_load_b32 v24, v24, s[8:9]
	global_load_b32 v25, v25, s[8:9]
	;; [unrolled: 1-line block ×4, first 2 shown]
	global_load_b32 v20, v[20:21], off
	v_bfe_i32 v11, v11, 0, 8
	s_wait_loadcnt 0x6
	v_lshrrev_b16 v40, 8, v17
	v_ashrrev_i32_e32 v47, 24, v17
	v_bfe_i32 v48, v17, 16, 8
	v_bfe_i32 v17, v17, 0, 8
	v_lshrrev_b16 v21, 8, v10
	v_lshrrev_b16 v27, 8, v12
	;; [unrolled: 1-line block ×3, first 2 shown]
	v_bfe_i32 v29, v10, 16, 8
	v_ashrrev_i32_e32 v35, 24, v13
	v_bfe_i32 v36, v13, 16, 8
	v_bfe_i32 v13, v13, 0, 8
	;; [unrolled: 1-line block ×3, first 2 shown]
	v_ashrrev_i32_e32 v10, 24, v10
	v_ashrrev_i32_e32 v33, 24, v12
	v_lshrrev_b16 v37, 8, v14
	v_lshrrev_b16 v38, 8, v15
	v_ashrrev_i32_e32 v43, 24, v15
	v_bfe_i32 v44, v15, 16, 8
	v_bfe_i32 v15, v15, 0, 8
	;; [unrolled: 1-line block ×7, first 2 shown]
	v_lshrrev_b16 v39, 8, v16
	v_ashrrev_i32_e32 v41, 24, v14
	v_bfe_i32 v28, v28, 0, 8
	v_bfe_i32 v37, v37, 0, 8
	;; [unrolled: 1-line block ×4, first 2 shown]
	v_ashrrev_i32_e32 v45, 24, v16
	v_bfe_i32 v38, v38, 0, 8
	v_bfe_i32 v39, v39, 0, 8
	;; [unrolled: 1-line block ×5, first 2 shown]
	s_wait_loadcnt 0x4
	v_lshrrev_b32_e32 v51, 4, v24
	v_bfe_u32 v49, v24, 24, 4
	v_and_b32_e32 v50, 0xf0f0f0f, v24
	v_lshrrev_b32_e32 v52, 28, v24
	v_bfe_u32 v53, v24, 16, 4
	v_and_b32_e32 v54, 15, v24
	v_bfe_u32 v55, v24, 20, 4
	v_bfe_u32 v24, v24, 4, 4
	s_wait_loadcnt 0x3
	v_and_b32_e32 v57, 0xf0f0f0f, v25
	v_lshrrev_b32_e32 v58, 4, v25
	s_wait_loadcnt 0x1
	v_bfe_u32 v70, v19, 24, 4
	v_and_b32_e32 v71, 0xf0f0f0f, v19
	v_lshrrev_b32_e32 v72, 4, v19
	v_lshrrev_b32_e32 v73, 28, v19
	v_bfe_u32 v74, v19, 16, 4
	v_and_b32_e32 v75, 15, v19
	v_bfe_u32 v76, v19, 20, 4
	v_bfe_u32 v19, v19, 4, 4
	v_lshrrev_b16 v51, 8, v51
	v_bfe_u32 v56, v25, 24, 4
	v_lshrrev_b32_e32 v59, 28, v25
	v_bfe_u32 v60, v25, 16, 4
	v_and_b32_e32 v61, 15, v25
	v_bfe_u32 v62, v25, 20, 4
	v_bfe_u32 v25, v25, 4, 4
	v_and_b32_e32 v64, 0xf0f0f0f, v22
	v_lshrrev_b32_e32 v65, 4, v22
	v_lshrrev_b16 v50, 8, v50
	v_mul_i32_i24_e32 v11, v24, v11
	v_mul_i32_i24_e32 v24, v55, v32
	v_mul_i32_i24_e32 v31, v52, v31
	v_lshrrev_b16 v32, 8, v57
	v_lshrrev_b16 v52, 8, v58
	v_mul_i32_i24_e32 v17, v19, v17
	v_mul_i32_i24_e32 v19, v76, v48
	v_and_b32_e32 v48, 15, v51
	v_bfe_u32 v63, v22, 24, 4
	v_lshrrev_b32_e32 v66, 28, v22
	v_bfe_u32 v67, v22, 16, 4
	v_and_b32_e32 v68, 15, v22
	v_bfe_u32 v69, v22, 20, 4
	v_bfe_u32 v22, v22, 4, 4
	v_mul_i32_i24_e32 v13, v25, v13
	v_mul_i32_i24_e32 v25, v62, v36
	v_lshrrev_b16 v36, 8, v64
	v_lshrrev_b16 v55, 8, v65
	v_and_b32_e32 v50, 0xffff, v50
	v_and_b32_e32 v51, 15, v52
	;; [unrolled: 1-line block ×3, first 2 shown]
	v_mad_i32_i24 v24, v53, v29, v24
	v_and_b32_e32 v29, 0xffff, v48
	v_mul_i32_i24_e32 v33, v33, v56
	v_mul_i32_i24_e32 v35, v59, v35
	v_mul_i32_i24_e32 v15, v22, v15
	v_mul_i32_i24_e32 v22, v69, v44
	v_lshrrev_b16 v44, 8, v71
	v_lshrrev_b16 v56, 8, v72
	v_and_b32_e32 v52, 15, v55
	v_and_b32_e32 v36, 0xffff, v36
	v_mad_i32_i24 v10, v49, v10, v31
	v_mad_i32_i24 v11, v54, v30, v11
	v_mul_i32_i24_e32 v21, v50, v21
	v_mul_i32_i24_e32 v27, v27, v32
	v_and_b32_e32 v30, 0xffff, v51
	v_mul_i32_i24_e32 v26, v29, v26
	v_mul_i32_i24_e32 v12, v12, v61
	;; [unrolled: 1-line block ×5, first 2 shown]
	v_and_b32_e32 v55, 15, v56
	v_and_b32_e32 v44, 0xffff, v44
	v_mul_i32_i24_e32 v31, v37, v36
	v_and_b32_e32 v32, 0xffff, v52
	v_add3_u32 v10, v10, v33, v35
	v_mul_i32_i24_e32 v28, v30, v28
	v_add3_u32 v21, v21, v26, v27
	v_mul_i32_i24_e32 v14, v14, v68
	v_mul_i32_i24_e32 v42, v42, v67
	;; [unrolled: 1-line block ×5, first 2 shown]
	v_and_b32_e32 v36, 0xffff, v55
	v_add3_u32 v24, v24, v34, v25
	v_add3_u32 v11, v11, v12, v13
	v_mul_i32_i24_e32 v12, v32, v38
	v_add3_u32 v10, v10, v41, v43
	v_add3_u32 v13, v21, v28, v31
	v_mul_i32_i24_e32 v16, v16, v75
	v_mul_i32_i24_e32 v46, v46, v74
	;; [unrolled: 1-line block ×3, first 2 shown]
	v_add3_u32 v11, v11, v14, v15
	v_add3_u32 v14, v24, v42, v22
	;; [unrolled: 1-line block ×4, first 2 shown]
	s_delay_alu instid0(VALU_DEP_4) | instskip(NEXT) | instid1(VALU_DEP_4)
	v_add3_u32 v11, v11, v16, v17
	v_add3_u32 v13, v14, v46, v19
	v_and_b32_e32 v14, 0x8000, v23
	s_delay_alu instid0(VALU_DEP_4) | instskip(SKIP_1) | instid1(VALU_DEP_2)
	v_add3_u32 v10, v12, v21, v10
	v_lshrrev_b32_e32 v12, 11, v23
	v_add3_u32 v10, v11, v13, v10
	s_wait_loadcnt 0x0
	v_cvt_f32_f16_e32 v11, v20
	s_delay_alu instid0(VALU_DEP_3) | instskip(SKIP_3) | instid1(VALU_DEP_4)
	v_and_or_b32 v12, v12, 14, 1
	v_cvt_f32_u32_e32 v13, v14
	v_cvt_f32_f16_e32 v14, v18
	v_cvt_f32_i32_e32 v10, v10
	v_cvt_f32_ubyte0_e32 v12, v12
	s_delay_alu instid0(VALU_DEP_2) | instskip(NEXT) | instid1(VALU_DEP_2)
	v_dual_fmaak_f32 v13, s0, v13, 0xbf600000 :: v_dual_mul_f32 v10, v11, v10
	v_mul_f32_e32 v11, v12, v14
	s_delay_alu instid0(VALU_DEP_2) | instskip(NEXT) | instid1(VALU_DEP_1)
	v_fma_mix_f32 v10, v13, v20, v10 op_sel:[0,1,0] op_sel_hi:[0,1,0]
	v_fmac_f32_e32 v5, v11, v10
	s_wait_alu 0xfffe
	s_and_not1_b32 exec_lo, exec_lo, s1
	s_cbranch_execnz .LBB288_3
; %bb.4:
	s_or_b32 exec_lo, exec_lo, s1
.LBB288_5:
	s_delay_alu instid0(SALU_CYCLE_1) | instskip(SKIP_1) | instid1(VALU_DEP_1)
	s_or_b32 exec_lo, exec_lo, s12
	v_mbcnt_lo_u32_b32 v2, -1, 0
	v_xor_b32_e32 v3, 16, v2
	v_xor_b32_e32 v4, 8, v2
	s_delay_alu instid0(VALU_DEP_2) | instskip(SKIP_2) | instid1(VALU_DEP_3)
	v_cmp_gt_i32_e32 vcc_lo, 32, v3
	s_wait_alu 0xfffd
	v_cndmask_b32_e32 v3, v2, v3, vcc_lo
	v_cmp_gt_i32_e32 vcc_lo, 32, v4
	s_wait_alu 0xfffd
	v_cndmask_b32_e32 v4, v2, v4, vcc_lo
	s_delay_alu instid0(VALU_DEP_1)
	v_lshlrev_b32_e32 v4, 2, v4
	v_lshlrev_b32_e32 v3, 2, v3
	ds_bpermute_b32 v3, v3, v5
	s_wait_dscnt 0x0
	v_add_f32_e32 v3, v5, v3
	v_xor_b32_e32 v5, 4, v2
	ds_bpermute_b32 v4, v4, v3
	v_cmp_gt_i32_e32 vcc_lo, 32, v5
	s_wait_alu 0xfffd
	v_cndmask_b32_e32 v5, v2, v5, vcc_lo
	s_delay_alu instid0(VALU_DEP_1) | instskip(SKIP_4) | instid1(VALU_DEP_1)
	v_lshlrev_b32_e32 v5, 2, v5
	s_wait_dscnt 0x0
	v_add_f32_e32 v3, v3, v4
	ds_bpermute_b32 v4, v5, v3
	v_xor_b32_e32 v5, 2, v2
	v_cmp_gt_i32_e32 vcc_lo, 32, v5
	s_wait_alu 0xfffd
	v_cndmask_b32_e32 v5, v2, v5, vcc_lo
	s_delay_alu instid0(VALU_DEP_1) | instskip(SKIP_4) | instid1(VALU_DEP_1)
	v_lshlrev_b32_e32 v5, 2, v5
	s_wait_dscnt 0x0
	v_add_f32_e32 v3, v3, v4
	ds_bpermute_b32 v4, v5, v3
	v_xor_b32_e32 v5, 1, v2
	v_cmp_gt_i32_e32 vcc_lo, 32, v5
	s_wait_alu 0xfffd
	v_cndmask_b32_e32 v5, v2, v5, vcc_lo
	v_cmp_eq_u32_e32 vcc_lo, 0, v0
	s_wait_dscnt 0x0
	s_delay_alu instid0(VALU_DEP_2)
	v_dual_add_f32 v2, v3, v4 :: v_dual_lshlrev_b32 v3, 2, v5
	ds_bpermute_b32 v3, v3, v2
	s_and_b32 exec_lo, exec_lo, vcc_lo
	s_cbranch_execz .LBB288_7
; %bb.6:
	s_wait_dscnt 0x0
	v_add_f32_e32 v2, v2, v3
	s_delay_alu instid0(VALU_DEP_1) | instskip(SKIP_3) | instid1(VALU_DEP_2)
	v_mad_co_u64_u32 v[0:1], null, s6, s10, v[1:2]
	v_mov_b32_e32 v1, 0
	v_bfe_u32 v3, v2, 16, 1
	v_cmp_o_f32_e32 vcc_lo, v2, v2
	v_add3_u32 v3, v2, v3, 0x7fff
	s_delay_alu instid0(VALU_DEP_4) | instskip(NEXT) | instid1(VALU_DEP_2)
	v_lshlrev_b64_e32 v[0:1], 1, v[0:1]
	v_lshrrev_b32_e32 v3, 16, v3
	s_wait_alu 0xfffd
	s_delay_alu instid0(VALU_DEP_1) | instskip(SKIP_1) | instid1(VALU_DEP_3)
	v_cndmask_b32_e32 v2, 0x7fc0, v3, vcc_lo
	s_wait_kmcnt 0x0
	v_add_co_u32 v0, vcc_lo, s2, v0
	s_wait_alu 0xfffd
	v_add_co_ci_u32_e64 v1, null, s3, v1, vcc_lo
	global_store_b16 v[0:1], v2, off
.LBB288_7:
	s_endpgm
	.section	.rodata,"a",@progbits
	.p2align	6, 0x0
	.amdhsa_kernel _ZL9moe_vec_qIN3c108BFloat16ELi256ELi8E11block_iq1_sLi1EXadL_ZL18vec_dot_iq1_s_q8_1PKvPK10block_q8_1RKiEEEvS4_S4_PT_PS8_iiii
		.amdhsa_group_segment_fixed_size 0
		.amdhsa_private_segment_fixed_size 0
		.amdhsa_kernarg_size 304
		.amdhsa_user_sgpr_count 2
		.amdhsa_user_sgpr_dispatch_ptr 0
		.amdhsa_user_sgpr_queue_ptr 0
		.amdhsa_user_sgpr_kernarg_segment_ptr 1
		.amdhsa_user_sgpr_dispatch_id 0
		.amdhsa_user_sgpr_private_segment_size 0
		.amdhsa_wavefront_size32 1
		.amdhsa_uses_dynamic_stack 0
		.amdhsa_enable_private_segment 0
		.amdhsa_system_sgpr_workgroup_id_x 1
		.amdhsa_system_sgpr_workgroup_id_y 0
		.amdhsa_system_sgpr_workgroup_id_z 1
		.amdhsa_system_sgpr_workgroup_info 0
		.amdhsa_system_vgpr_workitem_id 1
		.amdhsa_next_free_vgpr 77
		.amdhsa_next_free_sgpr 20
		.amdhsa_reserve_vcc 1
		.amdhsa_float_round_mode_32 0
		.amdhsa_float_round_mode_16_64 0
		.amdhsa_float_denorm_mode_32 3
		.amdhsa_float_denorm_mode_16_64 3
		.amdhsa_fp16_overflow 0
		.amdhsa_workgroup_processor_mode 1
		.amdhsa_memory_ordered 1
		.amdhsa_forward_progress 1
		.amdhsa_inst_pref_size 17
		.amdhsa_round_robin_scheduling 0
		.amdhsa_exception_fp_ieee_invalid_op 0
		.amdhsa_exception_fp_denorm_src 0
		.amdhsa_exception_fp_ieee_div_zero 0
		.amdhsa_exception_fp_ieee_overflow 0
		.amdhsa_exception_fp_ieee_underflow 0
		.amdhsa_exception_fp_ieee_inexact 0
		.amdhsa_exception_int_div_zero 0
	.end_amdhsa_kernel
	.section	.text._ZL9moe_vec_qIN3c108BFloat16ELi256ELi8E11block_iq1_sLi1EXadL_ZL18vec_dot_iq1_s_q8_1PKvPK10block_q8_1RKiEEEvS4_S4_PT_PS8_iiii,"axG",@progbits,_ZL9moe_vec_qIN3c108BFloat16ELi256ELi8E11block_iq1_sLi1EXadL_ZL18vec_dot_iq1_s_q8_1PKvPK10block_q8_1RKiEEEvS4_S4_PT_PS8_iiii,comdat
.Lfunc_end288:
	.size	_ZL9moe_vec_qIN3c108BFloat16ELi256ELi8E11block_iq1_sLi1EXadL_ZL18vec_dot_iq1_s_q8_1PKvPK10block_q8_1RKiEEEvS4_S4_PT_PS8_iiii, .Lfunc_end288-_ZL9moe_vec_qIN3c108BFloat16ELi256ELi8E11block_iq1_sLi1EXadL_ZL18vec_dot_iq1_s_q8_1PKvPK10block_q8_1RKiEEEvS4_S4_PT_PS8_iiii
                                        ; -- End function
	.set _ZL9moe_vec_qIN3c108BFloat16ELi256ELi8E11block_iq1_sLi1EXadL_ZL18vec_dot_iq1_s_q8_1PKvPK10block_q8_1RKiEEEvS4_S4_PT_PS8_iiii.num_vgpr, 77
	.set _ZL9moe_vec_qIN3c108BFloat16ELi256ELi8E11block_iq1_sLi1EXadL_ZL18vec_dot_iq1_s_q8_1PKvPK10block_q8_1RKiEEEvS4_S4_PT_PS8_iiii.num_agpr, 0
	.set _ZL9moe_vec_qIN3c108BFloat16ELi256ELi8E11block_iq1_sLi1EXadL_ZL18vec_dot_iq1_s_q8_1PKvPK10block_q8_1RKiEEEvS4_S4_PT_PS8_iiii.numbered_sgpr, 20
	.set _ZL9moe_vec_qIN3c108BFloat16ELi256ELi8E11block_iq1_sLi1EXadL_ZL18vec_dot_iq1_s_q8_1PKvPK10block_q8_1RKiEEEvS4_S4_PT_PS8_iiii.num_named_barrier, 0
	.set _ZL9moe_vec_qIN3c108BFloat16ELi256ELi8E11block_iq1_sLi1EXadL_ZL18vec_dot_iq1_s_q8_1PKvPK10block_q8_1RKiEEEvS4_S4_PT_PS8_iiii.private_seg_size, 0
	.set _ZL9moe_vec_qIN3c108BFloat16ELi256ELi8E11block_iq1_sLi1EXadL_ZL18vec_dot_iq1_s_q8_1PKvPK10block_q8_1RKiEEEvS4_S4_PT_PS8_iiii.uses_vcc, 1
	.set _ZL9moe_vec_qIN3c108BFloat16ELi256ELi8E11block_iq1_sLi1EXadL_ZL18vec_dot_iq1_s_q8_1PKvPK10block_q8_1RKiEEEvS4_S4_PT_PS8_iiii.uses_flat_scratch, 0
	.set _ZL9moe_vec_qIN3c108BFloat16ELi256ELi8E11block_iq1_sLi1EXadL_ZL18vec_dot_iq1_s_q8_1PKvPK10block_q8_1RKiEEEvS4_S4_PT_PS8_iiii.has_dyn_sized_stack, 0
	.set _ZL9moe_vec_qIN3c108BFloat16ELi256ELi8E11block_iq1_sLi1EXadL_ZL18vec_dot_iq1_s_q8_1PKvPK10block_q8_1RKiEEEvS4_S4_PT_PS8_iiii.has_recursion, 0
	.set _ZL9moe_vec_qIN3c108BFloat16ELi256ELi8E11block_iq1_sLi1EXadL_ZL18vec_dot_iq1_s_q8_1PKvPK10block_q8_1RKiEEEvS4_S4_PT_PS8_iiii.has_indirect_call, 0
	.section	.AMDGPU.csdata,"",@progbits
; Kernel info:
; codeLenInByte = 2096
; TotalNumSgprs: 22
; NumVgprs: 77
; ScratchSize: 0
; MemoryBound: 0
; FloatMode: 240
; IeeeMode: 1
; LDSByteSize: 0 bytes/workgroup (compile time only)
; SGPRBlocks: 0
; VGPRBlocks: 9
; NumSGPRsForWavesPerEU: 22
; NumVGPRsForWavesPerEU: 77
; Occupancy: 16
; WaveLimiterHint : 1
; COMPUTE_PGM_RSRC2:SCRATCH_EN: 0
; COMPUTE_PGM_RSRC2:USER_SGPR: 2
; COMPUTE_PGM_RSRC2:TRAP_HANDLER: 0
; COMPUTE_PGM_RSRC2:TGID_X_EN: 1
; COMPUTE_PGM_RSRC2:TGID_Y_EN: 0
; COMPUTE_PGM_RSRC2:TGID_Z_EN: 1
; COMPUTE_PGM_RSRC2:TIDIG_COMP_CNT: 1
	.section	.text._ZL9moe_vec_qIN3c108BFloat16ELi32ELi4E12block_iq4_nlLi2EXadL_ZL19vec_dot_iq4_nl_q8_1PKvPK10block_q8_1RKiEEEvS4_S4_PT_PS8_iiii,"axG",@progbits,_ZL9moe_vec_qIN3c108BFloat16ELi32ELi4E12block_iq4_nlLi2EXadL_ZL19vec_dot_iq4_nl_q8_1PKvPK10block_q8_1RKiEEEvS4_S4_PT_PS8_iiii,comdat
	.globl	_ZL9moe_vec_qIN3c108BFloat16ELi32ELi4E12block_iq4_nlLi2EXadL_ZL19vec_dot_iq4_nl_q8_1PKvPK10block_q8_1RKiEEEvS4_S4_PT_PS8_iiii ; -- Begin function _ZL9moe_vec_qIN3c108BFloat16ELi32ELi4E12block_iq4_nlLi2EXadL_ZL19vec_dot_iq4_nl_q8_1PKvPK10block_q8_1RKiEEEvS4_S4_PT_PS8_iiii
	.p2align	8
	.type	_ZL9moe_vec_qIN3c108BFloat16ELi32ELi4E12block_iq4_nlLi2EXadL_ZL19vec_dot_iq4_nl_q8_1PKvPK10block_q8_1RKiEEEvS4_S4_PT_PS8_iiii,@function
_ZL9moe_vec_qIN3c108BFloat16ELi32ELi4E12block_iq4_nlLi2EXadL_ZL19vec_dot_iq4_nl_q8_1PKvPK10block_q8_1RKiEEEvS4_S4_PT_PS8_iiii: ; @_ZL9moe_vec_qIN3c108BFloat16ELi32ELi4E12block_iq4_nlLi2EXadL_ZL19vec_dot_iq4_nl_q8_1PKvPK10block_q8_1RKiEEEvS4_S4_PT_PS8_iiii
; %bb.0:
	s_clause 0x1
	s_load_u16 s2, s[0:1], 0x3e
	s_load_b128 s[4:7], s[0:1], 0x20
	v_bfe_u32 v1, v0, 10, 10
	s_wait_kmcnt 0x0
	s_delay_alu instid0(VALU_DEP_1)
	v_mad_co_u64_u32 v[1:2], null, ttmp9, s2, v[1:2]
	s_mov_b32 s2, exec_lo
	v_cmpx_gt_u32_e64 s6, v1
	s_cbranch_execz .LBB289_7
; %bb.1:
	s_load_b64 s[8:9], s[0:1], 0x10
	s_cvt_f32_u32 s2, s4
	v_bfe_u32 v2, v0, 1, 9
	v_and_b32_e32 v0, 0x3ff, v0
	s_lshr_b32 s10, ttmp7, 16
	s_wait_alu 0xfffe
	v_rcp_iflag_f32_e32 v3, s2
	s_ashr_i32 s2, s5, 31
	s_mov_b32 s12, exec_lo
	s_wait_alu 0xfffe
	s_lshr_b32 s2, s2, 27
	s_wait_alu 0xfffe
	s_add_co_i32 s2, s5, s2
	s_wait_alu 0xfffe
	s_ashr_i32 s5, s2, 5
	s_delay_alu instid0(TRANS32_DEP_1)
	v_readfirstlane_b32 s2, v3
	v_mov_b32_e32 v3, 0
	v_cmpx_gt_u32_e64 s5, v2
	s_cbranch_execz .LBB289_5
; %bb.2:
	s_load_b64 s[14:15], s[0:1], 0x18
	s_mul_f32 s2, s2, 0x4f7ffffe
	s_sub_co_i32 s3, 0, s4
	s_lshl_b32 s13, s10, 2
	s_mov_b32 s11, 0
	s_wait_alu 0xfffe
	s_cvt_u32_f32 s2, s2
	v_lshlrev_b32_e32 v5, 1, v0
	v_mul_lo_u32 v4, v1, s5
	s_wait_alu 0xfffe
	s_mul_i32 s3, s3, s2
	s_wait_alu 0xfffe
	s_mul_hi_u32 s3, s2, s3
	v_and_b32_e32 v5, 2, v5
	s_delay_alu instid0(VALU_DEP_1)
	v_dual_mov_b32 v3, 0 :: v_dual_lshlrev_b32 v6, 1, v5
	v_lshlrev_b32_e32 v5, 2, v5
	s_wait_kmcnt 0x0
	s_load_b32 s13, s[14:15], s13 offset:0x0
	s_mov_b32 s15, s11
	s_add_co_i32 s14, s2, s3
	s_load_b128 s[0:3], s[0:1], 0x0
	s_mul_u64 s[14:15], s[10:11], s[14:15]
	s_mul_i32 s14, s5, s6
	s_mul_i32 s16, s15, s4
	s_add_co_i32 s17, s15, 1
	s_sub_co_i32 s16, s10, s16
	v_lshlrev_b32_e32 v6, 1, v6
	s_sub_co_i32 s18, s16, s4
	s_cmp_ge_u32 s16, s4
	s_cselect_b32 s15, s17, s15
	s_cselect_b32 s16, s18, s16
	s_add_co_i32 s17, s15, 1
	s_cmp_ge_u32 s16, s4
	s_cselect_b32 s4, s17, s15
	s_mov_b32 s17, s11
	s_wait_kmcnt 0x0
	s_mul_i32 s14, s14, s13
	s_wait_alu 0xfffe
	s_mul_i32 s16, s4, s7
	s_ashr_i32 s15, s14, 31
	s_lshl_b64 s[16:17], s[16:17], 2
	s_mul_u64 s[14:15], s[14:15], 18
	s_add_nc_u64 s[2:3], s[2:3], s[16:17]
	s_add_nc_u64 s[0:1], s[0:1], s[14:15]
	s_getpc_b64 s[14:15]
	s_sext_i32_i16 s15, s15
	s_add_co_u32 s14, s14, _ZL13kvalues_iq4nl@rel32@lo+8
	s_add_co_ci_u32 s15, s15, _ZL13kvalues_iq4nl@rel32@hi+16
.LBB289_3:                              ; =>This Inner Loop Header: Depth=1
	v_add_nc_u32_e32 v7, v4, v2
	s_wait_alu 0xfffe
	v_mad_co_i64_i32 v[11:12], null, v2, 36, s[2:3]
	s_delay_alu instid0(VALU_DEP_2) | instskip(NEXT) | instid1(VALU_DEP_1)
	v_mad_co_i64_i32 v[7:8], null, v7, 18, s[0:1]
	v_add_co_u32 v9, vcc_lo, v7, v6
	s_wait_alu 0xfffd
	s_delay_alu instid0(VALU_DEP_2) | instskip(NEXT) | instid1(VALU_DEP_4)
	v_add_co_ci_u32_e64 v10, null, 0, v8, vcc_lo
	v_add_co_u32 v13, vcc_lo, v11, v5
	s_wait_alu 0xfffd
	v_add_co_ci_u32_e64 v14, null, 0, v12, vcc_lo
	global_load_b64 v[9:10], v[9:10], off offset:2
	global_load_b64 v[15:16], v[13:14], off offset:4
	s_wait_loadcnt 0x1
	v_and_b32_e32 v18, 15, v9
	v_bfe_u32 v19, v9, 8, 4
	v_bfe_u32 v20, v9, 16, 4
	;; [unrolled: 1-line block ×5, first 2 shown]
	v_lshrrev_b32_e32 v23, 28, v9
	v_bfe_u32 v9, v9, 4, 4
	s_clause 0x7
	global_load_i8 v18, v18, s[14:15]
	global_load_i8 v19, v19, s[14:15]
	;; [unrolled: 1-line block ×8, first 2 shown]
	v_and_b32_e32 v25, 15, v10
	v_bfe_u32 v26, v10, 8, 4
	v_bfe_u32 v27, v10, 16, 4
	;; [unrolled: 1-line block ×5, first 2 shown]
	v_lshrrev_b32_e32 v30, 28, v10
	v_bfe_u32 v9, v10, 4, 4
	s_clause 0x7
	global_load_i8 v25, v25, s[14:15]
	global_load_i8 v26, v26, s[14:15]
	;; [unrolled: 1-line block ×8, first 2 shown]
	s_clause 0x1
	global_load_b64 v[9:10], v[13:14], off offset:20
	global_load_b32 v11, v[11:12], off
	global_load_u16 v7, v[7:8], off
	s_wait_loadcnt 0x11
	v_perm_b32 v8, v19, v18, 0xc0c0400
	s_wait_loadcnt 0xe
	v_perm_b32 v13, v21, v31, 0xc0c0400
	;; [unrolled: 2-line block ×4, first 2 shown]
	s_delay_alu instid0(VALU_DEP_2) | instskip(NEXT) | instid1(VALU_DEP_2)
	v_or_b32_e32 v13, v14, v13
	v_or_b32_e32 v8, v12, v8
	s_wait_loadcnt 0x9
	v_perm_b32 v12, v26, v25, 0xc0c0400
	s_wait_loadcnt 0x4
	v_perm_b32 v17, v24, v27, 0x4000c0c
	;; [unrolled: 2-line block ×3, first 2 shown]
	s_wait_loadcnt 0x1
	v_cvt_f32_f16_e32 v11, v11
	v_dot4_i32_iu8 v8, v15, v8, 0 neg_lo:[1,1,0]
	v_perm_b32 v15, v30, v29, 0x4000c0c
	v_or_b32_e32 v12, v17, v12
	s_wait_loadcnt 0x0
	v_cvt_f32_f16_e32 v7, v7
	v_dot4_i32_iu8 v8, v9, v13, v8 neg_lo:[1,1,0]
	v_or_b32_e32 v9, v15, v14
	s_delay_alu instid0(VALU_DEP_3) | instskip(NEXT) | instid1(VALU_DEP_3)
	v_mul_f32_e32 v7, v7, v11
	v_dot4_i32_iu8 v8, v16, v12, v8 neg_lo:[1,1,0]
	s_delay_alu instid0(VALU_DEP_1) | instskip(NEXT) | instid1(VALU_DEP_1)
	v_dot4_i32_iu8 v8, v10, v9, v8 neg_lo:[1,1,0]
	v_cvt_f32_i32_e32 v8, v8
	s_delay_alu instid0(VALU_DEP_1) | instskip(NEXT) | instid1(VALU_DEP_1)
	v_dual_fmac_f32 v3, v7, v8 :: v_dual_add_nc_u32 v2, 16, v2
	v_cmp_le_u32_e32 vcc_lo, s5, v2
	s_or_b32 s11, vcc_lo, s11
	s_delay_alu instid0(SALU_CYCLE_1)
	s_and_not1_b32 exec_lo, exec_lo, s11
	s_cbranch_execnz .LBB289_3
; %bb.4:
	s_or_b32 exec_lo, exec_lo, s11
.LBB289_5:
	s_delay_alu instid0(SALU_CYCLE_1) | instskip(SKIP_1) | instid1(VALU_DEP_1)
	s_or_b32 exec_lo, exec_lo, s12
	v_mbcnt_lo_u32_b32 v2, -1, 0
	v_xor_b32_e32 v4, 16, v2
	v_xor_b32_e32 v5, 8, v2
	s_delay_alu instid0(VALU_DEP_2) | instskip(SKIP_2) | instid1(VALU_DEP_3)
	v_cmp_gt_i32_e32 vcc_lo, 32, v4
	s_wait_alu 0xfffd
	v_cndmask_b32_e32 v4, v2, v4, vcc_lo
	v_cmp_gt_i32_e32 vcc_lo, 32, v5
	s_wait_alu 0xfffd
	v_cndmask_b32_e32 v5, v2, v5, vcc_lo
	s_delay_alu instid0(VALU_DEP_1)
	v_lshlrev_b32_e32 v5, 2, v5
	v_lshlrev_b32_e32 v4, 2, v4
	ds_bpermute_b32 v4, v4, v3
	s_wait_dscnt 0x0
	v_add_f32_e32 v3, v3, v4
	ds_bpermute_b32 v4, v5, v3
	v_xor_b32_e32 v5, 4, v2
	s_delay_alu instid0(VALU_DEP_1) | instskip(SKIP_2) | instid1(VALU_DEP_1)
	v_cmp_gt_i32_e32 vcc_lo, 32, v5
	s_wait_alu 0xfffd
	v_cndmask_b32_e32 v5, v2, v5, vcc_lo
	v_lshlrev_b32_e32 v5, 2, v5
	s_wait_dscnt 0x0
	v_add_f32_e32 v3, v3, v4
	ds_bpermute_b32 v4, v5, v3
	v_xor_b32_e32 v5, 2, v2
	s_delay_alu instid0(VALU_DEP_1) | instskip(SKIP_2) | instid1(VALU_DEP_1)
	v_cmp_gt_i32_e32 vcc_lo, 32, v5
	s_wait_alu 0xfffd
	v_cndmask_b32_e32 v5, v2, v5, vcc_lo
	v_lshlrev_b32_e32 v5, 2, v5
	s_wait_dscnt 0x0
	v_add_f32_e32 v3, v3, v4
	ds_bpermute_b32 v4, v5, v3
	v_xor_b32_e32 v5, 1, v2
	s_delay_alu instid0(VALU_DEP_1) | instskip(SKIP_4) | instid1(VALU_DEP_2)
	v_cmp_gt_i32_e32 vcc_lo, 32, v5
	s_wait_alu 0xfffd
	v_cndmask_b32_e32 v5, v2, v5, vcc_lo
	v_cmp_eq_u32_e32 vcc_lo, 0, v0
	s_wait_dscnt 0x0
	v_dual_add_f32 v2, v3, v4 :: v_dual_lshlrev_b32 v3, 2, v5
	ds_bpermute_b32 v3, v3, v2
	s_and_b32 exec_lo, exec_lo, vcc_lo
	s_cbranch_execz .LBB289_7
; %bb.6:
	s_wait_dscnt 0x0
	v_add_f32_e32 v2, v2, v3
	s_delay_alu instid0(VALU_DEP_1) | instskip(SKIP_3) | instid1(VALU_DEP_2)
	v_mad_co_u64_u32 v[0:1], null, s6, s10, v[1:2]
	v_mov_b32_e32 v1, 0
	v_bfe_u32 v3, v2, 16, 1
	v_cmp_o_f32_e32 vcc_lo, v2, v2
	v_add3_u32 v3, v2, v3, 0x7fff
	s_delay_alu instid0(VALU_DEP_4) | instskip(NEXT) | instid1(VALU_DEP_2)
	v_lshlrev_b64_e32 v[0:1], 1, v[0:1]
	v_lshrrev_b32_e32 v3, 16, v3
	s_wait_alu 0xfffd
	s_delay_alu instid0(VALU_DEP_1) | instskip(SKIP_1) | instid1(VALU_DEP_3)
	v_cndmask_b32_e32 v2, 0x7fc0, v3, vcc_lo
	s_wait_kmcnt 0x0
	v_add_co_u32 v0, vcc_lo, s8, v0
	s_wait_alu 0xfffd
	v_add_co_ci_u32_e64 v1, null, s9, v1, vcc_lo
	global_store_b16 v[0:1], v2, off
.LBB289_7:
	s_endpgm
	.section	.rodata,"a",@progbits
	.p2align	6, 0x0
	.amdhsa_kernel _ZL9moe_vec_qIN3c108BFloat16ELi32ELi4E12block_iq4_nlLi2EXadL_ZL19vec_dot_iq4_nl_q8_1PKvPK10block_q8_1RKiEEEvS4_S4_PT_PS8_iiii
		.amdhsa_group_segment_fixed_size 0
		.amdhsa_private_segment_fixed_size 0
		.amdhsa_kernarg_size 304
		.amdhsa_user_sgpr_count 2
		.amdhsa_user_sgpr_dispatch_ptr 0
		.amdhsa_user_sgpr_queue_ptr 0
		.amdhsa_user_sgpr_kernarg_segment_ptr 1
		.amdhsa_user_sgpr_dispatch_id 0
		.amdhsa_user_sgpr_private_segment_size 0
		.amdhsa_wavefront_size32 1
		.amdhsa_uses_dynamic_stack 0
		.amdhsa_enable_private_segment 0
		.amdhsa_system_sgpr_workgroup_id_x 1
		.amdhsa_system_sgpr_workgroup_id_y 0
		.amdhsa_system_sgpr_workgroup_id_z 1
		.amdhsa_system_sgpr_workgroup_info 0
		.amdhsa_system_vgpr_workitem_id 1
		.amdhsa_next_free_vgpr 33
		.amdhsa_next_free_sgpr 19
		.amdhsa_reserve_vcc 1
		.amdhsa_float_round_mode_32 0
		.amdhsa_float_round_mode_16_64 0
		.amdhsa_float_denorm_mode_32 3
		.amdhsa_float_denorm_mode_16_64 3
		.amdhsa_fp16_overflow 0
		.amdhsa_workgroup_processor_mode 1
		.amdhsa_memory_ordered 1
		.amdhsa_forward_progress 1
		.amdhsa_inst_pref_size 12
		.amdhsa_round_robin_scheduling 0
		.amdhsa_exception_fp_ieee_invalid_op 0
		.amdhsa_exception_fp_denorm_src 0
		.amdhsa_exception_fp_ieee_div_zero 0
		.amdhsa_exception_fp_ieee_overflow 0
		.amdhsa_exception_fp_ieee_underflow 0
		.amdhsa_exception_fp_ieee_inexact 0
		.amdhsa_exception_int_div_zero 0
	.end_amdhsa_kernel
	.section	.text._ZL9moe_vec_qIN3c108BFloat16ELi32ELi4E12block_iq4_nlLi2EXadL_ZL19vec_dot_iq4_nl_q8_1PKvPK10block_q8_1RKiEEEvS4_S4_PT_PS8_iiii,"axG",@progbits,_ZL9moe_vec_qIN3c108BFloat16ELi32ELi4E12block_iq4_nlLi2EXadL_ZL19vec_dot_iq4_nl_q8_1PKvPK10block_q8_1RKiEEEvS4_S4_PT_PS8_iiii,comdat
.Lfunc_end289:
	.size	_ZL9moe_vec_qIN3c108BFloat16ELi32ELi4E12block_iq4_nlLi2EXadL_ZL19vec_dot_iq4_nl_q8_1PKvPK10block_q8_1RKiEEEvS4_S4_PT_PS8_iiii, .Lfunc_end289-_ZL9moe_vec_qIN3c108BFloat16ELi32ELi4E12block_iq4_nlLi2EXadL_ZL19vec_dot_iq4_nl_q8_1PKvPK10block_q8_1RKiEEEvS4_S4_PT_PS8_iiii
                                        ; -- End function
	.set _ZL9moe_vec_qIN3c108BFloat16ELi32ELi4E12block_iq4_nlLi2EXadL_ZL19vec_dot_iq4_nl_q8_1PKvPK10block_q8_1RKiEEEvS4_S4_PT_PS8_iiii.num_vgpr, 33
	.set _ZL9moe_vec_qIN3c108BFloat16ELi32ELi4E12block_iq4_nlLi2EXadL_ZL19vec_dot_iq4_nl_q8_1PKvPK10block_q8_1RKiEEEvS4_S4_PT_PS8_iiii.num_agpr, 0
	.set _ZL9moe_vec_qIN3c108BFloat16ELi32ELi4E12block_iq4_nlLi2EXadL_ZL19vec_dot_iq4_nl_q8_1PKvPK10block_q8_1RKiEEEvS4_S4_PT_PS8_iiii.numbered_sgpr, 19
	.set _ZL9moe_vec_qIN3c108BFloat16ELi32ELi4E12block_iq4_nlLi2EXadL_ZL19vec_dot_iq4_nl_q8_1PKvPK10block_q8_1RKiEEEvS4_S4_PT_PS8_iiii.num_named_barrier, 0
	.set _ZL9moe_vec_qIN3c108BFloat16ELi32ELi4E12block_iq4_nlLi2EXadL_ZL19vec_dot_iq4_nl_q8_1PKvPK10block_q8_1RKiEEEvS4_S4_PT_PS8_iiii.private_seg_size, 0
	.set _ZL9moe_vec_qIN3c108BFloat16ELi32ELi4E12block_iq4_nlLi2EXadL_ZL19vec_dot_iq4_nl_q8_1PKvPK10block_q8_1RKiEEEvS4_S4_PT_PS8_iiii.uses_vcc, 1
	.set _ZL9moe_vec_qIN3c108BFloat16ELi32ELi4E12block_iq4_nlLi2EXadL_ZL19vec_dot_iq4_nl_q8_1PKvPK10block_q8_1RKiEEEvS4_S4_PT_PS8_iiii.uses_flat_scratch, 0
	.set _ZL9moe_vec_qIN3c108BFloat16ELi32ELi4E12block_iq4_nlLi2EXadL_ZL19vec_dot_iq4_nl_q8_1PKvPK10block_q8_1RKiEEEvS4_S4_PT_PS8_iiii.has_dyn_sized_stack, 0
	.set _ZL9moe_vec_qIN3c108BFloat16ELi32ELi4E12block_iq4_nlLi2EXadL_ZL19vec_dot_iq4_nl_q8_1PKvPK10block_q8_1RKiEEEvS4_S4_PT_PS8_iiii.has_recursion, 0
	.set _ZL9moe_vec_qIN3c108BFloat16ELi32ELi4E12block_iq4_nlLi2EXadL_ZL19vec_dot_iq4_nl_q8_1PKvPK10block_q8_1RKiEEEvS4_S4_PT_PS8_iiii.has_indirect_call, 0
	.section	.AMDGPU.csdata,"",@progbits
; Kernel info:
; codeLenInByte = 1416
; TotalNumSgprs: 21
; NumVgprs: 33
; ScratchSize: 0
; MemoryBound: 0
; FloatMode: 240
; IeeeMode: 1
; LDSByteSize: 0 bytes/workgroup (compile time only)
; SGPRBlocks: 0
; VGPRBlocks: 4
; NumSGPRsForWavesPerEU: 21
; NumVGPRsForWavesPerEU: 33
; Occupancy: 16
; WaveLimiterHint : 1
; COMPUTE_PGM_RSRC2:SCRATCH_EN: 0
; COMPUTE_PGM_RSRC2:USER_SGPR: 2
; COMPUTE_PGM_RSRC2:TRAP_HANDLER: 0
; COMPUTE_PGM_RSRC2:TGID_X_EN: 1
; COMPUTE_PGM_RSRC2:TGID_Y_EN: 0
; COMPUTE_PGM_RSRC2:TGID_Z_EN: 1
; COMPUTE_PGM_RSRC2:TIDIG_COMP_CNT: 1
	.section	.text._ZL9moe_vec_qIN3c108BFloat16ELi256ELi8E11block_iq3_sLi1EXadL_ZL18vec_dot_iq3_s_q8_1PKvPK10block_q8_1RKiEEEvS4_S4_PT_PS8_iiii,"axG",@progbits,_ZL9moe_vec_qIN3c108BFloat16ELi256ELi8E11block_iq3_sLi1EXadL_ZL18vec_dot_iq3_s_q8_1PKvPK10block_q8_1RKiEEEvS4_S4_PT_PS8_iiii,comdat
	.globl	_ZL9moe_vec_qIN3c108BFloat16ELi256ELi8E11block_iq3_sLi1EXadL_ZL18vec_dot_iq3_s_q8_1PKvPK10block_q8_1RKiEEEvS4_S4_PT_PS8_iiii ; -- Begin function _ZL9moe_vec_qIN3c108BFloat16ELi256ELi8E11block_iq3_sLi1EXadL_ZL18vec_dot_iq3_s_q8_1PKvPK10block_q8_1RKiEEEvS4_S4_PT_PS8_iiii
	.p2align	8
	.type	_ZL9moe_vec_qIN3c108BFloat16ELi256ELi8E11block_iq3_sLi1EXadL_ZL18vec_dot_iq3_s_q8_1PKvPK10block_q8_1RKiEEEvS4_S4_PT_PS8_iiii,@function
_ZL9moe_vec_qIN3c108BFloat16ELi256ELi8E11block_iq3_sLi1EXadL_ZL18vec_dot_iq3_s_q8_1PKvPK10block_q8_1RKiEEEvS4_S4_PT_PS8_iiii: ; @_ZL9moe_vec_qIN3c108BFloat16ELi256ELi8E11block_iq3_sLi1EXadL_ZL18vec_dot_iq3_s_q8_1PKvPK10block_q8_1RKiEEEvS4_S4_PT_PS8_iiii
; %bb.0:
	s_clause 0x1
	s_load_u16 s2, s[0:1], 0x3e
	s_load_b128 s[4:7], s[0:1], 0x20
	v_bfe_u32 v1, v0, 10, 10
	s_wait_kmcnt 0x0
	s_delay_alu instid0(VALU_DEP_1)
	v_mad_co_u64_u32 v[1:2], null, ttmp9, s2, v[1:2]
	s_mov_b32 s2, exec_lo
	v_cmpx_gt_u32_e64 s6, v1
	s_cbranch_execz .LBB290_9
; %bb.1:
	s_load_b64 s[8:9], s[0:1], 0x10
	s_ashr_i32 s2, s5, 31
	v_bfe_u32 v18, v0, 3, 7
	s_wait_alu 0xfffe
	s_lshr_b32 s2, s2, 24
	v_dual_mov_b32 v19, 0 :: v_dual_and_b32 v0, 0x3ff, v0
	s_wait_alu 0xfffe
	s_add_co_i32 s2, s5, s2
	s_lshr_b32 s10, ttmp7, 16
	s_wait_alu 0xfffe
	s_ashr_i32 s11, s2, 8
	s_mov_b32 s12, exec_lo
	v_cmpx_gt_u32_e64 s11, v18
	s_cbranch_execz .LBB290_7
; %bb.2:
	s_load_b64 s[14:15], s[0:1], 0x18
	s_cvt_f32_u32 s2, s4
	s_lshl_b32 s13, s10, 2
	s_mul_i32 s16, s11, s6
	v_and_b32_e32 v21, 7, v0
	s_wait_alu 0xfffe
	v_rcp_iflag_f32_e32 v2, s2
	s_load_b128 s[0:3], s[0:1], 0x0
	v_mov_b32_e32 v19, 0
	v_mul_lo_u32 v20, v1, s11
	v_lshlrev_b32_e32 v3, 3, v21
	v_bfe_u32 v22, v0, 1, 2
	s_delay_alu instid0(TRANS32_DEP_1)
	v_readfirstlane_b32 s5, v2
	v_lshlrev_b32_e32 v2, 2, v0
	v_add_nc_u32_e32 v24, v18, v20
	s_wait_kmcnt 0x0
	s_load_b32 s13, s[14:15], s13 offset:0x0
	s_mul_f32 s14, s5, 0x4f7ffffe
	s_sub_co_i32 s15, 0, s4
	v_and_b32_e32 v23, 4, v2
	v_lshlrev_b32_e32 v2, 2, v21
	s_cvt_u32_f32 s14, s14
	s_mov_b32 s5, 0
	s_delay_alu instid0(SALU_CYCLE_2) | instskip(NEXT) | instid1(SALU_CYCLE_1)
	s_mul_i32 s15, s15, s14
	s_mul_hi_u32 s15, s14, s15
	s_delay_alu instid0(SALU_CYCLE_1) | instskip(NEXT) | instid1(SALU_CYCLE_1)
	s_add_co_i32 s14, s14, s15
	s_mul_hi_u32 s17, s10, s14
	s_delay_alu instid0(SALU_CYCLE_1)
	s_mul_i32 s14, s17, s4
	s_add_co_i32 s18, s17, 1
	s_sub_co_i32 s19, s10, s14
	s_wait_kmcnt 0x0
	s_mul_i32 s14, s16, s13
	s_sub_co_i32 s13, s19, s4
	s_ashr_i32 s15, s14, 31
	s_cmp_ge_u32 s19, s4
	s_mul_u64 s[14:15], s[14:15], 0x6e
	s_cselect_b32 s16, s18, s17
	s_cselect_b32 s13, s13, s19
	s_add_co_i32 s17, s16, 1
	s_cmp_ge_u32 s13, s4
	s_add_nc_u64 s[0:1], s[0:1], s[14:15]
	s_cselect_b32 s4, s17, s16
	s_delay_alu instid0(SALU_CYCLE_1)
	s_mul_i32 s4, s4, s7
	s_wait_alu 0xfffe
	v_add_co_u32 v2, s7, s0, v2
	s_wait_alu 0xf1ff
	v_add_co_ci_u32_e64 v4, null, s1, 0, s7
	s_lshl_b64 s[14:15], s[4:5], 2
	v_add_co_u32 v6, s4, s0, v3
	s_delay_alu instid0(VALU_DEP_1) | instskip(SKIP_2) | instid1(VALU_DEP_1)
	v_add_co_ci_u32_e64 v7, null, s1, 0, s4
	s_add_nc_u64 s[2:3], s[2:3], s[14:15]
	v_add_co_u32 v2, vcc_lo, 0x4a, v2
	v_add_co_ci_u32_e64 v3, null, 0, v4, vcc_lo
	s_wait_alu 0xfffe
	v_mad_co_u64_u32 v[4:5], null, v21, 36, s[2:3]
	v_add_co_u32 v6, vcc_lo, v6, 2
	s_wait_alu 0xfffd
	v_add_co_ci_u32_e64 v7, null, 0, v7, vcc_lo
.LBB290_3:                              ; =>This Loop Header: Depth=1
                                        ;     Child Loop BB290_4 Depth 2
	v_dual_mov_b32 v25, 0 :: v_dual_add_nc_u32 v8, v18, v20
	v_mad_co_i64_i32 v[12:13], null, 0x6e, v24, v[2:3]
	s_delay_alu instid0(VALU_DEP_3) | instskip(NEXT) | instid1(VALU_DEP_3)
	v_mad_co_i64_i32 v[14:15], null, 0x6e, v24, v[6:7]
	v_mad_co_i64_i32 v[8:9], null, 0x6e, v8, s[0:1]
	s_mov_b32 s2, 7
	v_add_co_u32 v10, vcc_lo, v8, v21
	s_wait_alu 0xfffd
	v_add_co_ci_u32_e64 v11, null, 0, v9, vcc_lo
	global_load_u8 v26, v[10:11], off offset:66
	v_lshlrev_b32_e32 v10, 3, v18
	s_delay_alu instid0(VALU_DEP_1) | instskip(NEXT) | instid1(VALU_DEP_1)
	v_mad_co_i64_i32 v[10:11], null, v10, 36, v[4:5]
	v_add_co_u32 v16, vcc_lo, v10, 4
	s_wait_alu 0xfffd
	s_delay_alu instid0(VALU_DEP_2)
	v_add_co_ci_u32_e64 v17, null, 0, v11, vcc_lo
.LBB290_4:                              ;   Parent Loop BB290_3 Depth=1
                                        ; =>  This Inner Loop Header: Depth=2
	global_load_u16 v27, v[14:15], off
	global_load_u8 v29, v[12:13], off
	s_wait_alu 0xfffe
	s_add_co_i32 s3, s2, 1
	s_wait_loadcnt 0x2
	v_lshlrev_b32_e32 v28, s2, v26
	s_wait_alu 0xfffe
	v_lshlrev_b32_e32 v30, s3, v26
	s_getpc_b64 s[14:15]
	s_sext_i32_i16 s15, s15
	s_add_co_u32 s14, s14, _ZL10iq3xs_grid@rel32@lo+8
	s_add_co_ci_u32 s15, s15, _ZL10iq3xs_grid@rel32@hi+16
	s_add_co_i32 s2, s2, -2
	s_wait_alu 0xfffe
	s_cmp_lg_u32 s2, -1
	s_wait_loadcnt 0x1
	v_lshrrev_b16 v31, 8, v27
	v_and_b32_e32 v27, 0xff, v27
	s_wait_loadcnt 0x0
	v_and_b32_e32 v32, 15, v29
	v_lshrrev_b16 v29, 4, v29
	v_and_b32_e32 v31, 0xffff, v31
	v_and_or_b32 v27, 0x100, v30, v27
	s_delay_alu instid0(VALU_DEP_4) | instskip(NEXT) | instid1(VALU_DEP_4)
	v_and_b32_e32 v32, 0xffff, v32
	v_and_b32_e32 v29, 0xffff, v29
	s_delay_alu instid0(VALU_DEP_4) | instskip(NEXT) | instid1(VALU_DEP_4)
	v_and_or_b32 v28, 0x100, v28, v31
	v_lshlrev_b32_e32 v27, 2, v27
	s_delay_alu instid0(VALU_DEP_4) | instskip(NEXT) | instid1(VALU_DEP_4)
	v_mul_lo_u32 v32, 0x1010101, v32
	v_mul_lo_u32 v29, 0x1010101, v29
	s_delay_alu instid0(VALU_DEP_4)
	v_lshlrev_b32_e32 v28, 2, v28
	s_clause 0x1
	global_load_b32 v30, v27, s[14:15]
	global_load_b32 v31, v28, s[14:15]
	global_load_b64 v[27:28], v[16:17], off
	v_not_b32_e32 v32, v32
	v_add_co_u32 v16, vcc_lo, v16, 8
	s_wait_alu 0xfffd
	v_add_co_ci_u32_e64 v17, null, 0, v17, vcc_lo
	s_delay_alu instid0(VALU_DEP_3)
	v_and_b32_e32 v39, 0x8040201, v32
	v_and_b32_e32 v40, 0x40000, v32
	;; [unrolled: 1-line block ×3, first 2 shown]
	v_not_b32_e32 v29, v29
	v_and_b32_e32 v32, 1, v32
	v_cmp_gt_u32_e32 vcc_lo, 0x1000000, v39
	s_delay_alu instid0(VALU_DEP_3)
	v_and_b32_e32 v42, 0x8040201, v29
	v_and_b32_e32 v43, 0x40000, v29
	s_wait_alu 0xfffd
	v_cndmask_b32_e64 v39, 0, -1, vcc_lo
	v_cmp_eq_u32_e32 vcc_lo, 0, v40
	v_and_b32_e32 v44, 0x200, v29
	v_and_b32_e32 v29, 1, v29
	s_delay_alu instid0(VALU_DEP_4)
	v_lshlrev_b32_e32 v39, 24, v39
	s_wait_alu 0xfffd
	v_cndmask_b32_e64 v40, 0, 0xff0000, vcc_lo
	v_cmp_eq_u32_e32 vcc_lo, 0, v41
	s_wait_alu 0xfffd
	v_cndmask_b32_e64 v41, 0, 0xff00, vcc_lo
	v_cmp_eq_u32_e32 vcc_lo, 0, v32
	s_wait_alu 0xfffd
	v_cndmask_b32_e64 v32, 0, 0xff, vcc_lo
	v_cmp_gt_u32_e32 vcc_lo, 0x1000000, v42
	s_delay_alu instid0(VALU_DEP_2) | instskip(SKIP_3) | instid1(VALU_DEP_3)
	v_or_b32_e32 v45, v41, v32
	s_wait_alu 0xfffd
	v_cndmask_b32_e64 v42, 0, -1, vcc_lo
	v_cmp_eq_u32_e32 vcc_lo, 0, v43
	v_or3_b32 v45, v45, v40, v39
	s_delay_alu instid0(VALU_DEP_3)
	v_lshlrev_b32_e32 v42, 24, v42
	s_wait_alu 0xfffd
	v_cndmask_b32_e64 v43, 0, 0xff0000, vcc_lo
	v_cmp_eq_u32_e32 vcc_lo, 0, v44
	s_wait_alu 0xfffd
	v_cndmask_b32_e64 v44, 0, 0xff00, vcc_lo
	v_cmp_eq_u32_e32 vcc_lo, 0, v29
	s_wait_alu 0xfffd
	v_cndmask_b32_e64 v29, 0, 0xff, vcc_lo
	v_add_co_u32 v12, vcc_lo, v12, 1
	s_wait_alu 0xfffd
	v_add_co_ci_u32_e64 v13, null, 0, v13, vcc_lo
	s_delay_alu instid0(VALU_DEP_3) | instskip(SKIP_3) | instid1(VALU_DEP_3)
	v_or_b32_e32 v46, v44, v29
	v_add_co_u32 v14, vcc_lo, v14, 2
	s_wait_alu 0xfffd
	v_add_co_ci_u32_e64 v15, null, 0, v15, vcc_lo
	v_or3_b32 v46, v46, v43, v42
	s_wait_loadcnt 0x2
	v_xor_b32_e32 v30, v45, v30
	s_wait_loadcnt 0x1
	s_delay_alu instid0(VALU_DEP_2)
	v_xor_b32_e32 v31, v46, v31
	s_wait_loadcnt 0x0
	v_lshrrev_b16 v33, 8, v27
	v_ashrrev_i32_e32 v35, 24, v27
	v_bfe_i32 v36, v27, 16, 8
	v_sub_nc_u32_e32 v40, v30, v40
	v_sub_nc_u32_e32 v32, v30, v32
	v_sub_nc_u32_e32 v41, v30, v41
	v_sub_nc_u32_e32 v30, v30, v39
	v_sub_nc_u32_e32 v39, v31, v43
	v_sub_nc_u32_e32 v29, v31, v29
	v_perm_b32 v32, v40, v32, 0xc060c00
	v_bfe_i32 v27, v27, 0, 8
	v_lshrrev_b16 v40, 8, v41
	v_sub_nc_u32_e32 v41, v31, v44
	v_sub_nc_u32_e32 v31, v31, v42
	v_perm_b32 v29, v39, v29, 0xc060c00
	v_bfe_i32 v39, v32, 0, 8
	v_lshrrev_b16 v34, 8, v28
	v_ashrrev_i32_e32 v37, 24, v28
	v_bfe_i32 v38, v28, 16, 8
	v_bfe_i32 v33, v33, 0, 8
	v_lshrrev_b16 v41, 8, v41
	v_bfe_i32 v40, v40, 0, 8
	v_ashrrev_i32_e32 v31, 24, v31
	v_mul_i32_i24_e32 v27, v39, v27
	v_bfe_i32 v39, v29, 16, 8
	v_bfe_i32 v28, v28, 0, 8
	;; [unrolled: 1-line block ×3, first 2 shown]
	v_ashrrev_i32_e32 v30, 24, v30
	v_bfe_i32 v32, v32, 16, 8
	v_mul_i32_i24_e32 v33, v40, v33
	v_bfe_i32 v29, v29, 0, 8
	v_bfe_i32 v40, v41, 0, 8
	v_mul_i32_i24_e32 v31, v31, v37
	v_mul_i32_i24_e32 v37, v39, v38
	s_delay_alu instid0(VALU_DEP_4) | instskip(NEXT) | instid1(VALU_DEP_4)
	v_mul_i32_i24_e32 v28, v29, v28
	v_mul_i32_i24_e32 v29, v40, v34
	s_delay_alu instid0(VALU_DEP_4) | instskip(NEXT) | instid1(VALU_DEP_4)
	v_mad_i32_i24 v30, v30, v35, v31
	v_mad_i32_i24 v31, v32, v36, v37
	s_delay_alu instid0(VALU_DEP_2) | instskip(NEXT) | instid1(VALU_DEP_2)
	v_add3_u32 v29, v33, v29, v30
	v_add3_u32 v27, v27, v28, v31
	s_delay_alu instid0(VALU_DEP_1)
	v_add3_u32 v25, v27, v29, v25
	s_cbranch_scc1 .LBB290_4
; %bb.5:                                ;   in Loop: Header=BB290_3 Depth=1
	v_add_co_u32 v12, vcc_lo, v8, v22
	s_wait_alu 0xfffd
	v_add_co_ci_u32_e64 v13, null, 0, v9, vcc_lo
	v_add_nc_u32_e32 v18, 4, v18
	v_add_nc_u32_e32 v24, 4, v24
	s_clause 0x1
	global_load_u8 v12, v[12:13], off offset:106
	global_load_u16 v8, v[8:9], off
	global_load_b32 v9, v[10:11], off
	v_cmp_le_u32_e32 vcc_lo, s11, v18
	s_or_b32 s5, vcc_lo, s5
	s_wait_loadcnt 0x2
	v_bfe_u32 v10, v12, v23, 4
	s_wait_loadcnt 0x1
	v_cvt_f32_f16_e32 v8, v8
	s_wait_loadcnt 0x0
	v_cvt_f32_f16_e32 v9, v9
	v_cvt_f32_ubyte0_e32 v10, v10
	s_delay_alu instid0(VALU_DEP_1) | instskip(NEXT) | instid1(VALU_DEP_1)
	v_add_f32_e32 v10, 0.5, v10
	v_mul_f32_e32 v8, v10, v8
	s_delay_alu instid0(VALU_DEP_1) | instskip(SKIP_1) | instid1(VALU_DEP_2)
	v_mul_f32_e32 v8, v8, v9
	v_cvt_f32_i32_e32 v9, v25
	v_mul_f32_e32 v8, 0.5, v8
	s_delay_alu instid0(VALU_DEP_1)
	v_fmac_f32_e32 v19, v8, v9
	s_wait_alu 0xfffe
	s_and_not1_b32 exec_lo, exec_lo, s5
	s_cbranch_execnz .LBB290_3
; %bb.6:
	s_or_b32 exec_lo, exec_lo, s5
.LBB290_7:
	s_delay_alu instid0(SALU_CYCLE_1) | instskip(SKIP_1) | instid1(VALU_DEP_1)
	s_or_b32 exec_lo, exec_lo, s12
	v_mbcnt_lo_u32_b32 v2, -1, 0
	v_xor_b32_e32 v3, 16, v2
	v_xor_b32_e32 v4, 8, v2
	;; [unrolled: 1-line block ×3, first 2 shown]
	s_delay_alu instid0(VALU_DEP_3)
	v_cmp_gt_i32_e32 vcc_lo, 32, v3
	s_wait_alu 0xfffd
	v_cndmask_b32_e32 v3, v2, v3, vcc_lo
	v_cmp_gt_i32_e32 vcc_lo, 32, v4
	s_wait_alu 0xfffd
	v_cndmask_b32_e32 v4, v2, v4, vcc_lo
	v_cmp_gt_i32_e32 vcc_lo, 32, v5
	s_delay_alu instid0(VALU_DEP_2)
	v_lshlrev_b32_e32 v4, 2, v4
	v_lshlrev_b32_e32 v3, 2, v3
	s_wait_alu 0xfffd
	v_cndmask_b32_e32 v5, v2, v5, vcc_lo
	ds_bpermute_b32 v3, v3, v19
	v_lshlrev_b32_e32 v5, 2, v5
	s_wait_dscnt 0x0
	v_add_f32_e32 v3, v19, v3
	ds_bpermute_b32 v4, v4, v3
	s_wait_dscnt 0x0
	v_add_f32_e32 v3, v3, v4
	ds_bpermute_b32 v4, v5, v3
	v_xor_b32_e32 v5, 2, v2
	s_delay_alu instid0(VALU_DEP_1) | instskip(SKIP_2) | instid1(VALU_DEP_1)
	v_cmp_gt_i32_e32 vcc_lo, 32, v5
	s_wait_alu 0xfffd
	v_cndmask_b32_e32 v5, v2, v5, vcc_lo
	v_lshlrev_b32_e32 v5, 2, v5
	s_wait_dscnt 0x0
	v_add_f32_e32 v3, v3, v4
	ds_bpermute_b32 v4, v5, v3
	v_xor_b32_e32 v5, 1, v2
	s_delay_alu instid0(VALU_DEP_1) | instskip(SKIP_4) | instid1(VALU_DEP_2)
	v_cmp_gt_i32_e32 vcc_lo, 32, v5
	s_wait_alu 0xfffd
	v_cndmask_b32_e32 v5, v2, v5, vcc_lo
	v_cmp_eq_u32_e32 vcc_lo, 0, v0
	s_wait_dscnt 0x0
	v_dual_add_f32 v2, v3, v4 :: v_dual_lshlrev_b32 v3, 2, v5
	ds_bpermute_b32 v3, v3, v2
	s_and_b32 exec_lo, exec_lo, vcc_lo
	s_cbranch_execz .LBB290_9
; %bb.8:
	s_wait_dscnt 0x0
	v_add_f32_e32 v2, v2, v3
	s_delay_alu instid0(VALU_DEP_1) | instskip(SKIP_3) | instid1(VALU_DEP_2)
	v_mad_co_u64_u32 v[0:1], null, s6, s10, v[1:2]
	v_mov_b32_e32 v1, 0
	v_bfe_u32 v3, v2, 16, 1
	v_cmp_o_f32_e32 vcc_lo, v2, v2
	v_add3_u32 v3, v2, v3, 0x7fff
	s_delay_alu instid0(VALU_DEP_4) | instskip(NEXT) | instid1(VALU_DEP_2)
	v_lshlrev_b64_e32 v[0:1], 1, v[0:1]
	v_lshrrev_b32_e32 v3, 16, v3
	s_wait_alu 0xfffd
	s_delay_alu instid0(VALU_DEP_1) | instskip(SKIP_1) | instid1(VALU_DEP_3)
	v_cndmask_b32_e32 v2, 0x7fc0, v3, vcc_lo
	s_wait_kmcnt 0x0
	v_add_co_u32 v0, vcc_lo, s8, v0
	s_wait_alu 0xfffd
	v_add_co_ci_u32_e64 v1, null, s9, v1, vcc_lo
	global_store_b16 v[0:1], v2, off
.LBB290_9:
	s_endpgm
	.section	.rodata,"a",@progbits
	.p2align	6, 0x0
	.amdhsa_kernel _ZL9moe_vec_qIN3c108BFloat16ELi256ELi8E11block_iq3_sLi1EXadL_ZL18vec_dot_iq3_s_q8_1PKvPK10block_q8_1RKiEEEvS4_S4_PT_PS8_iiii
		.amdhsa_group_segment_fixed_size 0
		.amdhsa_private_segment_fixed_size 0
		.amdhsa_kernarg_size 304
		.amdhsa_user_sgpr_count 2
		.amdhsa_user_sgpr_dispatch_ptr 0
		.amdhsa_user_sgpr_queue_ptr 0
		.amdhsa_user_sgpr_kernarg_segment_ptr 1
		.amdhsa_user_sgpr_dispatch_id 0
		.amdhsa_user_sgpr_private_segment_size 0
		.amdhsa_wavefront_size32 1
		.amdhsa_uses_dynamic_stack 0
		.amdhsa_enable_private_segment 0
		.amdhsa_system_sgpr_workgroup_id_x 1
		.amdhsa_system_sgpr_workgroup_id_y 0
		.amdhsa_system_sgpr_workgroup_id_z 1
		.amdhsa_system_sgpr_workgroup_info 0
		.amdhsa_system_vgpr_workitem_id 1
		.amdhsa_next_free_vgpr 47
		.amdhsa_next_free_sgpr 20
		.amdhsa_reserve_vcc 1
		.amdhsa_float_round_mode_32 0
		.amdhsa_float_round_mode_16_64 0
		.amdhsa_float_denorm_mode_32 3
		.amdhsa_float_denorm_mode_16_64 3
		.amdhsa_fp16_overflow 0
		.amdhsa_workgroup_processor_mode 1
		.amdhsa_memory_ordered 1
		.amdhsa_forward_progress 1
		.amdhsa_inst_pref_size 16
		.amdhsa_round_robin_scheduling 0
		.amdhsa_exception_fp_ieee_invalid_op 0
		.amdhsa_exception_fp_denorm_src 0
		.amdhsa_exception_fp_ieee_div_zero 0
		.amdhsa_exception_fp_ieee_overflow 0
		.amdhsa_exception_fp_ieee_underflow 0
		.amdhsa_exception_fp_ieee_inexact 0
		.amdhsa_exception_int_div_zero 0
	.end_amdhsa_kernel
	.section	.text._ZL9moe_vec_qIN3c108BFloat16ELi256ELi8E11block_iq3_sLi1EXadL_ZL18vec_dot_iq3_s_q8_1PKvPK10block_q8_1RKiEEEvS4_S4_PT_PS8_iiii,"axG",@progbits,_ZL9moe_vec_qIN3c108BFloat16ELi256ELi8E11block_iq3_sLi1EXadL_ZL18vec_dot_iq3_s_q8_1PKvPK10block_q8_1RKiEEEvS4_S4_PT_PS8_iiii,comdat
.Lfunc_end290:
	.size	_ZL9moe_vec_qIN3c108BFloat16ELi256ELi8E11block_iq3_sLi1EXadL_ZL18vec_dot_iq3_s_q8_1PKvPK10block_q8_1RKiEEEvS4_S4_PT_PS8_iiii, .Lfunc_end290-_ZL9moe_vec_qIN3c108BFloat16ELi256ELi8E11block_iq3_sLi1EXadL_ZL18vec_dot_iq3_s_q8_1PKvPK10block_q8_1RKiEEEvS4_S4_PT_PS8_iiii
                                        ; -- End function
	.set _ZL9moe_vec_qIN3c108BFloat16ELi256ELi8E11block_iq3_sLi1EXadL_ZL18vec_dot_iq3_s_q8_1PKvPK10block_q8_1RKiEEEvS4_S4_PT_PS8_iiii.num_vgpr, 47
	.set _ZL9moe_vec_qIN3c108BFloat16ELi256ELi8E11block_iq3_sLi1EXadL_ZL18vec_dot_iq3_s_q8_1PKvPK10block_q8_1RKiEEEvS4_S4_PT_PS8_iiii.num_agpr, 0
	.set _ZL9moe_vec_qIN3c108BFloat16ELi256ELi8E11block_iq3_sLi1EXadL_ZL18vec_dot_iq3_s_q8_1PKvPK10block_q8_1RKiEEEvS4_S4_PT_PS8_iiii.numbered_sgpr, 20
	.set _ZL9moe_vec_qIN3c108BFloat16ELi256ELi8E11block_iq3_sLi1EXadL_ZL18vec_dot_iq3_s_q8_1PKvPK10block_q8_1RKiEEEvS4_S4_PT_PS8_iiii.num_named_barrier, 0
	.set _ZL9moe_vec_qIN3c108BFloat16ELi256ELi8E11block_iq3_sLi1EXadL_ZL18vec_dot_iq3_s_q8_1PKvPK10block_q8_1RKiEEEvS4_S4_PT_PS8_iiii.private_seg_size, 0
	.set _ZL9moe_vec_qIN3c108BFloat16ELi256ELi8E11block_iq3_sLi1EXadL_ZL18vec_dot_iq3_s_q8_1PKvPK10block_q8_1RKiEEEvS4_S4_PT_PS8_iiii.uses_vcc, 1
	.set _ZL9moe_vec_qIN3c108BFloat16ELi256ELi8E11block_iq3_sLi1EXadL_ZL18vec_dot_iq3_s_q8_1PKvPK10block_q8_1RKiEEEvS4_S4_PT_PS8_iiii.uses_flat_scratch, 0
	.set _ZL9moe_vec_qIN3c108BFloat16ELi256ELi8E11block_iq3_sLi1EXadL_ZL18vec_dot_iq3_s_q8_1PKvPK10block_q8_1RKiEEEvS4_S4_PT_PS8_iiii.has_dyn_sized_stack, 0
	.set _ZL9moe_vec_qIN3c108BFloat16ELi256ELi8E11block_iq3_sLi1EXadL_ZL18vec_dot_iq3_s_q8_1PKvPK10block_q8_1RKiEEEvS4_S4_PT_PS8_iiii.has_recursion, 0
	.set _ZL9moe_vec_qIN3c108BFloat16ELi256ELi8E11block_iq3_sLi1EXadL_ZL18vec_dot_iq3_s_q8_1PKvPK10block_q8_1RKiEEEvS4_S4_PT_PS8_iiii.has_indirect_call, 0
	.section	.AMDGPU.csdata,"",@progbits
; Kernel info:
; codeLenInByte = 1980
; TotalNumSgprs: 22
; NumVgprs: 47
; ScratchSize: 0
; MemoryBound: 0
; FloatMode: 240
; IeeeMode: 1
; LDSByteSize: 0 bytes/workgroup (compile time only)
; SGPRBlocks: 0
; VGPRBlocks: 5
; NumSGPRsForWavesPerEU: 22
; NumVGPRsForWavesPerEU: 47
; Occupancy: 16
; WaveLimiterHint : 1
; COMPUTE_PGM_RSRC2:SCRATCH_EN: 0
; COMPUTE_PGM_RSRC2:USER_SGPR: 2
; COMPUTE_PGM_RSRC2:TRAP_HANDLER: 0
; COMPUTE_PGM_RSRC2:TGID_X_EN: 1
; COMPUTE_PGM_RSRC2:TGID_Y_EN: 0
; COMPUTE_PGM_RSRC2:TGID_Z_EN: 1
; COMPUTE_PGM_RSRC2:TIDIG_COMP_CNT: 1
	.section	.text._ZL9moe_vec_qIN3c108BFloat16ELi256ELi8E11block_iq2_sLi1EXadL_ZL18vec_dot_iq2_s_q8_1PKvPK10block_q8_1RKiEEEvS4_S4_PT_PS8_iiii,"axG",@progbits,_ZL9moe_vec_qIN3c108BFloat16ELi256ELi8E11block_iq2_sLi1EXadL_ZL18vec_dot_iq2_s_q8_1PKvPK10block_q8_1RKiEEEvS4_S4_PT_PS8_iiii,comdat
	.globl	_ZL9moe_vec_qIN3c108BFloat16ELi256ELi8E11block_iq2_sLi1EXadL_ZL18vec_dot_iq2_s_q8_1PKvPK10block_q8_1RKiEEEvS4_S4_PT_PS8_iiii ; -- Begin function _ZL9moe_vec_qIN3c108BFloat16ELi256ELi8E11block_iq2_sLi1EXadL_ZL18vec_dot_iq2_s_q8_1PKvPK10block_q8_1RKiEEEvS4_S4_PT_PS8_iiii
	.p2align	8
	.type	_ZL9moe_vec_qIN3c108BFloat16ELi256ELi8E11block_iq2_sLi1EXadL_ZL18vec_dot_iq2_s_q8_1PKvPK10block_q8_1RKiEEEvS4_S4_PT_PS8_iiii,@function
_ZL9moe_vec_qIN3c108BFloat16ELi256ELi8E11block_iq2_sLi1EXadL_ZL18vec_dot_iq2_s_q8_1PKvPK10block_q8_1RKiEEEvS4_S4_PT_PS8_iiii: ; @_ZL9moe_vec_qIN3c108BFloat16ELi256ELi8E11block_iq2_sLi1EXadL_ZL18vec_dot_iq2_s_q8_1PKvPK10block_q8_1RKiEEEvS4_S4_PT_PS8_iiii
; %bb.0:
	s_clause 0x1
	s_load_u16 s2, s[0:1], 0x3e
	s_load_b128 s[4:7], s[0:1], 0x20
	v_bfe_u32 v1, v0, 10, 10
	s_wait_kmcnt 0x0
	s_delay_alu instid0(VALU_DEP_1)
	v_mad_co_u64_u32 v[1:2], null, ttmp9, s2, v[1:2]
	s_mov_b32 s2, exec_lo
	v_cmpx_gt_u32_e64 s6, v1
	s_cbranch_execz .LBB291_7
; %bb.1:
	s_load_b64 s[2:3], s[0:1], 0x10
	s_ashr_i32 s8, s5, 31
	v_bfe_u32 v4, v0, 3, 7
	s_lshr_b32 s8, s8, 24
	v_dual_mov_b32 v5, 0 :: v_dual_and_b32 v0, 0x3ff, v0
	s_add_co_i32 s5, s5, s8
	s_lshr_b32 s10, ttmp7, 16
	s_ashr_i32 s11, s5, 8
	s_mov_b32 s12, exec_lo
	v_cmpx_gt_u32_e64 s11, v4
	s_cbranch_execz .LBB291_5
; %bb.2:
	s_clause 0x1
	s_load_b64 s[8:9], s[0:1], 0x18
	s_load_b128 s[16:19], s[0:1], 0x0
	s_cvt_f32_u32 s5, s4
	s_lshl_b32 s13, s10, 2
	s_mul_i32 s1, s11, s6
	v_dual_mov_b32 v5, 0 :: v_dual_and_b32 v6, 7, v0
	v_rcp_iflag_f32_e32 v2, s5
	v_mul_lo_u32 v7, v1, s11
	v_lshlrev_b32_e32 v9, 3, v4
	s_delay_alu instid0(VALU_DEP_3) | instskip(NEXT) | instid1(TRANS32_DEP_1)
	v_lshlrev_b32_e32 v8, 2, v6
	v_readfirstlane_b32 s5, v2
	s_wait_kmcnt 0x0
	s_load_b32 s8, s[8:9], s13 offset:0x0
	s_sub_co_i32 s9, 0, s4
	s_mul_f32 s5, s5, 0x4f7ffffe
	s_wait_alu 0xfffe
	s_delay_alu instid0(SALU_CYCLE_2) | instskip(SKIP_1) | instid1(SALU_CYCLE_2)
	s_cvt_u32_f32 s5, s5
	s_wait_alu 0xfffe
	s_mul_i32 s9, s9, s5
	s_delay_alu instid0(SALU_CYCLE_1) | instskip(NEXT) | instid1(SALU_CYCLE_1)
	s_mul_hi_u32 s9, s5, s9
	s_add_co_i32 s5, s5, s9
	s_wait_alu 0xfffe
	s_mul_hi_u32 s0, s10, s5
	s_wait_alu 0xfffe
	s_mul_i32 s5, s0, s4
	s_add_co_i32 s13, s0, 1
	s_wait_alu 0xfffe
	s_sub_co_i32 s5, s10, s5
	s_wait_kmcnt 0x0
	s_mul_i32 s8, s1, s8
	s_wait_alu 0xfffe
	s_sub_co_i32 s1, s5, s4
	s_ashr_i32 s9, s8, 31
	s_cmp_ge_u32 s5, s4
	s_mul_u64 s[8:9], s[8:9], 0x52
	s_cselect_b32 s0, s13, s0
	s_wait_alu 0xfffe
	s_cselect_b32 s1, s1, s5
	s_add_co_i32 s5, s0, 1
	s_wait_alu 0xfffe
	s_cmp_ge_u32 s1, s4
	s_mov_b32 s1, 0
	s_cselect_b32 s0, s5, s0
	s_wait_alu 0xfffe
	s_mul_i32 s0, s0, s7
	s_wait_alu 0xfffe
	s_lshl_b64 s[4:5], s[0:1], 2
	s_wait_alu 0xfffe
	s_add_nc_u64 s[4:5], s[18:19], s[4:5]
	s_wait_alu 0xfffe
	v_mad_co_u64_u32 v[2:3], null, v6, 36, s[4:5]
	s_add_nc_u64 s[4:5], s[16:17], s[8:9]
	s_getpc_b64 s[8:9]
	s_sext_i32_i16 s9, s9
	s_add_co_u32 s8, s8, _ZL9iq2s_grid@rel32@lo+8
	s_add_co_ci_u32 s9, s9, _ZL9iq2s_grid@rel32@hi+16
.LBB291_3:                              ; =>This Inner Loop Header: Depth=1
	v_add_nc_u32_e32 v10, v7, v4
	v_mad_co_i64_i32 v[22:23], null, v9, 36, v[2:3]
	v_add_nc_u32_e32 v4, 4, v4
	v_add_nc_u32_e32 v9, 32, v9
	s_wait_alu 0xfffe
	v_mad_co_i64_i32 v[18:19], null, 0x52, v10, s[4:5]
	s_delay_alu instid0(VALU_DEP_1) | instskip(SKIP_1) | instid1(VALU_DEP_2)
	v_add_co_u32 v20, vcc_lo, v18, v8
	s_wait_alu 0xfffd
	v_add_co_ci_u32_e64 v21, null, 0, v19, vcc_lo
	v_add_co_u32 v10, vcc_lo, v18, v6
	s_wait_alu 0xfffd
	v_add_co_ci_u32_e64 v11, null, 0, v19, vcc_lo
	s_clause 0x2
	global_load_b32 v24, v[20:21], off offset:2
	global_load_u8 v25, v[10:11], off offset:66
	global_load_u8 v30, v[10:11], off offset:74
	s_clause 0x1
	global_load_b128 v[10:13], v[22:23], off offset:4
	global_load_b128 v[14:17], v[22:23], off offset:20
	global_load_b32 v31, v[20:21], off offset:34
	s_wait_loadcnt 0x5
	v_and_b32_e32 v21, 0xff, v24
	s_wait_loadcnt 0x4
	v_lshlrev_b32_e32 v26, 8, v25
	v_bfe_u32 v27, v24, 8, 8
	v_lshlrev_b32_e32 v28, 6, v25
	v_lshrrev_b32_e32 v20, 24, v24
	v_bfe_u32 v24, v24, 16, 8
	v_lshlrev_b32_e32 v29, 4, v25
	v_lshlrev_b32_e32 v25, 2, v25
	v_and_or_b32 v21, 0x300, v26, v21
	v_and_or_b32 v26, 0x300, v28, v27
	s_wait_loadcnt 0x1
	v_perm_b32 v32, v14, v15, 0xc0c0400
	v_and_or_b32 v24, 0x300, v29, v24
	v_and_or_b32 v20, 0x300, v25, v20
	v_lshlrev_b32_e32 v21, 3, v21
	v_lshlrev_b32_e32 v25, 3, v26
	v_perm_b32 v33, v17, v16, 0x4000c0c
	v_lshlrev_b32_e32 v26, 3, v24
	v_lshlrev_b32_e32 v28, 3, v20
	s_clause 0x3
	global_load_b64 v[20:21], v21, s[8:9]
	global_load_b64 v[24:25], v25, s[8:9]
	;; [unrolled: 1-line block ×4, first 2 shown]
	global_load_b32 v22, v[22:23], off
	global_load_u16 v18, v[18:19], off
	v_perm_b32 v19, v14, v15, 0xc0c0602
	v_perm_b32 v23, v17, v16, 0x6020c0c
	v_perm_b32 v34, v14, v15, 0xc0c0703
	v_perm_b32 v35, v17, v16, 0x7030c0c
	v_perm_b32 v14, v14, v15, 0xc0c0501
	v_perm_b32 v15, v17, v16, 0x5010c0c
	v_perm_b32 v16, v10, v11, 0xc0c0602
	v_perm_b32 v17, v13, v12, 0x6020c0c
	v_perm_b32 v36, v10, v11, 0xc0c0400
	v_perm_b32 v37, v13, v12, 0x4000c0c
	v_perm_b32 v38, v10, v11, 0xc0c0703
	v_perm_b32 v39, v13, v12, 0x7030c0c
	v_perm_b32 v10, v10, v11, 0xc0c0501
	v_perm_b32 v11, v13, v12, 0x5010c0c
	v_or_b32_e32 v13, v23, v19
	v_or_b32_e32 v19, v33, v32
	s_wait_loadcnt 0x6
	v_and_b32_e32 v32, 15, v31
	v_or_b32_e32 v14, v15, v14
	v_or_b32_e32 v15, v17, v16
	;; [unrolled: 1-line block ×4, first 2 shown]
	v_mul_lo_u32 v32, 0x1010101, v32
	v_bfe_u32 v36, v31, 20, 4
	v_or_b32_e32 v10, v11, v10
	v_lshrrev_b32_e32 v11, 8, v31
	v_lshrrev_b32_e32 v23, 24, v31
	v_lshrrev_b16 v33, 4, v31
	v_mul_lo_u32 v36, 0x1010101, v36
	v_lshrrev_b16 v37, 4, v30
	v_not_b32_e32 v32, v32
	v_lshrrev_b16 v23, 4, v23
	v_and_b32_e32 v33, 15, v33
	v_lshrrev_b16 v11, 4, v11
	v_and_b32_e32 v30, 15, v30
	v_and_b32_e32 v38, 0x8040201, v32
	;; [unrolled: 1-line block ×5, first 2 shown]
	v_not_b32_e32 v36, v36
	v_cmp_gt_u32_e32 vcc_lo, 0x1000000, v38
	v_and_b32_e32 v33, 0xffff, v33
	v_and_b32_e32 v23, 0xffff, v23
	;; [unrolled: 1-line block ×4, first 2 shown]
	s_wait_alu 0xfffd
	v_cndmask_b32_e64 v38, 0, -1, vcc_lo
	v_cmp_eq_u32_e32 vcc_lo, 0, v39
	v_and_b32_e32 v48, 0x40000, v36
	v_and_b32_e32 v49, 0x200, v36
	;; [unrolled: 1-line block ×3, first 2 shown]
	v_mul_lo_u32 v33, 0x1010101, v33
	s_wait_alu 0xfffd
	v_cndmask_b32_e64 v39, 0, 0xff0000, vcc_lo
	v_cmp_eq_u32_e32 vcc_lo, 0, v40
	v_mul_lo_u32 v23, 0x1010101, v23
	v_and_b32_e32 v11, 0xffff, v11
	v_lshlrev_b32_e32 v38, 24, v38
	s_wait_alu 0xfffd
	v_cndmask_b32_e64 v40, 0, 0xff00, vcc_lo
	v_cmp_eq_u32_e32 vcc_lo, 0, v32
	v_not_b32_e32 v33, v33
	v_mul_lo_u32 v11, 0x1010101, v11
	v_not_b32_e32 v23, v23
	s_wait_alu 0xfffd
	v_cndmask_b32_e64 v32, 0, 0xff, vcc_lo
	v_and_b32_e32 v54, 0x8040201, v33
	v_and_b32_e32 v55, 0x40000, v33
	;; [unrolled: 1-line block ×7, first 2 shown]
	v_not_b32_e32 v11, v11
	v_and_b32_e32 v23, 1, v23
	v_or_b32_e32 v53, v40, v32
	s_delay_alu instid0(VALU_DEP_3)
	v_and_b32_e32 v64, 0x8040201, v11
	v_and_b32_e32 v66, 0x200, v11
	;; [unrolled: 1-line block ×4, first 2 shown]
	v_or3_b32 v53, v53, v39, v38
	s_wait_loadcnt 0x5
	s_delay_alu instid0(VALU_DEP_1)
	v_xor_b32_e32 v20, v53, v20
	s_wait_loadcnt 0x1
	v_cvt_f32_f16_e32 v12, v22
	v_or_b32_e32 v22, v35, v34
	v_bfe_u32 v34, v31, 8, 4
	v_bfe_u32 v35, v31, 16, 4
	;; [unrolled: 1-line block ×3, first 2 shown]
	v_sub_nc_u32_e32 v38, v20, v38
	v_sub_nc_u32_e32 v39, v20, v39
	v_mul_lo_u32 v34, 0x1010101, v34
	v_mul_lo_u32 v35, 0x1010101, v35
	v_mul_lo_u32 v31, 0x1010101, v31
	v_sub_nc_u32_e32 v40, v20, v40
	v_sub_nc_u32_e32 v20, v20, v32
	v_not_b32_e32 v34, v34
	v_not_b32_e32 v35, v35
	v_not_b32_e32 v31, v31
	s_delay_alu instid0(VALU_DEP_3)
	v_and_b32_e32 v41, 0x8040201, v34
	v_and_b32_e32 v42, 0x40000, v34
	;; [unrolled: 1-line block ×5, first 2 shown]
	v_cmp_gt_u32_e32 vcc_lo, 0x1000000, v41
	v_and_b32_e32 v45, 0x40000, v35
	v_and_b32_e32 v46, 0x200, v35
	;; [unrolled: 1-line block ×4, first 2 shown]
	s_wait_alu 0xfffd
	v_cndmask_b32_e64 v41, 0, -1, vcc_lo
	v_cmp_eq_u32_e32 vcc_lo, 0, v42
	v_and_b32_e32 v51, 0x40000, v31
	v_and_b32_e32 v52, 0x200, v31
	;; [unrolled: 1-line block ×3, first 2 shown]
	v_lshlrev_b32_e32 v41, 24, v41
	s_wait_alu 0xfffd
	v_cndmask_b32_e64 v42, 0, 0xff0000, vcc_lo
	v_cmp_eq_u32_e32 vcc_lo, 0, v43
	s_wait_alu 0xfffd
	v_cndmask_b32_e64 v43, 0, 0xff00, vcc_lo
	v_cmp_eq_u32_e32 vcc_lo, 0, v34
	s_wait_alu 0xfffd
	v_cndmask_b32_e64 v34, 0, 0xff, vcc_lo
	v_cmp_gt_u32_e32 vcc_lo, 0x1000000, v44
	s_delay_alu instid0(VALU_DEP_2) | instskip(SKIP_3) | instid1(VALU_DEP_3)
	v_or_b32_e32 v57, v43, v34
	s_wait_alu 0xfffd
	v_cndmask_b32_e64 v44, 0, -1, vcc_lo
	v_cmp_eq_u32_e32 vcc_lo, 0, v45
	v_or3_b32 v57, v57, v42, v41
	s_delay_alu instid0(VALU_DEP_3)
	v_lshlrev_b32_e32 v44, 24, v44
	s_wait_alu 0xfffd
	v_cndmask_b32_e64 v45, 0, 0xff0000, vcc_lo
	v_cmp_eq_u32_e32 vcc_lo, 0, v46
	v_xor_b32_e32 v24, v57, v24
	s_wait_alu 0xfffd
	v_cndmask_b32_e64 v46, 0, 0xff00, vcc_lo
	v_cmp_eq_u32_e32 vcc_lo, 0, v35
	s_wait_alu 0xfffd
	v_cndmask_b32_e64 v35, 0, 0xff, vcc_lo
	v_cmp_gt_u32_e32 vcc_lo, 0x1000000, v47
	s_delay_alu instid0(VALU_DEP_2) | instskip(SKIP_3) | instid1(VALU_DEP_3)
	v_or_b32_e32 v58, v46, v35
	s_wait_alu 0xfffd
	v_cndmask_b32_e64 v47, 0, -1, vcc_lo
	v_cmp_eq_u32_e32 vcc_lo, 0, v48
	v_or3_b32 v58, v58, v45, v44
	s_delay_alu instid0(VALU_DEP_3)
	v_lshlrev_b32_e32 v47, 24, v47
	s_wait_alu 0xfffd
	v_cndmask_b32_e64 v48, 0, 0xff0000, vcc_lo
	v_cmp_eq_u32_e32 vcc_lo, 0, v49
	v_xor_b32_e32 v26, v58, v26
	;; [unrolled: 18-line block ×5, first 2 shown]
	s_wait_alu 0xfffd
	v_cndmask_b32_e64 v63, 0, 0xff00, vcc_lo
	v_cmp_eq_u32_e32 vcc_lo, 0, v23
	s_delay_alu instid0(VALU_DEP_3)
	v_sub_nc_u32_e32 v32, v21, v54
	v_sub_nc_u32_e32 v53, v21, v55
	;; [unrolled: 1-line block ×4, first 2 shown]
	s_wait_alu 0xfffd
	v_cndmask_b32_e64 v23, 0, 0xff, vcc_lo
	v_cmp_gt_u32_e32 vcc_lo, 0x1000000, v64
	v_sub_nc_u32_e32 v33, v24, v41
	v_sub_nc_u32_e32 v41, v24, v42
	;; [unrolled: 1-line block ×3, first 2 shown]
	v_or_b32_e32 v68, v63, v23
	s_wait_alu 0xfffd
	v_cndmask_b32_e64 v64, 0, -1, vcc_lo
	v_cmp_eq_u32_e32 vcc_lo, 0, v66
	v_sub_nc_u32_e32 v24, v24, v34
	v_or3_b32 v68, v68, v62, v61
	s_delay_alu instid0(VALU_DEP_4)
	v_lshlrev_b32_e32 v64, 24, v64
	s_wait_alu 0xfffd
	v_cndmask_b32_e64 v66, 0, 0xff00, vcc_lo
	v_cmp_eq_u32_e32 vcc_lo, 0, v11
	v_perm_b32 v41, v41, v24, 0xc060c00
	v_xor_b32_e32 v29, v68, v29
	s_wait_alu 0xfffd
	v_cndmask_b32_e64 v11, 0, 0xff, vcc_lo
	v_cmp_eq_u32_e32 vcc_lo, 0, v65
	s_delay_alu instid0(VALU_DEP_3) | instskip(NEXT) | instid1(VALU_DEP_3)
	v_sub_nc_u32_e32 v23, v29, v23
	v_or_b32_e32 v69, v66, v11
	s_wait_alu 0xfffd
	v_cndmask_b32_e64 v65, 0, 0xff0000, vcc_lo
	v_cmp_le_u32_e32 vcc_lo, s11, v4
	s_delay_alu instid0(VALU_DEP_2) | instskip(SKIP_1) | instid1(VALU_DEP_1)
	v_or3_b32 v69, v69, v65, v64
	s_or_b32 s1, vcc_lo, s1
	v_xor_b32_e32 v25, v69, v25
	s_delay_alu instid0(VALU_DEP_1)
	v_sub_nc_u32_e32 v34, v25, v64
	v_sub_nc_u32_e32 v43, v25, v65
	v_sub_nc_u32_e32 v55, v25, v66
	v_sub_nc_u32_e32 v11, v25, v11
	v_sub_nc_u32_e32 v25, v26, v44
	v_sub_nc_u32_e32 v44, v26, v45
	v_sub_nc_u32_e32 v45, v26, v46
	v_sub_nc_u32_e32 v26, v26, v35
	v_sub_nc_u32_e32 v35, v27, v47
	v_sub_nc_u32_e32 v46, v27, v48
	v_sub_nc_u32_e32 v47, v27, v49
	v_sub_nc_u32_e32 v27, v27, v36
	v_sub_nc_u32_e32 v36, v28, v50
	v_sub_nc_u32_e32 v48, v28, v51
	v_sub_nc_u32_e32 v49, v28, v52
	v_sub_nc_u32_e32 v28, v28, v31
	v_sub_nc_u32_e32 v31, v29, v61
	v_sub_nc_u32_e32 v50, v29, v62
	v_sub_nc_u32_e32 v51, v29, v63
	v_perm_b32 v44, v44, v26, 0xc060c00
	v_perm_b32 v46, v46, v27, 0xc060c00
	;; [unrolled: 1-line block ×21, first 2 shown]
	v_or_b32_e32 v23, v23, v26
	v_or_b32_e32 v25, v27, v25
	;; [unrolled: 1-line block ×3, first 2 shown]
	v_perm_b32 v27, v29, v39, 0xc0c0602
	v_perm_b32 v28, v43, v41, 0x6020c0c
	v_or_b32_e32 v11, v11, v20
	v_or_b32_e32 v20, v24, v21
	;; [unrolled: 1-line block ×4, first 2 shown]
	v_dot4_i32_iu8 v22, v25, v22, 0 neg_lo:[1,1,0]
	v_dot4_i32_iu8 v14, v26, v14, 0 neg_lo:[1,1,0]
	;; [unrolled: 1-line block ×3, first 2 shown]
	v_or_b32_e32 v23, v28, v27
	v_dot4_i32_iu8 v17, v20, v17, 0 neg_lo:[1,1,0]
	v_dot4_i32_iu8 v10, v21, v10, 0 neg_lo:[1,1,0]
	;; [unrolled: 1-line block ×3, first 2 shown]
	v_add_nc_u32_e32 v14, v14, v22
	v_cvt_f32_ubyte0_e32 v20, v37
	v_dot4_i32_iu8 v11, v11, v16, 0 neg_lo:[1,1,0]
	v_dot4_i32_iu8 v15, v23, v15, 0 neg_lo:[1,1,0]
	v_add_nc_u32_e32 v10, v10, v17
	v_add3_u32 v13, v19, v13, v14
	s_wait_loadcnt 0x0
	v_cvt_f32_f16_e32 v14, v18
	v_cvt_f32_ubyte0_e32 v16, v30
	v_add_f32_e32 v17, 0.5, v20
	v_add3_u32 v10, v11, v15, v10
	v_cvt_f32_i32_e32 v11, v13
	v_mul_f32_e32 v12, v14, v12
	v_add_f32_e32 v13, 0.5, v16
	s_delay_alu instid0(VALU_DEP_4) | instskip(NEXT) | instid1(VALU_DEP_3)
	v_cvt_f32_i32_e32 v10, v10
	v_dual_mul_f32 v11, v17, v11 :: v_dual_mul_f32 v12, 0x3e800000, v12
	s_delay_alu instid0(VALU_DEP_1) | instskip(NEXT) | instid1(VALU_DEP_1)
	v_fmac_f32_e32 v11, v13, v10
	v_fmac_f32_e32 v5, v12, v11
	s_wait_alu 0xfffe
	s_and_not1_b32 exec_lo, exec_lo, s1
	s_cbranch_execnz .LBB291_3
; %bb.4:
	s_or_b32 exec_lo, exec_lo, s1
.LBB291_5:
	s_delay_alu instid0(SALU_CYCLE_1) | instskip(SKIP_1) | instid1(VALU_DEP_1)
	s_or_b32 exec_lo, exec_lo, s12
	v_mbcnt_lo_u32_b32 v2, -1, 0
	v_xor_b32_e32 v3, 16, v2
	v_xor_b32_e32 v4, 8, v2
	s_delay_alu instid0(VALU_DEP_2) | instskip(SKIP_2) | instid1(VALU_DEP_3)
	v_cmp_gt_i32_e32 vcc_lo, 32, v3
	s_wait_alu 0xfffd
	v_cndmask_b32_e32 v3, v2, v3, vcc_lo
	v_cmp_gt_i32_e32 vcc_lo, 32, v4
	s_wait_alu 0xfffd
	v_cndmask_b32_e32 v4, v2, v4, vcc_lo
	s_delay_alu instid0(VALU_DEP_1)
	v_lshlrev_b32_e32 v4, 2, v4
	v_lshlrev_b32_e32 v3, 2, v3
	ds_bpermute_b32 v3, v3, v5
	s_wait_dscnt 0x0
	v_add_f32_e32 v3, v5, v3
	v_xor_b32_e32 v5, 4, v2
	ds_bpermute_b32 v4, v4, v3
	v_cmp_gt_i32_e32 vcc_lo, 32, v5
	s_wait_alu 0xfffd
	v_cndmask_b32_e32 v5, v2, v5, vcc_lo
	s_delay_alu instid0(VALU_DEP_1) | instskip(SKIP_4) | instid1(VALU_DEP_1)
	v_lshlrev_b32_e32 v5, 2, v5
	s_wait_dscnt 0x0
	v_add_f32_e32 v3, v3, v4
	ds_bpermute_b32 v4, v5, v3
	v_xor_b32_e32 v5, 2, v2
	v_cmp_gt_i32_e32 vcc_lo, 32, v5
	s_wait_alu 0xfffd
	v_cndmask_b32_e32 v5, v2, v5, vcc_lo
	s_delay_alu instid0(VALU_DEP_1) | instskip(SKIP_4) | instid1(VALU_DEP_1)
	v_lshlrev_b32_e32 v5, 2, v5
	s_wait_dscnt 0x0
	v_add_f32_e32 v3, v3, v4
	ds_bpermute_b32 v4, v5, v3
	v_xor_b32_e32 v5, 1, v2
	v_cmp_gt_i32_e32 vcc_lo, 32, v5
	s_wait_alu 0xfffd
	v_cndmask_b32_e32 v5, v2, v5, vcc_lo
	v_cmp_eq_u32_e32 vcc_lo, 0, v0
	s_wait_dscnt 0x0
	s_delay_alu instid0(VALU_DEP_2)
	v_dual_add_f32 v2, v3, v4 :: v_dual_lshlrev_b32 v3, 2, v5
	ds_bpermute_b32 v3, v3, v2
	s_and_b32 exec_lo, exec_lo, vcc_lo
	s_cbranch_execz .LBB291_7
; %bb.6:
	s_wait_dscnt 0x0
	v_add_f32_e32 v2, v2, v3
	s_delay_alu instid0(VALU_DEP_1) | instskip(SKIP_3) | instid1(VALU_DEP_2)
	v_mad_co_u64_u32 v[0:1], null, s6, s10, v[1:2]
	v_mov_b32_e32 v1, 0
	v_bfe_u32 v3, v2, 16, 1
	v_cmp_o_f32_e32 vcc_lo, v2, v2
	v_add3_u32 v3, v2, v3, 0x7fff
	s_delay_alu instid0(VALU_DEP_4) | instskip(NEXT) | instid1(VALU_DEP_2)
	v_lshlrev_b64_e32 v[0:1], 1, v[0:1]
	v_lshrrev_b32_e32 v3, 16, v3
	s_wait_alu 0xfffd
	s_delay_alu instid0(VALU_DEP_1) | instskip(SKIP_1) | instid1(VALU_DEP_3)
	v_cndmask_b32_e32 v2, 0x7fc0, v3, vcc_lo
	s_wait_kmcnt 0x0
	v_add_co_u32 v0, vcc_lo, s2, v0
	s_wait_alu 0xfffd
	v_add_co_ci_u32_e64 v1, null, s3, v1, vcc_lo
	global_store_b16 v[0:1], v2, off
.LBB291_7:
	s_endpgm
	.section	.rodata,"a",@progbits
	.p2align	6, 0x0
	.amdhsa_kernel _ZL9moe_vec_qIN3c108BFloat16ELi256ELi8E11block_iq2_sLi1EXadL_ZL18vec_dot_iq2_s_q8_1PKvPK10block_q8_1RKiEEEvS4_S4_PT_PS8_iiii
		.amdhsa_group_segment_fixed_size 0
		.amdhsa_private_segment_fixed_size 0
		.amdhsa_kernarg_size 304
		.amdhsa_user_sgpr_count 2
		.amdhsa_user_sgpr_dispatch_ptr 0
		.amdhsa_user_sgpr_queue_ptr 0
		.amdhsa_user_sgpr_kernarg_segment_ptr 1
		.amdhsa_user_sgpr_dispatch_id 0
		.amdhsa_user_sgpr_private_segment_size 0
		.amdhsa_wavefront_size32 1
		.amdhsa_uses_dynamic_stack 0
		.amdhsa_enable_private_segment 0
		.amdhsa_system_sgpr_workgroup_id_x 1
		.amdhsa_system_sgpr_workgroup_id_y 0
		.amdhsa_system_sgpr_workgroup_id_z 1
		.amdhsa_system_sgpr_workgroup_info 0
		.amdhsa_system_vgpr_workitem_id 1
		.amdhsa_next_free_vgpr 70
		.amdhsa_next_free_sgpr 20
		.amdhsa_reserve_vcc 1
		.amdhsa_float_round_mode_32 0
		.amdhsa_float_round_mode_16_64 0
		.amdhsa_float_denorm_mode_32 3
		.amdhsa_float_denorm_mode_16_64 3
		.amdhsa_fp16_overflow 0
		.amdhsa_workgroup_processor_mode 1
		.amdhsa_memory_ordered 1
		.amdhsa_forward_progress 1
		.amdhsa_inst_pref_size 26
		.amdhsa_round_robin_scheduling 0
		.amdhsa_exception_fp_ieee_invalid_op 0
		.amdhsa_exception_fp_denorm_src 0
		.amdhsa_exception_fp_ieee_div_zero 0
		.amdhsa_exception_fp_ieee_overflow 0
		.amdhsa_exception_fp_ieee_underflow 0
		.amdhsa_exception_fp_ieee_inexact 0
		.amdhsa_exception_int_div_zero 0
	.end_amdhsa_kernel
	.section	.text._ZL9moe_vec_qIN3c108BFloat16ELi256ELi8E11block_iq2_sLi1EXadL_ZL18vec_dot_iq2_s_q8_1PKvPK10block_q8_1RKiEEEvS4_S4_PT_PS8_iiii,"axG",@progbits,_ZL9moe_vec_qIN3c108BFloat16ELi256ELi8E11block_iq2_sLi1EXadL_ZL18vec_dot_iq2_s_q8_1PKvPK10block_q8_1RKiEEEvS4_S4_PT_PS8_iiii,comdat
.Lfunc_end291:
	.size	_ZL9moe_vec_qIN3c108BFloat16ELi256ELi8E11block_iq2_sLi1EXadL_ZL18vec_dot_iq2_s_q8_1PKvPK10block_q8_1RKiEEEvS4_S4_PT_PS8_iiii, .Lfunc_end291-_ZL9moe_vec_qIN3c108BFloat16ELi256ELi8E11block_iq2_sLi1EXadL_ZL18vec_dot_iq2_s_q8_1PKvPK10block_q8_1RKiEEEvS4_S4_PT_PS8_iiii
                                        ; -- End function
	.set _ZL9moe_vec_qIN3c108BFloat16ELi256ELi8E11block_iq2_sLi1EXadL_ZL18vec_dot_iq2_s_q8_1PKvPK10block_q8_1RKiEEEvS4_S4_PT_PS8_iiii.num_vgpr, 70
	.set _ZL9moe_vec_qIN3c108BFloat16ELi256ELi8E11block_iq2_sLi1EXadL_ZL18vec_dot_iq2_s_q8_1PKvPK10block_q8_1RKiEEEvS4_S4_PT_PS8_iiii.num_agpr, 0
	.set _ZL9moe_vec_qIN3c108BFloat16ELi256ELi8E11block_iq2_sLi1EXadL_ZL18vec_dot_iq2_s_q8_1PKvPK10block_q8_1RKiEEEvS4_S4_PT_PS8_iiii.numbered_sgpr, 20
	.set _ZL9moe_vec_qIN3c108BFloat16ELi256ELi8E11block_iq2_sLi1EXadL_ZL18vec_dot_iq2_s_q8_1PKvPK10block_q8_1RKiEEEvS4_S4_PT_PS8_iiii.num_named_barrier, 0
	.set _ZL9moe_vec_qIN3c108BFloat16ELi256ELi8E11block_iq2_sLi1EXadL_ZL18vec_dot_iq2_s_q8_1PKvPK10block_q8_1RKiEEEvS4_S4_PT_PS8_iiii.private_seg_size, 0
	.set _ZL9moe_vec_qIN3c108BFloat16ELi256ELi8E11block_iq2_sLi1EXadL_ZL18vec_dot_iq2_s_q8_1PKvPK10block_q8_1RKiEEEvS4_S4_PT_PS8_iiii.uses_vcc, 1
	.set _ZL9moe_vec_qIN3c108BFloat16ELi256ELi8E11block_iq2_sLi1EXadL_ZL18vec_dot_iq2_s_q8_1PKvPK10block_q8_1RKiEEEvS4_S4_PT_PS8_iiii.uses_flat_scratch, 0
	.set _ZL9moe_vec_qIN3c108BFloat16ELi256ELi8E11block_iq2_sLi1EXadL_ZL18vec_dot_iq2_s_q8_1PKvPK10block_q8_1RKiEEEvS4_S4_PT_PS8_iiii.has_dyn_sized_stack, 0
	.set _ZL9moe_vec_qIN3c108BFloat16ELi256ELi8E11block_iq2_sLi1EXadL_ZL18vec_dot_iq2_s_q8_1PKvPK10block_q8_1RKiEEEvS4_S4_PT_PS8_iiii.has_recursion, 0
	.set _ZL9moe_vec_qIN3c108BFloat16ELi256ELi8E11block_iq2_sLi1EXadL_ZL18vec_dot_iq2_s_q8_1PKvPK10block_q8_1RKiEEEvS4_S4_PT_PS8_iiii.has_indirect_call, 0
	.section	.AMDGPU.csdata,"",@progbits
; Kernel info:
; codeLenInByte = 3296
; TotalNumSgprs: 22
; NumVgprs: 70
; ScratchSize: 0
; MemoryBound: 0
; FloatMode: 240
; IeeeMode: 1
; LDSByteSize: 0 bytes/workgroup (compile time only)
; SGPRBlocks: 0
; VGPRBlocks: 8
; NumSGPRsForWavesPerEU: 22
; NumVGPRsForWavesPerEU: 70
; Occupancy: 16
; WaveLimiterHint : 1
; COMPUTE_PGM_RSRC2:SCRATCH_EN: 0
; COMPUTE_PGM_RSRC2:USER_SGPR: 2
; COMPUTE_PGM_RSRC2:TRAP_HANDLER: 0
; COMPUTE_PGM_RSRC2:TGID_X_EN: 1
; COMPUTE_PGM_RSRC2:TGID_Y_EN: 0
; COMPUTE_PGM_RSRC2:TGID_Z_EN: 1
; COMPUTE_PGM_RSRC2:TIDIG_COMP_CNT: 1
	.section	.text._ZL9moe_vec_qIN3c108BFloat16ELi256ELi8E12block_iq4_xsLi1EXadL_ZL19vec_dot_iq4_xs_q8_1PKvPK10block_q8_1RKiEEEvS4_S4_PT_PS8_iiii,"axG",@progbits,_ZL9moe_vec_qIN3c108BFloat16ELi256ELi8E12block_iq4_xsLi1EXadL_ZL19vec_dot_iq4_xs_q8_1PKvPK10block_q8_1RKiEEEvS4_S4_PT_PS8_iiii,comdat
	.globl	_ZL9moe_vec_qIN3c108BFloat16ELi256ELi8E12block_iq4_xsLi1EXadL_ZL19vec_dot_iq4_xs_q8_1PKvPK10block_q8_1RKiEEEvS4_S4_PT_PS8_iiii ; -- Begin function _ZL9moe_vec_qIN3c108BFloat16ELi256ELi8E12block_iq4_xsLi1EXadL_ZL19vec_dot_iq4_xs_q8_1PKvPK10block_q8_1RKiEEEvS4_S4_PT_PS8_iiii
	.p2align	8
	.type	_ZL9moe_vec_qIN3c108BFloat16ELi256ELi8E12block_iq4_xsLi1EXadL_ZL19vec_dot_iq4_xs_q8_1PKvPK10block_q8_1RKiEEEvS4_S4_PT_PS8_iiii,@function
_ZL9moe_vec_qIN3c108BFloat16ELi256ELi8E12block_iq4_xsLi1EXadL_ZL19vec_dot_iq4_xs_q8_1PKvPK10block_q8_1RKiEEEvS4_S4_PT_PS8_iiii: ; @_ZL9moe_vec_qIN3c108BFloat16ELi256ELi8E12block_iq4_xsLi1EXadL_ZL19vec_dot_iq4_xs_q8_1PKvPK10block_q8_1RKiEEEvS4_S4_PT_PS8_iiii
; %bb.0:
	s_clause 0x1
	s_load_u16 s2, s[0:1], 0x3e
	s_load_b128 s[4:7], s[0:1], 0x20
	v_bfe_u32 v1, v0, 10, 10
	s_wait_kmcnt 0x0
	s_delay_alu instid0(VALU_DEP_1)
	v_mad_co_u64_u32 v[1:2], null, ttmp9, s2, v[1:2]
	s_mov_b32 s2, exec_lo
	v_cmpx_gt_u32_e64 s6, v1
	s_cbranch_execz .LBB292_7
; %bb.1:
	s_load_b64 s[8:9], s[0:1], 0x10
	s_ashr_i32 s2, s5, 31
	v_bfe_u32 v4, v0, 3, 7
	s_wait_alu 0xfffe
	s_lshr_b32 s2, s2, 24
	v_dual_mov_b32 v5, 0 :: v_dual_and_b32 v0, 0x3ff, v0
	s_wait_alu 0xfffe
	s_add_co_i32 s2, s5, s2
	s_lshr_b32 s10, ttmp7, 16
	s_wait_alu 0xfffe
	s_ashr_i32 s11, s2, 8
	s_mov_b32 s12, exec_lo
	v_cmpx_gt_u32_e64 s11, v4
	s_cbranch_execz .LBB292_5
; %bb.2:
	s_load_b64 s[2:3], s[0:1], 0x18
	s_cvt_f32_u32 s5, s4
	s_lshl_b32 s13, s10, 2
	s_mul_i32 s15, s11, s6
	v_and_b32_e32 v9, 7, v0
	v_rcp_iflag_f32_e32 v2, s5
	v_dual_mov_b32 v5, 0 :: v_dual_lshlrev_b32 v8, 2, v0
	v_mul_lo_u32 v6, v1, s11
	s_delay_alu instid0(VALU_DEP_3) | instskip(SKIP_3) | instid1(VALU_DEP_4)
	v_lshlrev_b32_e32 v11, 2, v9
	v_bfe_u32 v7, v0, 1, 2
	v_lshlrev_b32_e32 v10, 3, v4
	v_and_b32_e32 v8, 4, v8
	v_lshlrev_b32_e32 v11, 2, v11
	s_delay_alu instid0(TRANS32_DEP_1)
	v_readfirstlane_b32 s5, v2
	s_wait_kmcnt 0x0
	s_load_b32 s13, s[2:3], s13 offset:0x0
	s_mul_f32 s2, s5, 0x4f7ffffe
	s_sub_co_i32 s5, 0, s4
	s_wait_alu 0xfffe
	s_delay_alu instid0(SALU_CYCLE_1) | instskip(SKIP_1) | instid1(SALU_CYCLE_2)
	s_cvt_u32_f32 s14, s2
	s_load_b128 s[0:3], s[0:1], 0x0
	s_mul_i32 s5, s5, s14
	s_wait_alu 0xfffe
	s_mul_hi_u32 s16, s14, s5
	s_mov_b32 s5, 0
	s_add_co_i32 s14, s14, s16
	s_delay_alu instid0(SALU_CYCLE_1) | instskip(NEXT) | instid1(SALU_CYCLE_1)
	s_mul_hi_u32 s16, s10, s14
	s_mul_i32 s14, s16, s4
	s_add_co_i32 s17, s16, 1
	s_sub_co_i32 s18, s10, s14
	s_wait_kmcnt 0x0
	s_mul_i32 s14, s15, s13
	s_sub_co_i32 s13, s18, s4
	s_ashr_i32 s15, s14, 31
	s_cmp_ge_u32 s18, s4
	s_mul_u64 s[14:15], s[14:15], 0x88
	s_cselect_b32 s16, s17, s16
	s_cselect_b32 s13, s13, s18
	s_add_co_i32 s17, s16, 1
	s_cmp_ge_u32 s13, s4
	s_add_nc_u64 s[0:1], s[0:1], s[14:15]
	s_cselect_b32 s4, s17, s16
	s_wait_alu 0xfffe
	s_mul_i32 s4, s4, s7
	s_wait_alu 0xfffe
	s_lshl_b64 s[16:17], s[4:5], 2
	s_delay_alu instid0(SALU_CYCLE_1)
	s_add_nc_u64 s[2:3], s[2:3], s[16:17]
	s_wait_alu 0xfffe
	v_mad_co_u64_u32 v[2:3], null, v9, 36, s[2:3]
	v_lshlrev_b32_e32 v9, 1, v9
	s_getpc_b64 s[2:3]
	s_wait_alu 0xfffe
	s_sext_i32_i16 s3, s3
	s_add_co_u32 s2, s2, _ZL13kvalues_iq4nl@rel32@lo+12
	s_wait_alu 0xfffe
	s_add_co_ci_u32 s3, s3, _ZL13kvalues_iq4nl@rel32@hi+24
.LBB292_3:                              ; =>This Inner Loop Header: Depth=1
	v_add_nc_u32_e32 v12, v6, v4
	v_mad_co_i64_i32 v[20:21], null, v10, 36, v[2:3]
	v_add_nc_u32_e32 v4, 4, v4
	v_add_nc_u32_e32 v10, 32, v10
	s_delay_alu instid0(VALU_DEP_4) | instskip(NEXT) | instid1(VALU_DEP_1)
	v_mad_co_i64_i32 v[24:25], null, 0x88, v12, s[0:1]
	v_add_co_u32 v12, vcc_lo, v24, v11
	s_wait_alu 0xfffd
	s_delay_alu instid0(VALU_DEP_2)
	v_add_co_ci_u32_e64 v13, null, 0, v25, vcc_lo
	v_add_co_u32 v16, vcc_lo, v24, v7
	s_wait_alu 0xfffd
	v_add_co_ci_u32_e64 v17, null, 0, v25, vcc_lo
	s_clause 0x1
	global_load_b128 v[12:15], v[12:13], off offset:8
	global_load_u8 v26, v[16:17], off offset:4
	s_clause 0x2
	global_load_b32 v27, v[20:21], off
	global_load_b128 v[16:19], v[20:21], off offset:4
	global_load_b128 v[20:23], v[20:21], off offset:20
	global_load_b32 v24, v[24:25], off
	v_cmp_le_u32_e32 vcc_lo, s11, v4
	s_or_b32 s5, vcc_lo, s5
	s_wait_loadcnt 0x2
	v_perm_b32 v16, v16, v16, 0x3020001
	v_and_b32_e32 v28, 15, v12
	v_bfe_u32 v29, v12, 8, 4
	v_bfe_u32 v30, v12, 16, 4
	;; [unrolled: 1-line block ×5, first 2 shown]
	v_lshrrev_b32_e32 v32, 28, v12
	v_bfe_u32 v12, v12, 12, 4
	v_bfe_u32 v34, v13, 24, 4
	v_and_b32_e32 v35, 15, v13
	v_bfe_u32 v36, v13, 8, 4
	v_bfe_u32 v37, v13, 16, 4
	v_bfe_u32 v38, v13, 20, 4
	v_lshrrev_b32_e32 v39, 28, v13
	v_bfe_u32 v40, v13, 4, 4
	v_bfe_u32 v13, v13, 12, 4
	v_bfe_u32 v41, v14, 24, 4
	v_and_b32_e32 v42, 15, v14
	v_bfe_u32 v43, v14, 8, 4
	v_bfe_u32 v44, v14, 16, 4
	v_bfe_u32 v45, v14, 20, 4
	v_lshrrev_b32_e32 v46, 28, v14
	v_bfe_u32 v47, v14, 4, 4
	;; [unrolled: 8-line block ×3, first 2 shown]
	v_bfe_u32 v15, v15, 12, 4
	s_clause 0x1f
	global_load_i8 v28, v28, s[2:3]
	global_load_i8 v29, v29, s[2:3]
	;; [unrolled: 1-line block ×32, first 2 shown]
	s_wait_loadcnt 0x20
	v_lshrrev_b32_e32 v55, 16, v24
	v_perm_b32 v20, v20, v20, 0x3020001
	v_bfe_u32 v26, v26, v8, 4
	s_delay_alu instid0(VALU_DEP_3) | instskip(NEXT) | instid1(VALU_DEP_1)
	v_lshrrev_b32_e32 v55, v9, v55
	v_lshlrev_b32_e32 v55, 4, v55
	s_delay_alu instid0(VALU_DEP_1)
	v_and_or_b32 v26, v55, 48, v26
	s_wait_loadcnt 0x1e
	v_perm_b32 v28, v28, v29, 0xc0c0400
	s_wait_loadcnt 0x1b
	v_perm_b32 v12, v33, v12, 0xc0c0400
	s_wait_loadcnt 0x19
	v_perm_b32 v29, v32, v31, 0x4000c0c
	s_wait_loadcnt 0x18
	v_perm_b32 v25, v25, v30, 0x4000c0c
	s_wait_loadcnt 0x16
	v_perm_b32 v30, v36, v35, 0xc0c0400
	v_or_b32_e32 v12, v29, v12
	s_wait_loadcnt 0x13
	v_perm_b32 v13, v13, v40, 0xc0c0400
	v_or_b32_e32 v25, v25, v28
	s_wait_loadcnt 0x11
	v_perm_b32 v32, v39, v38, 0x4000c0c
	s_wait_loadcnt 0x10
	v_perm_b32 v31, v34, v37, 0x4000c0c
	v_dot4_i32_iu8 v12, v20, v12, 0 neg_lo:[1,1,0]
	s_wait_loadcnt 0xe
	v_perm_b32 v33, v43, v42, 0xc0c0400
	v_dot4_i32_iu8 v16, v16, v25, 0 neg_lo:[1,1,0]
	v_or_b32_e32 v13, v32, v13
	s_wait_loadcnt 0xb
	v_perm_b32 v14, v14, v47, 0xc0c0400
	v_or_b32_e32 v28, v31, v30
	s_wait_loadcnt 0x9
	v_perm_b32 v35, v46, v45, 0x4000c0c
	s_wait_loadcnt 0x8
	v_perm_b32 v34, v41, v44, 0x4000c0c
	v_dot4_i32_iu8 v12, v21, v13, v12 neg_lo:[1,1,0]
	s_wait_loadcnt 0x6
	v_perm_b32 v36, v50, v49, 0xc0c0400
	v_dot4_i32_iu8 v16, v17, v28, v16 neg_lo:[1,1,0]
	v_or_b32_e32 v14, v35, v14
	v_or_b32_e32 v25, v34, v33
	s_wait_loadcnt 0x2
	v_perm_b32 v20, v53, v52, 0x4000c0c
	s_wait_loadcnt 0x1
	v_perm_b32 v37, v48, v51, 0x4000c0c
	;; [unrolled: 2-line block ×3, first 2 shown]
	v_subrev_nc_u32_e32 v13, 32, v26
	v_dot4_i32_iu8 v16, v18, v25, v16 neg_lo:[1,1,0]
	v_dot4_i32_iu8 v12, v22, v14, v12 neg_lo:[1,1,0]
	v_or_b32_e32 v17, v37, v36
	v_or_b32_e32 v15, v20, v15
	v_cvt_f32_f16_e32 v14, v24
	v_cvt_f32_i32_e32 v13, v13
	s_delay_alu instid0(VALU_DEP_4) | instskip(NEXT) | instid1(VALU_DEP_4)
	v_dot4_i32_iu8 v16, v19, v17, v16 neg_lo:[1,1,0]
	v_dot4_i32_iu8 v12, v23, v15, v12 neg_lo:[1,1,0]
	v_cvt_f32_f16_e32 v15, v27
	s_delay_alu instid0(VALU_DEP_2) | instskip(NEXT) | instid1(VALU_DEP_1)
	v_dual_mul_f32 v13, v14, v13 :: v_dual_add_nc_u32 v12, v12, v16
	v_mul_f32_e32 v13, v13, v15
	s_delay_alu instid0(VALU_DEP_2) | instskip(NEXT) | instid1(VALU_DEP_1)
	v_cvt_f32_i32_e32 v12, v12
	v_fmac_f32_e32 v5, v13, v12
	s_wait_alu 0xfffe
	s_and_not1_b32 exec_lo, exec_lo, s5
	s_cbranch_execnz .LBB292_3
; %bb.4:
	s_or_b32 exec_lo, exec_lo, s5
.LBB292_5:
	s_delay_alu instid0(SALU_CYCLE_1) | instskip(SKIP_1) | instid1(VALU_DEP_1)
	s_or_b32 exec_lo, exec_lo, s12
	v_mbcnt_lo_u32_b32 v2, -1, 0
	v_xor_b32_e32 v3, 16, v2
	v_xor_b32_e32 v4, 8, v2
	s_delay_alu instid0(VALU_DEP_2) | instskip(SKIP_2) | instid1(VALU_DEP_3)
	v_cmp_gt_i32_e32 vcc_lo, 32, v3
	s_wait_alu 0xfffd
	v_cndmask_b32_e32 v3, v2, v3, vcc_lo
	v_cmp_gt_i32_e32 vcc_lo, 32, v4
	s_wait_alu 0xfffd
	v_cndmask_b32_e32 v4, v2, v4, vcc_lo
	s_delay_alu instid0(VALU_DEP_1)
	v_lshlrev_b32_e32 v4, 2, v4
	v_lshlrev_b32_e32 v3, 2, v3
	ds_bpermute_b32 v3, v3, v5
	s_wait_dscnt 0x0
	v_add_f32_e32 v3, v5, v3
	v_xor_b32_e32 v5, 4, v2
	ds_bpermute_b32 v4, v4, v3
	v_cmp_gt_i32_e32 vcc_lo, 32, v5
	s_wait_alu 0xfffd
	v_cndmask_b32_e32 v5, v2, v5, vcc_lo
	s_delay_alu instid0(VALU_DEP_1) | instskip(SKIP_4) | instid1(VALU_DEP_1)
	v_lshlrev_b32_e32 v5, 2, v5
	s_wait_dscnt 0x0
	v_add_f32_e32 v3, v3, v4
	ds_bpermute_b32 v4, v5, v3
	v_xor_b32_e32 v5, 2, v2
	v_cmp_gt_i32_e32 vcc_lo, 32, v5
	s_wait_alu 0xfffd
	v_cndmask_b32_e32 v5, v2, v5, vcc_lo
	s_delay_alu instid0(VALU_DEP_1) | instskip(SKIP_4) | instid1(VALU_DEP_1)
	v_lshlrev_b32_e32 v5, 2, v5
	s_wait_dscnt 0x0
	v_add_f32_e32 v3, v3, v4
	ds_bpermute_b32 v4, v5, v3
	v_xor_b32_e32 v5, 1, v2
	v_cmp_gt_i32_e32 vcc_lo, 32, v5
	s_wait_alu 0xfffd
	v_cndmask_b32_e32 v5, v2, v5, vcc_lo
	v_cmp_eq_u32_e32 vcc_lo, 0, v0
	s_wait_dscnt 0x0
	s_delay_alu instid0(VALU_DEP_2)
	v_dual_add_f32 v2, v3, v4 :: v_dual_lshlrev_b32 v3, 2, v5
	ds_bpermute_b32 v3, v3, v2
	s_and_b32 exec_lo, exec_lo, vcc_lo
	s_cbranch_execz .LBB292_7
; %bb.6:
	s_wait_dscnt 0x0
	v_add_f32_e32 v2, v2, v3
	s_delay_alu instid0(VALU_DEP_1) | instskip(SKIP_3) | instid1(VALU_DEP_2)
	v_mad_co_u64_u32 v[0:1], null, s6, s10, v[1:2]
	v_mov_b32_e32 v1, 0
	v_bfe_u32 v3, v2, 16, 1
	v_cmp_o_f32_e32 vcc_lo, v2, v2
	v_add3_u32 v3, v2, v3, 0x7fff
	s_delay_alu instid0(VALU_DEP_4) | instskip(NEXT) | instid1(VALU_DEP_2)
	v_lshlrev_b64_e32 v[0:1], 1, v[0:1]
	v_lshrrev_b32_e32 v3, 16, v3
	s_wait_alu 0xfffd
	s_delay_alu instid0(VALU_DEP_1) | instskip(SKIP_1) | instid1(VALU_DEP_3)
	v_cndmask_b32_e32 v2, 0x7fc0, v3, vcc_lo
	s_wait_kmcnt 0x0
	v_add_co_u32 v0, vcc_lo, s8, v0
	s_wait_alu 0xfffd
	v_add_co_ci_u32_e64 v1, null, s9, v1, vcc_lo
	global_store_b16 v[0:1], v2, off
.LBB292_7:
	s_endpgm
	.section	.rodata,"a",@progbits
	.p2align	6, 0x0
	.amdhsa_kernel _ZL9moe_vec_qIN3c108BFloat16ELi256ELi8E12block_iq4_xsLi1EXadL_ZL19vec_dot_iq4_xs_q8_1PKvPK10block_q8_1RKiEEEvS4_S4_PT_PS8_iiii
		.amdhsa_group_segment_fixed_size 0
		.amdhsa_private_segment_fixed_size 0
		.amdhsa_kernarg_size 304
		.amdhsa_user_sgpr_count 2
		.amdhsa_user_sgpr_dispatch_ptr 0
		.amdhsa_user_sgpr_queue_ptr 0
		.amdhsa_user_sgpr_kernarg_segment_ptr 1
		.amdhsa_user_sgpr_dispatch_id 0
		.amdhsa_user_sgpr_private_segment_size 0
		.amdhsa_wavefront_size32 1
		.amdhsa_uses_dynamic_stack 0
		.amdhsa_enable_private_segment 0
		.amdhsa_system_sgpr_workgroup_id_x 1
		.amdhsa_system_sgpr_workgroup_id_y 0
		.amdhsa_system_sgpr_workgroup_id_z 1
		.amdhsa_system_sgpr_workgroup_info 0
		.amdhsa_system_vgpr_workitem_id 1
		.amdhsa_next_free_vgpr 56
		.amdhsa_next_free_sgpr 19
		.amdhsa_reserve_vcc 1
		.amdhsa_float_round_mode_32 0
		.amdhsa_float_round_mode_16_64 0
		.amdhsa_float_denorm_mode_32 3
		.amdhsa_float_denorm_mode_16_64 3
		.amdhsa_fp16_overflow 0
		.amdhsa_workgroup_processor_mode 1
		.amdhsa_memory_ordered 1
		.amdhsa_forward_progress 1
		.amdhsa_inst_pref_size 16
		.amdhsa_round_robin_scheduling 0
		.amdhsa_exception_fp_ieee_invalid_op 0
		.amdhsa_exception_fp_denorm_src 0
		.amdhsa_exception_fp_ieee_div_zero 0
		.amdhsa_exception_fp_ieee_overflow 0
		.amdhsa_exception_fp_ieee_underflow 0
		.amdhsa_exception_fp_ieee_inexact 0
		.amdhsa_exception_int_div_zero 0
	.end_amdhsa_kernel
	.section	.text._ZL9moe_vec_qIN3c108BFloat16ELi256ELi8E12block_iq4_xsLi1EXadL_ZL19vec_dot_iq4_xs_q8_1PKvPK10block_q8_1RKiEEEvS4_S4_PT_PS8_iiii,"axG",@progbits,_ZL9moe_vec_qIN3c108BFloat16ELi256ELi8E12block_iq4_xsLi1EXadL_ZL19vec_dot_iq4_xs_q8_1PKvPK10block_q8_1RKiEEEvS4_S4_PT_PS8_iiii,comdat
.Lfunc_end292:
	.size	_ZL9moe_vec_qIN3c108BFloat16ELi256ELi8E12block_iq4_xsLi1EXadL_ZL19vec_dot_iq4_xs_q8_1PKvPK10block_q8_1RKiEEEvS4_S4_PT_PS8_iiii, .Lfunc_end292-_ZL9moe_vec_qIN3c108BFloat16ELi256ELi8E12block_iq4_xsLi1EXadL_ZL19vec_dot_iq4_xs_q8_1PKvPK10block_q8_1RKiEEEvS4_S4_PT_PS8_iiii
                                        ; -- End function
	.set _ZL9moe_vec_qIN3c108BFloat16ELi256ELi8E12block_iq4_xsLi1EXadL_ZL19vec_dot_iq4_xs_q8_1PKvPK10block_q8_1RKiEEEvS4_S4_PT_PS8_iiii.num_vgpr, 56
	.set _ZL9moe_vec_qIN3c108BFloat16ELi256ELi8E12block_iq4_xsLi1EXadL_ZL19vec_dot_iq4_xs_q8_1PKvPK10block_q8_1RKiEEEvS4_S4_PT_PS8_iiii.num_agpr, 0
	.set _ZL9moe_vec_qIN3c108BFloat16ELi256ELi8E12block_iq4_xsLi1EXadL_ZL19vec_dot_iq4_xs_q8_1PKvPK10block_q8_1RKiEEEvS4_S4_PT_PS8_iiii.numbered_sgpr, 19
	.set _ZL9moe_vec_qIN3c108BFloat16ELi256ELi8E12block_iq4_xsLi1EXadL_ZL19vec_dot_iq4_xs_q8_1PKvPK10block_q8_1RKiEEEvS4_S4_PT_PS8_iiii.num_named_barrier, 0
	.set _ZL9moe_vec_qIN3c108BFloat16ELi256ELi8E12block_iq4_xsLi1EXadL_ZL19vec_dot_iq4_xs_q8_1PKvPK10block_q8_1RKiEEEvS4_S4_PT_PS8_iiii.private_seg_size, 0
	.set _ZL9moe_vec_qIN3c108BFloat16ELi256ELi8E12block_iq4_xsLi1EXadL_ZL19vec_dot_iq4_xs_q8_1PKvPK10block_q8_1RKiEEEvS4_S4_PT_PS8_iiii.uses_vcc, 1
	.set _ZL9moe_vec_qIN3c108BFloat16ELi256ELi8E12block_iq4_xsLi1EXadL_ZL19vec_dot_iq4_xs_q8_1PKvPK10block_q8_1RKiEEEvS4_S4_PT_PS8_iiii.uses_flat_scratch, 0
	.set _ZL9moe_vec_qIN3c108BFloat16ELi256ELi8E12block_iq4_xsLi1EXadL_ZL19vec_dot_iq4_xs_q8_1PKvPK10block_q8_1RKiEEEvS4_S4_PT_PS8_iiii.has_dyn_sized_stack, 0
	.set _ZL9moe_vec_qIN3c108BFloat16ELi256ELi8E12block_iq4_xsLi1EXadL_ZL19vec_dot_iq4_xs_q8_1PKvPK10block_q8_1RKiEEEvS4_S4_PT_PS8_iiii.has_recursion, 0
	.set _ZL9moe_vec_qIN3c108BFloat16ELi256ELi8E12block_iq4_xsLi1EXadL_ZL19vec_dot_iq4_xs_q8_1PKvPK10block_q8_1RKiEEEvS4_S4_PT_PS8_iiii.has_indirect_call, 0
	.section	.AMDGPU.csdata,"",@progbits
; Kernel info:
; codeLenInByte = 2024
; TotalNumSgprs: 21
; NumVgprs: 56
; ScratchSize: 0
; MemoryBound: 0
; FloatMode: 240
; IeeeMode: 1
; LDSByteSize: 0 bytes/workgroup (compile time only)
; SGPRBlocks: 0
; VGPRBlocks: 6
; NumSGPRsForWavesPerEU: 21
; NumVGPRsForWavesPerEU: 56
; Occupancy: 16
; WaveLimiterHint : 1
; COMPUTE_PGM_RSRC2:SCRATCH_EN: 0
; COMPUTE_PGM_RSRC2:USER_SGPR: 2
; COMPUTE_PGM_RSRC2:TRAP_HANDLER: 0
; COMPUTE_PGM_RSRC2:TGID_X_EN: 1
; COMPUTE_PGM_RSRC2:TGID_Y_EN: 0
; COMPUTE_PGM_RSRC2:TGID_Z_EN: 1
; COMPUTE_PGM_RSRC2:TIDIG_COMP_CNT: 1
	.section	.text._ZL9moe_vec_qIN3c108BFloat16ELi256ELi8E11block_iq1_mLi1EXadL_ZL18vec_dot_iq1_m_q8_1PKvPK10block_q8_1RKiEEEvS4_S4_PT_PS8_iiii,"axG",@progbits,_ZL9moe_vec_qIN3c108BFloat16ELi256ELi8E11block_iq1_mLi1EXadL_ZL18vec_dot_iq1_m_q8_1PKvPK10block_q8_1RKiEEEvS4_S4_PT_PS8_iiii,comdat
	.globl	_ZL9moe_vec_qIN3c108BFloat16ELi256ELi8E11block_iq1_mLi1EXadL_ZL18vec_dot_iq1_m_q8_1PKvPK10block_q8_1RKiEEEvS4_S4_PT_PS8_iiii ; -- Begin function _ZL9moe_vec_qIN3c108BFloat16ELi256ELi8E11block_iq1_mLi1EXadL_ZL18vec_dot_iq1_m_q8_1PKvPK10block_q8_1RKiEEEvS4_S4_PT_PS8_iiii
	.p2align	8
	.type	_ZL9moe_vec_qIN3c108BFloat16ELi256ELi8E11block_iq1_mLi1EXadL_ZL18vec_dot_iq1_m_q8_1PKvPK10block_q8_1RKiEEEvS4_S4_PT_PS8_iiii,@function
_ZL9moe_vec_qIN3c108BFloat16ELi256ELi8E11block_iq1_mLi1EXadL_ZL18vec_dot_iq1_m_q8_1PKvPK10block_q8_1RKiEEEvS4_S4_PT_PS8_iiii: ; @_ZL9moe_vec_qIN3c108BFloat16ELi256ELi8E11block_iq1_mLi1EXadL_ZL18vec_dot_iq1_m_q8_1PKvPK10block_q8_1RKiEEEvS4_S4_PT_PS8_iiii
; %bb.0:
	s_clause 0x1
	s_load_u16 s2, s[0:1], 0x3e
	s_load_b128 s[4:7], s[0:1], 0x20
	v_bfe_u32 v1, v0, 10, 10
	s_wait_kmcnt 0x0
	s_delay_alu instid0(VALU_DEP_1)
	v_mad_co_u64_u32 v[1:2], null, ttmp9, s2, v[1:2]
	s_mov_b32 s2, exec_lo
	v_cmpx_gt_u32_e64 s6, v1
	s_cbranch_execz .LBB293_7
; %bb.1:
	s_load_b64 s[8:9], s[0:1], 0x10
	s_ashr_i32 s2, s5, 31
	v_bfe_u32 v4, v0, 3, 7
	s_wait_alu 0xfffe
	s_lshr_b32 s2, s2, 24
	v_dual_mov_b32 v5, 0 :: v_dual_and_b32 v0, 0x3ff, v0
	s_wait_alu 0xfffe
	s_add_co_i32 s2, s5, s2
	s_lshr_b32 s10, ttmp7, 16
	s_wait_alu 0xfffe
	s_ashr_i32 s11, s2, 8
	s_mov_b32 s12, exec_lo
	v_cmpx_gt_u32_e64 s11, v4
	s_cbranch_execz .LBB293_5
; %bb.2:
	s_load_b64 s[2:3], s[0:1], 0x18
	s_cvt_f32_u32 s5, s4
	s_lshl_b32 s13, s10, 2
	s_mul_i32 s15, s11, s6
	v_and_b32_e32 v8, 1, v0
	v_rcp_iflag_f32_e32 v2, s5
	v_dual_mov_b32 v5, 0 :: v_dual_and_b32 v10, 7, v0
	v_bfe_u32 v11, v0, 1, 2
	s_delay_alu instid0(VALU_DEP_3) | instskip(SKIP_1) | instid1(VALU_DEP_4)
	v_cmp_eq_u32_e32 vcc_lo, 1, v8
	v_mul_lo_u32 v6, v1, s11
	v_lshlrev_b32_e32 v7, 1, v10
	v_lshlrev_b32_e32 v9, 3, v4
	;; [unrolled: 1-line block ×3, first 2 shown]
	v_cndmask_b32_e64 v8, 0, 6, vcc_lo
	s_delay_alu instid0(TRANS32_DEP_1)
	v_readfirstlane_b32 s5, v2
	s_wait_kmcnt 0x0
	s_load_b32 s13, s[2:3], s13 offset:0x0
	s_mul_f32 s2, s5, 0x4f7ffffe
	s_sub_co_i32 s5, 0, s4
	s_wait_alu 0xfffe
	s_delay_alu instid0(SALU_CYCLE_1) | instskip(SKIP_1) | instid1(SALU_CYCLE_2)
	s_cvt_u32_f32 s14, s2
	s_load_b128 s[0:3], s[0:1], 0x0
	s_mul_i32 s5, s5, s14
	s_wait_alu 0xfffe
	s_mul_hi_u32 s16, s14, s5
	s_mov_b32 s5, 0
	s_add_co_i32 s14, s14, s16
	s_delay_alu instid0(SALU_CYCLE_1) | instskip(NEXT) | instid1(SALU_CYCLE_1)
	s_mul_hi_u32 s16, s10, s14
	s_mul_i32 s14, s16, s4
	s_add_co_i32 s17, s16, 1
	s_sub_co_i32 s18, s10, s14
	s_wait_kmcnt 0x0
	s_mul_i32 s14, s15, s13
	s_sub_co_i32 s13, s18, s4
	s_ashr_i32 s15, s14, 31
	s_cmp_ge_u32 s18, s4
	s_mul_u64 s[14:15], s[14:15], 56
	s_cselect_b32 s16, s17, s16
	s_cselect_b32 s13, s13, s18
	s_add_co_i32 s17, s16, 1
	s_cmp_ge_u32 s13, s4
	s_add_nc_u64 s[0:1], s[0:1], s[14:15]
	s_cselect_b32 s4, s17, s16
	s_wait_alu 0xfffe
	s_mul_i32 s4, s4, s7
	s_wait_alu 0xfffe
	s_lshl_b64 s[16:17], s[4:5], 2
	s_mov_b32 s4, 0xbd000000
	s_add_nc_u64 s[2:3], s[2:3], s[16:17]
	s_wait_alu 0xfffe
	v_mad_co_u64_u32 v[2:3], null, v10, 36, s[2:3]
	v_lshlrev_b32_e32 v10, 2, v10
	s_getpc_b64 s[2:3]
	s_wait_alu 0xfffe
	s_sext_i32_i16 s3, s3
	s_add_co_u32 s2, s2, _ZL13iq1s_grid_gpu@rel32@lo+12
	s_wait_alu 0xfffe
	s_add_co_ci_u32 s3, s3, _ZL13iq1s_grid_gpu@rel32@hi+24
.LBB293_3:                              ; =>This Inner Loop Header: Depth=1
	v_add_nc_u32_e32 v12, v6, v4
	v_mad_co_i64_i32 v[20:21], null, v9, 36, v[2:3]
	v_add_nc_u32_e32 v4, 4, v4
	v_add_nc_u32_e32 v9, 32, v9
	s_delay_alu instid0(VALU_DEP_4) | instskip(NEXT) | instid1(VALU_DEP_1)
	v_mad_co_i64_i32 v[16:17], null, v12, 56, s[0:1]
	v_add_co_u32 v12, vcc_lo, v16, v7
	s_wait_alu 0xfffd
	s_delay_alu instid0(VALU_DEP_2)
	v_add_co_ci_u32_e64 v13, null, 0, v17, vcc_lo
	v_add_co_u32 v14, vcc_lo, v16, v11
	s_wait_alu 0xfffd
	v_add_co_ci_u32_e64 v15, null, 0, v17, vcc_lo
	v_add_co_u32 v18, vcc_lo, v16, v10
	s_wait_alu 0xfffd
	v_add_co_ci_u32_e64 v19, null, 0, v17, vcc_lo
	s_clause 0x2
	global_load_u16 v24, v[14:15], off offset:48
	global_load_u16 v25, v[12:13], off offset:32
	global_load_b32 v18, v[18:19], off
	global_load_b128 v[12:15], v[20:21], off offset:20
	global_load_b64 v[22:23], v[16:17], off offset:48
	v_cmp_le_u32_e32 vcc_lo, s11, v4
	s_or_b32 s5, vcc_lo, s5
	s_wait_loadcnt 0x4
	v_lshrrev_b32_e32 v24, v8, v24
	s_wait_loadcnt 0x3
	v_lshrrev_b16 v29, 12, v25
	s_wait_loadcnt 0x1
	v_lshrrev_b16 v45, 8, v13
	v_lshrrev_b16 v47, 8, v15
	;; [unrolled: 1-line block ×3, first 2 shown]
	v_ashrrev_i32_e32 v48, 24, v12
	v_bfe_i32 v49, v12, 16, 8
	v_bfe_i32 v12, v12, 0, 8
	;; [unrolled: 1-line block ×5, first 2 shown]
	v_lshrrev_b16 v46, 8, v14
	v_ashrrev_i32_e32 v50, 24, v13
	v_bfe_i32 v51, v13, 16, 8
	v_bfe_i32 v13, v13, 0, 8
	v_ashrrev_i32_e32 v54, 24, v15
	v_bfe_i32 v55, v15, 16, 8
	v_bfe_i32 v15, v15, 0, 8
	v_add_nc_u32_e32 v57, v45, v12
	s_wait_loadcnt 0x0
	v_pk_lshrrev_b16 v22, 0x8000c, v22
	v_add_nc_u32_e32 v59, v47, v52
	v_bfe_i32 v44, v44, 0, 8
	v_bfe_i32 v46, v46, 0, 8
	v_add3_u32 v57, v57, v13, v51
	v_lshrrev_b32_e32 v60, 16, v22
	v_add3_u32 v59, v59, v15, v55
	v_ashrrev_i32_e32 v53, 24, v14
	v_bfe_i32 v14, v14, 16, 8
	v_pk_lshrrev_b16 v23, 4, v23
	v_and_b32_e32 v60, 0xf0, v60
	v_add3_u32 v57, v57, v50, v44
	v_add3_u32 v59, v59, v54, v46
	v_bfe_u32 v17, v18, 8, 8
	v_and_b32_e32 v23, 0xf0000f00, v23
	v_or_b32_e32 v22, v60, v22
	v_add3_u32 v57, v57, v49, v48
	v_add3_u32 v59, v59, v14, v53
	v_lshrrev_b16 v26, 4, v25
	v_bfe_u32 v19, v18, 16, 8
	v_lshrrev_b32_e32 v62, 16, v23
	v_or_b32_e32 v22, v22, v23
	v_cvt_f32_i32_e32 v23, v57
	v_cvt_f32_i32_e32 v57, v59
	v_and_b32_e32 v16, 0xff, v18
	v_alignbit_b32 v18, v29, v18, 24
	v_and_b32_e32 v29, 8, v29
	v_lshlrev_b32_e32 v27, 8, v25
	v_lshrrev_b16 v28, 8, v25
	v_lshlrev_b32_e32 v61, 1, v24
	v_and_b32_e32 v18, 0x7ff, v18
	v_cvt_f32_ubyte0_e32 v29, v29
	v_and_b32_e32 v30, 15, v26
	v_and_b32_e32 v26, 8, v26
	v_and_or_b32 v16, 0x700, v27, v16
	s_delay_alu instid0(VALU_DEP_4) | instskip(NEXT) | instid1(VALU_DEP_4)
	v_dual_fmaak_f32 v29, s4, v29, 0xbf600000 :: v_dual_lshlrev_b32 v18, 3, v18
	v_lshlrev_b32_e32 v30, 8, v30
	s_delay_alu instid0(VALU_DEP_4)
	v_cvt_f32_ubyte0_e32 v26, v26
	v_lshlrev_b32_e32 v27, 8, v28
	v_lshlrev_b32_e32 v16, 3, v16
	v_and_b32_e32 v61, 14, v61
	v_and_or_b32 v17, 0x700, v30, v17
	v_fmaak_f32 v26, s4, v26, 0xbf600000
	v_and_or_b32 v19, 0x700, v27, v19
	global_load_b32 v27, v16, s[2:3]
	v_or_b32_e32 v60, 1, v61
	v_lshlrev_b32_e32 v17, 3, v17
	v_and_b32_e32 v28, 8, v28
	v_lshlrev_b32_e32 v16, 3, v19
	s_clause 0x2
	global_load_b32 v30, v17, s[2:3]
	global_load_b32 v31, v16, s[2:3]
	;; [unrolled: 1-line block ×3, first 2 shown]
	s_clause 0x1
	global_load_b128 v[16:19], v[20:21], off offset:4
	global_load_b32 v20, v[20:21], off
	v_cvt_f32_ubyte0_e32 v28, v28
	v_lshrrev_b32_e32 v24, 2, v24
	s_delay_alu instid0(VALU_DEP_2) | instskip(NEXT) | instid1(VALU_DEP_2)
	v_fmaak_f32 v28, s4, v28, 0xbf600000
	v_and_b32_e32 v24, 14, v24
	s_delay_alu instid0(VALU_DEP_1)
	v_or_b32_e32 v24, 1, v24
	s_wait_loadcnt 0x5
	v_and_b32_e32 v61, 0xf0f0f0f, v27
	v_bfe_u32 v59, v27, 24, 4
	v_lshrrev_b32_e32 v63, 4, v27
	v_lshrrev_b32_e32 v64, 28, v27
	v_bfe_u32 v65, v27, 16, 4
	v_lshrrev_b16 v61, 8, v61
	v_and_b32_e32 v66, 15, v27
	s_wait_loadcnt 0x1
	v_lshrrev_b16 v21, 8, v16
	v_lshrrev_b16 v35, 8, v19
	v_ashrrev_i32_e32 v36, 24, v16
	v_bfe_i32 v37, v16, 16, 8
	v_bfe_i32 v16, v16, 0, 8
	;; [unrolled: 1-line block ×5, first 2 shown]
	v_lshrrev_b16 v33, 8, v17
	v_lshrrev_b16 v34, 8, v18
	v_ashrrev_i32_e32 v42, 24, v19
	v_bfe_i32 v43, v19, 16, 8
	v_bfe_i32 v19, v19, 0, 8
	v_add_nc_u32_e32 v56, v21, v16
	v_add_nc_u32_e32 v58, v35, v40
	v_ashrrev_i32_e32 v38, 24, v17
	v_bfe_i32 v39, v17, 16, 8
	v_bfe_i32 v17, v17, 0, 8
	;; [unrolled: 1-line block ×4, first 2 shown]
	v_add3_u32 v56, v56, v37, v36
	v_add3_u32 v58, v58, v19, v43
	v_ashrrev_i32_e32 v41, 24, v18
	v_bfe_i32 v18, v18, 16, 8
	v_bfe_u32 v67, v27, 20, 4
	v_add3_u32 v56, v56, v33, v17
	v_add3_u32 v58, v58, v42, v34
	v_bfe_u32 v27, v27, 4, 4
	v_lshrrev_b16 v63, 8, v63
	v_mul_i32_i24_e32 v36, v59, v36
	v_and_b32_e32 v59, 0xffff, v61
	v_bfe_u32 v61, v30, 24, 4
	v_lshrrev_b32_e32 v71, 4, v31
	v_add3_u32 v56, v56, v39, v38
	v_add3_u32 v58, v58, v18, v41
	v_mul_i32_i24_e32 v37, v65, v37
	v_mul_i32_i24_e32 v17, v27, v17
	;; [unrolled: 1-line block ×3, first 2 shown]
	v_and_b32_e32 v39, 15, v63
	v_and_b32_e32 v63, 0xf0f0f0f, v30
	v_lshrrev_b32_e32 v65, 28, v30
	v_bfe_u32 v76, v32, 24, 4
	v_and_b32_e32 v77, 0xf0f0f0f, v32
	v_lshrrev_b32_e32 v78, 4, v32
	v_lshrrev_b32_e32 v79, 28, v32
	v_and_b32_e32 v80, 15, v32
	v_bfe_u32 v81, v32, 16, 4
	v_bfe_u32 v82, v32, 20, 4
	;; [unrolled: 1-line block ×3, first 2 shown]
	v_mul_i32_i24_e32 v41, v41, v61
	v_lshrrev_b16 v61, 8, v71
	v_mul_i32_i24_e32 v16, v66, v16
	v_mul_i32_i24_e32 v38, v64, v38
	v_lshrrev_b32_e32 v64, 4, v30
	v_and_b32_e32 v66, 15, v30
	v_bfe_u32 v67, v30, 16, 4
	v_bfe_u32 v68, v30, 20, 4
	;; [unrolled: 1-line block ×3, first 2 shown]
	v_and_b32_e32 v70, 0xf0f0f0f, v31
	v_lshrrev_b16 v63, 8, v63
	v_mul_i32_i24_e32 v42, v65, v42
	v_lshrrev_b16 v65, 8, v78
	v_mul_i32_i24_e32 v15, v32, v15
	v_mul_i32_i24_e32 v32, v82, v55
	v_and_b32_e32 v55, 15, v61
	v_bfe_u32 v69, v31, 24, 4
	v_lshrrev_b32_e32 v72, 28, v31
	v_mul_i32_i24_e32 v19, v30, v19
	v_mul_i32_i24_e32 v30, v68, v43
	v_lshrrev_b16 v43, 8, v70
	v_and_b32_e32 v61, 0xffff, v63
	v_and_b32_e32 v63, 15, v65
	;; [unrolled: 1-line block ×3, first 2 shown]
	v_bfe_u32 v73, v31, 16, 4
	v_and_b32_e32 v74, 15, v31
	v_bfe_u32 v75, v31, 20, 4
	v_bfe_u32 v31, v31, 4, 4
	v_and_b32_e32 v39, 0xffff, v39
	v_lshrrev_b16 v64, 8, v64
	v_mul_i32_i24_e32 v48, v48, v69
	v_mul_i32_i24_e32 v50, v72, v50
	;; [unrolled: 1-line block ×3, first 2 shown]
	v_add3_u32 v27, v37, v27, v30
	v_add3_u32 v30, v36, v38, v42
	v_and_b32_e32 v36, 0xffff, v43
	v_and_b32_e32 v37, 0xffff, v63
	v_mul_i32_i24_e32 v38, v55, v45
	v_mul_i32_i24_e32 v12, v12, v74
	;; [unrolled: 1-line block ×5, first 2 shown]
	v_lshrrev_b16 v51, 8, v77
	v_mul_i32_i24_e32 v33, v39, v33
	v_and_b32_e32 v39, 15, v64
	v_add3_u32 v43, v48, v50, v54
	v_mul_i32_i24_e32 v37, v37, v47
	v_mad_i32_i24 v36, v44, v36, v38
	v_mul_i32_i24_e32 v14, v14, v81
	v_mul_i32_i24_e32 v53, v53, v76
	v_and_b32_e32 v42, 0xffff, v51
	v_and_b32_e32 v39, 0xffff, v39
	v_add3_u32 v31, v49, v31, v32
	v_add3_u32 v12, v12, v13, v15
	v_mad_i32_i24 v13, v59, v21, v33
	v_add3_u32 v21, v36, v37, v43
	v_mul_i32_i24_e32 v15, v39, v35
	v_add3_u32 v16, v16, v17, v19
	v_mad_i32_i24 v14, v52, v80, v14
	v_mad_i32_i24 v17, v46, v42, v53
	v_add3_u32 v12, v12, v31, v21
	v_add3_u32 v13, v13, v15, v30
	v_fma_f32 v15, v28, v23, 0
	v_mul_i32_i24_e32 v18, v18, v67
	v_cvt_f32_i32_e32 v56, v56
	v_add3_u32 v12, v14, v17, v12
	v_mad_i32_i24 v19, v34, v61, v41
	v_fmac_f32_e32 v15, v29, v57
	v_mad_i32_i24 v18, v40, v66, v18
	v_add3_u32 v13, v16, v27, v13
	v_cvt_f32_i32_e32 v12, v12
	v_and_b32_e32 v25, 8, v25
	v_cvt_f32_i32_e32 v14, v58
	v_cvt_f32_ubyte0_e32 v17, v24
	v_add3_u32 v13, v18, v19, v13
	v_add_f32_e32 v12, v15, v12
	v_cvt_f32_ubyte0_e32 v25, v25
	v_or_b32_e32 v18, v22, v62
	v_cvt_f32_ubyte0_e32 v15, v60
	v_cvt_f32_i32_e32 v13, v13
	v_mul_f32_e32 v12, v12, v17
	v_fmaak_f32 v25, s4, v25, 0xbf600000
	v_cvt_f32_f16_e32 v18, v18
	s_delay_alu instid0(VALU_DEP_2) | instskip(NEXT) | instid1(VALU_DEP_1)
	v_fma_f32 v16, v25, v56, 0
	v_fmac_f32_e32 v16, v26, v14
	s_wait_loadcnt 0x0
	v_cvt_f32_f16_e32 v14, v20
	s_delay_alu instid0(VALU_DEP_1) | instskip(NEXT) | instid1(VALU_DEP_1)
	v_dual_add_f32 v13, v16, v13 :: v_dual_mul_f32 v14, v14, v18
	v_fmac_f32_e32 v12, v13, v15
	s_delay_alu instid0(VALU_DEP_1)
	v_fmac_f32_e32 v5, v14, v12
	s_wait_alu 0xfffe
	s_and_not1_b32 exec_lo, exec_lo, s5
	s_cbranch_execnz .LBB293_3
; %bb.4:
	s_or_b32 exec_lo, exec_lo, s5
.LBB293_5:
	s_delay_alu instid0(SALU_CYCLE_1) | instskip(SKIP_1) | instid1(VALU_DEP_1)
	s_or_b32 exec_lo, exec_lo, s12
	v_mbcnt_lo_u32_b32 v2, -1, 0
	v_xor_b32_e32 v3, 16, v2
	v_xor_b32_e32 v4, 8, v2
	s_delay_alu instid0(VALU_DEP_2) | instskip(SKIP_2) | instid1(VALU_DEP_3)
	v_cmp_gt_i32_e32 vcc_lo, 32, v3
	s_wait_alu 0xfffd
	v_cndmask_b32_e32 v3, v2, v3, vcc_lo
	v_cmp_gt_i32_e32 vcc_lo, 32, v4
	s_wait_alu 0xfffd
	v_cndmask_b32_e32 v4, v2, v4, vcc_lo
	s_delay_alu instid0(VALU_DEP_1)
	v_lshlrev_b32_e32 v4, 2, v4
	v_lshlrev_b32_e32 v3, 2, v3
	ds_bpermute_b32 v3, v3, v5
	s_wait_dscnt 0x0
	v_add_f32_e32 v3, v5, v3
	v_xor_b32_e32 v5, 4, v2
	ds_bpermute_b32 v4, v4, v3
	v_cmp_gt_i32_e32 vcc_lo, 32, v5
	s_wait_alu 0xfffd
	v_cndmask_b32_e32 v5, v2, v5, vcc_lo
	s_delay_alu instid0(VALU_DEP_1) | instskip(SKIP_4) | instid1(VALU_DEP_1)
	v_lshlrev_b32_e32 v5, 2, v5
	s_wait_dscnt 0x0
	v_add_f32_e32 v3, v3, v4
	ds_bpermute_b32 v4, v5, v3
	v_xor_b32_e32 v5, 2, v2
	v_cmp_gt_i32_e32 vcc_lo, 32, v5
	s_wait_alu 0xfffd
	v_cndmask_b32_e32 v5, v2, v5, vcc_lo
	s_delay_alu instid0(VALU_DEP_1) | instskip(SKIP_4) | instid1(VALU_DEP_1)
	v_lshlrev_b32_e32 v5, 2, v5
	s_wait_dscnt 0x0
	v_add_f32_e32 v3, v3, v4
	ds_bpermute_b32 v4, v5, v3
	v_xor_b32_e32 v5, 1, v2
	v_cmp_gt_i32_e32 vcc_lo, 32, v5
	s_wait_alu 0xfffd
	v_cndmask_b32_e32 v5, v2, v5, vcc_lo
	v_cmp_eq_u32_e32 vcc_lo, 0, v0
	s_wait_dscnt 0x0
	s_delay_alu instid0(VALU_DEP_2)
	v_dual_add_f32 v2, v3, v4 :: v_dual_lshlrev_b32 v3, 2, v5
	ds_bpermute_b32 v3, v3, v2
	s_and_b32 exec_lo, exec_lo, vcc_lo
	s_cbranch_execz .LBB293_7
; %bb.6:
	s_wait_dscnt 0x0
	v_add_f32_e32 v2, v2, v3
	s_delay_alu instid0(VALU_DEP_1) | instskip(SKIP_3) | instid1(VALU_DEP_2)
	v_mad_co_u64_u32 v[0:1], null, s6, s10, v[1:2]
	v_mov_b32_e32 v1, 0
	v_bfe_u32 v3, v2, 16, 1
	v_cmp_o_f32_e32 vcc_lo, v2, v2
	v_add3_u32 v3, v2, v3, 0x7fff
	s_delay_alu instid0(VALU_DEP_4) | instskip(NEXT) | instid1(VALU_DEP_2)
	v_lshlrev_b64_e32 v[0:1], 1, v[0:1]
	v_lshrrev_b32_e32 v3, 16, v3
	s_wait_alu 0xfffd
	s_delay_alu instid0(VALU_DEP_1) | instskip(SKIP_1) | instid1(VALU_DEP_3)
	v_cndmask_b32_e32 v2, 0x7fc0, v3, vcc_lo
	s_wait_kmcnt 0x0
	v_add_co_u32 v0, vcc_lo, s8, v0
	s_wait_alu 0xfffd
	v_add_co_ci_u32_e64 v1, null, s9, v1, vcc_lo
	global_store_b16 v[0:1], v2, off
.LBB293_7:
	s_endpgm
	.section	.rodata,"a",@progbits
	.p2align	6, 0x0
	.amdhsa_kernel _ZL9moe_vec_qIN3c108BFloat16ELi256ELi8E11block_iq1_mLi1EXadL_ZL18vec_dot_iq1_m_q8_1PKvPK10block_q8_1RKiEEEvS4_S4_PT_PS8_iiii
		.amdhsa_group_segment_fixed_size 0
		.amdhsa_private_segment_fixed_size 0
		.amdhsa_kernarg_size 304
		.amdhsa_user_sgpr_count 2
		.amdhsa_user_sgpr_dispatch_ptr 0
		.amdhsa_user_sgpr_queue_ptr 0
		.amdhsa_user_sgpr_kernarg_segment_ptr 1
		.amdhsa_user_sgpr_dispatch_id 0
		.amdhsa_user_sgpr_private_segment_size 0
		.amdhsa_wavefront_size32 1
		.amdhsa_uses_dynamic_stack 0
		.amdhsa_enable_private_segment 0
		.amdhsa_system_sgpr_workgroup_id_x 1
		.amdhsa_system_sgpr_workgroup_id_y 0
		.amdhsa_system_sgpr_workgroup_id_z 1
		.amdhsa_system_sgpr_workgroup_info 0
		.amdhsa_system_vgpr_workitem_id 1
		.amdhsa_next_free_vgpr 83
		.amdhsa_next_free_sgpr 19
		.amdhsa_reserve_vcc 1
		.amdhsa_float_round_mode_32 0
		.amdhsa_float_round_mode_16_64 0
		.amdhsa_float_denorm_mode_32 3
		.amdhsa_float_denorm_mode_16_64 3
		.amdhsa_fp16_overflow 0
		.amdhsa_workgroup_processor_mode 1
		.amdhsa_memory_ordered 1
		.amdhsa_forward_progress 1
		.amdhsa_inst_pref_size 20
		.amdhsa_round_robin_scheduling 0
		.amdhsa_exception_fp_ieee_invalid_op 0
		.amdhsa_exception_fp_denorm_src 0
		.amdhsa_exception_fp_ieee_div_zero 0
		.amdhsa_exception_fp_ieee_overflow 0
		.amdhsa_exception_fp_ieee_underflow 0
		.amdhsa_exception_fp_ieee_inexact 0
		.amdhsa_exception_int_div_zero 0
	.end_amdhsa_kernel
	.section	.text._ZL9moe_vec_qIN3c108BFloat16ELi256ELi8E11block_iq1_mLi1EXadL_ZL18vec_dot_iq1_m_q8_1PKvPK10block_q8_1RKiEEEvS4_S4_PT_PS8_iiii,"axG",@progbits,_ZL9moe_vec_qIN3c108BFloat16ELi256ELi8E11block_iq1_mLi1EXadL_ZL18vec_dot_iq1_m_q8_1PKvPK10block_q8_1RKiEEEvS4_S4_PT_PS8_iiii,comdat
.Lfunc_end293:
	.size	_ZL9moe_vec_qIN3c108BFloat16ELi256ELi8E11block_iq1_mLi1EXadL_ZL18vec_dot_iq1_m_q8_1PKvPK10block_q8_1RKiEEEvS4_S4_PT_PS8_iiii, .Lfunc_end293-_ZL9moe_vec_qIN3c108BFloat16ELi256ELi8E11block_iq1_mLi1EXadL_ZL18vec_dot_iq1_m_q8_1PKvPK10block_q8_1RKiEEEvS4_S4_PT_PS8_iiii
                                        ; -- End function
	.set _ZL9moe_vec_qIN3c108BFloat16ELi256ELi8E11block_iq1_mLi1EXadL_ZL18vec_dot_iq1_m_q8_1PKvPK10block_q8_1RKiEEEvS4_S4_PT_PS8_iiii.num_vgpr, 83
	.set _ZL9moe_vec_qIN3c108BFloat16ELi256ELi8E11block_iq1_mLi1EXadL_ZL18vec_dot_iq1_m_q8_1PKvPK10block_q8_1RKiEEEvS4_S4_PT_PS8_iiii.num_agpr, 0
	.set _ZL9moe_vec_qIN3c108BFloat16ELi256ELi8E11block_iq1_mLi1EXadL_ZL18vec_dot_iq1_m_q8_1PKvPK10block_q8_1RKiEEEvS4_S4_PT_PS8_iiii.numbered_sgpr, 19
	.set _ZL9moe_vec_qIN3c108BFloat16ELi256ELi8E11block_iq1_mLi1EXadL_ZL18vec_dot_iq1_m_q8_1PKvPK10block_q8_1RKiEEEvS4_S4_PT_PS8_iiii.num_named_barrier, 0
	.set _ZL9moe_vec_qIN3c108BFloat16ELi256ELi8E11block_iq1_mLi1EXadL_ZL18vec_dot_iq1_m_q8_1PKvPK10block_q8_1RKiEEEvS4_S4_PT_PS8_iiii.private_seg_size, 0
	.set _ZL9moe_vec_qIN3c108BFloat16ELi256ELi8E11block_iq1_mLi1EXadL_ZL18vec_dot_iq1_m_q8_1PKvPK10block_q8_1RKiEEEvS4_S4_PT_PS8_iiii.uses_vcc, 1
	.set _ZL9moe_vec_qIN3c108BFloat16ELi256ELi8E11block_iq1_mLi1EXadL_ZL18vec_dot_iq1_m_q8_1PKvPK10block_q8_1RKiEEEvS4_S4_PT_PS8_iiii.uses_flat_scratch, 0
	.set _ZL9moe_vec_qIN3c108BFloat16ELi256ELi8E11block_iq1_mLi1EXadL_ZL18vec_dot_iq1_m_q8_1PKvPK10block_q8_1RKiEEEvS4_S4_PT_PS8_iiii.has_dyn_sized_stack, 0
	.set _ZL9moe_vec_qIN3c108BFloat16ELi256ELi8E11block_iq1_mLi1EXadL_ZL18vec_dot_iq1_m_q8_1PKvPK10block_q8_1RKiEEEvS4_S4_PT_PS8_iiii.has_recursion, 0
	.set _ZL9moe_vec_qIN3c108BFloat16ELi256ELi8E11block_iq1_mLi1EXadL_ZL18vec_dot_iq1_m_q8_1PKvPK10block_q8_1RKiEEEvS4_S4_PT_PS8_iiii.has_indirect_call, 0
	.section	.AMDGPU.csdata,"",@progbits
; Kernel info:
; codeLenInByte = 2456
; TotalNumSgprs: 21
; NumVgprs: 83
; ScratchSize: 0
; MemoryBound: 0
; FloatMode: 240
; IeeeMode: 1
; LDSByteSize: 0 bytes/workgroup (compile time only)
; SGPRBlocks: 0
; VGPRBlocks: 10
; NumSGPRsForWavesPerEU: 21
; NumVGPRsForWavesPerEU: 83
; Occupancy: 16
; WaveLimiterHint : 1
; COMPUTE_PGM_RSRC2:SCRATCH_EN: 0
; COMPUTE_PGM_RSRC2:USER_SGPR: 2
; COMPUTE_PGM_RSRC2:TRAP_HANDLER: 0
; COMPUTE_PGM_RSRC2:TGID_X_EN: 1
; COMPUTE_PGM_RSRC2:TGID_Y_EN: 0
; COMPUTE_PGM_RSRC2:TGID_Z_EN: 1
; COMPUTE_PGM_RSRC2:TIDIG_COMP_CNT: 1
	.section	.AMDGPU.gpr_maximums,"",@progbits
	.set amdgpu.max_num_vgpr, 0
	.set amdgpu.max_num_agpr, 0
	.set amdgpu.max_num_sgpr, 0
	.section	.AMDGPU.csdata,"",@progbits
	.type	_ZL11iq2xxs_grid,@object        ; @_ZL11iq2xxs_grid
	.section	.rodata,"a",@progbits
	.p2align	4, 0x0
_ZL11iq2xxs_grid:
	.quad	578721382704613384              ; 0x808080808080808
	.quad	578721382704613419              ; 0x80808080808082b
	;; [unrolled: 1-line block ×132, first 2 shown]
	.quad	1803700481349388313             ; 0x1908080808080819
	.quad	1803700481349392648             ; 0x1908080808081908
	;; [unrolled: 1-line block ×124, first 2 shown]
	.size	_ZL11iq2xxs_grid, 2048

	.type	_ZL12ksigns_iq2xs,@object       ; @_ZL12ksigns_iq2xs
	.p2align	4, 0x0
_ZL12ksigns_iq2xs:
	.ascii	"\000\201\202\003\204\005\006\207\210\t\n\213\f\215\216\017\220\021\022\223\024\225\226\027\030\231\232\033\234\035\036\237\240!\"\243$\245\246'(\251\252+\254-.\2570\261\2623\26456\267\2709:\273<\275\276?\300AB\303D\305\306GH\311\312K\314MN\317P\321\322S\324UV\327\330YZ\333\\\335\336_`\341\342c\344ef\347\350ij\353l\355\356o\360qr\363t\365\366wx\371\372{\374}~\377"
	.size	_ZL12ksigns_iq2xs, 128

	.type	_ZL10iq2xs_grid,@object         ; @_ZL10iq2xs_grid
	.p2align	4, 0x0
_ZL10iq2xs_grid:
	.quad	578721382704613384              ; 0x808080808080808
	.quad	578721382704613419              ; 0x80808080808082b
	;; [unrolled: 1-line block ×254, first 2 shown]
	.quad	1803700481349388313             ; 0x1908080808080819
	.quad	1803700481349392648             ; 0x1908080808081908
	;; [unrolled: 1-line block ×258, first 2 shown]
	.size	_ZL10iq2xs_grid, 4096

	.type	_ZL11iq3xxs_grid,@object        ; @_ZL11iq3xxs_grid
	.p2align	4, 0x0
_ZL11iq3xxs_grid:
	.long	67372036                        ; 0x4040404
	.long	67372052                        ; 0x4040414
	;; [unrolled: 1-line block ×58, first 2 shown]
	.long	201589772                       ; 0xc04040c
	.long	201589788                       ; 0xc04041c
	;; [unrolled: 1-line block ×177, first 2 shown]
	.long	1040450588                      ; 0x3e04041c
	.long	1040450604                      ; 0x3e04042c
	;; [unrolled: 1-line block ×21, first 2 shown]
	.size	_ZL11iq3xxs_grid, 1024

	.type	_ZL13iq1s_grid_gpu,@object      ; @_ZL13iq1s_grid_gpu
	.p2align	4, 0x0
_ZL13iq1s_grid_gpu:
	.quad	0                               ; 0x0
	.quad	2                               ; 0x2
	.quad	257                             ; 0x101
	.quad	512                             ; 0x200
	;; [unrolled: 1-line block ×3, first 2 shown]
	.quad	65537                           ; 0x10001
	.quad	65793                           ; 0x10101
	.quad	131072                          ; 0x20000
	.quad	131074                          ; 0x20002
	;; [unrolled: 1-line block ×4, first 2 shown]
	.quad	16777473                        ; 0x1000101
	.quad	16842753                        ; 0x1010001
	;; [unrolled: 1-line block ×14, first 2 shown]
	.quad	272                             ; 0x110
	.quad	273                             ; 0x111
	.quad	65553                           ; 0x10011
	.quad	65808                           ; 0x10110
	;; [unrolled: 1-line block ×5, first 2 shown]
	.quad	131345                          ; 0x20111
	.quad	16777233                        ; 0x1000011
	.quad	16777490                        ; 0x1000112
	;; [unrolled: 1-line block ×15, first 2 shown]
	.quad	32                              ; 0x20
	.quad	34                              ; 0x22
	.quad	544                             ; 0x220
	.quad	546                             ; 0x222
	.quad	65825                           ; 0x10121
	.quad	131104                          ; 0x20020
	.quad	131106                          ; 0x20022
	.quad	131616                          ; 0x20220
	.quad	131618                          ; 0x20222
	.quad	16777505                        ; 0x1000121
	.quad	16842785                        ; 0x1010021
	;; [unrolled: 1-line block ×16, first 2 shown]
	.quad	69633                           ; 0x11001
	.quad	69888                           ; 0x11100
	;; [unrolled: 1-line block ×3, first 2 shown]
	.quad	135425                          ; 0x21101
	.quad	16781313                        ; 0x1001001
	.quad	16781825                        ; 0x1001201
	;; [unrolled: 1-line block ×9, first 2 shown]
	.quad	4113                            ; 0x1011
	.quad	4368                            ; 0x1110
	;; [unrolled: 1-line block ×4, first 2 shown]
	.quad	69905                           ; 0x11111
	.quad	70160                           ; 0x11210
	;; [unrolled: 1-line block ×3, first 2 shown]
	.quad	135697                          ; 0x21211
	.quad	16781328                        ; 0x1001010
	.quad	16781585                        ; 0x1001111
	;; [unrolled: 1-line block ×24, first 2 shown]
	.quad	69920                           ; 0x11120
	.quad	70177                           ; 0x11221
	.quad	16781345                        ; 0x1001021
	.quad	16781600                        ; 0x1001120
	;; [unrolled: 1-line block ×14, first 2 shown]
	.quad	8192                            ; 0x2000
	.quad	8194                            ; 0x2002
	;; [unrolled: 1-line block ×4, first 2 shown]
	.quad	73985                           ; 0x12101
	.quad	139264                          ; 0x22000
	.quad	139266                          ; 0x22002
	;; [unrolled: 1-line block ×4, first 2 shown]
	.quad	16785665                        ; 0x1002101
	.quad	16850945                        ; 0x1012001
	;; [unrolled: 1-line block ×13, first 2 shown]
	.quad	8465                            ; 0x2111
	.quad	73745                           ; 0x12011
	.quad	74000                           ; 0x12110
	;; [unrolled: 1-line block ×3, first 2 shown]
	.quad	139536                          ; 0x22110
	.quad	139537                          ; 0x22111
	.quad	16785425                        ; 0x1002011
	.quad	16850960                        ; 0x1012010
	.quad	16850961                        ; 0x1012011
	.quad	16851217                        ; 0x1012111
	.quad	16916497                        ; 0x1022011
	.quad	16916752                        ; 0x1022110
	.quad	16917009                        ; 0x1022211
	.quad	33628177                        ; 0x2012011
	.quad	33628432                        ; 0x2012110
	.quad	33628434                        ; 0x2012112
	.quad	33628689                        ; 0x2012211
	.quad	33693969                        ; 0x2022111
	.quad	8224                            ; 0x2020
	.quad	8226                            ; 0x2022
	;; [unrolled: 1-line block ×4, first 2 shown]
	.quad	74017                           ; 0x12121
	.quad	139296                          ; 0x22020
	.quad	139298                          ; 0x22022
	;; [unrolled: 1-line block ×4, first 2 shown]
	.quad	16785697                        ; 0x1002121
	.quad	16850977                        ; 0x1012021
	;; [unrolled: 1-line block ×15, first 2 shown]
	.quad	1114112                         ; 0x110000
	.quad	1114113                         ; 0x110001
	;; [unrolled: 1-line block ×6, first 2 shown]
	.quad	17825793                        ; 0x1100001
	.quad	17826048                        ; 0x1100100
	;; [unrolled: 1-line block ×14, first 2 shown]
	.quad	1048593                         ; 0x100011
	.quad	1048848                         ; 0x100110
	;; [unrolled: 1-line block ×11, first 2 shown]
	.quad	17826065                        ; 0x1100111
	.quad	17826322                        ; 0x1100212
	;; [unrolled: 1-line block ×16, first 2 shown]
	.quad	1114145                         ; 0x110021
	.quad	1114400                         ; 0x110120
	;; [unrolled: 1-line block ×4, first 2 shown]
	.quad	17825824                        ; 0x1100020
	.quad	17826082                        ; 0x1100122
	.quad	17826337                        ; 0x1100221
	.quad	17891362                        ; 0x1110022
	.quad	17891617                        ; 0x1110121
	.quad	17891872                        ; 0x1110220
	.quad	17891874                        ; 0x1110222
	.quad	17957152                        ; 0x1120120
	.quad	17957154                        ; 0x1120122
	.quad	34603297                        ; 0x2100121
	.quad	34668577                        ; 0x2110021
	.quad	34668832                        ; 0x2110120
	.quad	34668834                        ; 0x2110122
	.quad	34734369                        ; 0x2120121
	.quad	1052673                         ; 0x101001
	.quad	1052930                         ; 0x101102
	;; [unrolled: 1-line block ×9, first 2 shown]
	.quad	17829889                        ; 0x1101001
	.quad	17830145                        ; 0x1101101
	;; [unrolled: 1-line block ×25, first 2 shown]
	.quad	1052690                         ; 0x101012
	.quad	1052945                         ; 0x101111
	.quad	1053202                         ; 0x101212
	.quad	1118225                         ; 0x111011
	.quad	1118480                         ; 0x111110
	.quad	1118481                         ; 0x111111
	.quad	1118482                         ; 0x111112
	.quad	1118737                         ; 0x111211
	.quad	1183760                         ; 0x121010
	.quad	1183762                         ; 0x121012
	.quad	1184017                         ; 0x121111
	.quad	1184272                         ; 0x121210
	.quad	1184274                         ; 0x121212
	.quad	17829905                        ; 0x1101011
	.quad	17830160                        ; 0x1101110
	;; [unrolled: 1-line block ×32, first 2 shown]
	.quad	1052705                         ; 0x101021
	.quad	1052960                         ; 0x101120
	;; [unrolled: 1-line block ×10, first 2 shown]
	.quad	17829920                        ; 0x1101020
	.quad	17829922                        ; 0x1101022
	;; [unrolled: 1-line block ×23, first 2 shown]
	.quad	1122305                         ; 0x112001
	.quad	1122562                         ; 0x112102
	;; [unrolled: 1-line block ×3, first 2 shown]
	.quad	17833985                        ; 0x1102001
	.quad	17834240                        ; 0x1102100
	;; [unrolled: 1-line block ×17, first 2 shown]
	.quad	1122320                         ; 0x112010
	.quad	1122322                         ; 0x112012
	.quad	1122577                         ; 0x112111
	.quad	1122834                         ; 0x112212
	.quad	1187857                         ; 0x122011
	.quad	1188113                         ; 0x122111
	.quad	17834002                        ; 0x1102012
	.quad	17834256                        ; 0x1102110
	;; [unrolled: 1-line block ×21, first 2 shown]
	.quad	1057313                         ; 0x102221
	.quad	1122594                         ; 0x112122
	;; [unrolled: 1-line block ×4, first 2 shown]
	.quad	17834272                        ; 0x1102120
	.quad	17834274                        ; 0x1102122
	.quad	17834529                        ; 0x1102221
	.quad	17899552                        ; 0x1112020
	.quad	17899554                        ; 0x1112022
	.quad	17899809                        ; 0x1112121
	.quad	17900064                        ; 0x1112220
	.quad	17965089                        ; 0x1122021
	.quad	17965346                        ; 0x1122122
	.quad	17965601                        ; 0x1122221
	.quad	34611489                        ; 0x2102121
	.quad	34676769                        ; 0x2112021
	.quad	34677026                        ; 0x2112122
	.quad	34677282                        ; 0x2112222
	.quad	2097152                         ; 0x200000
	.quad	2097154                         ; 0x200002
	;; [unrolled: 1-line block ×10, first 2 shown]
	.quad	18874625                        ; 0x1200101
	.quad	18939905                        ; 0x1210001
	;; [unrolled: 1-line block ×15, first 2 shown]
	.quad	2097425                         ; 0x200111
	.quad	2162705                         ; 0x210011
	;; [unrolled: 1-line block ×5, first 2 shown]
	.quad	18874386                        ; 0x1200012
	.quad	18874640                        ; 0x1200110
	;; [unrolled: 1-line block ×15, first 2 shown]
	.quad	2097185                         ; 0x200021
	.quad	2097696                         ; 0x200220
	;; [unrolled: 1-line block ×9, first 2 shown]
	.quad	18874657                        ; 0x1200121
	.quad	18939937                        ; 0x1210021
	;; [unrolled: 1-line block ×14, first 2 shown]
	.quad	2101505                         ; 0x201101
	.quad	2167040                         ; 0x211100
	;; [unrolled: 1-line block ×5, first 2 shown]
	.quad	18878720                        ; 0x1201100
	.quad	18878721                        ; 0x1201101
	;; [unrolled: 1-line block ×15, first 2 shown]
	.quad	2101777                         ; 0x201211
	.quad	2167057                         ; 0x211111
	;; [unrolled: 1-line block ×4, first 2 shown]
	.quad	18878480                        ; 0x1201010
	.quad	18878737                        ; 0x1201111
	;; [unrolled: 1-line block ×20, first 2 shown]
	.quad	2101537                         ; 0x201121
	.quad	2166816                         ; 0x211020
	;; [unrolled: 1-line block ×5, first 2 shown]
	.quad	18878497                        ; 0x1201021
	.quad	18879009                        ; 0x1201221
	;; [unrolled: 1-line block ×10, first 2 shown]
	.quad	2105344                         ; 0x202000
	.quad	2105346                         ; 0x202002
	;; [unrolled: 1-line block ×9, first 2 shown]
	.quad	18882817                        ; 0x1202101
	.quad	18948097                        ; 0x1212001
	;; [unrolled: 1-line block ×12, first 2 shown]
	.quad	2105873                         ; 0x202211
	.quad	2170897                         ; 0x212011
	;; [unrolled: 1-line block ×5, first 2 shown]
	.quad	18882834                        ; 0x1202112
	.quad	18883089                        ; 0x1202211
	;; [unrolled: 1-line block ×14, first 2 shown]
	.quad	2105376                         ; 0x202020
	.quad	2105378                         ; 0x202022
	;; [unrolled: 1-line block ×8, first 2 shown]
	.quad	18882849                        ; 0x1202121
	.quad	18948129                        ; 0x1212021
	;; [unrolled: 1-line block ×14, first 2 shown]
	.quad	268435713                       ; 0x10000101
	.quad	268500993                       ; 0x10010001
	;; [unrolled: 1-line block ×1419, first 2 shown]
	.size	_ZL13iq1s_grid_gpu, 16384

	.type	_ZL13kvalues_iq4nl,@object      ; @_ZL13kvalues_iq4nl
	.section	.rodata.cst16,"aM",@progbits,16
	.p2align	4, 0x0
_ZL13kvalues_iq4nl:
	.ascii	"\201\230\255\277\317\335\352\366\001\r\031&5EYq"
	.size	_ZL13kvalues_iq4nl, 16

	.type	_ZL10iq3xs_grid,@object         ; @_ZL10iq3xs_grid
	.section	.rodata,"a",@progbits
	.p2align	4, 0x0
_ZL10iq3xs_grid:
	.long	67372036                        ; 0x4040404
	.long	67372044                        ; 0x404040c
	;; [unrolled: 1-line block ×109, first 2 shown]
	.long	201589764                       ; 0xc040404
	.long	201589772                       ; 0xc04040c
	;; [unrolled: 1-line block ×368, first 2 shown]
	.long	1040450564                      ; 0x3e040404
	.long	1040450596                      ; 0x3e040424
	.long	1040450622                      ; 0x3e04043e
	.long	1040454660                      ; 0x3e041404
	.long	1040454676                      ; 0x3e041414
	.long	1040456756                      ; 0x3e041c34
	.long	1040458756                      ; 0x3e042404
	.long	1040460836                      ; 0x3e042c24
	.long	1040462868                      ; 0x3e043414
	.long	1040974868                      ; 0x3e0c0414
	.long	1040976908                      ; 0x3e0c0c0c
	.long	1040978980                      ; 0x3e0c1424
	.long	1040983068                      ; 0x3e0c241c
	.long	1040983084                      ; 0x3e0c242c
	.long	1041499148                      ; 0x3e14040c
	.long	1041499172                      ; 0x3e140424
	.long	1041501188                      ; 0x3e140c04
	.long	1041501236                      ; 0x3e140c34
	.long	1041503244                      ; 0x3e14140c
	.long	1041505284                      ; 0x3e141c04
	.long	1041509388                      ; 0x3e142c0c
	.long	1042023444                      ; 0x3e1c0414
	.long	1042029588                      ; 0x3e1c1c14
	.long	1042029612                      ; 0x3e1c1c2c
	.long	1042033692                      ; 0x3e1c2c1c
	.long	1042547724                      ; 0x3e24040c
	.long	1042547756                      ; 0x3e24042c
	.long	1042549788                      ; 0x3e240c1c
	.long	1042551812                      ; 0x3e241404
	.long	1042557956                      ; 0x3e242c04
	.long	1043076116                      ; 0x3e2c1414
	.long	1043080212                      ; 0x3e2c2414
	.long	1043596308                      ; 0x3e340414
	.long	1043602444                      ; 0x3e341c0c
	.long	1044251652                      ; 0x3e3e0404
	.size	_ZL10iq3xs_grid, 2048

	.type	_ZL9iq2s_grid,@object           ; @_ZL9iq2s_grid
	.p2align	4, 0x0
_ZL9iq2s_grid:
	.quad	578721382704613384              ; 0x808080808080808
	.quad	578721382704613419              ; 0x80808080808082b
	;; [unrolled: 1-line block ×471, first 2 shown]
	.quad	1803700481349388313             ; 0x1908080808080819
	.quad	1803700481349392648             ; 0x1908080808081908
	;; [unrolled: 1-line block ×553, first 2 shown]
	.size	_ZL9iq2s_grid, 8192

	.type	_ZL8ksigns64,@object            ; @_ZL8ksigns64
	.p2align	4, 0x0
_ZL8ksigns64:
	.quad	0                               ; 0x0
	.quad	-72057594037927681              ; 0xff000000000000ff
	.quad	-72057594037862656              ; 0xff0000000000ff00
	.quad	65535                           ; 0xffff
	.quad	-72057594021216256              ; 0xff00000000ff0000
	.quad	16711935                        ; 0xff00ff
	.quad	16776960                        ; 0xffff00
	.quad	-72057594021150721              ; 0xff00000000ffffff
	.quad	-72057589759737856              ; 0xff000000ff000000
	.quad	4278190335                      ; 0xff0000ff
	.quad	4278255360                      ; 0xff00ff00
	.quad	-72057589759672321              ; 0xff000000ff00ffff
	.quad	4294901760                      ; 0xffff0000
	.quad	-72057589743025921              ; 0xff000000ffff00ff
	.quad	-72057589742960896              ; 0xff000000ffffff00
	.quad	4294967295                      ; 0xffffffff
	.quad	-72056498821267456              ; 0xff0000ff00000000
	.quad	1095216660735                   ; 0xff000000ff
	.quad	1095216725760                   ; 0xff0000ff00
	.quad	-72056498821201921              ; 0xff0000ff0000ffff
	.quad	1095233372160                   ; 0xff00ff0000
	.quad	-72056498804555521              ; 0xff0000ff00ff00ff
	.quad	-72056498804490496              ; 0xff0000ff00ffff00
	.quad	1095233437695                   ; 0xff00ffffff
	.quad	1099494850560                   ; 0xffff000000
	.quad	-72056494543077121              ; 0xff0000ffff0000ff
	.quad	-72056494543012096              ; 0xff0000ffff00ff00
	.quad	1099494916095                   ; 0xffff00ffff
	.quad	-72056494526365696              ; 0xff0000ffffff0000
	.quad	1099511562495                   ; 0xffffff00ff
	.quad	1099511627520                   ; 0xffffffff00
	.quad	-72056494526300161              ; 0xff0000ffffffffff
	.quad	-71777218572845056              ; 0xff00ff0000000000
	.quad	280375465083135                 ; 0xff00000000ff
	.quad	280375465148160                 ; 0xff000000ff00
	.quad	-71777218572779521              ; 0xff00ff000000ffff
	.quad	280375481794560                 ; 0xff0000ff0000
	.quad	-71777218556133121              ; 0xff00ff0000ff00ff
	.quad	-71777218556068096              ; 0xff00ff0000ffff00
	.quad	280375481860095                 ; 0xff0000ffffff
	.quad	280379743272960                 ; 0xff00ff000000
	.quad	-71777214294654721              ; 0xff00ff00ff0000ff
	.quad	-71777214294589696              ; 0xff00ff00ff00ff00
	.quad	280379743338495                 ; 0xff00ff00ffff
	.quad	-71777214277943296              ; 0xff00ff00ffff0000
	.quad	280379759984895                 ; 0xff00ffff00ff
	.quad	280379760049920                 ; 0xff00ffffff00
	.quad	-71777214277877761              ; 0xff00ff00ffffffff
	.quad	281470681743360                 ; 0xffff00000000
	.quad	-71776123356184321              ; 0xff00ffff000000ff
	.quad	-71776123356119296              ; 0xff00ffff0000ff00
	.quad	281470681808895                 ; 0xffff0000ffff
	.quad	-71776123339472896              ; 0xff00ffff00ff0000
	.quad	281470698455295                 ; 0xffff00ff00ff
	.quad	281470698520320                 ; 0xffff00ffff00
	.quad	-71776123339407361              ; 0xff00ffff00ffffff
	.quad	-71776119077994496              ; 0xff00ffffff000000
	.quad	281474959933695                 ; 0xffffff0000ff
	.quad	281474959998720                 ; 0xffffff00ff00
	.quad	-71776119077928961              ; 0xff00ffffff00ffff
	.quad	281474976645120                 ; 0xffffffff0000
	.quad	-71776119061282561              ; 0xff00ffffffff00ff
	.quad	-71776119061217536              ; 0xff00ffffffffff00
	.quad	281474976710655                 ; 0xffffffffffff
	.quad	-281474976710656                ; 0xffff000000000000
	.quad	71776119061217535               ; 0xff0000000000ff
	.quad	71776119061282560               ; 0xff00000000ff00
	.quad	-281474976645121                ; 0xffff00000000ffff
	.quad	71776119077928960               ; 0xff000000ff0000
	.quad	-281474959998721                ; 0xffff000000ff00ff
	.quad	-281474959933696                ; 0xffff000000ffff00
	.quad	71776119077994495               ; 0xff000000ffffff
	.quad	71776123339407360               ; 0xff0000ff000000
	.quad	-281470698520321                ; 0xffff0000ff0000ff
	.quad	-281470698455296                ; 0xffff0000ff00ff00
	.quad	71776123339472895               ; 0xff0000ff00ffff
	.quad	-281470681808896                ; 0xffff0000ffff0000
	.quad	71776123356119295               ; 0xff0000ffff00ff
	.quad	71776123356184320               ; 0xff0000ffffff00
	.quad	-281470681743361                ; 0xffff0000ffffffff
	.quad	71777214277877760               ; 0xff00ff00000000
	.quad	-280379760049921                ; 0xffff00ff000000ff
	.quad	-280379759984896                ; 0xffff00ff0000ff00
	.quad	71777214277943295               ; 0xff00ff0000ffff
	.quad	-280379743338496                ; 0xffff00ff00ff0000
	.quad	71777214294589695               ; 0xff00ff00ff00ff
	.quad	71777214294654720               ; 0xff00ff00ffff00
	.quad	-280379743272961                ; 0xffff00ff00ffffff
	.quad	-280375481860096                ; 0xffff00ffff000000
	.quad	71777218556068095               ; 0xff00ffff0000ff
	.quad	71777218556133120               ; 0xff00ffff00ff00
	.quad	-280375481794561                ; 0xffff00ffff00ffff
	.quad	71777218572779520               ; 0xff00ffffff0000
	.quad	-280375465148161                ; 0xffff00ffffff00ff
	.quad	-280375465083136                ; 0xffff00ffffffff00
	.quad	71777218572845055               ; 0xff00ffffffffff
	.quad	72056494526300160               ; 0xffff0000000000
	.quad	-1099511627521                  ; 0xffffff00000000ff
	.quad	-1099511562496                  ; 0xffffff000000ff00
	.quad	72056494526365695               ; 0xffff000000ffff
	.quad	-1099494916096                  ; 0xffffff0000ff0000
	.quad	72056494543012095               ; 0xffff0000ff00ff
	.quad	72056494543077120               ; 0xffff0000ffff00
	.quad	-1099494850561                  ; 0xffffff0000ffffff
	.quad	-1095233437696                  ; 0xffffff00ff000000
	.quad	72056498804490495               ; 0xffff00ff0000ff
	.quad	72056498804555520               ; 0xffff00ff00ff00
	.quad	-1095233372161                  ; 0xffffff00ff00ffff
	.quad	72056498821201920               ; 0xffff00ffff0000
	.quad	-1095216725761                  ; 0xffffff00ffff00ff
	.quad	-1095216660736                  ; 0xffffff00ffffff00
	.quad	72056498821267455               ; 0xffff00ffffffff
	.quad	-4294967296                     ; 0xffffffff00000000
	.quad	72057589742960895               ; 0xffffff000000ff
	.quad	72057589743025920               ; 0xffffff0000ff00
	.quad	-4294901761                     ; 0xffffffff0000ffff
	.quad	72057589759672320               ; 0xffffff00ff0000
	.quad	-4278255361                     ; 0xffffffff00ff00ff
	.quad	-4278190336                     ; 0xffffffff00ffff00
	.quad	72057589759737855               ; 0xffffff00ffffff
	.quad	72057594021150720               ; 0xffffffff000000
	.quad	-16776961                       ; 0xffffffffff0000ff
	.quad	-16711936                       ; 0xffffffffff00ff00
	.quad	72057594021216255               ; 0xffffffff00ffff
	.quad	-65536                          ; 0xffffffffffff0000
	.quad	72057594037862655               ; 0xffffffffff00ff
	.quad	72057594037927680               ; 0xffffffffffff00
	.quad	-1                              ; 0xffffffffffffffff
	.size	_ZL8ksigns64, 1024

	.type	__hip_cuid_f76207c374b86f6e,@object ; @__hip_cuid_f76207c374b86f6e
	.section	.bss,"aw",@nobits
	.globl	__hip_cuid_f76207c374b86f6e
__hip_cuid_f76207c374b86f6e:
	.byte	0                               ; 0x0
	.size	__hip_cuid_f76207c374b86f6e, 1

	.ident	"AMD clang version 22.0.0git (https://github.com/RadeonOpenCompute/llvm-project roc-7.2.4 26084 f58b06dce1f9c15707c5f808fd002e18c2accf7e)"
	.section	".note.GNU-stack","",@progbits
	.addrsig
	.addrsig_sym __hip_cuid_f76207c374b86f6e
	.amdgpu_metadata
---
amdhsa.kernels:
  - .args:
      - .actual_access:  read_only
        .address_space:  global
        .offset:         0
        .size:           8
        .value_kind:     global_buffer
      - .actual_access:  write_only
        .address_space:  global
        .offset:         8
        .size:           8
        .value_kind:     global_buffer
      - .offset:         16
        .size:           8
        .value_kind:     by_value
      - .offset:         24
        .size:           4
        .value_kind:     hidden_block_count_x
      - .offset:         28
        .size:           4
        .value_kind:     hidden_block_count_y
      - .offset:         32
        .size:           4
        .value_kind:     hidden_block_count_z
      - .offset:         36
        .size:           2
        .value_kind:     hidden_group_size_x
      - .offset:         38
        .size:           2
        .value_kind:     hidden_group_size_y
      - .offset:         40
        .size:           2
        .value_kind:     hidden_group_size_z
      - .offset:         42
        .size:           2
        .value_kind:     hidden_remainder_x
      - .offset:         44
        .size:           2
        .value_kind:     hidden_remainder_y
      - .offset:         46
        .size:           2
        .value_kind:     hidden_remainder_z
      - .offset:         64
        .size:           8
        .value_kind:     hidden_global_offset_x
      - .offset:         72
        .size:           8
        .value_kind:     hidden_global_offset_y
      - .offset:         80
        .size:           8
        .value_kind:     hidden_global_offset_z
      - .offset:         88
        .size:           2
        .value_kind:     hidden_grid_dims
    .group_segment_fixed_size: 0
    .kernarg_segment_align: 8
    .kernarg_segment_size: 280
    .language:       OpenCL C
    .language_version:
      - 2
      - 0
    .max_flat_workgroup_size: 1024
    .name:           _ZL16dequantize_blockILi32ELi2EXadL_ZL15dequantize_q4_0PKviiR7__half2EEfEvS1_PT2_l
    .private_segment_fixed_size: 0
    .sgpr_count:     7
    .sgpr_spill_count: 0
    .symbol:         _ZL16dequantize_blockILi32ELi2EXadL_ZL15dequantize_q4_0PKviiR7__half2EEfEvS1_PT2_l.kd
    .uniform_work_group_size: 1
    .uses_dynamic_stack: false
    .vgpr_count:     8
    .vgpr_spill_count: 0
    .wavefront_size: 32
    .workgroup_processor_mode: 1
  - .args:
      - .actual_access:  read_only
        .address_space:  global
        .offset:         0
        .size:           8
        .value_kind:     global_buffer
      - .actual_access:  write_only
        .address_space:  global
        .offset:         8
        .size:           8
        .value_kind:     global_buffer
      - .offset:         16
        .size:           8
        .value_kind:     by_value
      - .offset:         24
        .size:           4
        .value_kind:     hidden_block_count_x
      - .offset:         28
        .size:           4
        .value_kind:     hidden_block_count_y
      - .offset:         32
        .size:           4
        .value_kind:     hidden_block_count_z
      - .offset:         36
        .size:           2
        .value_kind:     hidden_group_size_x
      - .offset:         38
        .size:           2
        .value_kind:     hidden_group_size_y
      - .offset:         40
        .size:           2
        .value_kind:     hidden_group_size_z
      - .offset:         42
        .size:           2
        .value_kind:     hidden_remainder_x
      - .offset:         44
        .size:           2
        .value_kind:     hidden_remainder_y
      - .offset:         46
        .size:           2
        .value_kind:     hidden_remainder_z
      - .offset:         64
        .size:           8
        .value_kind:     hidden_global_offset_x
      - .offset:         72
        .size:           8
        .value_kind:     hidden_global_offset_y
      - .offset:         80
        .size:           8
        .value_kind:     hidden_global_offset_z
      - .offset:         88
        .size:           2
        .value_kind:     hidden_grid_dims
    .group_segment_fixed_size: 0
    .kernarg_segment_align: 8
    .kernarg_segment_size: 280
    .language:       OpenCL C
    .language_version:
      - 2
      - 0
    .max_flat_workgroup_size: 1024
    .name:           _ZL16dequantize_blockILi32ELi2EXadL_ZL15dequantize_q4_1PKviiR7__half2EEfEvS1_PT2_l
    .private_segment_fixed_size: 0
    .sgpr_count:     7
    .sgpr_spill_count: 0
    .symbol:         _ZL16dequantize_blockILi32ELi2EXadL_ZL15dequantize_q4_1PKviiR7__half2EEfEvS1_PT2_l.kd
    .uniform_work_group_size: 1
    .uses_dynamic_stack: false
    .vgpr_count:     8
    .vgpr_spill_count: 0
    .wavefront_size: 32
    .workgroup_processor_mode: 1
  - .args:
      - .actual_access:  read_only
        .address_space:  global
        .offset:         0
        .size:           8
        .value_kind:     global_buffer
      - .actual_access:  write_only
        .address_space:  global
        .offset:         8
        .size:           8
        .value_kind:     global_buffer
      - .offset:         16
        .size:           8
        .value_kind:     by_value
      - .offset:         24
        .size:           4
        .value_kind:     hidden_block_count_x
      - .offset:         28
        .size:           4
        .value_kind:     hidden_block_count_y
      - .offset:         32
        .size:           4
        .value_kind:     hidden_block_count_z
      - .offset:         36
        .size:           2
        .value_kind:     hidden_group_size_x
      - .offset:         38
        .size:           2
        .value_kind:     hidden_group_size_y
      - .offset:         40
        .size:           2
        .value_kind:     hidden_group_size_z
      - .offset:         42
        .size:           2
        .value_kind:     hidden_remainder_x
      - .offset:         44
        .size:           2
        .value_kind:     hidden_remainder_y
      - .offset:         46
        .size:           2
        .value_kind:     hidden_remainder_z
      - .offset:         64
        .size:           8
        .value_kind:     hidden_global_offset_x
      - .offset:         72
        .size:           8
        .value_kind:     hidden_global_offset_y
      - .offset:         80
        .size:           8
        .value_kind:     hidden_global_offset_z
      - .offset:         88
        .size:           2
        .value_kind:     hidden_grid_dims
    .group_segment_fixed_size: 0
    .kernarg_segment_align: 8
    .kernarg_segment_size: 280
    .language:       OpenCL C
    .language_version:
      - 2
      - 0
    .max_flat_workgroup_size: 1024
    .name:           _ZL16dequantize_blockILi32ELi2EXadL_ZL15dequantize_q5_0PKviiR7__half2EEfEvS1_PT2_l
    .private_segment_fixed_size: 0
    .sgpr_count:     7
    .sgpr_spill_count: 0
    .symbol:         _ZL16dequantize_blockILi32ELi2EXadL_ZL15dequantize_q5_0PKviiR7__half2EEfEvS1_PT2_l.kd
    .uniform_work_group_size: 1
    .uses_dynamic_stack: false
    .vgpr_count:     8
    .vgpr_spill_count: 0
    .wavefront_size: 32
    .workgroup_processor_mode: 1
  - .args:
      - .actual_access:  read_only
        .address_space:  global
        .offset:         0
        .size:           8
        .value_kind:     global_buffer
      - .actual_access:  write_only
        .address_space:  global
        .offset:         8
        .size:           8
        .value_kind:     global_buffer
      - .offset:         16
        .size:           8
        .value_kind:     by_value
      - .offset:         24
        .size:           4
        .value_kind:     hidden_block_count_x
      - .offset:         28
        .size:           4
        .value_kind:     hidden_block_count_y
      - .offset:         32
        .size:           4
        .value_kind:     hidden_block_count_z
      - .offset:         36
        .size:           2
        .value_kind:     hidden_group_size_x
      - .offset:         38
        .size:           2
        .value_kind:     hidden_group_size_y
      - .offset:         40
        .size:           2
        .value_kind:     hidden_group_size_z
      - .offset:         42
        .size:           2
        .value_kind:     hidden_remainder_x
      - .offset:         44
        .size:           2
        .value_kind:     hidden_remainder_y
      - .offset:         46
        .size:           2
        .value_kind:     hidden_remainder_z
      - .offset:         64
        .size:           8
        .value_kind:     hidden_global_offset_x
      - .offset:         72
        .size:           8
        .value_kind:     hidden_global_offset_y
      - .offset:         80
        .size:           8
        .value_kind:     hidden_global_offset_z
      - .offset:         88
        .size:           2
        .value_kind:     hidden_grid_dims
    .group_segment_fixed_size: 0
    .kernarg_segment_align: 8
    .kernarg_segment_size: 280
    .language:       OpenCL C
    .language_version:
      - 2
      - 0
    .max_flat_workgroup_size: 1024
    .name:           _ZL16dequantize_blockILi32ELi2EXadL_ZL15dequantize_q5_1PKviiR7__half2EEfEvS1_PT2_l
    .private_segment_fixed_size: 0
    .sgpr_count:     7
    .sgpr_spill_count: 0
    .symbol:         _ZL16dequantize_blockILi32ELi2EXadL_ZL15dequantize_q5_1PKviiR7__half2EEfEvS1_PT2_l.kd
    .uniform_work_group_size: 1
    .uses_dynamic_stack: false
    .vgpr_count:     7
    .vgpr_spill_count: 0
    .wavefront_size: 32
    .workgroup_processor_mode: 1
  - .args:
      - .actual_access:  read_only
        .address_space:  global
        .offset:         0
        .size:           8
        .value_kind:     global_buffer
      - .actual_access:  write_only
        .address_space:  global
        .offset:         8
        .size:           8
        .value_kind:     global_buffer
      - .offset:         16
        .size:           8
        .value_kind:     by_value
      - .offset:         24
        .size:           4
        .value_kind:     hidden_block_count_x
      - .offset:         28
        .size:           4
        .value_kind:     hidden_block_count_y
      - .offset:         32
        .size:           4
        .value_kind:     hidden_block_count_z
      - .offset:         36
        .size:           2
        .value_kind:     hidden_group_size_x
      - .offset:         38
        .size:           2
        .value_kind:     hidden_group_size_y
      - .offset:         40
        .size:           2
        .value_kind:     hidden_group_size_z
      - .offset:         42
        .size:           2
        .value_kind:     hidden_remainder_x
      - .offset:         44
        .size:           2
        .value_kind:     hidden_remainder_y
      - .offset:         46
        .size:           2
        .value_kind:     hidden_remainder_z
      - .offset:         64
        .size:           8
        .value_kind:     hidden_global_offset_x
      - .offset:         72
        .size:           8
        .value_kind:     hidden_global_offset_y
      - .offset:         80
        .size:           8
        .value_kind:     hidden_global_offset_z
      - .offset:         88
        .size:           2
        .value_kind:     hidden_grid_dims
    .group_segment_fixed_size: 0
    .kernarg_segment_align: 8
    .kernarg_segment_size: 280
    .language:       OpenCL C
    .language_version:
      - 2
      - 0
    .max_flat_workgroup_size: 1024
    .name:           _ZL16dequantize_blockILi32ELi1EXadL_ZL15dequantize_q8_0PKviiR7__half2EEfEvS1_PT2_l
    .private_segment_fixed_size: 0
    .sgpr_count:     7
    .sgpr_spill_count: 0
    .symbol:         _ZL16dequantize_blockILi32ELi1EXadL_ZL15dequantize_q8_0PKviiR7__half2EEfEvS1_PT2_l.kd
    .uniform_work_group_size: 1
    .uses_dynamic_stack: false
    .vgpr_count:     7
    .vgpr_spill_count: 0
    .wavefront_size: 32
    .workgroup_processor_mode: 1
  - .args:
      - .actual_access:  read_only
        .address_space:  global
        .offset:         0
        .size:           8
        .value_kind:     global_buffer
      - .actual_access:  write_only
        .address_space:  global
        .offset:         8
        .size:           8
        .value_kind:     global_buffer
    .group_segment_fixed_size: 0
    .kernarg_segment_align: 8
    .kernarg_segment_size: 16
    .language:       OpenCL C
    .language_version:
      - 2
      - 0
    .max_flat_workgroup_size: 1024
    .name:           _ZL21dequantize_block_q2_KIfEvPKvPT_
    .private_segment_fixed_size: 0
    .sgpr_count:     10
    .sgpr_spill_count: 0
    .symbol:         _ZL21dequantize_block_q2_KIfEvPKvPT_.kd
    .uniform_work_group_size: 1
    .uses_dynamic_stack: false
    .vgpr_count:     14
    .vgpr_spill_count: 0
    .wavefront_size: 32
    .workgroup_processor_mode: 1
  - .args:
      - .actual_access:  read_only
        .address_space:  global
        .offset:         0
        .size:           8
        .value_kind:     global_buffer
      - .actual_access:  write_only
        .address_space:  global
        .offset:         8
        .size:           8
        .value_kind:     global_buffer
    .group_segment_fixed_size: 0
    .kernarg_segment_align: 8
    .kernarg_segment_size: 16
    .language:       OpenCL C
    .language_version:
      - 2
      - 0
    .max_flat_workgroup_size: 1024
    .name:           _ZL21dequantize_block_q3_KIfEvPKvPT_
    .private_segment_fixed_size: 0
    .sgpr_count:     14
    .sgpr_spill_count: 0
    .symbol:         _ZL21dequantize_block_q3_KIfEvPKvPT_.kd
    .uniform_work_group_size: 1
    .uses_dynamic_stack: false
    .vgpr_count:     17
    .vgpr_spill_count: 0
    .wavefront_size: 32
    .workgroup_processor_mode: 1
  - .args:
      - .actual_access:  read_only
        .address_space:  global
        .offset:         0
        .size:           8
        .value_kind:     global_buffer
      - .actual_access:  write_only
        .address_space:  global
        .offset:         8
        .size:           8
        .value_kind:     global_buffer
    .group_segment_fixed_size: 0
    .kernarg_segment_align: 8
    .kernarg_segment_size: 16
    .language:       OpenCL C
    .language_version:
      - 2
      - 0
    .max_flat_workgroup_size: 1024
    .name:           _ZL21dequantize_block_q4_KIfEvPKvPT_
    .private_segment_fixed_size: 0
    .sgpr_count:     8
    .sgpr_spill_count: 0
    .symbol:         _ZL21dequantize_block_q4_KIfEvPKvPT_.kd
    .uniform_work_group_size: 1
    .uses_dynamic_stack: false
    .vgpr_count:     15
    .vgpr_spill_count: 0
    .wavefront_size: 32
    .workgroup_processor_mode: 1
  - .args:
      - .actual_access:  read_only
        .address_space:  global
        .offset:         0
        .size:           8
        .value_kind:     global_buffer
      - .actual_access:  write_only
        .address_space:  global
        .offset:         8
        .size:           8
        .value_kind:     global_buffer
    .group_segment_fixed_size: 0
    .kernarg_segment_align: 8
    .kernarg_segment_size: 16
    .language:       OpenCL C
    .language_version:
      - 2
      - 0
    .max_flat_workgroup_size: 1024
    .name:           _ZL21dequantize_block_q5_KIfEvPKvPT_
    .private_segment_fixed_size: 0
    .sgpr_count:     8
    .sgpr_spill_count: 0
    .symbol:         _ZL21dequantize_block_q5_KIfEvPKvPT_.kd
    .uniform_work_group_size: 1
    .uses_dynamic_stack: false
    .vgpr_count:     16
    .vgpr_spill_count: 0
    .wavefront_size: 32
    .workgroup_processor_mode: 1
  - .args:
      - .actual_access:  read_only
        .address_space:  global
        .offset:         0
        .size:           8
        .value_kind:     global_buffer
      - .actual_access:  write_only
        .address_space:  global
        .offset:         8
        .size:           8
        .value_kind:     global_buffer
    .group_segment_fixed_size: 0
    .kernarg_segment_align: 8
    .kernarg_segment_size: 16
    .language:       OpenCL C
    .language_version:
      - 2
      - 0
    .max_flat_workgroup_size: 1024
    .name:           _ZL21dequantize_block_q6_KIfEvPKvPT_
    .private_segment_fixed_size: 0
    .sgpr_count:     10
    .sgpr_spill_count: 0
    .symbol:         _ZL21dequantize_block_q6_KIfEvPKvPT_.kd
    .uniform_work_group_size: 1
    .uses_dynamic_stack: false
    .vgpr_count:     15
    .vgpr_spill_count: 0
    .wavefront_size: 32
    .workgroup_processor_mode: 1
  - .args:
      - .actual_access:  read_only
        .address_space:  global
        .offset:         0
        .size:           8
        .value_kind:     global_buffer
      - .actual_access:  write_only
        .address_space:  global
        .offset:         8
        .size:           8
        .value_kind:     global_buffer
    .group_segment_fixed_size: 0
    .kernarg_segment_align: 8
    .kernarg_segment_size: 16
    .language:       OpenCL C
    .language_version:
      - 2
      - 0
    .max_flat_workgroup_size: 1024
    .name:           _ZL24dequantize_block_iq2_xxsIfEvPKvPT_
    .private_segment_fixed_size: 0
    .sgpr_count:     10
    .sgpr_spill_count: 0
    .symbol:         _ZL24dequantize_block_iq2_xxsIfEvPKvPT_.kd
    .uniform_work_group_size: 1
    .uses_dynamic_stack: false
    .vgpr_count:     21
    .vgpr_spill_count: 0
    .wavefront_size: 32
    .workgroup_processor_mode: 1
  - .args:
      - .actual_access:  read_only
        .address_space:  global
        .offset:         0
        .size:           8
        .value_kind:     global_buffer
      - .actual_access:  write_only
        .address_space:  global
        .offset:         8
        .size:           8
        .value_kind:     global_buffer
    .group_segment_fixed_size: 0
    .kernarg_segment_align: 8
    .kernarg_segment_size: 16
    .language:       OpenCL C
    .language_version:
      - 2
      - 0
    .max_flat_workgroup_size: 1024
    .name:           _ZL23dequantize_block_iq2_xsIfEvPKvPT_
    .private_segment_fixed_size: 0
    .sgpr_count:     10
    .sgpr_spill_count: 0
    .symbol:         _ZL23dequantize_block_iq2_xsIfEvPKvPT_.kd
    .uniform_work_group_size: 1
    .uses_dynamic_stack: false
    .vgpr_count:     21
    .vgpr_spill_count: 0
    .wavefront_size: 32
    .workgroup_processor_mode: 1
  - .args:
      - .actual_access:  read_only
        .address_space:  global
        .offset:         0
        .size:           8
        .value_kind:     global_buffer
      - .actual_access:  write_only
        .address_space:  global
        .offset:         8
        .size:           8
        .value_kind:     global_buffer
    .group_segment_fixed_size: 0
    .kernarg_segment_align: 8
    .kernarg_segment_size: 16
    .language:       OpenCL C
    .language_version:
      - 2
      - 0
    .max_flat_workgroup_size: 1024
    .name:           _ZL24dequantize_block_iq3_xxsIfEvPKvPT_
    .private_segment_fixed_size: 0
    .sgpr_count:     10
    .sgpr_spill_count: 0
    .symbol:         _ZL24dequantize_block_iq3_xxsIfEvPKvPT_.kd
    .uniform_work_group_size: 1
    .uses_dynamic_stack: false
    .vgpr_count:     20
    .vgpr_spill_count: 0
    .wavefront_size: 32
    .workgroup_processor_mode: 1
  - .args:
      - .actual_access:  read_only
        .address_space:  global
        .offset:         0
        .size:           8
        .value_kind:     global_buffer
      - .actual_access:  write_only
        .address_space:  global
        .offset:         8
        .size:           8
        .value_kind:     global_buffer
    .group_segment_fixed_size: 0
    .kernarg_segment_align: 8
    .kernarg_segment_size: 16
    .language:       OpenCL C
    .language_version:
      - 2
      - 0
    .max_flat_workgroup_size: 1024
    .name:           _ZL22dequantize_block_iq1_sIfEvPKvPT_
    .private_segment_fixed_size: 0
    .sgpr_count:     10
    .sgpr_spill_count: 0
    .symbol:         _ZL22dequantize_block_iq1_sIfEvPKvPT_.kd
    .uniform_work_group_size: 1
    .uses_dynamic_stack: false
    .vgpr_count:     14
    .vgpr_spill_count: 0
    .wavefront_size: 32
    .workgroup_processor_mode: 1
  - .args:
      - .actual_access:  read_only
        .address_space:  global
        .offset:         0
        .size:           8
        .value_kind:     global_buffer
      - .actual_access:  write_only
        .address_space:  global
        .offset:         8
        .size:           8
        .value_kind:     global_buffer
    .group_segment_fixed_size: 0
    .kernarg_segment_align: 8
    .kernarg_segment_size: 16
    .language:       OpenCL C
    .language_version:
      - 2
      - 0
    .max_flat_workgroup_size: 1024
    .name:           _ZL23dequantize_block_iq4_nlIfEvPKvPT_
    .private_segment_fixed_size: 0
    .sgpr_count:     10
    .sgpr_spill_count: 0
    .symbol:         _ZL23dequantize_block_iq4_nlIfEvPKvPT_.kd
    .uniform_work_group_size: 1
    .uses_dynamic_stack: false
    .vgpr_count:     14
    .vgpr_spill_count: 0
    .wavefront_size: 32
    .workgroup_processor_mode: 1
  - .args:
      - .actual_access:  read_only
        .address_space:  global
        .offset:         0
        .size:           8
        .value_kind:     global_buffer
      - .actual_access:  write_only
        .address_space:  global
        .offset:         8
        .size:           8
        .value_kind:     global_buffer
    .group_segment_fixed_size: 0
    .kernarg_segment_align: 8
    .kernarg_segment_size: 16
    .language:       OpenCL C
    .language_version:
      - 2
      - 0
    .max_flat_workgroup_size: 1024
    .name:           _ZL22dequantize_block_iq3_sIfEvPKvPT_
    .private_segment_fixed_size: 0
    .sgpr_count:     10
    .sgpr_spill_count: 0
    .symbol:         _ZL22dequantize_block_iq3_sIfEvPKvPT_.kd
    .uniform_work_group_size: 1
    .uses_dynamic_stack: false
    .vgpr_count:     20
    .vgpr_spill_count: 0
    .wavefront_size: 32
    .workgroup_processor_mode: 1
  - .args:
      - .actual_access:  read_only
        .address_space:  global
        .offset:         0
        .size:           8
        .value_kind:     global_buffer
      - .actual_access:  write_only
        .address_space:  global
        .offset:         8
        .size:           8
        .value_kind:     global_buffer
    .group_segment_fixed_size: 0
    .kernarg_segment_align: 8
    .kernarg_segment_size: 16
    .language:       OpenCL C
    .language_version:
      - 2
      - 0
    .max_flat_workgroup_size: 1024
    .name:           _ZL22dequantize_block_iq2_sIfEvPKvPT_
    .private_segment_fixed_size: 0
    .sgpr_count:     10
    .sgpr_spill_count: 0
    .symbol:         _ZL22dequantize_block_iq2_sIfEvPKvPT_.kd
    .uniform_work_group_size: 1
    .uses_dynamic_stack: false
    .vgpr_count:     21
    .vgpr_spill_count: 0
    .wavefront_size: 32
    .workgroup_processor_mode: 1
  - .args:
      - .actual_access:  read_only
        .address_space:  global
        .offset:         0
        .size:           8
        .value_kind:     global_buffer
      - .actual_access:  write_only
        .address_space:  global
        .offset:         8
        .size:           8
        .value_kind:     global_buffer
    .group_segment_fixed_size: 0
    .kernarg_segment_align: 8
    .kernarg_segment_size: 16
    .language:       OpenCL C
    .language_version:
      - 2
      - 0
    .max_flat_workgroup_size: 1024
    .name:           _ZL23dequantize_block_iq4_xsIfEvPKvPT_
    .private_segment_fixed_size: 0
    .sgpr_count:     10
    .sgpr_spill_count: 0
    .symbol:         _ZL23dequantize_block_iq4_xsIfEvPKvPT_.kd
    .uniform_work_group_size: 1
    .uses_dynamic_stack: false
    .vgpr_count:     16
    .vgpr_spill_count: 0
    .wavefront_size: 32
    .workgroup_processor_mode: 1
  - .args:
      - .actual_access:  read_only
        .address_space:  global
        .offset:         0
        .size:           8
        .value_kind:     global_buffer
      - .actual_access:  write_only
        .address_space:  global
        .offset:         8
        .size:           8
        .value_kind:     global_buffer
    .group_segment_fixed_size: 0
    .kernarg_segment_align: 8
    .kernarg_segment_size: 16
    .language:       OpenCL C
    .language_version:
      - 2
      - 0
    .max_flat_workgroup_size: 1024
    .name:           _ZL22dequantize_block_iq1_mIfEvPKvPT_
    .private_segment_fixed_size: 0
    .sgpr_count:     10
    .sgpr_spill_count: 0
    .symbol:         _ZL22dequantize_block_iq1_mIfEvPKvPT_.kd
    .uniform_work_group_size: 1
    .uses_dynamic_stack: false
    .vgpr_count:     14
    .vgpr_spill_count: 0
    .wavefront_size: 32
    .workgroup_processor_mode: 1
  - .args:
      - .actual_access:  read_only
        .address_space:  global
        .offset:         0
        .size:           8
        .value_kind:     global_buffer
      - .actual_access:  write_only
        .address_space:  global
        .offset:         8
        .size:           8
        .value_kind:     global_buffer
      - .offset:         16
        .size:           8
        .value_kind:     by_value
      - .offset:         24
        .size:           4
        .value_kind:     hidden_block_count_x
      - .offset:         28
        .size:           4
        .value_kind:     hidden_block_count_y
      - .offset:         32
        .size:           4
        .value_kind:     hidden_block_count_z
      - .offset:         36
        .size:           2
        .value_kind:     hidden_group_size_x
      - .offset:         38
        .size:           2
        .value_kind:     hidden_group_size_y
      - .offset:         40
        .size:           2
        .value_kind:     hidden_group_size_z
      - .offset:         42
        .size:           2
        .value_kind:     hidden_remainder_x
      - .offset:         44
        .size:           2
        .value_kind:     hidden_remainder_y
      - .offset:         46
        .size:           2
        .value_kind:     hidden_remainder_z
      - .offset:         64
        .size:           8
        .value_kind:     hidden_global_offset_x
      - .offset:         72
        .size:           8
        .value_kind:     hidden_global_offset_y
      - .offset:         80
        .size:           8
        .value_kind:     hidden_global_offset_z
      - .offset:         88
        .size:           2
        .value_kind:     hidden_grid_dims
    .group_segment_fixed_size: 0
    .kernarg_segment_align: 8
    .kernarg_segment_size: 280
    .language:       OpenCL C
    .language_version:
      - 2
      - 0
    .max_flat_workgroup_size: 1024
    .name:           _ZL16dequantize_blockILi32ELi2EXadL_ZL15dequantize_q4_0PKviiR7__half2EEN3c104HalfEEvS1_PT2_l
    .private_segment_fixed_size: 0
    .sgpr_count:     7
    .sgpr_spill_count: 0
    .symbol:         _ZL16dequantize_blockILi32ELi2EXadL_ZL15dequantize_q4_0PKviiR7__half2EEN3c104HalfEEvS1_PT2_l.kd
    .uniform_work_group_size: 1
    .uses_dynamic_stack: false
    .vgpr_count:     8
    .vgpr_spill_count: 0
    .wavefront_size: 32
    .workgroup_processor_mode: 1
  - .args:
      - .actual_access:  read_only
        .address_space:  global
        .offset:         0
        .size:           8
        .value_kind:     global_buffer
      - .actual_access:  write_only
        .address_space:  global
        .offset:         8
        .size:           8
        .value_kind:     global_buffer
      - .offset:         16
        .size:           8
        .value_kind:     by_value
      - .offset:         24
        .size:           4
        .value_kind:     hidden_block_count_x
      - .offset:         28
        .size:           4
        .value_kind:     hidden_block_count_y
      - .offset:         32
        .size:           4
        .value_kind:     hidden_block_count_z
      - .offset:         36
        .size:           2
        .value_kind:     hidden_group_size_x
      - .offset:         38
        .size:           2
        .value_kind:     hidden_group_size_y
      - .offset:         40
        .size:           2
        .value_kind:     hidden_group_size_z
      - .offset:         42
        .size:           2
        .value_kind:     hidden_remainder_x
      - .offset:         44
        .size:           2
        .value_kind:     hidden_remainder_y
      - .offset:         46
        .size:           2
        .value_kind:     hidden_remainder_z
      - .offset:         64
        .size:           8
        .value_kind:     hidden_global_offset_x
      - .offset:         72
        .size:           8
        .value_kind:     hidden_global_offset_y
      - .offset:         80
        .size:           8
        .value_kind:     hidden_global_offset_z
      - .offset:         88
        .size:           2
        .value_kind:     hidden_grid_dims
    .group_segment_fixed_size: 0
    .kernarg_segment_align: 8
    .kernarg_segment_size: 280
    .language:       OpenCL C
    .language_version:
      - 2
      - 0
    .max_flat_workgroup_size: 1024
    .name:           _ZL16dequantize_blockILi32ELi2EXadL_ZL15dequantize_q4_1PKviiR7__half2EEN3c104HalfEEvS1_PT2_l
    .private_segment_fixed_size: 0
    .sgpr_count:     7
    .sgpr_spill_count: 0
    .symbol:         _ZL16dequantize_blockILi32ELi2EXadL_ZL15dequantize_q4_1PKviiR7__half2EEN3c104HalfEEvS1_PT2_l.kd
    .uniform_work_group_size: 1
    .uses_dynamic_stack: false
    .vgpr_count:     8
    .vgpr_spill_count: 0
    .wavefront_size: 32
    .workgroup_processor_mode: 1
  - .args:
      - .actual_access:  read_only
        .address_space:  global
        .offset:         0
        .size:           8
        .value_kind:     global_buffer
      - .actual_access:  write_only
        .address_space:  global
        .offset:         8
        .size:           8
        .value_kind:     global_buffer
      - .offset:         16
        .size:           8
        .value_kind:     by_value
      - .offset:         24
        .size:           4
        .value_kind:     hidden_block_count_x
      - .offset:         28
        .size:           4
        .value_kind:     hidden_block_count_y
      - .offset:         32
        .size:           4
        .value_kind:     hidden_block_count_z
      - .offset:         36
        .size:           2
        .value_kind:     hidden_group_size_x
      - .offset:         38
        .size:           2
        .value_kind:     hidden_group_size_y
      - .offset:         40
        .size:           2
        .value_kind:     hidden_group_size_z
      - .offset:         42
        .size:           2
        .value_kind:     hidden_remainder_x
      - .offset:         44
        .size:           2
        .value_kind:     hidden_remainder_y
      - .offset:         46
        .size:           2
        .value_kind:     hidden_remainder_z
      - .offset:         64
        .size:           8
        .value_kind:     hidden_global_offset_x
      - .offset:         72
        .size:           8
        .value_kind:     hidden_global_offset_y
      - .offset:         80
        .size:           8
        .value_kind:     hidden_global_offset_z
      - .offset:         88
        .size:           2
        .value_kind:     hidden_grid_dims
    .group_segment_fixed_size: 0
    .kernarg_segment_align: 8
    .kernarg_segment_size: 280
    .language:       OpenCL C
    .language_version:
      - 2
      - 0
    .max_flat_workgroup_size: 1024
    .name:           _ZL16dequantize_blockILi32ELi2EXadL_ZL15dequantize_q5_0PKviiR7__half2EEN3c104HalfEEvS1_PT2_l
    .private_segment_fixed_size: 0
    .sgpr_count:     7
    .sgpr_spill_count: 0
    .symbol:         _ZL16dequantize_blockILi32ELi2EXadL_ZL15dequantize_q5_0PKviiR7__half2EEN3c104HalfEEvS1_PT2_l.kd
    .uniform_work_group_size: 1
    .uses_dynamic_stack: false
    .vgpr_count:     8
    .vgpr_spill_count: 0
    .wavefront_size: 32
    .workgroup_processor_mode: 1
  - .args:
      - .actual_access:  read_only
        .address_space:  global
        .offset:         0
        .size:           8
        .value_kind:     global_buffer
      - .actual_access:  write_only
        .address_space:  global
        .offset:         8
        .size:           8
        .value_kind:     global_buffer
      - .offset:         16
        .size:           8
        .value_kind:     by_value
      - .offset:         24
        .size:           4
        .value_kind:     hidden_block_count_x
      - .offset:         28
        .size:           4
        .value_kind:     hidden_block_count_y
      - .offset:         32
        .size:           4
        .value_kind:     hidden_block_count_z
      - .offset:         36
        .size:           2
        .value_kind:     hidden_group_size_x
      - .offset:         38
        .size:           2
        .value_kind:     hidden_group_size_y
      - .offset:         40
        .size:           2
        .value_kind:     hidden_group_size_z
      - .offset:         42
        .size:           2
        .value_kind:     hidden_remainder_x
      - .offset:         44
        .size:           2
        .value_kind:     hidden_remainder_y
      - .offset:         46
        .size:           2
        .value_kind:     hidden_remainder_z
      - .offset:         64
        .size:           8
        .value_kind:     hidden_global_offset_x
      - .offset:         72
        .size:           8
        .value_kind:     hidden_global_offset_y
      - .offset:         80
        .size:           8
        .value_kind:     hidden_global_offset_z
      - .offset:         88
        .size:           2
        .value_kind:     hidden_grid_dims
    .group_segment_fixed_size: 0
    .kernarg_segment_align: 8
    .kernarg_segment_size: 280
    .language:       OpenCL C
    .language_version:
      - 2
      - 0
    .max_flat_workgroup_size: 1024
    .name:           _ZL16dequantize_blockILi32ELi2EXadL_ZL15dequantize_q5_1PKviiR7__half2EEN3c104HalfEEvS1_PT2_l
    .private_segment_fixed_size: 0
    .sgpr_count:     7
    .sgpr_spill_count: 0
    .symbol:         _ZL16dequantize_blockILi32ELi2EXadL_ZL15dequantize_q5_1PKviiR7__half2EEN3c104HalfEEvS1_PT2_l.kd
    .uniform_work_group_size: 1
    .uses_dynamic_stack: false
    .vgpr_count:     7
    .vgpr_spill_count: 0
    .wavefront_size: 32
    .workgroup_processor_mode: 1
  - .args:
      - .actual_access:  read_only
        .address_space:  global
        .offset:         0
        .size:           8
        .value_kind:     global_buffer
      - .actual_access:  write_only
        .address_space:  global
        .offset:         8
        .size:           8
        .value_kind:     global_buffer
      - .offset:         16
        .size:           8
        .value_kind:     by_value
      - .offset:         24
        .size:           4
        .value_kind:     hidden_block_count_x
      - .offset:         28
        .size:           4
        .value_kind:     hidden_block_count_y
      - .offset:         32
        .size:           4
        .value_kind:     hidden_block_count_z
      - .offset:         36
        .size:           2
        .value_kind:     hidden_group_size_x
      - .offset:         38
        .size:           2
        .value_kind:     hidden_group_size_y
      - .offset:         40
        .size:           2
        .value_kind:     hidden_group_size_z
      - .offset:         42
        .size:           2
        .value_kind:     hidden_remainder_x
      - .offset:         44
        .size:           2
        .value_kind:     hidden_remainder_y
      - .offset:         46
        .size:           2
        .value_kind:     hidden_remainder_z
      - .offset:         64
        .size:           8
        .value_kind:     hidden_global_offset_x
      - .offset:         72
        .size:           8
        .value_kind:     hidden_global_offset_y
      - .offset:         80
        .size:           8
        .value_kind:     hidden_global_offset_z
      - .offset:         88
        .size:           2
        .value_kind:     hidden_grid_dims
    .group_segment_fixed_size: 0
    .kernarg_segment_align: 8
    .kernarg_segment_size: 280
    .language:       OpenCL C
    .language_version:
      - 2
      - 0
    .max_flat_workgroup_size: 1024
    .name:           _ZL16dequantize_blockILi32ELi1EXadL_ZL15dequantize_q8_0PKviiR7__half2EEN3c104HalfEEvS1_PT2_l
    .private_segment_fixed_size: 0
    .sgpr_count:     7
    .sgpr_spill_count: 0
    .symbol:         _ZL16dequantize_blockILi32ELi1EXadL_ZL15dequantize_q8_0PKviiR7__half2EEN3c104HalfEEvS1_PT2_l.kd
    .uniform_work_group_size: 1
    .uses_dynamic_stack: false
    .vgpr_count:     7
    .vgpr_spill_count: 0
    .wavefront_size: 32
    .workgroup_processor_mode: 1
  - .args:
      - .actual_access:  read_only
        .address_space:  global
        .offset:         0
        .size:           8
        .value_kind:     global_buffer
      - .actual_access:  write_only
        .address_space:  global
        .offset:         8
        .size:           8
        .value_kind:     global_buffer
    .group_segment_fixed_size: 0
    .kernarg_segment_align: 8
    .kernarg_segment_size: 16
    .language:       OpenCL C
    .language_version:
      - 2
      - 0
    .max_flat_workgroup_size: 1024
    .name:           _ZL21dequantize_block_q2_KIN3c104HalfEEvPKvPT_
    .private_segment_fixed_size: 0
    .sgpr_count:     10
    .sgpr_spill_count: 0
    .symbol:         _ZL21dequantize_block_q2_KIN3c104HalfEEvPKvPT_.kd
    .uniform_work_group_size: 1
    .uses_dynamic_stack: false
    .vgpr_count:     15
    .vgpr_spill_count: 0
    .wavefront_size: 32
    .workgroup_processor_mode: 1
  - .args:
      - .actual_access:  read_only
        .address_space:  global
        .offset:         0
        .size:           8
        .value_kind:     global_buffer
      - .actual_access:  write_only
        .address_space:  global
        .offset:         8
        .size:           8
        .value_kind:     global_buffer
    .group_segment_fixed_size: 0
    .kernarg_segment_align: 8
    .kernarg_segment_size: 16
    .language:       OpenCL C
    .language_version:
      - 2
      - 0
    .max_flat_workgroup_size: 1024
    .name:           _ZL21dequantize_block_q3_KIN3c104HalfEEvPKvPT_
    .private_segment_fixed_size: 0
    .sgpr_count:     14
    .sgpr_spill_count: 0
    .symbol:         _ZL21dequantize_block_q3_KIN3c104HalfEEvPKvPT_.kd
    .uniform_work_group_size: 1
    .uses_dynamic_stack: false
    .vgpr_count:     17
    .vgpr_spill_count: 0
    .wavefront_size: 32
    .workgroup_processor_mode: 1
  - .args:
      - .actual_access:  read_only
        .address_space:  global
        .offset:         0
        .size:           8
        .value_kind:     global_buffer
      - .actual_access:  write_only
        .address_space:  global
        .offset:         8
        .size:           8
        .value_kind:     global_buffer
    .group_segment_fixed_size: 0
    .kernarg_segment_align: 8
    .kernarg_segment_size: 16
    .language:       OpenCL C
    .language_version:
      - 2
      - 0
    .max_flat_workgroup_size: 1024
    .name:           _ZL21dequantize_block_q4_KIN3c104HalfEEvPKvPT_
    .private_segment_fixed_size: 0
    .sgpr_count:     8
    .sgpr_spill_count: 0
    .symbol:         _ZL21dequantize_block_q4_KIN3c104HalfEEvPKvPT_.kd
    .uniform_work_group_size: 1
    .uses_dynamic_stack: false
    .vgpr_count:     15
    .vgpr_spill_count: 0
    .wavefront_size: 32
    .workgroup_processor_mode: 1
  - .args:
      - .actual_access:  read_only
        .address_space:  global
        .offset:         0
        .size:           8
        .value_kind:     global_buffer
      - .actual_access:  write_only
        .address_space:  global
        .offset:         8
        .size:           8
        .value_kind:     global_buffer
    .group_segment_fixed_size: 0
    .kernarg_segment_align: 8
    .kernarg_segment_size: 16
    .language:       OpenCL C
    .language_version:
      - 2
      - 0
    .max_flat_workgroup_size: 1024
    .name:           _ZL21dequantize_block_q5_KIN3c104HalfEEvPKvPT_
    .private_segment_fixed_size: 0
    .sgpr_count:     8
    .sgpr_spill_count: 0
    .symbol:         _ZL21dequantize_block_q5_KIN3c104HalfEEvPKvPT_.kd
    .uniform_work_group_size: 1
    .uses_dynamic_stack: false
    .vgpr_count:     15
    .vgpr_spill_count: 0
    .wavefront_size: 32
    .workgroup_processor_mode: 1
  - .args:
      - .actual_access:  read_only
        .address_space:  global
        .offset:         0
        .size:           8
        .value_kind:     global_buffer
      - .actual_access:  write_only
        .address_space:  global
        .offset:         8
        .size:           8
        .value_kind:     global_buffer
    .group_segment_fixed_size: 0
    .kernarg_segment_align: 8
    .kernarg_segment_size: 16
    .language:       OpenCL C
    .language_version:
      - 2
      - 0
    .max_flat_workgroup_size: 1024
    .name:           _ZL21dequantize_block_q6_KIN3c104HalfEEvPKvPT_
    .private_segment_fixed_size: 0
    .sgpr_count:     10
    .sgpr_spill_count: 0
    .symbol:         _ZL21dequantize_block_q6_KIN3c104HalfEEvPKvPT_.kd
    .uniform_work_group_size: 1
    .uses_dynamic_stack: false
    .vgpr_count:     15
    .vgpr_spill_count: 0
    .wavefront_size: 32
    .workgroup_processor_mode: 1
  - .args:
      - .actual_access:  read_only
        .address_space:  global
        .offset:         0
        .size:           8
        .value_kind:     global_buffer
      - .actual_access:  write_only
        .address_space:  global
        .offset:         8
        .size:           8
        .value_kind:     global_buffer
    .group_segment_fixed_size: 0
    .kernarg_segment_align: 8
    .kernarg_segment_size: 16
    .language:       OpenCL C
    .language_version:
      - 2
      - 0
    .max_flat_workgroup_size: 1024
    .name:           _ZL24dequantize_block_iq2_xxsIN3c104HalfEEvPKvPT_
    .private_segment_fixed_size: 0
    .sgpr_count:     10
    .sgpr_spill_count: 0
    .symbol:         _ZL24dequantize_block_iq2_xxsIN3c104HalfEEvPKvPT_.kd
    .uniform_work_group_size: 1
    .uses_dynamic_stack: false
    .vgpr_count:     20
    .vgpr_spill_count: 0
    .wavefront_size: 32
    .workgroup_processor_mode: 1
  - .args:
      - .actual_access:  read_only
        .address_space:  global
        .offset:         0
        .size:           8
        .value_kind:     global_buffer
      - .actual_access:  write_only
        .address_space:  global
        .offset:         8
        .size:           8
        .value_kind:     global_buffer
    .group_segment_fixed_size: 0
    .kernarg_segment_align: 8
    .kernarg_segment_size: 16
    .language:       OpenCL C
    .language_version:
      - 2
      - 0
    .max_flat_workgroup_size: 1024
    .name:           _ZL23dequantize_block_iq2_xsIN3c104HalfEEvPKvPT_
    .private_segment_fixed_size: 0
    .sgpr_count:     10
    .sgpr_spill_count: 0
    .symbol:         _ZL23dequantize_block_iq2_xsIN3c104HalfEEvPKvPT_.kd
    .uniform_work_group_size: 1
    .uses_dynamic_stack: false
    .vgpr_count:     20
    .vgpr_spill_count: 0
    .wavefront_size: 32
    .workgroup_processor_mode: 1
  - .args:
      - .actual_access:  read_only
        .address_space:  global
        .offset:         0
        .size:           8
        .value_kind:     global_buffer
      - .actual_access:  write_only
        .address_space:  global
        .offset:         8
        .size:           8
        .value_kind:     global_buffer
    .group_segment_fixed_size: 0
    .kernarg_segment_align: 8
    .kernarg_segment_size: 16
    .language:       OpenCL C
    .language_version:
      - 2
      - 0
    .max_flat_workgroup_size: 1024
    .name:           _ZL24dequantize_block_iq3_xxsIN3c104HalfEEvPKvPT_
    .private_segment_fixed_size: 0
    .sgpr_count:     10
    .sgpr_spill_count: 0
    .symbol:         _ZL24dequantize_block_iq3_xxsIN3c104HalfEEvPKvPT_.kd
    .uniform_work_group_size: 1
    .uses_dynamic_stack: false
    .vgpr_count:     20
    .vgpr_spill_count: 0
    .wavefront_size: 32
    .workgroup_processor_mode: 1
  - .args:
      - .actual_access:  read_only
        .address_space:  global
        .offset:         0
        .size:           8
        .value_kind:     global_buffer
      - .actual_access:  write_only
        .address_space:  global
        .offset:         8
        .size:           8
        .value_kind:     global_buffer
    .group_segment_fixed_size: 0
    .kernarg_segment_align: 8
    .kernarg_segment_size: 16
    .language:       OpenCL C
    .language_version:
      - 2
      - 0
    .max_flat_workgroup_size: 1024
    .name:           _ZL22dequantize_block_iq1_sIN3c104HalfEEvPKvPT_
    .private_segment_fixed_size: 0
    .sgpr_count:     10
    .sgpr_spill_count: 0
    .symbol:         _ZL22dequantize_block_iq1_sIN3c104HalfEEvPKvPT_.kd
    .uniform_work_group_size: 1
    .uses_dynamic_stack: false
    .vgpr_count:     15
    .vgpr_spill_count: 0
    .wavefront_size: 32
    .workgroup_processor_mode: 1
  - .args:
      - .actual_access:  read_only
        .address_space:  global
        .offset:         0
        .size:           8
        .value_kind:     global_buffer
      - .actual_access:  write_only
        .address_space:  global
        .offset:         8
        .size:           8
        .value_kind:     global_buffer
    .group_segment_fixed_size: 0
    .kernarg_segment_align: 8
    .kernarg_segment_size: 16
    .language:       OpenCL C
    .language_version:
      - 2
      - 0
    .max_flat_workgroup_size: 1024
    .name:           _ZL23dequantize_block_iq4_nlIN3c104HalfEEvPKvPT_
    .private_segment_fixed_size: 0
    .sgpr_count:     10
    .sgpr_spill_count: 0
    .symbol:         _ZL23dequantize_block_iq4_nlIN3c104HalfEEvPKvPT_.kd
    .uniform_work_group_size: 1
    .uses_dynamic_stack: false
    .vgpr_count:     14
    .vgpr_spill_count: 0
    .wavefront_size: 32
    .workgroup_processor_mode: 1
  - .args:
      - .actual_access:  read_only
        .address_space:  global
        .offset:         0
        .size:           8
        .value_kind:     global_buffer
      - .actual_access:  write_only
        .address_space:  global
        .offset:         8
        .size:           8
        .value_kind:     global_buffer
    .group_segment_fixed_size: 0
    .kernarg_segment_align: 8
    .kernarg_segment_size: 16
    .language:       OpenCL C
    .language_version:
      - 2
      - 0
    .max_flat_workgroup_size: 1024
    .name:           _ZL22dequantize_block_iq3_sIN3c104HalfEEvPKvPT_
    .private_segment_fixed_size: 0
    .sgpr_count:     10
    .sgpr_spill_count: 0
    .symbol:         _ZL22dequantize_block_iq3_sIN3c104HalfEEvPKvPT_.kd
    .uniform_work_group_size: 1
    .uses_dynamic_stack: false
    .vgpr_count:     20
    .vgpr_spill_count: 0
    .wavefront_size: 32
    .workgroup_processor_mode: 1
  - .args:
      - .actual_access:  read_only
        .address_space:  global
        .offset:         0
        .size:           8
        .value_kind:     global_buffer
      - .actual_access:  write_only
        .address_space:  global
        .offset:         8
        .size:           8
        .value_kind:     global_buffer
    .group_segment_fixed_size: 0
    .kernarg_segment_align: 8
    .kernarg_segment_size: 16
    .language:       OpenCL C
    .language_version:
      - 2
      - 0
    .max_flat_workgroup_size: 1024
    .name:           _ZL22dequantize_block_iq2_sIN3c104HalfEEvPKvPT_
    .private_segment_fixed_size: 0
    .sgpr_count:     10
    .sgpr_spill_count: 0
    .symbol:         _ZL22dequantize_block_iq2_sIN3c104HalfEEvPKvPT_.kd
    .uniform_work_group_size: 1
    .uses_dynamic_stack: false
    .vgpr_count:     20
    .vgpr_spill_count: 0
    .wavefront_size: 32
    .workgroup_processor_mode: 1
  - .args:
      - .actual_access:  read_only
        .address_space:  global
        .offset:         0
        .size:           8
        .value_kind:     global_buffer
      - .actual_access:  write_only
        .address_space:  global
        .offset:         8
        .size:           8
        .value_kind:     global_buffer
    .group_segment_fixed_size: 0
    .kernarg_segment_align: 8
    .kernarg_segment_size: 16
    .language:       OpenCL C
    .language_version:
      - 2
      - 0
    .max_flat_workgroup_size: 1024
    .name:           _ZL23dequantize_block_iq4_xsIN3c104HalfEEvPKvPT_
    .private_segment_fixed_size: 0
    .sgpr_count:     10
    .sgpr_spill_count: 0
    .symbol:         _ZL23dequantize_block_iq4_xsIN3c104HalfEEvPKvPT_.kd
    .uniform_work_group_size: 1
    .uses_dynamic_stack: false
    .vgpr_count:     15
    .vgpr_spill_count: 0
    .wavefront_size: 32
    .workgroup_processor_mode: 1
  - .args:
      - .actual_access:  read_only
        .address_space:  global
        .offset:         0
        .size:           8
        .value_kind:     global_buffer
      - .actual_access:  write_only
        .address_space:  global
        .offset:         8
        .size:           8
        .value_kind:     global_buffer
    .group_segment_fixed_size: 0
    .kernarg_segment_align: 8
    .kernarg_segment_size: 16
    .language:       OpenCL C
    .language_version:
      - 2
      - 0
    .max_flat_workgroup_size: 1024
    .name:           _ZL22dequantize_block_iq1_mIN3c104HalfEEvPKvPT_
    .private_segment_fixed_size: 0
    .sgpr_count:     10
    .sgpr_spill_count: 0
    .symbol:         _ZL22dequantize_block_iq1_mIN3c104HalfEEvPKvPT_.kd
    .uniform_work_group_size: 1
    .uses_dynamic_stack: false
    .vgpr_count:     14
    .vgpr_spill_count: 0
    .wavefront_size: 32
    .workgroup_processor_mode: 1
  - .args:
      - .actual_access:  read_only
        .address_space:  global
        .offset:         0
        .size:           8
        .value_kind:     global_buffer
      - .actual_access:  write_only
        .address_space:  global
        .offset:         8
        .size:           8
        .value_kind:     global_buffer
      - .offset:         16
        .size:           8
        .value_kind:     by_value
      - .offset:         24
        .size:           4
        .value_kind:     hidden_block_count_x
      - .offset:         28
        .size:           4
        .value_kind:     hidden_block_count_y
      - .offset:         32
        .size:           4
        .value_kind:     hidden_block_count_z
      - .offset:         36
        .size:           2
        .value_kind:     hidden_group_size_x
      - .offset:         38
        .size:           2
        .value_kind:     hidden_group_size_y
      - .offset:         40
        .size:           2
        .value_kind:     hidden_group_size_z
      - .offset:         42
        .size:           2
        .value_kind:     hidden_remainder_x
      - .offset:         44
        .size:           2
        .value_kind:     hidden_remainder_y
      - .offset:         46
        .size:           2
        .value_kind:     hidden_remainder_z
      - .offset:         64
        .size:           8
        .value_kind:     hidden_global_offset_x
      - .offset:         72
        .size:           8
        .value_kind:     hidden_global_offset_y
      - .offset:         80
        .size:           8
        .value_kind:     hidden_global_offset_z
      - .offset:         88
        .size:           2
        .value_kind:     hidden_grid_dims
    .group_segment_fixed_size: 0
    .kernarg_segment_align: 8
    .kernarg_segment_size: 280
    .language:       OpenCL C
    .language_version:
      - 2
      - 0
    .max_flat_workgroup_size: 1024
    .name:           _ZL16dequantize_blockILi32ELi2EXadL_ZL15dequantize_q4_0PKviiR7__half2EEN3c108BFloat16EEvS1_PT2_l
    .private_segment_fixed_size: 0
    .sgpr_count:     7
    .sgpr_spill_count: 0
    .symbol:         _ZL16dequantize_blockILi32ELi2EXadL_ZL15dequantize_q4_0PKviiR7__half2EEN3c108BFloat16EEvS1_PT2_l.kd
    .uniform_work_group_size: 1
    .uses_dynamic_stack: false
    .vgpr_count:     9
    .vgpr_spill_count: 0
    .wavefront_size: 32
    .workgroup_processor_mode: 1
  - .args:
      - .actual_access:  read_only
        .address_space:  global
        .offset:         0
        .size:           8
        .value_kind:     global_buffer
      - .actual_access:  write_only
        .address_space:  global
        .offset:         8
        .size:           8
        .value_kind:     global_buffer
      - .offset:         16
        .size:           8
        .value_kind:     by_value
      - .offset:         24
        .size:           4
        .value_kind:     hidden_block_count_x
      - .offset:         28
        .size:           4
        .value_kind:     hidden_block_count_y
      - .offset:         32
        .size:           4
        .value_kind:     hidden_block_count_z
      - .offset:         36
        .size:           2
        .value_kind:     hidden_group_size_x
      - .offset:         38
        .size:           2
        .value_kind:     hidden_group_size_y
      - .offset:         40
        .size:           2
        .value_kind:     hidden_group_size_z
      - .offset:         42
        .size:           2
        .value_kind:     hidden_remainder_x
      - .offset:         44
        .size:           2
        .value_kind:     hidden_remainder_y
      - .offset:         46
        .size:           2
        .value_kind:     hidden_remainder_z
      - .offset:         64
        .size:           8
        .value_kind:     hidden_global_offset_x
      - .offset:         72
        .size:           8
        .value_kind:     hidden_global_offset_y
      - .offset:         80
        .size:           8
        .value_kind:     hidden_global_offset_z
      - .offset:         88
        .size:           2
        .value_kind:     hidden_grid_dims
    .group_segment_fixed_size: 0
    .kernarg_segment_align: 8
    .kernarg_segment_size: 280
    .language:       OpenCL C
    .language_version:
      - 2
      - 0
    .max_flat_workgroup_size: 1024
    .name:           _ZL16dequantize_blockILi32ELi2EXadL_ZL15dequantize_q4_1PKviiR7__half2EEN3c108BFloat16EEvS1_PT2_l
    .private_segment_fixed_size: 0
    .sgpr_count:     7
    .sgpr_spill_count: 0
    .symbol:         _ZL16dequantize_blockILi32ELi2EXadL_ZL15dequantize_q4_1PKviiR7__half2EEN3c108BFloat16EEvS1_PT2_l.kd
    .uniform_work_group_size: 1
    .uses_dynamic_stack: false
    .vgpr_count:     9
    .vgpr_spill_count: 0
    .wavefront_size: 32
    .workgroup_processor_mode: 1
  - .args:
      - .actual_access:  read_only
        .address_space:  global
        .offset:         0
        .size:           8
        .value_kind:     global_buffer
      - .actual_access:  write_only
        .address_space:  global
        .offset:         8
        .size:           8
        .value_kind:     global_buffer
      - .offset:         16
        .size:           8
        .value_kind:     by_value
      - .offset:         24
        .size:           4
        .value_kind:     hidden_block_count_x
      - .offset:         28
        .size:           4
        .value_kind:     hidden_block_count_y
      - .offset:         32
        .size:           4
        .value_kind:     hidden_block_count_z
      - .offset:         36
        .size:           2
        .value_kind:     hidden_group_size_x
      - .offset:         38
        .size:           2
        .value_kind:     hidden_group_size_y
      - .offset:         40
        .size:           2
        .value_kind:     hidden_group_size_z
      - .offset:         42
        .size:           2
        .value_kind:     hidden_remainder_x
      - .offset:         44
        .size:           2
        .value_kind:     hidden_remainder_y
      - .offset:         46
        .size:           2
        .value_kind:     hidden_remainder_z
      - .offset:         64
        .size:           8
        .value_kind:     hidden_global_offset_x
      - .offset:         72
        .size:           8
        .value_kind:     hidden_global_offset_y
      - .offset:         80
        .size:           8
        .value_kind:     hidden_global_offset_z
      - .offset:         88
        .size:           2
        .value_kind:     hidden_grid_dims
    .group_segment_fixed_size: 0
    .kernarg_segment_align: 8
    .kernarg_segment_size: 280
    .language:       OpenCL C
    .language_version:
      - 2
      - 0
    .max_flat_workgroup_size: 1024
    .name:           _ZL16dequantize_blockILi32ELi2EXadL_ZL15dequantize_q5_0PKviiR7__half2EEN3c108BFloat16EEvS1_PT2_l
    .private_segment_fixed_size: 0
    .sgpr_count:     7
    .sgpr_spill_count: 0
    .symbol:         _ZL16dequantize_blockILi32ELi2EXadL_ZL15dequantize_q5_0PKviiR7__half2EEN3c108BFloat16EEvS1_PT2_l.kd
    .uniform_work_group_size: 1
    .uses_dynamic_stack: false
    .vgpr_count:     8
    .vgpr_spill_count: 0
    .wavefront_size: 32
    .workgroup_processor_mode: 1
  - .args:
      - .actual_access:  read_only
        .address_space:  global
        .offset:         0
        .size:           8
        .value_kind:     global_buffer
      - .actual_access:  write_only
        .address_space:  global
        .offset:         8
        .size:           8
        .value_kind:     global_buffer
      - .offset:         16
        .size:           8
        .value_kind:     by_value
      - .offset:         24
        .size:           4
        .value_kind:     hidden_block_count_x
      - .offset:         28
        .size:           4
        .value_kind:     hidden_block_count_y
      - .offset:         32
        .size:           4
        .value_kind:     hidden_block_count_z
      - .offset:         36
        .size:           2
        .value_kind:     hidden_group_size_x
      - .offset:         38
        .size:           2
        .value_kind:     hidden_group_size_y
      - .offset:         40
        .size:           2
        .value_kind:     hidden_group_size_z
      - .offset:         42
        .size:           2
        .value_kind:     hidden_remainder_x
      - .offset:         44
        .size:           2
        .value_kind:     hidden_remainder_y
      - .offset:         46
        .size:           2
        .value_kind:     hidden_remainder_z
      - .offset:         64
        .size:           8
        .value_kind:     hidden_global_offset_x
      - .offset:         72
        .size:           8
        .value_kind:     hidden_global_offset_y
      - .offset:         80
        .size:           8
        .value_kind:     hidden_global_offset_z
      - .offset:         88
        .size:           2
        .value_kind:     hidden_grid_dims
    .group_segment_fixed_size: 0
    .kernarg_segment_align: 8
    .kernarg_segment_size: 280
    .language:       OpenCL C
    .language_version:
      - 2
      - 0
    .max_flat_workgroup_size: 1024
    .name:           _ZL16dequantize_blockILi32ELi2EXadL_ZL15dequantize_q5_1PKviiR7__half2EEN3c108BFloat16EEvS1_PT2_l
    .private_segment_fixed_size: 0
    .sgpr_count:     7
    .sgpr_spill_count: 0
    .symbol:         _ZL16dequantize_blockILi32ELi2EXadL_ZL15dequantize_q5_1PKviiR7__half2EEN3c108BFloat16EEvS1_PT2_l.kd
    .uniform_work_group_size: 1
    .uses_dynamic_stack: false
    .vgpr_count:     7
    .vgpr_spill_count: 0
    .wavefront_size: 32
    .workgroup_processor_mode: 1
  - .args:
      - .actual_access:  read_only
        .address_space:  global
        .offset:         0
        .size:           8
        .value_kind:     global_buffer
      - .actual_access:  write_only
        .address_space:  global
        .offset:         8
        .size:           8
        .value_kind:     global_buffer
      - .offset:         16
        .size:           8
        .value_kind:     by_value
      - .offset:         24
        .size:           4
        .value_kind:     hidden_block_count_x
      - .offset:         28
        .size:           4
        .value_kind:     hidden_block_count_y
      - .offset:         32
        .size:           4
        .value_kind:     hidden_block_count_z
      - .offset:         36
        .size:           2
        .value_kind:     hidden_group_size_x
      - .offset:         38
        .size:           2
        .value_kind:     hidden_group_size_y
      - .offset:         40
        .size:           2
        .value_kind:     hidden_group_size_z
      - .offset:         42
        .size:           2
        .value_kind:     hidden_remainder_x
      - .offset:         44
        .size:           2
        .value_kind:     hidden_remainder_y
      - .offset:         46
        .size:           2
        .value_kind:     hidden_remainder_z
      - .offset:         64
        .size:           8
        .value_kind:     hidden_global_offset_x
      - .offset:         72
        .size:           8
        .value_kind:     hidden_global_offset_y
      - .offset:         80
        .size:           8
        .value_kind:     hidden_global_offset_z
      - .offset:         88
        .size:           2
        .value_kind:     hidden_grid_dims
    .group_segment_fixed_size: 0
    .kernarg_segment_align: 8
    .kernarg_segment_size: 280
    .language:       OpenCL C
    .language_version:
      - 2
      - 0
    .max_flat_workgroup_size: 1024
    .name:           _ZL16dequantize_blockILi32ELi1EXadL_ZL15dequantize_q8_0PKviiR7__half2EEN3c108BFloat16EEvS1_PT2_l
    .private_segment_fixed_size: 0
    .sgpr_count:     7
    .sgpr_spill_count: 0
    .symbol:         _ZL16dequantize_blockILi32ELi1EXadL_ZL15dequantize_q8_0PKviiR7__half2EEN3c108BFloat16EEvS1_PT2_l.kd
    .uniform_work_group_size: 1
    .uses_dynamic_stack: false
    .vgpr_count:     8
    .vgpr_spill_count: 0
    .wavefront_size: 32
    .workgroup_processor_mode: 1
  - .args:
      - .actual_access:  read_only
        .address_space:  global
        .offset:         0
        .size:           8
        .value_kind:     global_buffer
      - .actual_access:  write_only
        .address_space:  global
        .offset:         8
        .size:           8
        .value_kind:     global_buffer
    .group_segment_fixed_size: 0
    .kernarg_segment_align: 8
    .kernarg_segment_size: 16
    .language:       OpenCL C
    .language_version:
      - 2
      - 0
    .max_flat_workgroup_size: 1024
    .name:           _ZL21dequantize_block_q2_KIN3c108BFloat16EEvPKvPT_
    .private_segment_fixed_size: 0
    .sgpr_count:     10
    .sgpr_spill_count: 0
    .symbol:         _ZL21dequantize_block_q2_KIN3c108BFloat16EEvPKvPT_.kd
    .uniform_work_group_size: 1
    .uses_dynamic_stack: false
    .vgpr_count:     15
    .vgpr_spill_count: 0
    .wavefront_size: 32
    .workgroup_processor_mode: 1
  - .args:
      - .actual_access:  read_only
        .address_space:  global
        .offset:         0
        .size:           8
        .value_kind:     global_buffer
      - .actual_access:  write_only
        .address_space:  global
        .offset:         8
        .size:           8
        .value_kind:     global_buffer
    .group_segment_fixed_size: 0
    .kernarg_segment_align: 8
    .kernarg_segment_size: 16
    .language:       OpenCL C
    .language_version:
      - 2
      - 0
    .max_flat_workgroup_size: 1024
    .name:           _ZL21dequantize_block_q3_KIN3c108BFloat16EEvPKvPT_
    .private_segment_fixed_size: 0
    .sgpr_count:     14
    .sgpr_spill_count: 0
    .symbol:         _ZL21dequantize_block_q3_KIN3c108BFloat16EEvPKvPT_.kd
    .uniform_work_group_size: 1
    .uses_dynamic_stack: false
    .vgpr_count:     17
    .vgpr_spill_count: 0
    .wavefront_size: 32
    .workgroup_processor_mode: 1
  - .args:
      - .actual_access:  read_only
        .address_space:  global
        .offset:         0
        .size:           8
        .value_kind:     global_buffer
      - .actual_access:  write_only
        .address_space:  global
        .offset:         8
        .size:           8
        .value_kind:     global_buffer
    .group_segment_fixed_size: 0
    .kernarg_segment_align: 8
    .kernarg_segment_size: 16
    .language:       OpenCL C
    .language_version:
      - 2
      - 0
    .max_flat_workgroup_size: 1024
    .name:           _ZL21dequantize_block_q4_KIN3c108BFloat16EEvPKvPT_
    .private_segment_fixed_size: 0
    .sgpr_count:     8
    .sgpr_spill_count: 0
    .symbol:         _ZL21dequantize_block_q4_KIN3c108BFloat16EEvPKvPT_.kd
    .uniform_work_group_size: 1
    .uses_dynamic_stack: false
    .vgpr_count:     26
    .vgpr_spill_count: 0
    .wavefront_size: 32
    .workgroup_processor_mode: 1
  - .args:
      - .actual_access:  read_only
        .address_space:  global
        .offset:         0
        .size:           8
        .value_kind:     global_buffer
      - .actual_access:  write_only
        .address_space:  global
        .offset:         8
        .size:           8
        .value_kind:     global_buffer
    .group_segment_fixed_size: 0
    .kernarg_segment_align: 8
    .kernarg_segment_size: 16
    .language:       OpenCL C
    .language_version:
      - 2
      - 0
    .max_flat_workgroup_size: 1024
    .name:           _ZL21dequantize_block_q5_KIN3c108BFloat16EEvPKvPT_
    .private_segment_fixed_size: 0
    .sgpr_count:     8
    .sgpr_spill_count: 0
    .symbol:         _ZL21dequantize_block_q5_KIN3c108BFloat16EEvPKvPT_.kd
    .uniform_work_group_size: 1
    .uses_dynamic_stack: false
    .vgpr_count:     15
    .vgpr_spill_count: 0
    .wavefront_size: 32
    .workgroup_processor_mode: 1
  - .args:
      - .actual_access:  read_only
        .address_space:  global
        .offset:         0
        .size:           8
        .value_kind:     global_buffer
      - .actual_access:  write_only
        .address_space:  global
        .offset:         8
        .size:           8
        .value_kind:     global_buffer
    .group_segment_fixed_size: 0
    .kernarg_segment_align: 8
    .kernarg_segment_size: 16
    .language:       OpenCL C
    .language_version:
      - 2
      - 0
    .max_flat_workgroup_size: 1024
    .name:           _ZL21dequantize_block_q6_KIN3c108BFloat16EEvPKvPT_
    .private_segment_fixed_size: 0
    .sgpr_count:     10
    .sgpr_spill_count: 0
    .symbol:         _ZL21dequantize_block_q6_KIN3c108BFloat16EEvPKvPT_.kd
    .uniform_work_group_size: 1
    .uses_dynamic_stack: false
    .vgpr_count:     15
    .vgpr_spill_count: 0
    .wavefront_size: 32
    .workgroup_processor_mode: 1
  - .args:
      - .actual_access:  read_only
        .address_space:  global
        .offset:         0
        .size:           8
        .value_kind:     global_buffer
      - .actual_access:  write_only
        .address_space:  global
        .offset:         8
        .size:           8
        .value_kind:     global_buffer
    .group_segment_fixed_size: 0
    .kernarg_segment_align: 8
    .kernarg_segment_size: 16
    .language:       OpenCL C
    .language_version:
      - 2
      - 0
    .max_flat_workgroup_size: 1024
    .name:           _ZL24dequantize_block_iq2_xxsIN3c108BFloat16EEvPKvPT_
    .private_segment_fixed_size: 0
    .sgpr_count:     10
    .sgpr_spill_count: 0
    .symbol:         _ZL24dequantize_block_iq2_xxsIN3c108BFloat16EEvPKvPT_.kd
    .uniform_work_group_size: 1
    .uses_dynamic_stack: false
    .vgpr_count:     20
    .vgpr_spill_count: 0
    .wavefront_size: 32
    .workgroup_processor_mode: 1
  - .args:
      - .actual_access:  read_only
        .address_space:  global
        .offset:         0
        .size:           8
        .value_kind:     global_buffer
      - .actual_access:  write_only
        .address_space:  global
        .offset:         8
        .size:           8
        .value_kind:     global_buffer
    .group_segment_fixed_size: 0
    .kernarg_segment_align: 8
    .kernarg_segment_size: 16
    .language:       OpenCL C
    .language_version:
      - 2
      - 0
    .max_flat_workgroup_size: 1024
    .name:           _ZL23dequantize_block_iq2_xsIN3c108BFloat16EEvPKvPT_
    .private_segment_fixed_size: 0
    .sgpr_count:     10
    .sgpr_spill_count: 0
    .symbol:         _ZL23dequantize_block_iq2_xsIN3c108BFloat16EEvPKvPT_.kd
    .uniform_work_group_size: 1
    .uses_dynamic_stack: false
    .vgpr_count:     20
    .vgpr_spill_count: 0
    .wavefront_size: 32
    .workgroup_processor_mode: 1
  - .args:
      - .actual_access:  read_only
        .address_space:  global
        .offset:         0
        .size:           8
        .value_kind:     global_buffer
      - .actual_access:  write_only
        .address_space:  global
        .offset:         8
        .size:           8
        .value_kind:     global_buffer
    .group_segment_fixed_size: 0
    .kernarg_segment_align: 8
    .kernarg_segment_size: 16
    .language:       OpenCL C
    .language_version:
      - 2
      - 0
    .max_flat_workgroup_size: 1024
    .name:           _ZL24dequantize_block_iq3_xxsIN3c108BFloat16EEvPKvPT_
    .private_segment_fixed_size: 0
    .sgpr_count:     10
    .sgpr_spill_count: 0
    .symbol:         _ZL24dequantize_block_iq3_xxsIN3c108BFloat16EEvPKvPT_.kd
    .uniform_work_group_size: 1
    .uses_dynamic_stack: false
    .vgpr_count:     20
    .vgpr_spill_count: 0
    .wavefront_size: 32
    .workgroup_processor_mode: 1
  - .args:
      - .actual_access:  read_only
        .address_space:  global
        .offset:         0
        .size:           8
        .value_kind:     global_buffer
      - .actual_access:  write_only
        .address_space:  global
        .offset:         8
        .size:           8
        .value_kind:     global_buffer
    .group_segment_fixed_size: 0
    .kernarg_segment_align: 8
    .kernarg_segment_size: 16
    .language:       OpenCL C
    .language_version:
      - 2
      - 0
    .max_flat_workgroup_size: 1024
    .name:           _ZL22dequantize_block_iq1_sIN3c108BFloat16EEvPKvPT_
    .private_segment_fixed_size: 0
    .sgpr_count:     10
    .sgpr_spill_count: 0
    .symbol:         _ZL22dequantize_block_iq1_sIN3c108BFloat16EEvPKvPT_.kd
    .uniform_work_group_size: 1
    .uses_dynamic_stack: false
    .vgpr_count:     19
    .vgpr_spill_count: 0
    .wavefront_size: 32
    .workgroup_processor_mode: 1
  - .args:
      - .actual_access:  read_only
        .address_space:  global
        .offset:         0
        .size:           8
        .value_kind:     global_buffer
      - .actual_access:  write_only
        .address_space:  global
        .offset:         8
        .size:           8
        .value_kind:     global_buffer
    .group_segment_fixed_size: 0
    .kernarg_segment_align: 8
    .kernarg_segment_size: 16
    .language:       OpenCL C
    .language_version:
      - 2
      - 0
    .max_flat_workgroup_size: 1024
    .name:           _ZL23dequantize_block_iq4_nlIN3c108BFloat16EEvPKvPT_
    .private_segment_fixed_size: 0
    .sgpr_count:     10
    .sgpr_spill_count: 0
    .symbol:         _ZL23dequantize_block_iq4_nlIN3c108BFloat16EEvPKvPT_.kd
    .uniform_work_group_size: 1
    .uses_dynamic_stack: false
    .vgpr_count:     19
    .vgpr_spill_count: 0
    .wavefront_size: 32
    .workgroup_processor_mode: 1
  - .args:
      - .actual_access:  read_only
        .address_space:  global
        .offset:         0
        .size:           8
        .value_kind:     global_buffer
      - .actual_access:  write_only
        .address_space:  global
        .offset:         8
        .size:           8
        .value_kind:     global_buffer
    .group_segment_fixed_size: 0
    .kernarg_segment_align: 8
    .kernarg_segment_size: 16
    .language:       OpenCL C
    .language_version:
      - 2
      - 0
    .max_flat_workgroup_size: 1024
    .name:           _ZL22dequantize_block_iq3_sIN3c108BFloat16EEvPKvPT_
    .private_segment_fixed_size: 0
    .sgpr_count:     10
    .sgpr_spill_count: 0
    .symbol:         _ZL22dequantize_block_iq3_sIN3c108BFloat16EEvPKvPT_.kd
    .uniform_work_group_size: 1
    .uses_dynamic_stack: false
    .vgpr_count:     20
    .vgpr_spill_count: 0
    .wavefront_size: 32
    .workgroup_processor_mode: 1
  - .args:
      - .actual_access:  read_only
        .address_space:  global
        .offset:         0
        .size:           8
        .value_kind:     global_buffer
      - .actual_access:  write_only
        .address_space:  global
        .offset:         8
        .size:           8
        .value_kind:     global_buffer
    .group_segment_fixed_size: 0
    .kernarg_segment_align: 8
    .kernarg_segment_size: 16
    .language:       OpenCL C
    .language_version:
      - 2
      - 0
    .max_flat_workgroup_size: 1024
    .name:           _ZL22dequantize_block_iq2_sIN3c108BFloat16EEvPKvPT_
    .private_segment_fixed_size: 0
    .sgpr_count:     10
    .sgpr_spill_count: 0
    .symbol:         _ZL22dequantize_block_iq2_sIN3c108BFloat16EEvPKvPT_.kd
    .uniform_work_group_size: 1
    .uses_dynamic_stack: false
    .vgpr_count:     20
    .vgpr_spill_count: 0
    .wavefront_size: 32
    .workgroup_processor_mode: 1
  - .args:
      - .actual_access:  read_only
        .address_space:  global
        .offset:         0
        .size:           8
        .value_kind:     global_buffer
      - .actual_access:  write_only
        .address_space:  global
        .offset:         8
        .size:           8
        .value_kind:     global_buffer
    .group_segment_fixed_size: 0
    .kernarg_segment_align: 8
    .kernarg_segment_size: 16
    .language:       OpenCL C
    .language_version:
      - 2
      - 0
    .max_flat_workgroup_size: 1024
    .name:           _ZL23dequantize_block_iq4_xsIN3c108BFloat16EEvPKvPT_
    .private_segment_fixed_size: 0
    .sgpr_count:     10
    .sgpr_spill_count: 0
    .symbol:         _ZL23dequantize_block_iq4_xsIN3c108BFloat16EEvPKvPT_.kd
    .uniform_work_group_size: 1
    .uses_dynamic_stack: false
    .vgpr_count:     19
    .vgpr_spill_count: 0
    .wavefront_size: 32
    .workgroup_processor_mode: 1
  - .args:
      - .actual_access:  read_only
        .address_space:  global
        .offset:         0
        .size:           8
        .value_kind:     global_buffer
      - .actual_access:  write_only
        .address_space:  global
        .offset:         8
        .size:           8
        .value_kind:     global_buffer
    .group_segment_fixed_size: 0
    .kernarg_segment_align: 8
    .kernarg_segment_size: 16
    .language:       OpenCL C
    .language_version:
      - 2
      - 0
    .max_flat_workgroup_size: 1024
    .name:           _ZL22dequantize_block_iq1_mIN3c108BFloat16EEvPKvPT_
    .private_segment_fixed_size: 0
    .sgpr_count:     10
    .sgpr_spill_count: 0
    .symbol:         _ZL22dequantize_block_iq1_mIN3c108BFloat16EEvPKvPT_.kd
    .uniform_work_group_size: 1
    .uses_dynamic_stack: false
    .vgpr_count:     19
    .vgpr_spill_count: 0
    .wavefront_size: 32
    .workgroup_processor_mode: 1
  - .args:
      - .actual_access:  read_only
        .address_space:  global
        .offset:         0
        .size:           8
        .value_kind:     global_buffer
      - .actual_access:  write_only
        .address_space:  global
        .offset:         8
        .size:           8
        .value_kind:     global_buffer
      - .offset:         16
        .size:           4
        .value_kind:     by_value
      - .offset:         20
        .size:           4
        .value_kind:     by_value
      - .offset:         24
        .size:           4
        .value_kind:     hidden_block_count_x
      - .offset:         28
        .size:           4
        .value_kind:     hidden_block_count_y
      - .offset:         32
        .size:           4
        .value_kind:     hidden_block_count_z
      - .offset:         36
        .size:           2
        .value_kind:     hidden_group_size_x
      - .offset:         38
        .size:           2
        .value_kind:     hidden_group_size_y
      - .offset:         40
        .size:           2
        .value_kind:     hidden_group_size_z
      - .offset:         42
        .size:           2
        .value_kind:     hidden_remainder_x
      - .offset:         44
        .size:           2
        .value_kind:     hidden_remainder_y
      - .offset:         46
        .size:           2
        .value_kind:     hidden_remainder_z
      - .offset:         64
        .size:           8
        .value_kind:     hidden_global_offset_x
      - .offset:         72
        .size:           8
        .value_kind:     hidden_global_offset_y
      - .offset:         80
        .size:           8
        .value_kind:     hidden_global_offset_z
      - .offset:         88
        .size:           2
        .value_kind:     hidden_grid_dims
    .group_segment_fixed_size: 0
    .kernarg_segment_align: 8
    .kernarg_segment_size: 280
    .language:       OpenCL C
    .language_version:
      - 2
      - 0
    .max_flat_workgroup_size: 1024
    .name:           _ZL13quantize_q8_1IfEvPKT_Pvii
    .private_segment_fixed_size: 0
    .sgpr_count:     10
    .sgpr_spill_count: 0
    .symbol:         _ZL13quantize_q8_1IfEvPKT_Pvii.kd
    .uniform_work_group_size: 1
    .uses_dynamic_stack: false
    .vgpr_count:     13
    .vgpr_spill_count: 0
    .wavefront_size: 32
    .workgroup_processor_mode: 1
  - .args:
      - .actual_access:  read_only
        .address_space:  global
        .offset:         0
        .size:           8
        .value_kind:     global_buffer
      - .actual_access:  read_only
        .address_space:  global
        .offset:         8
        .size:           8
        .value_kind:     global_buffer
      - .actual_access:  write_only
        .address_space:  global
        .offset:         16
        .size:           8
        .value_kind:     global_buffer
      - .offset:         24
        .size:           4
        .value_kind:     by_value
      - .offset:         28
        .size:           4
        .value_kind:     by_value
      - .offset:         32
        .size:           4
        .value_kind:     by_value
      - .offset:         40
        .size:           4
        .value_kind:     hidden_block_count_x
      - .offset:         44
        .size:           4
        .value_kind:     hidden_block_count_y
      - .offset:         48
        .size:           4
        .value_kind:     hidden_block_count_z
      - .offset:         52
        .size:           2
        .value_kind:     hidden_group_size_x
      - .offset:         54
        .size:           2
        .value_kind:     hidden_group_size_y
      - .offset:         56
        .size:           2
        .value_kind:     hidden_group_size_z
      - .offset:         58
        .size:           2
        .value_kind:     hidden_remainder_x
      - .offset:         60
        .size:           2
        .value_kind:     hidden_remainder_y
      - .offset:         62
        .size:           2
        .value_kind:     hidden_remainder_z
      - .offset:         80
        .size:           8
        .value_kind:     hidden_global_offset_x
      - .offset:         88
        .size:           8
        .value_kind:     hidden_global_offset_y
      - .offset:         96
        .size:           8
        .value_kind:     hidden_global_offset_z
      - .offset:         104
        .size:           2
        .value_kind:     hidden_grid_dims
    .group_segment_fixed_size: 0
    .kernarg_segment_align: 8
    .kernarg_segment_size: 296
    .language:       OpenCL C
    .language_version:
      - 2
      - 0
    .max_flat_workgroup_size: 1024
    .name:           _ZL13mul_mat_vec_qIfLi32ELi4E10block_q4_0Li2EXadL_ZL17vec_dot_q4_0_q8_1PKvPK10block_q8_1RKiEEEvS2_S2_PT_iii
    .private_segment_fixed_size: 0
    .sgpr_count:     13
    .sgpr_spill_count: 0
    .symbol:         _ZL13mul_mat_vec_qIfLi32ELi4E10block_q4_0Li2EXadL_ZL17vec_dot_q4_0_q8_1PKvPK10block_q8_1RKiEEEvS2_S2_PT_iii.kd
    .uniform_work_group_size: 1
    .uses_dynamic_stack: false
    .vgpr_count:     40
    .vgpr_spill_count: 0
    .wavefront_size: 32
    .workgroup_processor_mode: 1
  - .args:
      - .actual_access:  read_only
        .address_space:  global
        .offset:         0
        .size:           8
        .value_kind:     global_buffer
      - .actual_access:  read_only
        .address_space:  global
        .offset:         8
        .size:           8
        .value_kind:     global_buffer
      - .actual_access:  write_only
        .address_space:  global
        .offset:         16
        .size:           8
        .value_kind:     global_buffer
      - .offset:         24
        .size:           4
        .value_kind:     by_value
      - .offset:         28
        .size:           4
        .value_kind:     by_value
      - .offset:         32
        .size:           4
        .value_kind:     by_value
      - .offset:         40
        .size:           4
        .value_kind:     hidden_block_count_x
      - .offset:         44
        .size:           4
        .value_kind:     hidden_block_count_y
      - .offset:         48
        .size:           4
        .value_kind:     hidden_block_count_z
      - .offset:         52
        .size:           2
        .value_kind:     hidden_group_size_x
      - .offset:         54
        .size:           2
        .value_kind:     hidden_group_size_y
      - .offset:         56
        .size:           2
        .value_kind:     hidden_group_size_z
      - .offset:         58
        .size:           2
        .value_kind:     hidden_remainder_x
      - .offset:         60
        .size:           2
        .value_kind:     hidden_remainder_y
      - .offset:         62
        .size:           2
        .value_kind:     hidden_remainder_z
      - .offset:         80
        .size:           8
        .value_kind:     hidden_global_offset_x
      - .offset:         88
        .size:           8
        .value_kind:     hidden_global_offset_y
      - .offset:         96
        .size:           8
        .value_kind:     hidden_global_offset_z
      - .offset:         104
        .size:           2
        .value_kind:     hidden_grid_dims
    .group_segment_fixed_size: 0
    .kernarg_segment_align: 8
    .kernarg_segment_size: 296
    .language:       OpenCL C
    .language_version:
      - 2
      - 0
    .max_flat_workgroup_size: 1024
    .name:           _ZL13mul_mat_vec_qIfLi32ELi4E10block_q4_1Li2EXadL_ZL17vec_dot_q4_1_q8_1PKvPK10block_q8_1RKiEEEvS2_S2_PT_iii
    .private_segment_fixed_size: 0
    .sgpr_count:     13
    .sgpr_spill_count: 0
    .symbol:         _ZL13mul_mat_vec_qIfLi32ELi4E10block_q4_1Li2EXadL_ZL17vec_dot_q4_1_q8_1PKvPK10block_q8_1RKiEEEvS2_S2_PT_iii.kd
    .uniform_work_group_size: 1
    .uses_dynamic_stack: false
    .vgpr_count:     39
    .vgpr_spill_count: 0
    .wavefront_size: 32
    .workgroup_processor_mode: 1
  - .args:
      - .actual_access:  read_only
        .address_space:  global
        .offset:         0
        .size:           8
        .value_kind:     global_buffer
      - .actual_access:  read_only
        .address_space:  global
        .offset:         8
        .size:           8
        .value_kind:     global_buffer
      - .actual_access:  write_only
        .address_space:  global
        .offset:         16
        .size:           8
        .value_kind:     global_buffer
      - .offset:         24
        .size:           4
        .value_kind:     by_value
      - .offset:         28
        .size:           4
        .value_kind:     by_value
      - .offset:         32
        .size:           4
        .value_kind:     by_value
      - .offset:         40
        .size:           4
        .value_kind:     hidden_block_count_x
      - .offset:         44
        .size:           4
        .value_kind:     hidden_block_count_y
      - .offset:         48
        .size:           4
        .value_kind:     hidden_block_count_z
      - .offset:         52
        .size:           2
        .value_kind:     hidden_group_size_x
      - .offset:         54
        .size:           2
        .value_kind:     hidden_group_size_y
      - .offset:         56
        .size:           2
        .value_kind:     hidden_group_size_z
      - .offset:         58
        .size:           2
        .value_kind:     hidden_remainder_x
      - .offset:         60
        .size:           2
        .value_kind:     hidden_remainder_y
      - .offset:         62
        .size:           2
        .value_kind:     hidden_remainder_z
      - .offset:         80
        .size:           8
        .value_kind:     hidden_global_offset_x
      - .offset:         88
        .size:           8
        .value_kind:     hidden_global_offset_y
      - .offset:         96
        .size:           8
        .value_kind:     hidden_global_offset_z
      - .offset:         104
        .size:           2
        .value_kind:     hidden_grid_dims
    .group_segment_fixed_size: 0
    .kernarg_segment_align: 8
    .kernarg_segment_size: 296
    .language:       OpenCL C
    .language_version:
      - 2
      - 0
    .max_flat_workgroup_size: 1024
    .name:           _ZL13mul_mat_vec_qIfLi32ELi4E10block_q5_0Li2EXadL_ZL17vec_dot_q5_0_q8_1PKvPK10block_q8_1RKiEEEvS2_S2_PT_iii
    .private_segment_fixed_size: 0
    .sgpr_count:     13
    .sgpr_spill_count: 0
    .symbol:         _ZL13mul_mat_vec_qIfLi32ELi4E10block_q5_0Li2EXadL_ZL17vec_dot_q5_0_q8_1PKvPK10block_q8_1RKiEEEvS2_S2_PT_iii.kd
    .uniform_work_group_size: 1
    .uses_dynamic_stack: false
    .vgpr_count:     45
    .vgpr_spill_count: 0
    .wavefront_size: 32
    .workgroup_processor_mode: 1
  - .args:
      - .actual_access:  read_only
        .address_space:  global
        .offset:         0
        .size:           8
        .value_kind:     global_buffer
      - .actual_access:  read_only
        .address_space:  global
        .offset:         8
        .size:           8
        .value_kind:     global_buffer
      - .actual_access:  write_only
        .address_space:  global
        .offset:         16
        .size:           8
        .value_kind:     global_buffer
      - .offset:         24
        .size:           4
        .value_kind:     by_value
      - .offset:         28
        .size:           4
        .value_kind:     by_value
      - .offset:         32
        .size:           4
        .value_kind:     by_value
      - .offset:         40
        .size:           4
        .value_kind:     hidden_block_count_x
      - .offset:         44
        .size:           4
        .value_kind:     hidden_block_count_y
      - .offset:         48
        .size:           4
        .value_kind:     hidden_block_count_z
      - .offset:         52
        .size:           2
        .value_kind:     hidden_group_size_x
      - .offset:         54
        .size:           2
        .value_kind:     hidden_group_size_y
      - .offset:         56
        .size:           2
        .value_kind:     hidden_group_size_z
      - .offset:         58
        .size:           2
        .value_kind:     hidden_remainder_x
      - .offset:         60
        .size:           2
        .value_kind:     hidden_remainder_y
      - .offset:         62
        .size:           2
        .value_kind:     hidden_remainder_z
      - .offset:         80
        .size:           8
        .value_kind:     hidden_global_offset_x
      - .offset:         88
        .size:           8
        .value_kind:     hidden_global_offset_y
      - .offset:         96
        .size:           8
        .value_kind:     hidden_global_offset_z
      - .offset:         104
        .size:           2
        .value_kind:     hidden_grid_dims
    .group_segment_fixed_size: 0
    .kernarg_segment_align: 8
    .kernarg_segment_size: 296
    .language:       OpenCL C
    .language_version:
      - 2
      - 0
    .max_flat_workgroup_size: 1024
    .name:           _ZL13mul_mat_vec_qIfLi32ELi4E10block_q5_1Li2EXadL_ZL17vec_dot_q5_1_q8_1PKvPK10block_q8_1RKiEEEvS2_S2_PT_iii
    .private_segment_fixed_size: 0
    .sgpr_count:     13
    .sgpr_spill_count: 0
    .symbol:         _ZL13mul_mat_vec_qIfLi32ELi4E10block_q5_1Li2EXadL_ZL17vec_dot_q5_1_q8_1PKvPK10block_q8_1RKiEEEvS2_S2_PT_iii.kd
    .uniform_work_group_size: 1
    .uses_dynamic_stack: false
    .vgpr_count:     44
    .vgpr_spill_count: 0
    .wavefront_size: 32
    .workgroup_processor_mode: 1
  - .args:
      - .actual_access:  read_only
        .address_space:  global
        .offset:         0
        .size:           8
        .value_kind:     global_buffer
      - .actual_access:  read_only
        .address_space:  global
        .offset:         8
        .size:           8
        .value_kind:     global_buffer
      - .actual_access:  write_only
        .address_space:  global
        .offset:         16
        .size:           8
        .value_kind:     global_buffer
      - .offset:         24
        .size:           4
        .value_kind:     by_value
      - .offset:         28
        .size:           4
        .value_kind:     by_value
      - .offset:         32
        .size:           4
        .value_kind:     by_value
      - .offset:         40
        .size:           4
        .value_kind:     hidden_block_count_x
      - .offset:         44
        .size:           4
        .value_kind:     hidden_block_count_y
      - .offset:         48
        .size:           4
        .value_kind:     hidden_block_count_z
      - .offset:         52
        .size:           2
        .value_kind:     hidden_group_size_x
      - .offset:         54
        .size:           2
        .value_kind:     hidden_group_size_y
      - .offset:         56
        .size:           2
        .value_kind:     hidden_group_size_z
      - .offset:         58
        .size:           2
        .value_kind:     hidden_remainder_x
      - .offset:         60
        .size:           2
        .value_kind:     hidden_remainder_y
      - .offset:         62
        .size:           2
        .value_kind:     hidden_remainder_z
      - .offset:         80
        .size:           8
        .value_kind:     hidden_global_offset_x
      - .offset:         88
        .size:           8
        .value_kind:     hidden_global_offset_y
      - .offset:         96
        .size:           8
        .value_kind:     hidden_global_offset_z
      - .offset:         104
        .size:           2
        .value_kind:     hidden_grid_dims
    .group_segment_fixed_size: 0
    .kernarg_segment_align: 8
    .kernarg_segment_size: 296
    .language:       OpenCL C
    .language_version:
      - 2
      - 0
    .max_flat_workgroup_size: 1024
    .name:           _ZL13mul_mat_vec_qIfLi32ELi8E10block_q8_0Li2EXadL_ZL17vec_dot_q8_0_q8_1PKvPK10block_q8_1RKiEEEvS2_S2_PT_iii
    .private_segment_fixed_size: 0
    .sgpr_count:     13
    .sgpr_spill_count: 0
    .symbol:         _ZL13mul_mat_vec_qIfLi32ELi8E10block_q8_0Li2EXadL_ZL17vec_dot_q8_0_q8_1PKvPK10block_q8_1RKiEEEvS2_S2_PT_iii.kd
    .uniform_work_group_size: 1
    .uses_dynamic_stack: false
    .vgpr_count:     24
    .vgpr_spill_count: 0
    .wavefront_size: 32
    .workgroup_processor_mode: 1
  - .args:
      - .actual_access:  read_only
        .address_space:  global
        .offset:         0
        .size:           8
        .value_kind:     global_buffer
      - .actual_access:  read_only
        .address_space:  global
        .offset:         8
        .size:           8
        .value_kind:     global_buffer
      - .actual_access:  write_only
        .address_space:  global
        .offset:         16
        .size:           8
        .value_kind:     global_buffer
      - .offset:         24
        .size:           4
        .value_kind:     by_value
      - .offset:         28
        .size:           4
        .value_kind:     by_value
      - .offset:         32
        .size:           4
        .value_kind:     by_value
      - .offset:         40
        .size:           4
        .value_kind:     hidden_block_count_x
      - .offset:         44
        .size:           4
        .value_kind:     hidden_block_count_y
      - .offset:         48
        .size:           4
        .value_kind:     hidden_block_count_z
      - .offset:         52
        .size:           2
        .value_kind:     hidden_group_size_x
      - .offset:         54
        .size:           2
        .value_kind:     hidden_group_size_y
      - .offset:         56
        .size:           2
        .value_kind:     hidden_group_size_z
      - .offset:         58
        .size:           2
        .value_kind:     hidden_remainder_x
      - .offset:         60
        .size:           2
        .value_kind:     hidden_remainder_y
      - .offset:         62
        .size:           2
        .value_kind:     hidden_remainder_z
      - .offset:         80
        .size:           8
        .value_kind:     hidden_global_offset_x
      - .offset:         88
        .size:           8
        .value_kind:     hidden_global_offset_y
      - .offset:         96
        .size:           8
        .value_kind:     hidden_global_offset_z
      - .offset:         104
        .size:           2
        .value_kind:     hidden_grid_dims
    .group_segment_fixed_size: 0
    .kernarg_segment_align: 8
    .kernarg_segment_size: 296
    .language:       OpenCL C
    .language_version:
      - 2
      - 0
    .max_flat_workgroup_size: 1024
    .name:           _ZL13mul_mat_vec_qIfLi256ELi16E10block_q2_KLi1EXadL_ZL17vec_dot_q2_K_q8_1PKvPK10block_q8_1RKiEEEvS2_S2_PT_iii
    .private_segment_fixed_size: 0
    .sgpr_count:     13
    .sgpr_spill_count: 0
    .symbol:         _ZL13mul_mat_vec_qIfLi256ELi16E10block_q2_KLi1EXadL_ZL17vec_dot_q2_K_q8_1PKvPK10block_q8_1RKiEEEvS2_S2_PT_iii.kd
    .uniform_work_group_size: 1
    .uses_dynamic_stack: false
    .vgpr_count:     62
    .vgpr_spill_count: 0
    .wavefront_size: 32
    .workgroup_processor_mode: 1
  - .args:
      - .actual_access:  read_only
        .address_space:  global
        .offset:         0
        .size:           8
        .value_kind:     global_buffer
      - .actual_access:  read_only
        .address_space:  global
        .offset:         8
        .size:           8
        .value_kind:     global_buffer
      - .actual_access:  write_only
        .address_space:  global
        .offset:         16
        .size:           8
        .value_kind:     global_buffer
      - .offset:         24
        .size:           4
        .value_kind:     by_value
      - .offset:         28
        .size:           4
        .value_kind:     by_value
      - .offset:         32
        .size:           4
        .value_kind:     by_value
      - .offset:         40
        .size:           4
        .value_kind:     hidden_block_count_x
      - .offset:         44
        .size:           4
        .value_kind:     hidden_block_count_y
      - .offset:         48
        .size:           4
        .value_kind:     hidden_block_count_z
      - .offset:         52
        .size:           2
        .value_kind:     hidden_group_size_x
      - .offset:         54
        .size:           2
        .value_kind:     hidden_group_size_y
      - .offset:         56
        .size:           2
        .value_kind:     hidden_group_size_z
      - .offset:         58
        .size:           2
        .value_kind:     hidden_remainder_x
      - .offset:         60
        .size:           2
        .value_kind:     hidden_remainder_y
      - .offset:         62
        .size:           2
        .value_kind:     hidden_remainder_z
      - .offset:         80
        .size:           8
        .value_kind:     hidden_global_offset_x
      - .offset:         88
        .size:           8
        .value_kind:     hidden_global_offset_y
      - .offset:         96
        .size:           8
        .value_kind:     hidden_global_offset_z
      - .offset:         104
        .size:           2
        .value_kind:     hidden_grid_dims
    .group_segment_fixed_size: 0
    .kernarg_segment_align: 8
    .kernarg_segment_size: 296
    .language:       OpenCL C
    .language_version:
      - 2
      - 0
    .max_flat_workgroup_size: 1024
    .name:           _ZL13mul_mat_vec_qIfLi256ELi16E10block_q3_KLi1EXadL_ZL17vec_dot_q3_K_q8_1PKvPK10block_q8_1RKiEEEvS2_S2_PT_iii
    .private_segment_fixed_size: 0
    .sgpr_count:     13
    .sgpr_spill_count: 0
    .symbol:         _ZL13mul_mat_vec_qIfLi256ELi16E10block_q3_KLi1EXadL_ZL17vec_dot_q3_K_q8_1PKvPK10block_q8_1RKiEEEvS2_S2_PT_iii.kd
    .uniform_work_group_size: 1
    .uses_dynamic_stack: false
    .vgpr_count:     85
    .vgpr_spill_count: 0
    .wavefront_size: 32
    .workgroup_processor_mode: 1
  - .args:
      - .actual_access:  read_only
        .address_space:  global
        .offset:         0
        .size:           8
        .value_kind:     global_buffer
      - .actual_access:  read_only
        .address_space:  global
        .offset:         8
        .size:           8
        .value_kind:     global_buffer
      - .actual_access:  write_only
        .address_space:  global
        .offset:         16
        .size:           8
        .value_kind:     global_buffer
      - .offset:         24
        .size:           4
        .value_kind:     by_value
      - .offset:         28
        .size:           4
        .value_kind:     by_value
      - .offset:         32
        .size:           4
        .value_kind:     by_value
      - .offset:         40
        .size:           4
        .value_kind:     hidden_block_count_x
      - .offset:         44
        .size:           4
        .value_kind:     hidden_block_count_y
      - .offset:         48
        .size:           4
        .value_kind:     hidden_block_count_z
      - .offset:         52
        .size:           2
        .value_kind:     hidden_group_size_x
      - .offset:         54
        .size:           2
        .value_kind:     hidden_group_size_y
      - .offset:         56
        .size:           2
        .value_kind:     hidden_group_size_z
      - .offset:         58
        .size:           2
        .value_kind:     hidden_remainder_x
      - .offset:         60
        .size:           2
        .value_kind:     hidden_remainder_y
      - .offset:         62
        .size:           2
        .value_kind:     hidden_remainder_z
      - .offset:         80
        .size:           8
        .value_kind:     hidden_global_offset_x
      - .offset:         88
        .size:           8
        .value_kind:     hidden_global_offset_y
      - .offset:         96
        .size:           8
        .value_kind:     hidden_global_offset_z
      - .offset:         104
        .size:           2
        .value_kind:     hidden_grid_dims
    .group_segment_fixed_size: 0
    .kernarg_segment_align: 8
    .kernarg_segment_size: 296
    .language:       OpenCL C
    .language_version:
      - 2
      - 0
    .max_flat_workgroup_size: 1024
    .name:           _ZL13mul_mat_vec_qIfLi256ELi32E10block_q4_KLi2EXadL_ZL17vec_dot_q4_K_q8_1PKvPK10block_q8_1RKiEEEvS2_S2_PT_iii
    .private_segment_fixed_size: 0
    .sgpr_count:     14
    .sgpr_spill_count: 0
    .symbol:         _ZL13mul_mat_vec_qIfLi256ELi32E10block_q4_KLi2EXadL_ZL17vec_dot_q4_K_q8_1PKvPK10block_q8_1RKiEEEvS2_S2_PT_iii.kd
    .uniform_work_group_size: 1
    .uses_dynamic_stack: false
    .vgpr_count:     52
    .vgpr_spill_count: 0
    .wavefront_size: 32
    .workgroup_processor_mode: 1
  - .args:
      - .actual_access:  read_only
        .address_space:  global
        .offset:         0
        .size:           8
        .value_kind:     global_buffer
      - .actual_access:  read_only
        .address_space:  global
        .offset:         8
        .size:           8
        .value_kind:     global_buffer
      - .actual_access:  write_only
        .address_space:  global
        .offset:         16
        .size:           8
        .value_kind:     global_buffer
      - .offset:         24
        .size:           4
        .value_kind:     by_value
      - .offset:         28
        .size:           4
        .value_kind:     by_value
      - .offset:         32
        .size:           4
        .value_kind:     by_value
      - .offset:         40
        .size:           4
        .value_kind:     hidden_block_count_x
      - .offset:         44
        .size:           4
        .value_kind:     hidden_block_count_y
      - .offset:         48
        .size:           4
        .value_kind:     hidden_block_count_z
      - .offset:         52
        .size:           2
        .value_kind:     hidden_group_size_x
      - .offset:         54
        .size:           2
        .value_kind:     hidden_group_size_y
      - .offset:         56
        .size:           2
        .value_kind:     hidden_group_size_z
      - .offset:         58
        .size:           2
        .value_kind:     hidden_remainder_x
      - .offset:         60
        .size:           2
        .value_kind:     hidden_remainder_y
      - .offset:         62
        .size:           2
        .value_kind:     hidden_remainder_z
      - .offset:         80
        .size:           8
        .value_kind:     hidden_global_offset_x
      - .offset:         88
        .size:           8
        .value_kind:     hidden_global_offset_y
      - .offset:         96
        .size:           8
        .value_kind:     hidden_global_offset_z
      - .offset:         104
        .size:           2
        .value_kind:     hidden_grid_dims
    .group_segment_fixed_size: 0
    .kernarg_segment_align: 8
    .kernarg_segment_size: 296
    .language:       OpenCL C
    .language_version:
      - 2
      - 0
    .max_flat_workgroup_size: 1024
    .name:           _ZL13mul_mat_vec_qIfLi256ELi32E10block_q5_KLi2EXadL_ZL17vec_dot_q5_K_q8_1PKvPK10block_q8_1RKiEEEvS2_S2_PT_iii
    .private_segment_fixed_size: 0
    .sgpr_count:     14
    .sgpr_spill_count: 0
    .symbol:         _ZL13mul_mat_vec_qIfLi256ELi32E10block_q5_KLi2EXadL_ZL17vec_dot_q5_K_q8_1PKvPK10block_q8_1RKiEEEvS2_S2_PT_iii.kd
    .uniform_work_group_size: 1
    .uses_dynamic_stack: false
    .vgpr_count:     53
    .vgpr_spill_count: 0
    .wavefront_size: 32
    .workgroup_processor_mode: 1
  - .args:
      - .actual_access:  read_only
        .address_space:  global
        .offset:         0
        .size:           8
        .value_kind:     global_buffer
      - .actual_access:  read_only
        .address_space:  global
        .offset:         8
        .size:           8
        .value_kind:     global_buffer
      - .actual_access:  write_only
        .address_space:  global
        .offset:         16
        .size:           8
        .value_kind:     global_buffer
      - .offset:         24
        .size:           4
        .value_kind:     by_value
      - .offset:         28
        .size:           4
        .value_kind:     by_value
      - .offset:         32
        .size:           4
        .value_kind:     by_value
      - .offset:         40
        .size:           4
        .value_kind:     hidden_block_count_x
      - .offset:         44
        .size:           4
        .value_kind:     hidden_block_count_y
      - .offset:         48
        .size:           4
        .value_kind:     hidden_block_count_z
      - .offset:         52
        .size:           2
        .value_kind:     hidden_group_size_x
      - .offset:         54
        .size:           2
        .value_kind:     hidden_group_size_y
      - .offset:         56
        .size:           2
        .value_kind:     hidden_group_size_z
      - .offset:         58
        .size:           2
        .value_kind:     hidden_remainder_x
      - .offset:         60
        .size:           2
        .value_kind:     hidden_remainder_y
      - .offset:         62
        .size:           2
        .value_kind:     hidden_remainder_z
      - .offset:         80
        .size:           8
        .value_kind:     hidden_global_offset_x
      - .offset:         88
        .size:           8
        .value_kind:     hidden_global_offset_y
      - .offset:         96
        .size:           8
        .value_kind:     hidden_global_offset_z
      - .offset:         104
        .size:           2
        .value_kind:     hidden_grid_dims
    .group_segment_fixed_size: 0
    .kernarg_segment_align: 8
    .kernarg_segment_size: 296
    .language:       OpenCL C
    .language_version:
      - 2
      - 0
    .max_flat_workgroup_size: 1024
    .name:           _ZL13mul_mat_vec_qIfLi256ELi32E10block_q6_KLi1EXadL_ZL17vec_dot_q6_K_q8_1PKvPK10block_q8_1RKiEEEvS2_S2_PT_iii
    .private_segment_fixed_size: 0
    .sgpr_count:     13
    .sgpr_spill_count: 0
    .symbol:         _ZL13mul_mat_vec_qIfLi256ELi32E10block_q6_KLi1EXadL_ZL17vec_dot_q6_K_q8_1PKvPK10block_q8_1RKiEEEvS2_S2_PT_iii.kd
    .uniform_work_group_size: 1
    .uses_dynamic_stack: false
    .vgpr_count:     34
    .vgpr_spill_count: 0
    .wavefront_size: 32
    .workgroup_processor_mode: 1
  - .args:
      - .actual_access:  read_only
        .address_space:  global
        .offset:         0
        .size:           8
        .value_kind:     global_buffer
      - .actual_access:  read_only
        .address_space:  global
        .offset:         8
        .size:           8
        .value_kind:     global_buffer
      - .actual_access:  write_only
        .address_space:  global
        .offset:         16
        .size:           8
        .value_kind:     global_buffer
      - .offset:         24
        .size:           4
        .value_kind:     by_value
      - .offset:         28
        .size:           4
        .value_kind:     by_value
      - .offset:         32
        .size:           4
        .value_kind:     by_value
      - .offset:         40
        .size:           4
        .value_kind:     hidden_block_count_x
      - .offset:         44
        .size:           4
        .value_kind:     hidden_block_count_y
      - .offset:         48
        .size:           4
        .value_kind:     hidden_block_count_z
      - .offset:         52
        .size:           2
        .value_kind:     hidden_group_size_x
      - .offset:         54
        .size:           2
        .value_kind:     hidden_group_size_y
      - .offset:         56
        .size:           2
        .value_kind:     hidden_group_size_z
      - .offset:         58
        .size:           2
        .value_kind:     hidden_remainder_x
      - .offset:         60
        .size:           2
        .value_kind:     hidden_remainder_y
      - .offset:         62
        .size:           2
        .value_kind:     hidden_remainder_z
      - .offset:         80
        .size:           8
        .value_kind:     hidden_global_offset_x
      - .offset:         88
        .size:           8
        .value_kind:     hidden_global_offset_y
      - .offset:         96
        .size:           8
        .value_kind:     hidden_global_offset_z
      - .offset:         104
        .size:           2
        .value_kind:     hidden_grid_dims
    .group_segment_fixed_size: 0
    .kernarg_segment_align: 8
    .kernarg_segment_size: 296
    .language:       OpenCL C
    .language_version:
      - 2
      - 0
    .max_flat_workgroup_size: 1024
    .name:           _ZL13mul_mat_vec_qIfLi256ELi8E13block_iq2_xxsLi1EXadL_ZL20vec_dot_iq2_xxs_q8_1PKvPK10block_q8_1RKiEEEvS2_S2_PT_iii
    .private_segment_fixed_size: 0
    .sgpr_count:     23
    .sgpr_spill_count: 0
    .symbol:         _ZL13mul_mat_vec_qIfLi256ELi8E13block_iq2_xxsLi1EXadL_ZL20vec_dot_iq2_xxs_q8_1PKvPK10block_q8_1RKiEEEvS2_S2_PT_iii.kd
    .uniform_work_group_size: 1
    .uses_dynamic_stack: false
    .vgpr_count:     94
    .vgpr_spill_count: 0
    .wavefront_size: 32
    .workgroup_processor_mode: 1
  - .args:
      - .actual_access:  read_only
        .address_space:  global
        .offset:         0
        .size:           8
        .value_kind:     global_buffer
      - .actual_access:  read_only
        .address_space:  global
        .offset:         8
        .size:           8
        .value_kind:     global_buffer
      - .actual_access:  write_only
        .address_space:  global
        .offset:         16
        .size:           8
        .value_kind:     global_buffer
      - .offset:         24
        .size:           4
        .value_kind:     by_value
      - .offset:         28
        .size:           4
        .value_kind:     by_value
      - .offset:         32
        .size:           4
        .value_kind:     by_value
      - .offset:         40
        .size:           4
        .value_kind:     hidden_block_count_x
      - .offset:         44
        .size:           4
        .value_kind:     hidden_block_count_y
      - .offset:         48
        .size:           4
        .value_kind:     hidden_block_count_z
      - .offset:         52
        .size:           2
        .value_kind:     hidden_group_size_x
      - .offset:         54
        .size:           2
        .value_kind:     hidden_group_size_y
      - .offset:         56
        .size:           2
        .value_kind:     hidden_group_size_z
      - .offset:         58
        .size:           2
        .value_kind:     hidden_remainder_x
      - .offset:         60
        .size:           2
        .value_kind:     hidden_remainder_y
      - .offset:         62
        .size:           2
        .value_kind:     hidden_remainder_z
      - .offset:         80
        .size:           8
        .value_kind:     hidden_global_offset_x
      - .offset:         88
        .size:           8
        .value_kind:     hidden_global_offset_y
      - .offset:         96
        .size:           8
        .value_kind:     hidden_global_offset_z
      - .offset:         104
        .size:           2
        .value_kind:     hidden_grid_dims
    .group_segment_fixed_size: 0
    .kernarg_segment_align: 8
    .kernarg_segment_size: 296
    .language:       OpenCL C
    .language_version:
      - 2
      - 0
    .max_flat_workgroup_size: 1024
    .name:           _ZL13mul_mat_vec_qIfLi256ELi8E12block_iq2_xsLi1EXadL_ZL19vec_dot_iq2_xs_q8_1PKvPK10block_q8_1RKiEEEvS2_S2_PT_iii
    .private_segment_fixed_size: 0
    .sgpr_count:     45
    .sgpr_spill_count: 0
    .symbol:         _ZL13mul_mat_vec_qIfLi256ELi8E12block_iq2_xsLi1EXadL_ZL19vec_dot_iq2_xs_q8_1PKvPK10block_q8_1RKiEEEvS2_S2_PT_iii.kd
    .uniform_work_group_size: 1
    .uses_dynamic_stack: false
    .vgpr_count:     94
    .vgpr_spill_count: 0
    .wavefront_size: 32
    .workgroup_processor_mode: 1
  - .args:
      - .actual_access:  read_only
        .address_space:  global
        .offset:         0
        .size:           8
        .value_kind:     global_buffer
      - .actual_access:  read_only
        .address_space:  global
        .offset:         8
        .size:           8
        .value_kind:     global_buffer
      - .actual_access:  write_only
        .address_space:  global
        .offset:         16
        .size:           8
        .value_kind:     global_buffer
      - .offset:         24
        .size:           4
        .value_kind:     by_value
      - .offset:         28
        .size:           4
        .value_kind:     by_value
      - .offset:         32
        .size:           4
        .value_kind:     by_value
      - .offset:         40
        .size:           4
        .value_kind:     hidden_block_count_x
      - .offset:         44
        .size:           4
        .value_kind:     hidden_block_count_y
      - .offset:         48
        .size:           4
        .value_kind:     hidden_block_count_z
      - .offset:         52
        .size:           2
        .value_kind:     hidden_group_size_x
      - .offset:         54
        .size:           2
        .value_kind:     hidden_group_size_y
      - .offset:         56
        .size:           2
        .value_kind:     hidden_group_size_z
      - .offset:         58
        .size:           2
        .value_kind:     hidden_remainder_x
      - .offset:         60
        .size:           2
        .value_kind:     hidden_remainder_y
      - .offset:         62
        .size:           2
        .value_kind:     hidden_remainder_z
      - .offset:         80
        .size:           8
        .value_kind:     hidden_global_offset_x
      - .offset:         88
        .size:           8
        .value_kind:     hidden_global_offset_y
      - .offset:         96
        .size:           8
        .value_kind:     hidden_global_offset_z
      - .offset:         104
        .size:           2
        .value_kind:     hidden_grid_dims
    .group_segment_fixed_size: 0
    .kernarg_segment_align: 8
    .kernarg_segment_size: 296
    .language:       OpenCL C
    .language_version:
      - 2
      - 0
    .max_flat_workgroup_size: 1024
    .name:           _ZL13mul_mat_vec_qIfLi256ELi8E13block_iq3_xxsLi1EXadL_ZL20vec_dot_iq3_xxs_q8_1PKvPK10block_q8_1RKiEEEvS2_S2_PT_iii
    .private_segment_fixed_size: 0
    .sgpr_count:     18
    .sgpr_spill_count: 0
    .symbol:         _ZL13mul_mat_vec_qIfLi256ELi8E13block_iq3_xxsLi1EXadL_ZL20vec_dot_iq3_xxs_q8_1PKvPK10block_q8_1RKiEEEvS2_S2_PT_iii.kd
    .uniform_work_group_size: 1
    .uses_dynamic_stack: false
    .vgpr_count:     40
    .vgpr_spill_count: 0
    .wavefront_size: 32
    .workgroup_processor_mode: 1
  - .args:
      - .actual_access:  read_only
        .address_space:  global
        .offset:         0
        .size:           8
        .value_kind:     global_buffer
      - .actual_access:  read_only
        .address_space:  global
        .offset:         8
        .size:           8
        .value_kind:     global_buffer
      - .actual_access:  write_only
        .address_space:  global
        .offset:         16
        .size:           8
        .value_kind:     global_buffer
      - .offset:         24
        .size:           4
        .value_kind:     by_value
      - .offset:         28
        .size:           4
        .value_kind:     by_value
      - .offset:         32
        .size:           4
        .value_kind:     by_value
      - .offset:         40
        .size:           4
        .value_kind:     hidden_block_count_x
      - .offset:         44
        .size:           4
        .value_kind:     hidden_block_count_y
      - .offset:         48
        .size:           4
        .value_kind:     hidden_block_count_z
      - .offset:         52
        .size:           2
        .value_kind:     hidden_group_size_x
      - .offset:         54
        .size:           2
        .value_kind:     hidden_group_size_y
      - .offset:         56
        .size:           2
        .value_kind:     hidden_group_size_z
      - .offset:         58
        .size:           2
        .value_kind:     hidden_remainder_x
      - .offset:         60
        .size:           2
        .value_kind:     hidden_remainder_y
      - .offset:         62
        .size:           2
        .value_kind:     hidden_remainder_z
      - .offset:         80
        .size:           8
        .value_kind:     hidden_global_offset_x
      - .offset:         88
        .size:           8
        .value_kind:     hidden_global_offset_y
      - .offset:         96
        .size:           8
        .value_kind:     hidden_global_offset_z
      - .offset:         104
        .size:           2
        .value_kind:     hidden_grid_dims
    .group_segment_fixed_size: 0
    .kernarg_segment_align: 8
    .kernarg_segment_size: 296
    .language:       OpenCL C
    .language_version:
      - 2
      - 0
    .max_flat_workgroup_size: 1024
    .name:           _ZL13mul_mat_vec_qIfLi256ELi8E11block_iq1_sLi1EXadL_ZL18vec_dot_iq1_s_q8_1PKvPK10block_q8_1RKiEEEvS2_S2_PT_iii
    .private_segment_fixed_size: 0
    .sgpr_count:     13
    .sgpr_spill_count: 0
    .symbol:         _ZL13mul_mat_vec_qIfLi256ELi8E11block_iq1_sLi1EXadL_ZL18vec_dot_iq1_s_q8_1PKvPK10block_q8_1RKiEEEvS2_S2_PT_iii.kd
    .uniform_work_group_size: 1
    .uses_dynamic_stack: false
    .vgpr_count:     77
    .vgpr_spill_count: 0
    .wavefront_size: 32
    .workgroup_processor_mode: 1
  - .args:
      - .actual_access:  read_only
        .address_space:  global
        .offset:         0
        .size:           8
        .value_kind:     global_buffer
      - .actual_access:  read_only
        .address_space:  global
        .offset:         8
        .size:           8
        .value_kind:     global_buffer
      - .actual_access:  write_only
        .address_space:  global
        .offset:         16
        .size:           8
        .value_kind:     global_buffer
      - .offset:         24
        .size:           4
        .value_kind:     by_value
      - .offset:         28
        .size:           4
        .value_kind:     by_value
      - .offset:         32
        .size:           4
        .value_kind:     by_value
      - .offset:         40
        .size:           4
        .value_kind:     hidden_block_count_x
      - .offset:         44
        .size:           4
        .value_kind:     hidden_block_count_y
      - .offset:         48
        .size:           4
        .value_kind:     hidden_block_count_z
      - .offset:         52
        .size:           2
        .value_kind:     hidden_group_size_x
      - .offset:         54
        .size:           2
        .value_kind:     hidden_group_size_y
      - .offset:         56
        .size:           2
        .value_kind:     hidden_group_size_z
      - .offset:         58
        .size:           2
        .value_kind:     hidden_remainder_x
      - .offset:         60
        .size:           2
        .value_kind:     hidden_remainder_y
      - .offset:         62
        .size:           2
        .value_kind:     hidden_remainder_z
      - .offset:         80
        .size:           8
        .value_kind:     hidden_global_offset_x
      - .offset:         88
        .size:           8
        .value_kind:     hidden_global_offset_y
      - .offset:         96
        .size:           8
        .value_kind:     hidden_global_offset_z
      - .offset:         104
        .size:           2
        .value_kind:     hidden_grid_dims
    .group_segment_fixed_size: 0
    .kernarg_segment_align: 8
    .kernarg_segment_size: 296
    .language:       OpenCL C
    .language_version:
      - 2
      - 0
    .max_flat_workgroup_size: 1024
    .name:           _ZL13mul_mat_vec_qIfLi32ELi4E12block_iq4_nlLi2EXadL_ZL19vec_dot_iq4_nl_q8_1PKvPK10block_q8_1RKiEEEvS2_S2_PT_iii
    .private_segment_fixed_size: 0
    .sgpr_count:     16
    .sgpr_spill_count: 0
    .symbol:         _ZL13mul_mat_vec_qIfLi32ELi4E12block_iq4_nlLi2EXadL_ZL19vec_dot_iq4_nl_q8_1PKvPK10block_q8_1RKiEEEvS2_S2_PT_iii.kd
    .uniform_work_group_size: 1
    .uses_dynamic_stack: false
    .vgpr_count:     33
    .vgpr_spill_count: 0
    .wavefront_size: 32
    .workgroup_processor_mode: 1
  - .args:
      - .actual_access:  read_only
        .address_space:  global
        .offset:         0
        .size:           8
        .value_kind:     global_buffer
      - .actual_access:  read_only
        .address_space:  global
        .offset:         8
        .size:           8
        .value_kind:     global_buffer
      - .actual_access:  write_only
        .address_space:  global
        .offset:         16
        .size:           8
        .value_kind:     global_buffer
      - .offset:         24
        .size:           4
        .value_kind:     by_value
      - .offset:         28
        .size:           4
        .value_kind:     by_value
      - .offset:         32
        .size:           4
        .value_kind:     by_value
      - .offset:         40
        .size:           4
        .value_kind:     hidden_block_count_x
      - .offset:         44
        .size:           4
        .value_kind:     hidden_block_count_y
      - .offset:         48
        .size:           4
        .value_kind:     hidden_block_count_z
      - .offset:         52
        .size:           2
        .value_kind:     hidden_group_size_x
      - .offset:         54
        .size:           2
        .value_kind:     hidden_group_size_y
      - .offset:         56
        .size:           2
        .value_kind:     hidden_group_size_z
      - .offset:         58
        .size:           2
        .value_kind:     hidden_remainder_x
      - .offset:         60
        .size:           2
        .value_kind:     hidden_remainder_y
      - .offset:         62
        .size:           2
        .value_kind:     hidden_remainder_z
      - .offset:         80
        .size:           8
        .value_kind:     hidden_global_offset_x
      - .offset:         88
        .size:           8
        .value_kind:     hidden_global_offset_y
      - .offset:         96
        .size:           8
        .value_kind:     hidden_global_offset_z
      - .offset:         104
        .size:           2
        .value_kind:     hidden_grid_dims
    .group_segment_fixed_size: 0
    .kernarg_segment_align: 8
    .kernarg_segment_size: 296
    .language:       OpenCL C
    .language_version:
      - 2
      - 0
    .max_flat_workgroup_size: 1024
    .name:           _ZL13mul_mat_vec_qIfLi256ELi8E11block_iq3_sLi1EXadL_ZL18vec_dot_iq3_s_q8_1PKvPK10block_q8_1RKiEEEvS2_S2_PT_iii
    .private_segment_fixed_size: 0
    .sgpr_count:     15
    .sgpr_spill_count: 0
    .symbol:         _ZL13mul_mat_vec_qIfLi256ELi8E11block_iq3_sLi1EXadL_ZL18vec_dot_iq3_s_q8_1PKvPK10block_q8_1RKiEEEvS2_S2_PT_iii.kd
    .uniform_work_group_size: 1
    .uses_dynamic_stack: false
    .vgpr_count:     47
    .vgpr_spill_count: 0
    .wavefront_size: 32
    .workgroup_processor_mode: 1
  - .args:
      - .actual_access:  read_only
        .address_space:  global
        .offset:         0
        .size:           8
        .value_kind:     global_buffer
      - .actual_access:  read_only
        .address_space:  global
        .offset:         8
        .size:           8
        .value_kind:     global_buffer
      - .actual_access:  write_only
        .address_space:  global
        .offset:         16
        .size:           8
        .value_kind:     global_buffer
      - .offset:         24
        .size:           4
        .value_kind:     by_value
      - .offset:         28
        .size:           4
        .value_kind:     by_value
      - .offset:         32
        .size:           4
        .value_kind:     by_value
      - .offset:         40
        .size:           4
        .value_kind:     hidden_block_count_x
      - .offset:         44
        .size:           4
        .value_kind:     hidden_block_count_y
      - .offset:         48
        .size:           4
        .value_kind:     hidden_block_count_z
      - .offset:         52
        .size:           2
        .value_kind:     hidden_group_size_x
      - .offset:         54
        .size:           2
        .value_kind:     hidden_group_size_y
      - .offset:         56
        .size:           2
        .value_kind:     hidden_group_size_z
      - .offset:         58
        .size:           2
        .value_kind:     hidden_remainder_x
      - .offset:         60
        .size:           2
        .value_kind:     hidden_remainder_y
      - .offset:         62
        .size:           2
        .value_kind:     hidden_remainder_z
      - .offset:         80
        .size:           8
        .value_kind:     hidden_global_offset_x
      - .offset:         88
        .size:           8
        .value_kind:     hidden_global_offset_y
      - .offset:         96
        .size:           8
        .value_kind:     hidden_global_offset_z
      - .offset:         104
        .size:           2
        .value_kind:     hidden_grid_dims
    .group_segment_fixed_size: 0
    .kernarg_segment_align: 8
    .kernarg_segment_size: 296
    .language:       OpenCL C
    .language_version:
      - 2
      - 0
    .max_flat_workgroup_size: 1024
    .name:           _ZL13mul_mat_vec_qIfLi256ELi8E11block_iq2_sLi1EXadL_ZL18vec_dot_iq2_s_q8_1PKvPK10block_q8_1RKiEEEvS2_S2_PT_iii
    .private_segment_fixed_size: 0
    .sgpr_count:     13
    .sgpr_spill_count: 0
    .symbol:         _ZL13mul_mat_vec_qIfLi256ELi8E11block_iq2_sLi1EXadL_ZL18vec_dot_iq2_s_q8_1PKvPK10block_q8_1RKiEEEvS2_S2_PT_iii.kd
    .uniform_work_group_size: 1
    .uses_dynamic_stack: false
    .vgpr_count:     70
    .vgpr_spill_count: 0
    .wavefront_size: 32
    .workgroup_processor_mode: 1
  - .args:
      - .actual_access:  read_only
        .address_space:  global
        .offset:         0
        .size:           8
        .value_kind:     global_buffer
      - .actual_access:  read_only
        .address_space:  global
        .offset:         8
        .size:           8
        .value_kind:     global_buffer
      - .actual_access:  write_only
        .address_space:  global
        .offset:         16
        .size:           8
        .value_kind:     global_buffer
      - .offset:         24
        .size:           4
        .value_kind:     by_value
      - .offset:         28
        .size:           4
        .value_kind:     by_value
      - .offset:         32
        .size:           4
        .value_kind:     by_value
      - .offset:         40
        .size:           4
        .value_kind:     hidden_block_count_x
      - .offset:         44
        .size:           4
        .value_kind:     hidden_block_count_y
      - .offset:         48
        .size:           4
        .value_kind:     hidden_block_count_z
      - .offset:         52
        .size:           2
        .value_kind:     hidden_group_size_x
      - .offset:         54
        .size:           2
        .value_kind:     hidden_group_size_y
      - .offset:         56
        .size:           2
        .value_kind:     hidden_group_size_z
      - .offset:         58
        .size:           2
        .value_kind:     hidden_remainder_x
      - .offset:         60
        .size:           2
        .value_kind:     hidden_remainder_y
      - .offset:         62
        .size:           2
        .value_kind:     hidden_remainder_z
      - .offset:         80
        .size:           8
        .value_kind:     hidden_global_offset_x
      - .offset:         88
        .size:           8
        .value_kind:     hidden_global_offset_y
      - .offset:         96
        .size:           8
        .value_kind:     hidden_global_offset_z
      - .offset:         104
        .size:           2
        .value_kind:     hidden_grid_dims
    .group_segment_fixed_size: 0
    .kernarg_segment_align: 8
    .kernarg_segment_size: 296
    .language:       OpenCL C
    .language_version:
      - 2
      - 0
    .max_flat_workgroup_size: 1024
    .name:           _ZL13mul_mat_vec_qIfLi256ELi8E12block_iq4_xsLi1EXadL_ZL19vec_dot_iq4_xs_q8_1PKvPK10block_q8_1RKiEEEvS2_S2_PT_iii
    .private_segment_fixed_size: 0
    .sgpr_count:     13
    .sgpr_spill_count: 0
    .symbol:         _ZL13mul_mat_vec_qIfLi256ELi8E12block_iq4_xsLi1EXadL_ZL19vec_dot_iq4_xs_q8_1PKvPK10block_q8_1RKiEEEvS2_S2_PT_iii.kd
    .uniform_work_group_size: 1
    .uses_dynamic_stack: false
    .vgpr_count:     56
    .vgpr_spill_count: 0
    .wavefront_size: 32
    .workgroup_processor_mode: 1
  - .args:
      - .actual_access:  read_only
        .address_space:  global
        .offset:         0
        .size:           8
        .value_kind:     global_buffer
      - .actual_access:  read_only
        .address_space:  global
        .offset:         8
        .size:           8
        .value_kind:     global_buffer
      - .actual_access:  write_only
        .address_space:  global
        .offset:         16
        .size:           8
        .value_kind:     global_buffer
      - .offset:         24
        .size:           4
        .value_kind:     by_value
      - .offset:         28
        .size:           4
        .value_kind:     by_value
      - .offset:         32
        .size:           4
        .value_kind:     by_value
      - .offset:         40
        .size:           4
        .value_kind:     hidden_block_count_x
      - .offset:         44
        .size:           4
        .value_kind:     hidden_block_count_y
      - .offset:         48
        .size:           4
        .value_kind:     hidden_block_count_z
      - .offset:         52
        .size:           2
        .value_kind:     hidden_group_size_x
      - .offset:         54
        .size:           2
        .value_kind:     hidden_group_size_y
      - .offset:         56
        .size:           2
        .value_kind:     hidden_group_size_z
      - .offset:         58
        .size:           2
        .value_kind:     hidden_remainder_x
      - .offset:         60
        .size:           2
        .value_kind:     hidden_remainder_y
      - .offset:         62
        .size:           2
        .value_kind:     hidden_remainder_z
      - .offset:         80
        .size:           8
        .value_kind:     hidden_global_offset_x
      - .offset:         88
        .size:           8
        .value_kind:     hidden_global_offset_y
      - .offset:         96
        .size:           8
        .value_kind:     hidden_global_offset_z
      - .offset:         104
        .size:           2
        .value_kind:     hidden_grid_dims
    .group_segment_fixed_size: 0
    .kernarg_segment_align: 8
    .kernarg_segment_size: 296
    .language:       OpenCL C
    .language_version:
      - 2
      - 0
    .max_flat_workgroup_size: 1024
    .name:           _ZL13mul_mat_vec_qIfLi256ELi8E11block_iq1_mLi1EXadL_ZL18vec_dot_iq1_m_q8_1PKvPK10block_q8_1RKiEEEvS2_S2_PT_iii
    .private_segment_fixed_size: 0
    .sgpr_count:     13
    .sgpr_spill_count: 0
    .symbol:         _ZL13mul_mat_vec_qIfLi256ELi8E11block_iq1_mLi1EXadL_ZL18vec_dot_iq1_m_q8_1PKvPK10block_q8_1RKiEEEvS2_S2_PT_iii.kd
    .uniform_work_group_size: 1
    .uses_dynamic_stack: false
    .vgpr_count:     83
    .vgpr_spill_count: 0
    .wavefront_size: 32
    .workgroup_processor_mode: 1
  - .args:
      - .actual_access:  read_only
        .address_space:  global
        .offset:         0
        .size:           8
        .value_kind:     global_buffer
      - .actual_access:  write_only
        .address_space:  global
        .offset:         8
        .size:           8
        .value_kind:     global_buffer
      - .offset:         16
        .size:           4
        .value_kind:     by_value
      - .offset:         20
        .size:           4
        .value_kind:     by_value
      - .offset:         24
        .size:           4
        .value_kind:     hidden_block_count_x
      - .offset:         28
        .size:           4
        .value_kind:     hidden_block_count_y
      - .offset:         32
        .size:           4
        .value_kind:     hidden_block_count_z
      - .offset:         36
        .size:           2
        .value_kind:     hidden_group_size_x
      - .offset:         38
        .size:           2
        .value_kind:     hidden_group_size_y
      - .offset:         40
        .size:           2
        .value_kind:     hidden_group_size_z
      - .offset:         42
        .size:           2
        .value_kind:     hidden_remainder_x
      - .offset:         44
        .size:           2
        .value_kind:     hidden_remainder_y
      - .offset:         46
        .size:           2
        .value_kind:     hidden_remainder_z
      - .offset:         64
        .size:           8
        .value_kind:     hidden_global_offset_x
      - .offset:         72
        .size:           8
        .value_kind:     hidden_global_offset_y
      - .offset:         80
        .size:           8
        .value_kind:     hidden_global_offset_z
      - .offset:         88
        .size:           2
        .value_kind:     hidden_grid_dims
    .group_segment_fixed_size: 0
    .kernarg_segment_align: 8
    .kernarg_segment_size: 280
    .language:       OpenCL C
    .language_version:
      - 2
      - 0
    .max_flat_workgroup_size: 1024
    .name:           _ZL13quantize_q8_1IN3c104HalfEEvPKT_Pvii
    .private_segment_fixed_size: 0
    .sgpr_count:     10
    .sgpr_spill_count: 0
    .symbol:         _ZL13quantize_q8_1IN3c104HalfEEvPKT_Pvii.kd
    .uniform_work_group_size: 1
    .uses_dynamic_stack: false
    .vgpr_count:     13
    .vgpr_spill_count: 0
    .wavefront_size: 32
    .workgroup_processor_mode: 1
  - .args:
      - .actual_access:  read_only
        .address_space:  global
        .offset:         0
        .size:           8
        .value_kind:     global_buffer
      - .actual_access:  read_only
        .address_space:  global
        .offset:         8
        .size:           8
        .value_kind:     global_buffer
      - .actual_access:  write_only
        .address_space:  global
        .offset:         16
        .size:           8
        .value_kind:     global_buffer
      - .offset:         24
        .size:           4
        .value_kind:     by_value
      - .offset:         28
        .size:           4
        .value_kind:     by_value
      - .offset:         32
        .size:           4
        .value_kind:     by_value
      - .offset:         40
        .size:           4
        .value_kind:     hidden_block_count_x
      - .offset:         44
        .size:           4
        .value_kind:     hidden_block_count_y
      - .offset:         48
        .size:           4
        .value_kind:     hidden_block_count_z
      - .offset:         52
        .size:           2
        .value_kind:     hidden_group_size_x
      - .offset:         54
        .size:           2
        .value_kind:     hidden_group_size_y
      - .offset:         56
        .size:           2
        .value_kind:     hidden_group_size_z
      - .offset:         58
        .size:           2
        .value_kind:     hidden_remainder_x
      - .offset:         60
        .size:           2
        .value_kind:     hidden_remainder_y
      - .offset:         62
        .size:           2
        .value_kind:     hidden_remainder_z
      - .offset:         80
        .size:           8
        .value_kind:     hidden_global_offset_x
      - .offset:         88
        .size:           8
        .value_kind:     hidden_global_offset_y
      - .offset:         96
        .size:           8
        .value_kind:     hidden_global_offset_z
      - .offset:         104
        .size:           2
        .value_kind:     hidden_grid_dims
    .group_segment_fixed_size: 0
    .kernarg_segment_align: 8
    .kernarg_segment_size: 296
    .language:       OpenCL C
    .language_version:
      - 2
      - 0
    .max_flat_workgroup_size: 1024
    .name:           _ZL13mul_mat_vec_qIN3c104HalfELi32ELi4E10block_q4_0Li2EXadL_ZL17vec_dot_q4_0_q8_1PKvPK10block_q8_1RKiEEEvS4_S4_PT_iii
    .private_segment_fixed_size: 0
    .sgpr_count:     13
    .sgpr_spill_count: 0
    .symbol:         _ZL13mul_mat_vec_qIN3c104HalfELi32ELi4E10block_q4_0Li2EXadL_ZL17vec_dot_q4_0_q8_1PKvPK10block_q8_1RKiEEEvS4_S4_PT_iii.kd
    .uniform_work_group_size: 1
    .uses_dynamic_stack: false
    .vgpr_count:     40
    .vgpr_spill_count: 0
    .wavefront_size: 32
    .workgroup_processor_mode: 1
  - .args:
      - .actual_access:  read_only
        .address_space:  global
        .offset:         0
        .size:           8
        .value_kind:     global_buffer
      - .actual_access:  read_only
        .address_space:  global
        .offset:         8
        .size:           8
        .value_kind:     global_buffer
      - .actual_access:  write_only
        .address_space:  global
        .offset:         16
        .size:           8
        .value_kind:     global_buffer
      - .offset:         24
        .size:           4
        .value_kind:     by_value
      - .offset:         28
        .size:           4
        .value_kind:     by_value
      - .offset:         32
        .size:           4
        .value_kind:     by_value
      - .offset:         40
        .size:           4
        .value_kind:     hidden_block_count_x
      - .offset:         44
        .size:           4
        .value_kind:     hidden_block_count_y
      - .offset:         48
        .size:           4
        .value_kind:     hidden_block_count_z
      - .offset:         52
        .size:           2
        .value_kind:     hidden_group_size_x
      - .offset:         54
        .size:           2
        .value_kind:     hidden_group_size_y
      - .offset:         56
        .size:           2
        .value_kind:     hidden_group_size_z
      - .offset:         58
        .size:           2
        .value_kind:     hidden_remainder_x
      - .offset:         60
        .size:           2
        .value_kind:     hidden_remainder_y
      - .offset:         62
        .size:           2
        .value_kind:     hidden_remainder_z
      - .offset:         80
        .size:           8
        .value_kind:     hidden_global_offset_x
      - .offset:         88
        .size:           8
        .value_kind:     hidden_global_offset_y
      - .offset:         96
        .size:           8
        .value_kind:     hidden_global_offset_z
      - .offset:         104
        .size:           2
        .value_kind:     hidden_grid_dims
    .group_segment_fixed_size: 0
    .kernarg_segment_align: 8
    .kernarg_segment_size: 296
    .language:       OpenCL C
    .language_version:
      - 2
      - 0
    .max_flat_workgroup_size: 1024
    .name:           _ZL13mul_mat_vec_qIN3c104HalfELi32ELi4E10block_q4_1Li2EXadL_ZL17vec_dot_q4_1_q8_1PKvPK10block_q8_1RKiEEEvS4_S4_PT_iii
    .private_segment_fixed_size: 0
    .sgpr_count:     13
    .sgpr_spill_count: 0
    .symbol:         _ZL13mul_mat_vec_qIN3c104HalfELi32ELi4E10block_q4_1Li2EXadL_ZL17vec_dot_q4_1_q8_1PKvPK10block_q8_1RKiEEEvS4_S4_PT_iii.kd
    .uniform_work_group_size: 1
    .uses_dynamic_stack: false
    .vgpr_count:     39
    .vgpr_spill_count: 0
    .wavefront_size: 32
    .workgroup_processor_mode: 1
  - .args:
      - .actual_access:  read_only
        .address_space:  global
        .offset:         0
        .size:           8
        .value_kind:     global_buffer
      - .actual_access:  read_only
        .address_space:  global
        .offset:         8
        .size:           8
        .value_kind:     global_buffer
      - .actual_access:  write_only
        .address_space:  global
        .offset:         16
        .size:           8
        .value_kind:     global_buffer
      - .offset:         24
        .size:           4
        .value_kind:     by_value
      - .offset:         28
        .size:           4
        .value_kind:     by_value
      - .offset:         32
        .size:           4
        .value_kind:     by_value
      - .offset:         40
        .size:           4
        .value_kind:     hidden_block_count_x
      - .offset:         44
        .size:           4
        .value_kind:     hidden_block_count_y
      - .offset:         48
        .size:           4
        .value_kind:     hidden_block_count_z
      - .offset:         52
        .size:           2
        .value_kind:     hidden_group_size_x
      - .offset:         54
        .size:           2
        .value_kind:     hidden_group_size_y
      - .offset:         56
        .size:           2
        .value_kind:     hidden_group_size_z
      - .offset:         58
        .size:           2
        .value_kind:     hidden_remainder_x
      - .offset:         60
        .size:           2
        .value_kind:     hidden_remainder_y
      - .offset:         62
        .size:           2
        .value_kind:     hidden_remainder_z
      - .offset:         80
        .size:           8
        .value_kind:     hidden_global_offset_x
      - .offset:         88
        .size:           8
        .value_kind:     hidden_global_offset_y
      - .offset:         96
        .size:           8
        .value_kind:     hidden_global_offset_z
      - .offset:         104
        .size:           2
        .value_kind:     hidden_grid_dims
    .group_segment_fixed_size: 0
    .kernarg_segment_align: 8
    .kernarg_segment_size: 296
    .language:       OpenCL C
    .language_version:
      - 2
      - 0
    .max_flat_workgroup_size: 1024
    .name:           _ZL13mul_mat_vec_qIN3c104HalfELi32ELi4E10block_q5_0Li2EXadL_ZL17vec_dot_q5_0_q8_1PKvPK10block_q8_1RKiEEEvS4_S4_PT_iii
    .private_segment_fixed_size: 0
    .sgpr_count:     13
    .sgpr_spill_count: 0
    .symbol:         _ZL13mul_mat_vec_qIN3c104HalfELi32ELi4E10block_q5_0Li2EXadL_ZL17vec_dot_q5_0_q8_1PKvPK10block_q8_1RKiEEEvS4_S4_PT_iii.kd
    .uniform_work_group_size: 1
    .uses_dynamic_stack: false
    .vgpr_count:     45
    .vgpr_spill_count: 0
    .wavefront_size: 32
    .workgroup_processor_mode: 1
  - .args:
      - .actual_access:  read_only
        .address_space:  global
        .offset:         0
        .size:           8
        .value_kind:     global_buffer
      - .actual_access:  read_only
        .address_space:  global
        .offset:         8
        .size:           8
        .value_kind:     global_buffer
      - .actual_access:  write_only
        .address_space:  global
        .offset:         16
        .size:           8
        .value_kind:     global_buffer
      - .offset:         24
        .size:           4
        .value_kind:     by_value
      - .offset:         28
        .size:           4
        .value_kind:     by_value
      - .offset:         32
        .size:           4
        .value_kind:     by_value
      - .offset:         40
        .size:           4
        .value_kind:     hidden_block_count_x
      - .offset:         44
        .size:           4
        .value_kind:     hidden_block_count_y
      - .offset:         48
        .size:           4
        .value_kind:     hidden_block_count_z
      - .offset:         52
        .size:           2
        .value_kind:     hidden_group_size_x
      - .offset:         54
        .size:           2
        .value_kind:     hidden_group_size_y
      - .offset:         56
        .size:           2
        .value_kind:     hidden_group_size_z
      - .offset:         58
        .size:           2
        .value_kind:     hidden_remainder_x
      - .offset:         60
        .size:           2
        .value_kind:     hidden_remainder_y
      - .offset:         62
        .size:           2
        .value_kind:     hidden_remainder_z
      - .offset:         80
        .size:           8
        .value_kind:     hidden_global_offset_x
      - .offset:         88
        .size:           8
        .value_kind:     hidden_global_offset_y
      - .offset:         96
        .size:           8
        .value_kind:     hidden_global_offset_z
      - .offset:         104
        .size:           2
        .value_kind:     hidden_grid_dims
    .group_segment_fixed_size: 0
    .kernarg_segment_align: 8
    .kernarg_segment_size: 296
    .language:       OpenCL C
    .language_version:
      - 2
      - 0
    .max_flat_workgroup_size: 1024
    .name:           _ZL13mul_mat_vec_qIN3c104HalfELi32ELi4E10block_q5_1Li2EXadL_ZL17vec_dot_q5_1_q8_1PKvPK10block_q8_1RKiEEEvS4_S4_PT_iii
    .private_segment_fixed_size: 0
    .sgpr_count:     13
    .sgpr_spill_count: 0
    .symbol:         _ZL13mul_mat_vec_qIN3c104HalfELi32ELi4E10block_q5_1Li2EXadL_ZL17vec_dot_q5_1_q8_1PKvPK10block_q8_1RKiEEEvS4_S4_PT_iii.kd
    .uniform_work_group_size: 1
    .uses_dynamic_stack: false
    .vgpr_count:     44
    .vgpr_spill_count: 0
    .wavefront_size: 32
    .workgroup_processor_mode: 1
  - .args:
      - .actual_access:  read_only
        .address_space:  global
        .offset:         0
        .size:           8
        .value_kind:     global_buffer
      - .actual_access:  read_only
        .address_space:  global
        .offset:         8
        .size:           8
        .value_kind:     global_buffer
      - .actual_access:  write_only
        .address_space:  global
        .offset:         16
        .size:           8
        .value_kind:     global_buffer
      - .offset:         24
        .size:           4
        .value_kind:     by_value
      - .offset:         28
        .size:           4
        .value_kind:     by_value
      - .offset:         32
        .size:           4
        .value_kind:     by_value
      - .offset:         40
        .size:           4
        .value_kind:     hidden_block_count_x
      - .offset:         44
        .size:           4
        .value_kind:     hidden_block_count_y
      - .offset:         48
        .size:           4
        .value_kind:     hidden_block_count_z
      - .offset:         52
        .size:           2
        .value_kind:     hidden_group_size_x
      - .offset:         54
        .size:           2
        .value_kind:     hidden_group_size_y
      - .offset:         56
        .size:           2
        .value_kind:     hidden_group_size_z
      - .offset:         58
        .size:           2
        .value_kind:     hidden_remainder_x
      - .offset:         60
        .size:           2
        .value_kind:     hidden_remainder_y
      - .offset:         62
        .size:           2
        .value_kind:     hidden_remainder_z
      - .offset:         80
        .size:           8
        .value_kind:     hidden_global_offset_x
      - .offset:         88
        .size:           8
        .value_kind:     hidden_global_offset_y
      - .offset:         96
        .size:           8
        .value_kind:     hidden_global_offset_z
      - .offset:         104
        .size:           2
        .value_kind:     hidden_grid_dims
    .group_segment_fixed_size: 0
    .kernarg_segment_align: 8
    .kernarg_segment_size: 296
    .language:       OpenCL C
    .language_version:
      - 2
      - 0
    .max_flat_workgroup_size: 1024
    .name:           _ZL13mul_mat_vec_qIN3c104HalfELi32ELi8E10block_q8_0Li2EXadL_ZL17vec_dot_q8_0_q8_1PKvPK10block_q8_1RKiEEEvS4_S4_PT_iii
    .private_segment_fixed_size: 0
    .sgpr_count:     13
    .sgpr_spill_count: 0
    .symbol:         _ZL13mul_mat_vec_qIN3c104HalfELi32ELi8E10block_q8_0Li2EXadL_ZL17vec_dot_q8_0_q8_1PKvPK10block_q8_1RKiEEEvS4_S4_PT_iii.kd
    .uniform_work_group_size: 1
    .uses_dynamic_stack: false
    .vgpr_count:     24
    .vgpr_spill_count: 0
    .wavefront_size: 32
    .workgroup_processor_mode: 1
  - .args:
      - .actual_access:  read_only
        .address_space:  global
        .offset:         0
        .size:           8
        .value_kind:     global_buffer
      - .actual_access:  read_only
        .address_space:  global
        .offset:         8
        .size:           8
        .value_kind:     global_buffer
      - .actual_access:  write_only
        .address_space:  global
        .offset:         16
        .size:           8
        .value_kind:     global_buffer
      - .offset:         24
        .size:           4
        .value_kind:     by_value
      - .offset:         28
        .size:           4
        .value_kind:     by_value
      - .offset:         32
        .size:           4
        .value_kind:     by_value
      - .offset:         40
        .size:           4
        .value_kind:     hidden_block_count_x
      - .offset:         44
        .size:           4
        .value_kind:     hidden_block_count_y
      - .offset:         48
        .size:           4
        .value_kind:     hidden_block_count_z
      - .offset:         52
        .size:           2
        .value_kind:     hidden_group_size_x
      - .offset:         54
        .size:           2
        .value_kind:     hidden_group_size_y
      - .offset:         56
        .size:           2
        .value_kind:     hidden_group_size_z
      - .offset:         58
        .size:           2
        .value_kind:     hidden_remainder_x
      - .offset:         60
        .size:           2
        .value_kind:     hidden_remainder_y
      - .offset:         62
        .size:           2
        .value_kind:     hidden_remainder_z
      - .offset:         80
        .size:           8
        .value_kind:     hidden_global_offset_x
      - .offset:         88
        .size:           8
        .value_kind:     hidden_global_offset_y
      - .offset:         96
        .size:           8
        .value_kind:     hidden_global_offset_z
      - .offset:         104
        .size:           2
        .value_kind:     hidden_grid_dims
    .group_segment_fixed_size: 0
    .kernarg_segment_align: 8
    .kernarg_segment_size: 296
    .language:       OpenCL C
    .language_version:
      - 2
      - 0
    .max_flat_workgroup_size: 1024
    .name:           _ZL13mul_mat_vec_qIN3c104HalfELi256ELi16E10block_q2_KLi1EXadL_ZL17vec_dot_q2_K_q8_1PKvPK10block_q8_1RKiEEEvS4_S4_PT_iii
    .private_segment_fixed_size: 0
    .sgpr_count:     13
    .sgpr_spill_count: 0
    .symbol:         _ZL13mul_mat_vec_qIN3c104HalfELi256ELi16E10block_q2_KLi1EXadL_ZL17vec_dot_q2_K_q8_1PKvPK10block_q8_1RKiEEEvS4_S4_PT_iii.kd
    .uniform_work_group_size: 1
    .uses_dynamic_stack: false
    .vgpr_count:     62
    .vgpr_spill_count: 0
    .wavefront_size: 32
    .workgroup_processor_mode: 1
  - .args:
      - .actual_access:  read_only
        .address_space:  global
        .offset:         0
        .size:           8
        .value_kind:     global_buffer
      - .actual_access:  read_only
        .address_space:  global
        .offset:         8
        .size:           8
        .value_kind:     global_buffer
      - .actual_access:  write_only
        .address_space:  global
        .offset:         16
        .size:           8
        .value_kind:     global_buffer
      - .offset:         24
        .size:           4
        .value_kind:     by_value
      - .offset:         28
        .size:           4
        .value_kind:     by_value
      - .offset:         32
        .size:           4
        .value_kind:     by_value
      - .offset:         40
        .size:           4
        .value_kind:     hidden_block_count_x
      - .offset:         44
        .size:           4
        .value_kind:     hidden_block_count_y
      - .offset:         48
        .size:           4
        .value_kind:     hidden_block_count_z
      - .offset:         52
        .size:           2
        .value_kind:     hidden_group_size_x
      - .offset:         54
        .size:           2
        .value_kind:     hidden_group_size_y
      - .offset:         56
        .size:           2
        .value_kind:     hidden_group_size_z
      - .offset:         58
        .size:           2
        .value_kind:     hidden_remainder_x
      - .offset:         60
        .size:           2
        .value_kind:     hidden_remainder_y
      - .offset:         62
        .size:           2
        .value_kind:     hidden_remainder_z
      - .offset:         80
        .size:           8
        .value_kind:     hidden_global_offset_x
      - .offset:         88
        .size:           8
        .value_kind:     hidden_global_offset_y
      - .offset:         96
        .size:           8
        .value_kind:     hidden_global_offset_z
      - .offset:         104
        .size:           2
        .value_kind:     hidden_grid_dims
    .group_segment_fixed_size: 0
    .kernarg_segment_align: 8
    .kernarg_segment_size: 296
    .language:       OpenCL C
    .language_version:
      - 2
      - 0
    .max_flat_workgroup_size: 1024
    .name:           _ZL13mul_mat_vec_qIN3c104HalfELi256ELi16E10block_q3_KLi1EXadL_ZL17vec_dot_q3_K_q8_1PKvPK10block_q8_1RKiEEEvS4_S4_PT_iii
    .private_segment_fixed_size: 0
    .sgpr_count:     13
    .sgpr_spill_count: 0
    .symbol:         _ZL13mul_mat_vec_qIN3c104HalfELi256ELi16E10block_q3_KLi1EXadL_ZL17vec_dot_q3_K_q8_1PKvPK10block_q8_1RKiEEEvS4_S4_PT_iii.kd
    .uniform_work_group_size: 1
    .uses_dynamic_stack: false
    .vgpr_count:     85
    .vgpr_spill_count: 0
    .wavefront_size: 32
    .workgroup_processor_mode: 1
  - .args:
      - .actual_access:  read_only
        .address_space:  global
        .offset:         0
        .size:           8
        .value_kind:     global_buffer
      - .actual_access:  read_only
        .address_space:  global
        .offset:         8
        .size:           8
        .value_kind:     global_buffer
      - .actual_access:  write_only
        .address_space:  global
        .offset:         16
        .size:           8
        .value_kind:     global_buffer
      - .offset:         24
        .size:           4
        .value_kind:     by_value
      - .offset:         28
        .size:           4
        .value_kind:     by_value
      - .offset:         32
        .size:           4
        .value_kind:     by_value
      - .offset:         40
        .size:           4
        .value_kind:     hidden_block_count_x
      - .offset:         44
        .size:           4
        .value_kind:     hidden_block_count_y
      - .offset:         48
        .size:           4
        .value_kind:     hidden_block_count_z
      - .offset:         52
        .size:           2
        .value_kind:     hidden_group_size_x
      - .offset:         54
        .size:           2
        .value_kind:     hidden_group_size_y
      - .offset:         56
        .size:           2
        .value_kind:     hidden_group_size_z
      - .offset:         58
        .size:           2
        .value_kind:     hidden_remainder_x
      - .offset:         60
        .size:           2
        .value_kind:     hidden_remainder_y
      - .offset:         62
        .size:           2
        .value_kind:     hidden_remainder_z
      - .offset:         80
        .size:           8
        .value_kind:     hidden_global_offset_x
      - .offset:         88
        .size:           8
        .value_kind:     hidden_global_offset_y
      - .offset:         96
        .size:           8
        .value_kind:     hidden_global_offset_z
      - .offset:         104
        .size:           2
        .value_kind:     hidden_grid_dims
    .group_segment_fixed_size: 0
    .kernarg_segment_align: 8
    .kernarg_segment_size: 296
    .language:       OpenCL C
    .language_version:
      - 2
      - 0
    .max_flat_workgroup_size: 1024
    .name:           _ZL13mul_mat_vec_qIN3c104HalfELi256ELi32E10block_q4_KLi2EXadL_ZL17vec_dot_q4_K_q8_1PKvPK10block_q8_1RKiEEEvS4_S4_PT_iii
    .private_segment_fixed_size: 0
    .sgpr_count:     14
    .sgpr_spill_count: 0
    .symbol:         _ZL13mul_mat_vec_qIN3c104HalfELi256ELi32E10block_q4_KLi2EXadL_ZL17vec_dot_q4_K_q8_1PKvPK10block_q8_1RKiEEEvS4_S4_PT_iii.kd
    .uniform_work_group_size: 1
    .uses_dynamic_stack: false
    .vgpr_count:     52
    .vgpr_spill_count: 0
    .wavefront_size: 32
    .workgroup_processor_mode: 1
  - .args:
      - .actual_access:  read_only
        .address_space:  global
        .offset:         0
        .size:           8
        .value_kind:     global_buffer
      - .actual_access:  read_only
        .address_space:  global
        .offset:         8
        .size:           8
        .value_kind:     global_buffer
      - .actual_access:  write_only
        .address_space:  global
        .offset:         16
        .size:           8
        .value_kind:     global_buffer
      - .offset:         24
        .size:           4
        .value_kind:     by_value
      - .offset:         28
        .size:           4
        .value_kind:     by_value
      - .offset:         32
        .size:           4
        .value_kind:     by_value
      - .offset:         40
        .size:           4
        .value_kind:     hidden_block_count_x
      - .offset:         44
        .size:           4
        .value_kind:     hidden_block_count_y
      - .offset:         48
        .size:           4
        .value_kind:     hidden_block_count_z
      - .offset:         52
        .size:           2
        .value_kind:     hidden_group_size_x
      - .offset:         54
        .size:           2
        .value_kind:     hidden_group_size_y
      - .offset:         56
        .size:           2
        .value_kind:     hidden_group_size_z
      - .offset:         58
        .size:           2
        .value_kind:     hidden_remainder_x
      - .offset:         60
        .size:           2
        .value_kind:     hidden_remainder_y
      - .offset:         62
        .size:           2
        .value_kind:     hidden_remainder_z
      - .offset:         80
        .size:           8
        .value_kind:     hidden_global_offset_x
      - .offset:         88
        .size:           8
        .value_kind:     hidden_global_offset_y
      - .offset:         96
        .size:           8
        .value_kind:     hidden_global_offset_z
      - .offset:         104
        .size:           2
        .value_kind:     hidden_grid_dims
    .group_segment_fixed_size: 0
    .kernarg_segment_align: 8
    .kernarg_segment_size: 296
    .language:       OpenCL C
    .language_version:
      - 2
      - 0
    .max_flat_workgroup_size: 1024
    .name:           _ZL13mul_mat_vec_qIN3c104HalfELi256ELi32E10block_q5_KLi2EXadL_ZL17vec_dot_q5_K_q8_1PKvPK10block_q8_1RKiEEEvS4_S4_PT_iii
    .private_segment_fixed_size: 0
    .sgpr_count:     14
    .sgpr_spill_count: 0
    .symbol:         _ZL13mul_mat_vec_qIN3c104HalfELi256ELi32E10block_q5_KLi2EXadL_ZL17vec_dot_q5_K_q8_1PKvPK10block_q8_1RKiEEEvS4_S4_PT_iii.kd
    .uniform_work_group_size: 1
    .uses_dynamic_stack: false
    .vgpr_count:     53
    .vgpr_spill_count: 0
    .wavefront_size: 32
    .workgroup_processor_mode: 1
  - .args:
      - .actual_access:  read_only
        .address_space:  global
        .offset:         0
        .size:           8
        .value_kind:     global_buffer
      - .actual_access:  read_only
        .address_space:  global
        .offset:         8
        .size:           8
        .value_kind:     global_buffer
      - .actual_access:  write_only
        .address_space:  global
        .offset:         16
        .size:           8
        .value_kind:     global_buffer
      - .offset:         24
        .size:           4
        .value_kind:     by_value
      - .offset:         28
        .size:           4
        .value_kind:     by_value
      - .offset:         32
        .size:           4
        .value_kind:     by_value
      - .offset:         40
        .size:           4
        .value_kind:     hidden_block_count_x
      - .offset:         44
        .size:           4
        .value_kind:     hidden_block_count_y
      - .offset:         48
        .size:           4
        .value_kind:     hidden_block_count_z
      - .offset:         52
        .size:           2
        .value_kind:     hidden_group_size_x
      - .offset:         54
        .size:           2
        .value_kind:     hidden_group_size_y
      - .offset:         56
        .size:           2
        .value_kind:     hidden_group_size_z
      - .offset:         58
        .size:           2
        .value_kind:     hidden_remainder_x
      - .offset:         60
        .size:           2
        .value_kind:     hidden_remainder_y
      - .offset:         62
        .size:           2
        .value_kind:     hidden_remainder_z
      - .offset:         80
        .size:           8
        .value_kind:     hidden_global_offset_x
      - .offset:         88
        .size:           8
        .value_kind:     hidden_global_offset_y
      - .offset:         96
        .size:           8
        .value_kind:     hidden_global_offset_z
      - .offset:         104
        .size:           2
        .value_kind:     hidden_grid_dims
    .group_segment_fixed_size: 0
    .kernarg_segment_align: 8
    .kernarg_segment_size: 296
    .language:       OpenCL C
    .language_version:
      - 2
      - 0
    .max_flat_workgroup_size: 1024
    .name:           _ZL13mul_mat_vec_qIN3c104HalfELi256ELi32E10block_q6_KLi1EXadL_ZL17vec_dot_q6_K_q8_1PKvPK10block_q8_1RKiEEEvS4_S4_PT_iii
    .private_segment_fixed_size: 0
    .sgpr_count:     13
    .sgpr_spill_count: 0
    .symbol:         _ZL13mul_mat_vec_qIN3c104HalfELi256ELi32E10block_q6_KLi1EXadL_ZL17vec_dot_q6_K_q8_1PKvPK10block_q8_1RKiEEEvS4_S4_PT_iii.kd
    .uniform_work_group_size: 1
    .uses_dynamic_stack: false
    .vgpr_count:     34
    .vgpr_spill_count: 0
    .wavefront_size: 32
    .workgroup_processor_mode: 1
  - .args:
      - .actual_access:  read_only
        .address_space:  global
        .offset:         0
        .size:           8
        .value_kind:     global_buffer
      - .actual_access:  read_only
        .address_space:  global
        .offset:         8
        .size:           8
        .value_kind:     global_buffer
      - .actual_access:  write_only
        .address_space:  global
        .offset:         16
        .size:           8
        .value_kind:     global_buffer
      - .offset:         24
        .size:           4
        .value_kind:     by_value
      - .offset:         28
        .size:           4
        .value_kind:     by_value
      - .offset:         32
        .size:           4
        .value_kind:     by_value
      - .offset:         40
        .size:           4
        .value_kind:     hidden_block_count_x
      - .offset:         44
        .size:           4
        .value_kind:     hidden_block_count_y
      - .offset:         48
        .size:           4
        .value_kind:     hidden_block_count_z
      - .offset:         52
        .size:           2
        .value_kind:     hidden_group_size_x
      - .offset:         54
        .size:           2
        .value_kind:     hidden_group_size_y
      - .offset:         56
        .size:           2
        .value_kind:     hidden_group_size_z
      - .offset:         58
        .size:           2
        .value_kind:     hidden_remainder_x
      - .offset:         60
        .size:           2
        .value_kind:     hidden_remainder_y
      - .offset:         62
        .size:           2
        .value_kind:     hidden_remainder_z
      - .offset:         80
        .size:           8
        .value_kind:     hidden_global_offset_x
      - .offset:         88
        .size:           8
        .value_kind:     hidden_global_offset_y
      - .offset:         96
        .size:           8
        .value_kind:     hidden_global_offset_z
      - .offset:         104
        .size:           2
        .value_kind:     hidden_grid_dims
    .group_segment_fixed_size: 0
    .kernarg_segment_align: 8
    .kernarg_segment_size: 296
    .language:       OpenCL C
    .language_version:
      - 2
      - 0
    .max_flat_workgroup_size: 1024
    .name:           _ZL13mul_mat_vec_qIN3c104HalfELi256ELi8E13block_iq2_xxsLi1EXadL_ZL20vec_dot_iq2_xxs_q8_1PKvPK10block_q8_1RKiEEEvS4_S4_PT_iii
    .private_segment_fixed_size: 0
    .sgpr_count:     23
    .sgpr_spill_count: 0
    .symbol:         _ZL13mul_mat_vec_qIN3c104HalfELi256ELi8E13block_iq2_xxsLi1EXadL_ZL20vec_dot_iq2_xxs_q8_1PKvPK10block_q8_1RKiEEEvS4_S4_PT_iii.kd
    .uniform_work_group_size: 1
    .uses_dynamic_stack: false
    .vgpr_count:     94
    .vgpr_spill_count: 0
    .wavefront_size: 32
    .workgroup_processor_mode: 1
  - .args:
      - .actual_access:  read_only
        .address_space:  global
        .offset:         0
        .size:           8
        .value_kind:     global_buffer
      - .actual_access:  read_only
        .address_space:  global
        .offset:         8
        .size:           8
        .value_kind:     global_buffer
      - .actual_access:  write_only
        .address_space:  global
        .offset:         16
        .size:           8
        .value_kind:     global_buffer
      - .offset:         24
        .size:           4
        .value_kind:     by_value
      - .offset:         28
        .size:           4
        .value_kind:     by_value
      - .offset:         32
        .size:           4
        .value_kind:     by_value
      - .offset:         40
        .size:           4
        .value_kind:     hidden_block_count_x
      - .offset:         44
        .size:           4
        .value_kind:     hidden_block_count_y
      - .offset:         48
        .size:           4
        .value_kind:     hidden_block_count_z
      - .offset:         52
        .size:           2
        .value_kind:     hidden_group_size_x
      - .offset:         54
        .size:           2
        .value_kind:     hidden_group_size_y
      - .offset:         56
        .size:           2
        .value_kind:     hidden_group_size_z
      - .offset:         58
        .size:           2
        .value_kind:     hidden_remainder_x
      - .offset:         60
        .size:           2
        .value_kind:     hidden_remainder_y
      - .offset:         62
        .size:           2
        .value_kind:     hidden_remainder_z
      - .offset:         80
        .size:           8
        .value_kind:     hidden_global_offset_x
      - .offset:         88
        .size:           8
        .value_kind:     hidden_global_offset_y
      - .offset:         96
        .size:           8
        .value_kind:     hidden_global_offset_z
      - .offset:         104
        .size:           2
        .value_kind:     hidden_grid_dims
    .group_segment_fixed_size: 0
    .kernarg_segment_align: 8
    .kernarg_segment_size: 296
    .language:       OpenCL C
    .language_version:
      - 2
      - 0
    .max_flat_workgroup_size: 1024
    .name:           _ZL13mul_mat_vec_qIN3c104HalfELi256ELi8E12block_iq2_xsLi1EXadL_ZL19vec_dot_iq2_xs_q8_1PKvPK10block_q8_1RKiEEEvS4_S4_PT_iii
    .private_segment_fixed_size: 0
    .sgpr_count:     45
    .sgpr_spill_count: 0
    .symbol:         _ZL13mul_mat_vec_qIN3c104HalfELi256ELi8E12block_iq2_xsLi1EXadL_ZL19vec_dot_iq2_xs_q8_1PKvPK10block_q8_1RKiEEEvS4_S4_PT_iii.kd
    .uniform_work_group_size: 1
    .uses_dynamic_stack: false
    .vgpr_count:     94
    .vgpr_spill_count: 0
    .wavefront_size: 32
    .workgroup_processor_mode: 1
  - .args:
      - .actual_access:  read_only
        .address_space:  global
        .offset:         0
        .size:           8
        .value_kind:     global_buffer
      - .actual_access:  read_only
        .address_space:  global
        .offset:         8
        .size:           8
        .value_kind:     global_buffer
      - .actual_access:  write_only
        .address_space:  global
        .offset:         16
        .size:           8
        .value_kind:     global_buffer
      - .offset:         24
        .size:           4
        .value_kind:     by_value
      - .offset:         28
        .size:           4
        .value_kind:     by_value
      - .offset:         32
        .size:           4
        .value_kind:     by_value
      - .offset:         40
        .size:           4
        .value_kind:     hidden_block_count_x
      - .offset:         44
        .size:           4
        .value_kind:     hidden_block_count_y
      - .offset:         48
        .size:           4
        .value_kind:     hidden_block_count_z
      - .offset:         52
        .size:           2
        .value_kind:     hidden_group_size_x
      - .offset:         54
        .size:           2
        .value_kind:     hidden_group_size_y
      - .offset:         56
        .size:           2
        .value_kind:     hidden_group_size_z
      - .offset:         58
        .size:           2
        .value_kind:     hidden_remainder_x
      - .offset:         60
        .size:           2
        .value_kind:     hidden_remainder_y
      - .offset:         62
        .size:           2
        .value_kind:     hidden_remainder_z
      - .offset:         80
        .size:           8
        .value_kind:     hidden_global_offset_x
      - .offset:         88
        .size:           8
        .value_kind:     hidden_global_offset_y
      - .offset:         96
        .size:           8
        .value_kind:     hidden_global_offset_z
      - .offset:         104
        .size:           2
        .value_kind:     hidden_grid_dims
    .group_segment_fixed_size: 0
    .kernarg_segment_align: 8
    .kernarg_segment_size: 296
    .language:       OpenCL C
    .language_version:
      - 2
      - 0
    .max_flat_workgroup_size: 1024
    .name:           _ZL13mul_mat_vec_qIN3c104HalfELi256ELi8E13block_iq3_xxsLi1EXadL_ZL20vec_dot_iq3_xxs_q8_1PKvPK10block_q8_1RKiEEEvS4_S4_PT_iii
    .private_segment_fixed_size: 0
    .sgpr_count:     18
    .sgpr_spill_count: 0
    .symbol:         _ZL13mul_mat_vec_qIN3c104HalfELi256ELi8E13block_iq3_xxsLi1EXadL_ZL20vec_dot_iq3_xxs_q8_1PKvPK10block_q8_1RKiEEEvS4_S4_PT_iii.kd
    .uniform_work_group_size: 1
    .uses_dynamic_stack: false
    .vgpr_count:     40
    .vgpr_spill_count: 0
    .wavefront_size: 32
    .workgroup_processor_mode: 1
  - .args:
      - .actual_access:  read_only
        .address_space:  global
        .offset:         0
        .size:           8
        .value_kind:     global_buffer
      - .actual_access:  read_only
        .address_space:  global
        .offset:         8
        .size:           8
        .value_kind:     global_buffer
      - .actual_access:  write_only
        .address_space:  global
        .offset:         16
        .size:           8
        .value_kind:     global_buffer
      - .offset:         24
        .size:           4
        .value_kind:     by_value
      - .offset:         28
        .size:           4
        .value_kind:     by_value
      - .offset:         32
        .size:           4
        .value_kind:     by_value
      - .offset:         40
        .size:           4
        .value_kind:     hidden_block_count_x
      - .offset:         44
        .size:           4
        .value_kind:     hidden_block_count_y
      - .offset:         48
        .size:           4
        .value_kind:     hidden_block_count_z
      - .offset:         52
        .size:           2
        .value_kind:     hidden_group_size_x
      - .offset:         54
        .size:           2
        .value_kind:     hidden_group_size_y
      - .offset:         56
        .size:           2
        .value_kind:     hidden_group_size_z
      - .offset:         58
        .size:           2
        .value_kind:     hidden_remainder_x
      - .offset:         60
        .size:           2
        .value_kind:     hidden_remainder_y
      - .offset:         62
        .size:           2
        .value_kind:     hidden_remainder_z
      - .offset:         80
        .size:           8
        .value_kind:     hidden_global_offset_x
      - .offset:         88
        .size:           8
        .value_kind:     hidden_global_offset_y
      - .offset:         96
        .size:           8
        .value_kind:     hidden_global_offset_z
      - .offset:         104
        .size:           2
        .value_kind:     hidden_grid_dims
    .group_segment_fixed_size: 0
    .kernarg_segment_align: 8
    .kernarg_segment_size: 296
    .language:       OpenCL C
    .language_version:
      - 2
      - 0
    .max_flat_workgroup_size: 1024
    .name:           _ZL13mul_mat_vec_qIN3c104HalfELi256ELi8E11block_iq1_sLi1EXadL_ZL18vec_dot_iq1_s_q8_1PKvPK10block_q8_1RKiEEEvS4_S4_PT_iii
    .private_segment_fixed_size: 0
    .sgpr_count:     13
    .sgpr_spill_count: 0
    .symbol:         _ZL13mul_mat_vec_qIN3c104HalfELi256ELi8E11block_iq1_sLi1EXadL_ZL18vec_dot_iq1_s_q8_1PKvPK10block_q8_1RKiEEEvS4_S4_PT_iii.kd
    .uniform_work_group_size: 1
    .uses_dynamic_stack: false
    .vgpr_count:     77
    .vgpr_spill_count: 0
    .wavefront_size: 32
    .workgroup_processor_mode: 1
  - .args:
      - .actual_access:  read_only
        .address_space:  global
        .offset:         0
        .size:           8
        .value_kind:     global_buffer
      - .actual_access:  read_only
        .address_space:  global
        .offset:         8
        .size:           8
        .value_kind:     global_buffer
      - .actual_access:  write_only
        .address_space:  global
        .offset:         16
        .size:           8
        .value_kind:     global_buffer
      - .offset:         24
        .size:           4
        .value_kind:     by_value
      - .offset:         28
        .size:           4
        .value_kind:     by_value
      - .offset:         32
        .size:           4
        .value_kind:     by_value
      - .offset:         40
        .size:           4
        .value_kind:     hidden_block_count_x
      - .offset:         44
        .size:           4
        .value_kind:     hidden_block_count_y
      - .offset:         48
        .size:           4
        .value_kind:     hidden_block_count_z
      - .offset:         52
        .size:           2
        .value_kind:     hidden_group_size_x
      - .offset:         54
        .size:           2
        .value_kind:     hidden_group_size_y
      - .offset:         56
        .size:           2
        .value_kind:     hidden_group_size_z
      - .offset:         58
        .size:           2
        .value_kind:     hidden_remainder_x
      - .offset:         60
        .size:           2
        .value_kind:     hidden_remainder_y
      - .offset:         62
        .size:           2
        .value_kind:     hidden_remainder_z
      - .offset:         80
        .size:           8
        .value_kind:     hidden_global_offset_x
      - .offset:         88
        .size:           8
        .value_kind:     hidden_global_offset_y
      - .offset:         96
        .size:           8
        .value_kind:     hidden_global_offset_z
      - .offset:         104
        .size:           2
        .value_kind:     hidden_grid_dims
    .group_segment_fixed_size: 0
    .kernarg_segment_align: 8
    .kernarg_segment_size: 296
    .language:       OpenCL C
    .language_version:
      - 2
      - 0
    .max_flat_workgroup_size: 1024
    .name:           _ZL13mul_mat_vec_qIN3c104HalfELi32ELi4E12block_iq4_nlLi2EXadL_ZL19vec_dot_iq4_nl_q8_1PKvPK10block_q8_1RKiEEEvS4_S4_PT_iii
    .private_segment_fixed_size: 0
    .sgpr_count:     16
    .sgpr_spill_count: 0
    .symbol:         _ZL13mul_mat_vec_qIN3c104HalfELi32ELi4E12block_iq4_nlLi2EXadL_ZL19vec_dot_iq4_nl_q8_1PKvPK10block_q8_1RKiEEEvS4_S4_PT_iii.kd
    .uniform_work_group_size: 1
    .uses_dynamic_stack: false
    .vgpr_count:     33
    .vgpr_spill_count: 0
    .wavefront_size: 32
    .workgroup_processor_mode: 1
  - .args:
      - .actual_access:  read_only
        .address_space:  global
        .offset:         0
        .size:           8
        .value_kind:     global_buffer
      - .actual_access:  read_only
        .address_space:  global
        .offset:         8
        .size:           8
        .value_kind:     global_buffer
      - .actual_access:  write_only
        .address_space:  global
        .offset:         16
        .size:           8
        .value_kind:     global_buffer
      - .offset:         24
        .size:           4
        .value_kind:     by_value
      - .offset:         28
        .size:           4
        .value_kind:     by_value
      - .offset:         32
        .size:           4
        .value_kind:     by_value
      - .offset:         40
        .size:           4
        .value_kind:     hidden_block_count_x
      - .offset:         44
        .size:           4
        .value_kind:     hidden_block_count_y
      - .offset:         48
        .size:           4
        .value_kind:     hidden_block_count_z
      - .offset:         52
        .size:           2
        .value_kind:     hidden_group_size_x
      - .offset:         54
        .size:           2
        .value_kind:     hidden_group_size_y
      - .offset:         56
        .size:           2
        .value_kind:     hidden_group_size_z
      - .offset:         58
        .size:           2
        .value_kind:     hidden_remainder_x
      - .offset:         60
        .size:           2
        .value_kind:     hidden_remainder_y
      - .offset:         62
        .size:           2
        .value_kind:     hidden_remainder_z
      - .offset:         80
        .size:           8
        .value_kind:     hidden_global_offset_x
      - .offset:         88
        .size:           8
        .value_kind:     hidden_global_offset_y
      - .offset:         96
        .size:           8
        .value_kind:     hidden_global_offset_z
      - .offset:         104
        .size:           2
        .value_kind:     hidden_grid_dims
    .group_segment_fixed_size: 0
    .kernarg_segment_align: 8
    .kernarg_segment_size: 296
    .language:       OpenCL C
    .language_version:
      - 2
      - 0
    .max_flat_workgroup_size: 1024
    .name:           _ZL13mul_mat_vec_qIN3c104HalfELi256ELi8E11block_iq3_sLi1EXadL_ZL18vec_dot_iq3_s_q8_1PKvPK10block_q8_1RKiEEEvS4_S4_PT_iii
    .private_segment_fixed_size: 0
    .sgpr_count:     15
    .sgpr_spill_count: 0
    .symbol:         _ZL13mul_mat_vec_qIN3c104HalfELi256ELi8E11block_iq3_sLi1EXadL_ZL18vec_dot_iq3_s_q8_1PKvPK10block_q8_1RKiEEEvS4_S4_PT_iii.kd
    .uniform_work_group_size: 1
    .uses_dynamic_stack: false
    .vgpr_count:     47
    .vgpr_spill_count: 0
    .wavefront_size: 32
    .workgroup_processor_mode: 1
  - .args:
      - .actual_access:  read_only
        .address_space:  global
        .offset:         0
        .size:           8
        .value_kind:     global_buffer
      - .actual_access:  read_only
        .address_space:  global
        .offset:         8
        .size:           8
        .value_kind:     global_buffer
      - .actual_access:  write_only
        .address_space:  global
        .offset:         16
        .size:           8
        .value_kind:     global_buffer
      - .offset:         24
        .size:           4
        .value_kind:     by_value
      - .offset:         28
        .size:           4
        .value_kind:     by_value
      - .offset:         32
        .size:           4
        .value_kind:     by_value
      - .offset:         40
        .size:           4
        .value_kind:     hidden_block_count_x
      - .offset:         44
        .size:           4
        .value_kind:     hidden_block_count_y
      - .offset:         48
        .size:           4
        .value_kind:     hidden_block_count_z
      - .offset:         52
        .size:           2
        .value_kind:     hidden_group_size_x
      - .offset:         54
        .size:           2
        .value_kind:     hidden_group_size_y
      - .offset:         56
        .size:           2
        .value_kind:     hidden_group_size_z
      - .offset:         58
        .size:           2
        .value_kind:     hidden_remainder_x
      - .offset:         60
        .size:           2
        .value_kind:     hidden_remainder_y
      - .offset:         62
        .size:           2
        .value_kind:     hidden_remainder_z
      - .offset:         80
        .size:           8
        .value_kind:     hidden_global_offset_x
      - .offset:         88
        .size:           8
        .value_kind:     hidden_global_offset_y
      - .offset:         96
        .size:           8
        .value_kind:     hidden_global_offset_z
      - .offset:         104
        .size:           2
        .value_kind:     hidden_grid_dims
    .group_segment_fixed_size: 0
    .kernarg_segment_align: 8
    .kernarg_segment_size: 296
    .language:       OpenCL C
    .language_version:
      - 2
      - 0
    .max_flat_workgroup_size: 1024
    .name:           _ZL13mul_mat_vec_qIN3c104HalfELi256ELi8E11block_iq2_sLi1EXadL_ZL18vec_dot_iq2_s_q8_1PKvPK10block_q8_1RKiEEEvS4_S4_PT_iii
    .private_segment_fixed_size: 0
    .sgpr_count:     13
    .sgpr_spill_count: 0
    .symbol:         _ZL13mul_mat_vec_qIN3c104HalfELi256ELi8E11block_iq2_sLi1EXadL_ZL18vec_dot_iq2_s_q8_1PKvPK10block_q8_1RKiEEEvS4_S4_PT_iii.kd
    .uniform_work_group_size: 1
    .uses_dynamic_stack: false
    .vgpr_count:     70
    .vgpr_spill_count: 0
    .wavefront_size: 32
    .workgroup_processor_mode: 1
  - .args:
      - .actual_access:  read_only
        .address_space:  global
        .offset:         0
        .size:           8
        .value_kind:     global_buffer
      - .actual_access:  read_only
        .address_space:  global
        .offset:         8
        .size:           8
        .value_kind:     global_buffer
      - .actual_access:  write_only
        .address_space:  global
        .offset:         16
        .size:           8
        .value_kind:     global_buffer
      - .offset:         24
        .size:           4
        .value_kind:     by_value
      - .offset:         28
        .size:           4
        .value_kind:     by_value
      - .offset:         32
        .size:           4
        .value_kind:     by_value
      - .offset:         40
        .size:           4
        .value_kind:     hidden_block_count_x
      - .offset:         44
        .size:           4
        .value_kind:     hidden_block_count_y
      - .offset:         48
        .size:           4
        .value_kind:     hidden_block_count_z
      - .offset:         52
        .size:           2
        .value_kind:     hidden_group_size_x
      - .offset:         54
        .size:           2
        .value_kind:     hidden_group_size_y
      - .offset:         56
        .size:           2
        .value_kind:     hidden_group_size_z
      - .offset:         58
        .size:           2
        .value_kind:     hidden_remainder_x
      - .offset:         60
        .size:           2
        .value_kind:     hidden_remainder_y
      - .offset:         62
        .size:           2
        .value_kind:     hidden_remainder_z
      - .offset:         80
        .size:           8
        .value_kind:     hidden_global_offset_x
      - .offset:         88
        .size:           8
        .value_kind:     hidden_global_offset_y
      - .offset:         96
        .size:           8
        .value_kind:     hidden_global_offset_z
      - .offset:         104
        .size:           2
        .value_kind:     hidden_grid_dims
    .group_segment_fixed_size: 0
    .kernarg_segment_align: 8
    .kernarg_segment_size: 296
    .language:       OpenCL C
    .language_version:
      - 2
      - 0
    .max_flat_workgroup_size: 1024
    .name:           _ZL13mul_mat_vec_qIN3c104HalfELi256ELi8E12block_iq4_xsLi1EXadL_ZL19vec_dot_iq4_xs_q8_1PKvPK10block_q8_1RKiEEEvS4_S4_PT_iii
    .private_segment_fixed_size: 0
    .sgpr_count:     13
    .sgpr_spill_count: 0
    .symbol:         _ZL13mul_mat_vec_qIN3c104HalfELi256ELi8E12block_iq4_xsLi1EXadL_ZL19vec_dot_iq4_xs_q8_1PKvPK10block_q8_1RKiEEEvS4_S4_PT_iii.kd
    .uniform_work_group_size: 1
    .uses_dynamic_stack: false
    .vgpr_count:     56
    .vgpr_spill_count: 0
    .wavefront_size: 32
    .workgroup_processor_mode: 1
  - .args:
      - .actual_access:  read_only
        .address_space:  global
        .offset:         0
        .size:           8
        .value_kind:     global_buffer
      - .actual_access:  read_only
        .address_space:  global
        .offset:         8
        .size:           8
        .value_kind:     global_buffer
      - .actual_access:  write_only
        .address_space:  global
        .offset:         16
        .size:           8
        .value_kind:     global_buffer
      - .offset:         24
        .size:           4
        .value_kind:     by_value
      - .offset:         28
        .size:           4
        .value_kind:     by_value
      - .offset:         32
        .size:           4
        .value_kind:     by_value
      - .offset:         40
        .size:           4
        .value_kind:     hidden_block_count_x
      - .offset:         44
        .size:           4
        .value_kind:     hidden_block_count_y
      - .offset:         48
        .size:           4
        .value_kind:     hidden_block_count_z
      - .offset:         52
        .size:           2
        .value_kind:     hidden_group_size_x
      - .offset:         54
        .size:           2
        .value_kind:     hidden_group_size_y
      - .offset:         56
        .size:           2
        .value_kind:     hidden_group_size_z
      - .offset:         58
        .size:           2
        .value_kind:     hidden_remainder_x
      - .offset:         60
        .size:           2
        .value_kind:     hidden_remainder_y
      - .offset:         62
        .size:           2
        .value_kind:     hidden_remainder_z
      - .offset:         80
        .size:           8
        .value_kind:     hidden_global_offset_x
      - .offset:         88
        .size:           8
        .value_kind:     hidden_global_offset_y
      - .offset:         96
        .size:           8
        .value_kind:     hidden_global_offset_z
      - .offset:         104
        .size:           2
        .value_kind:     hidden_grid_dims
    .group_segment_fixed_size: 0
    .kernarg_segment_align: 8
    .kernarg_segment_size: 296
    .language:       OpenCL C
    .language_version:
      - 2
      - 0
    .max_flat_workgroup_size: 1024
    .name:           _ZL13mul_mat_vec_qIN3c104HalfELi256ELi8E11block_iq1_mLi1EXadL_ZL18vec_dot_iq1_m_q8_1PKvPK10block_q8_1RKiEEEvS4_S4_PT_iii
    .private_segment_fixed_size: 0
    .sgpr_count:     13
    .sgpr_spill_count: 0
    .symbol:         _ZL13mul_mat_vec_qIN3c104HalfELi256ELi8E11block_iq1_mLi1EXadL_ZL18vec_dot_iq1_m_q8_1PKvPK10block_q8_1RKiEEEvS4_S4_PT_iii.kd
    .uniform_work_group_size: 1
    .uses_dynamic_stack: false
    .vgpr_count:     83
    .vgpr_spill_count: 0
    .wavefront_size: 32
    .workgroup_processor_mode: 1
  - .args:
      - .actual_access:  read_only
        .address_space:  global
        .offset:         0
        .size:           8
        .value_kind:     global_buffer
      - .actual_access:  write_only
        .address_space:  global
        .offset:         8
        .size:           8
        .value_kind:     global_buffer
      - .offset:         16
        .size:           4
        .value_kind:     by_value
      - .offset:         20
        .size:           4
        .value_kind:     by_value
      - .offset:         24
        .size:           4
        .value_kind:     hidden_block_count_x
      - .offset:         28
        .size:           4
        .value_kind:     hidden_block_count_y
      - .offset:         32
        .size:           4
        .value_kind:     hidden_block_count_z
      - .offset:         36
        .size:           2
        .value_kind:     hidden_group_size_x
      - .offset:         38
        .size:           2
        .value_kind:     hidden_group_size_y
      - .offset:         40
        .size:           2
        .value_kind:     hidden_group_size_z
      - .offset:         42
        .size:           2
        .value_kind:     hidden_remainder_x
      - .offset:         44
        .size:           2
        .value_kind:     hidden_remainder_y
      - .offset:         46
        .size:           2
        .value_kind:     hidden_remainder_z
      - .offset:         64
        .size:           8
        .value_kind:     hidden_global_offset_x
      - .offset:         72
        .size:           8
        .value_kind:     hidden_global_offset_y
      - .offset:         80
        .size:           8
        .value_kind:     hidden_global_offset_z
      - .offset:         88
        .size:           2
        .value_kind:     hidden_grid_dims
    .group_segment_fixed_size: 0
    .kernarg_segment_align: 8
    .kernarg_segment_size: 280
    .language:       OpenCL C
    .language_version:
      - 2
      - 0
    .max_flat_workgroup_size: 1024
    .name:           _ZL13quantize_q8_1IN3c108BFloat16EEvPKT_Pvii
    .private_segment_fixed_size: 0
    .sgpr_count:     10
    .sgpr_spill_count: 0
    .symbol:         _ZL13quantize_q8_1IN3c108BFloat16EEvPKT_Pvii.kd
    .uniform_work_group_size: 1
    .uses_dynamic_stack: false
    .vgpr_count:     13
    .vgpr_spill_count: 0
    .wavefront_size: 32
    .workgroup_processor_mode: 1
  - .args:
      - .actual_access:  read_only
        .address_space:  global
        .offset:         0
        .size:           8
        .value_kind:     global_buffer
      - .actual_access:  read_only
        .address_space:  global
        .offset:         8
        .size:           8
        .value_kind:     global_buffer
      - .actual_access:  write_only
        .address_space:  global
        .offset:         16
        .size:           8
        .value_kind:     global_buffer
      - .offset:         24
        .size:           4
        .value_kind:     by_value
      - .offset:         28
        .size:           4
        .value_kind:     by_value
      - .offset:         32
        .size:           4
        .value_kind:     by_value
      - .offset:         40
        .size:           4
        .value_kind:     hidden_block_count_x
      - .offset:         44
        .size:           4
        .value_kind:     hidden_block_count_y
      - .offset:         48
        .size:           4
        .value_kind:     hidden_block_count_z
      - .offset:         52
        .size:           2
        .value_kind:     hidden_group_size_x
      - .offset:         54
        .size:           2
        .value_kind:     hidden_group_size_y
      - .offset:         56
        .size:           2
        .value_kind:     hidden_group_size_z
      - .offset:         58
        .size:           2
        .value_kind:     hidden_remainder_x
      - .offset:         60
        .size:           2
        .value_kind:     hidden_remainder_y
      - .offset:         62
        .size:           2
        .value_kind:     hidden_remainder_z
      - .offset:         80
        .size:           8
        .value_kind:     hidden_global_offset_x
      - .offset:         88
        .size:           8
        .value_kind:     hidden_global_offset_y
      - .offset:         96
        .size:           8
        .value_kind:     hidden_global_offset_z
      - .offset:         104
        .size:           2
        .value_kind:     hidden_grid_dims
    .group_segment_fixed_size: 0
    .kernarg_segment_align: 8
    .kernarg_segment_size: 296
    .language:       OpenCL C
    .language_version:
      - 2
      - 0
    .max_flat_workgroup_size: 1024
    .name:           _ZL13mul_mat_vec_qIN3c108BFloat16ELi32ELi4E10block_q4_0Li2EXadL_ZL17vec_dot_q4_0_q8_1PKvPK10block_q8_1RKiEEEvS4_S4_PT_iii
    .private_segment_fixed_size: 0
    .sgpr_count:     13
    .sgpr_spill_count: 0
    .symbol:         _ZL13mul_mat_vec_qIN3c108BFloat16ELi32ELi4E10block_q4_0Li2EXadL_ZL17vec_dot_q4_0_q8_1PKvPK10block_q8_1RKiEEEvS4_S4_PT_iii.kd
    .uniform_work_group_size: 1
    .uses_dynamic_stack: false
    .vgpr_count:     40
    .vgpr_spill_count: 0
    .wavefront_size: 32
    .workgroup_processor_mode: 1
  - .args:
      - .actual_access:  read_only
        .address_space:  global
        .offset:         0
        .size:           8
        .value_kind:     global_buffer
      - .actual_access:  read_only
        .address_space:  global
        .offset:         8
        .size:           8
        .value_kind:     global_buffer
      - .actual_access:  write_only
        .address_space:  global
        .offset:         16
        .size:           8
        .value_kind:     global_buffer
      - .offset:         24
        .size:           4
        .value_kind:     by_value
      - .offset:         28
        .size:           4
        .value_kind:     by_value
      - .offset:         32
        .size:           4
        .value_kind:     by_value
      - .offset:         40
        .size:           4
        .value_kind:     hidden_block_count_x
      - .offset:         44
        .size:           4
        .value_kind:     hidden_block_count_y
      - .offset:         48
        .size:           4
        .value_kind:     hidden_block_count_z
      - .offset:         52
        .size:           2
        .value_kind:     hidden_group_size_x
      - .offset:         54
        .size:           2
        .value_kind:     hidden_group_size_y
      - .offset:         56
        .size:           2
        .value_kind:     hidden_group_size_z
      - .offset:         58
        .size:           2
        .value_kind:     hidden_remainder_x
      - .offset:         60
        .size:           2
        .value_kind:     hidden_remainder_y
      - .offset:         62
        .size:           2
        .value_kind:     hidden_remainder_z
      - .offset:         80
        .size:           8
        .value_kind:     hidden_global_offset_x
      - .offset:         88
        .size:           8
        .value_kind:     hidden_global_offset_y
      - .offset:         96
        .size:           8
        .value_kind:     hidden_global_offset_z
      - .offset:         104
        .size:           2
        .value_kind:     hidden_grid_dims
    .group_segment_fixed_size: 0
    .kernarg_segment_align: 8
    .kernarg_segment_size: 296
    .language:       OpenCL C
    .language_version:
      - 2
      - 0
    .max_flat_workgroup_size: 1024
    .name:           _ZL13mul_mat_vec_qIN3c108BFloat16ELi32ELi4E10block_q4_1Li2EXadL_ZL17vec_dot_q4_1_q8_1PKvPK10block_q8_1RKiEEEvS4_S4_PT_iii
    .private_segment_fixed_size: 0
    .sgpr_count:     13
    .sgpr_spill_count: 0
    .symbol:         _ZL13mul_mat_vec_qIN3c108BFloat16ELi32ELi4E10block_q4_1Li2EXadL_ZL17vec_dot_q4_1_q8_1PKvPK10block_q8_1RKiEEEvS4_S4_PT_iii.kd
    .uniform_work_group_size: 1
    .uses_dynamic_stack: false
    .vgpr_count:     39
    .vgpr_spill_count: 0
    .wavefront_size: 32
    .workgroup_processor_mode: 1
  - .args:
      - .actual_access:  read_only
        .address_space:  global
        .offset:         0
        .size:           8
        .value_kind:     global_buffer
      - .actual_access:  read_only
        .address_space:  global
        .offset:         8
        .size:           8
        .value_kind:     global_buffer
      - .actual_access:  write_only
        .address_space:  global
        .offset:         16
        .size:           8
        .value_kind:     global_buffer
      - .offset:         24
        .size:           4
        .value_kind:     by_value
      - .offset:         28
        .size:           4
        .value_kind:     by_value
      - .offset:         32
        .size:           4
        .value_kind:     by_value
      - .offset:         40
        .size:           4
        .value_kind:     hidden_block_count_x
      - .offset:         44
        .size:           4
        .value_kind:     hidden_block_count_y
      - .offset:         48
        .size:           4
        .value_kind:     hidden_block_count_z
      - .offset:         52
        .size:           2
        .value_kind:     hidden_group_size_x
      - .offset:         54
        .size:           2
        .value_kind:     hidden_group_size_y
      - .offset:         56
        .size:           2
        .value_kind:     hidden_group_size_z
      - .offset:         58
        .size:           2
        .value_kind:     hidden_remainder_x
      - .offset:         60
        .size:           2
        .value_kind:     hidden_remainder_y
      - .offset:         62
        .size:           2
        .value_kind:     hidden_remainder_z
      - .offset:         80
        .size:           8
        .value_kind:     hidden_global_offset_x
      - .offset:         88
        .size:           8
        .value_kind:     hidden_global_offset_y
      - .offset:         96
        .size:           8
        .value_kind:     hidden_global_offset_z
      - .offset:         104
        .size:           2
        .value_kind:     hidden_grid_dims
    .group_segment_fixed_size: 0
    .kernarg_segment_align: 8
    .kernarg_segment_size: 296
    .language:       OpenCL C
    .language_version:
      - 2
      - 0
    .max_flat_workgroup_size: 1024
    .name:           _ZL13mul_mat_vec_qIN3c108BFloat16ELi32ELi4E10block_q5_0Li2EXadL_ZL17vec_dot_q5_0_q8_1PKvPK10block_q8_1RKiEEEvS4_S4_PT_iii
    .private_segment_fixed_size: 0
    .sgpr_count:     13
    .sgpr_spill_count: 0
    .symbol:         _ZL13mul_mat_vec_qIN3c108BFloat16ELi32ELi4E10block_q5_0Li2EXadL_ZL17vec_dot_q5_0_q8_1PKvPK10block_q8_1RKiEEEvS4_S4_PT_iii.kd
    .uniform_work_group_size: 1
    .uses_dynamic_stack: false
    .vgpr_count:     45
    .vgpr_spill_count: 0
    .wavefront_size: 32
    .workgroup_processor_mode: 1
  - .args:
      - .actual_access:  read_only
        .address_space:  global
        .offset:         0
        .size:           8
        .value_kind:     global_buffer
      - .actual_access:  read_only
        .address_space:  global
        .offset:         8
        .size:           8
        .value_kind:     global_buffer
      - .actual_access:  write_only
        .address_space:  global
        .offset:         16
        .size:           8
        .value_kind:     global_buffer
      - .offset:         24
        .size:           4
        .value_kind:     by_value
      - .offset:         28
        .size:           4
        .value_kind:     by_value
      - .offset:         32
        .size:           4
        .value_kind:     by_value
      - .offset:         40
        .size:           4
        .value_kind:     hidden_block_count_x
      - .offset:         44
        .size:           4
        .value_kind:     hidden_block_count_y
      - .offset:         48
        .size:           4
        .value_kind:     hidden_block_count_z
      - .offset:         52
        .size:           2
        .value_kind:     hidden_group_size_x
      - .offset:         54
        .size:           2
        .value_kind:     hidden_group_size_y
      - .offset:         56
        .size:           2
        .value_kind:     hidden_group_size_z
      - .offset:         58
        .size:           2
        .value_kind:     hidden_remainder_x
      - .offset:         60
        .size:           2
        .value_kind:     hidden_remainder_y
      - .offset:         62
        .size:           2
        .value_kind:     hidden_remainder_z
      - .offset:         80
        .size:           8
        .value_kind:     hidden_global_offset_x
      - .offset:         88
        .size:           8
        .value_kind:     hidden_global_offset_y
      - .offset:         96
        .size:           8
        .value_kind:     hidden_global_offset_z
      - .offset:         104
        .size:           2
        .value_kind:     hidden_grid_dims
    .group_segment_fixed_size: 0
    .kernarg_segment_align: 8
    .kernarg_segment_size: 296
    .language:       OpenCL C
    .language_version:
      - 2
      - 0
    .max_flat_workgroup_size: 1024
    .name:           _ZL13mul_mat_vec_qIN3c108BFloat16ELi32ELi4E10block_q5_1Li2EXadL_ZL17vec_dot_q5_1_q8_1PKvPK10block_q8_1RKiEEEvS4_S4_PT_iii
    .private_segment_fixed_size: 0
    .sgpr_count:     13
    .sgpr_spill_count: 0
    .symbol:         _ZL13mul_mat_vec_qIN3c108BFloat16ELi32ELi4E10block_q5_1Li2EXadL_ZL17vec_dot_q5_1_q8_1PKvPK10block_q8_1RKiEEEvS4_S4_PT_iii.kd
    .uniform_work_group_size: 1
    .uses_dynamic_stack: false
    .vgpr_count:     44
    .vgpr_spill_count: 0
    .wavefront_size: 32
    .workgroup_processor_mode: 1
  - .args:
      - .actual_access:  read_only
        .address_space:  global
        .offset:         0
        .size:           8
        .value_kind:     global_buffer
      - .actual_access:  read_only
        .address_space:  global
        .offset:         8
        .size:           8
        .value_kind:     global_buffer
      - .actual_access:  write_only
        .address_space:  global
        .offset:         16
        .size:           8
        .value_kind:     global_buffer
      - .offset:         24
        .size:           4
        .value_kind:     by_value
      - .offset:         28
        .size:           4
        .value_kind:     by_value
      - .offset:         32
        .size:           4
        .value_kind:     by_value
      - .offset:         40
        .size:           4
        .value_kind:     hidden_block_count_x
      - .offset:         44
        .size:           4
        .value_kind:     hidden_block_count_y
      - .offset:         48
        .size:           4
        .value_kind:     hidden_block_count_z
      - .offset:         52
        .size:           2
        .value_kind:     hidden_group_size_x
      - .offset:         54
        .size:           2
        .value_kind:     hidden_group_size_y
      - .offset:         56
        .size:           2
        .value_kind:     hidden_group_size_z
      - .offset:         58
        .size:           2
        .value_kind:     hidden_remainder_x
      - .offset:         60
        .size:           2
        .value_kind:     hidden_remainder_y
      - .offset:         62
        .size:           2
        .value_kind:     hidden_remainder_z
      - .offset:         80
        .size:           8
        .value_kind:     hidden_global_offset_x
      - .offset:         88
        .size:           8
        .value_kind:     hidden_global_offset_y
      - .offset:         96
        .size:           8
        .value_kind:     hidden_global_offset_z
      - .offset:         104
        .size:           2
        .value_kind:     hidden_grid_dims
    .group_segment_fixed_size: 0
    .kernarg_segment_align: 8
    .kernarg_segment_size: 296
    .language:       OpenCL C
    .language_version:
      - 2
      - 0
    .max_flat_workgroup_size: 1024
    .name:           _ZL13mul_mat_vec_qIN3c108BFloat16ELi32ELi8E10block_q8_0Li2EXadL_ZL17vec_dot_q8_0_q8_1PKvPK10block_q8_1RKiEEEvS4_S4_PT_iii
    .private_segment_fixed_size: 0
    .sgpr_count:     13
    .sgpr_spill_count: 0
    .symbol:         _ZL13mul_mat_vec_qIN3c108BFloat16ELi32ELi8E10block_q8_0Li2EXadL_ZL17vec_dot_q8_0_q8_1PKvPK10block_q8_1RKiEEEvS4_S4_PT_iii.kd
    .uniform_work_group_size: 1
    .uses_dynamic_stack: false
    .vgpr_count:     24
    .vgpr_spill_count: 0
    .wavefront_size: 32
    .workgroup_processor_mode: 1
  - .args:
      - .actual_access:  read_only
        .address_space:  global
        .offset:         0
        .size:           8
        .value_kind:     global_buffer
      - .actual_access:  read_only
        .address_space:  global
        .offset:         8
        .size:           8
        .value_kind:     global_buffer
      - .actual_access:  write_only
        .address_space:  global
        .offset:         16
        .size:           8
        .value_kind:     global_buffer
      - .offset:         24
        .size:           4
        .value_kind:     by_value
      - .offset:         28
        .size:           4
        .value_kind:     by_value
      - .offset:         32
        .size:           4
        .value_kind:     by_value
      - .offset:         40
        .size:           4
        .value_kind:     hidden_block_count_x
      - .offset:         44
        .size:           4
        .value_kind:     hidden_block_count_y
      - .offset:         48
        .size:           4
        .value_kind:     hidden_block_count_z
      - .offset:         52
        .size:           2
        .value_kind:     hidden_group_size_x
      - .offset:         54
        .size:           2
        .value_kind:     hidden_group_size_y
      - .offset:         56
        .size:           2
        .value_kind:     hidden_group_size_z
      - .offset:         58
        .size:           2
        .value_kind:     hidden_remainder_x
      - .offset:         60
        .size:           2
        .value_kind:     hidden_remainder_y
      - .offset:         62
        .size:           2
        .value_kind:     hidden_remainder_z
      - .offset:         80
        .size:           8
        .value_kind:     hidden_global_offset_x
      - .offset:         88
        .size:           8
        .value_kind:     hidden_global_offset_y
      - .offset:         96
        .size:           8
        .value_kind:     hidden_global_offset_z
      - .offset:         104
        .size:           2
        .value_kind:     hidden_grid_dims
    .group_segment_fixed_size: 0
    .kernarg_segment_align: 8
    .kernarg_segment_size: 296
    .language:       OpenCL C
    .language_version:
      - 2
      - 0
    .max_flat_workgroup_size: 1024
    .name:           _ZL13mul_mat_vec_qIN3c108BFloat16ELi256ELi16E10block_q2_KLi1EXadL_ZL17vec_dot_q2_K_q8_1PKvPK10block_q8_1RKiEEEvS4_S4_PT_iii
    .private_segment_fixed_size: 0
    .sgpr_count:     13
    .sgpr_spill_count: 0
    .symbol:         _ZL13mul_mat_vec_qIN3c108BFloat16ELi256ELi16E10block_q2_KLi1EXadL_ZL17vec_dot_q2_K_q8_1PKvPK10block_q8_1RKiEEEvS4_S4_PT_iii.kd
    .uniform_work_group_size: 1
    .uses_dynamic_stack: false
    .vgpr_count:     62
    .vgpr_spill_count: 0
    .wavefront_size: 32
    .workgroup_processor_mode: 1
  - .args:
      - .actual_access:  read_only
        .address_space:  global
        .offset:         0
        .size:           8
        .value_kind:     global_buffer
      - .actual_access:  read_only
        .address_space:  global
        .offset:         8
        .size:           8
        .value_kind:     global_buffer
      - .actual_access:  write_only
        .address_space:  global
        .offset:         16
        .size:           8
        .value_kind:     global_buffer
      - .offset:         24
        .size:           4
        .value_kind:     by_value
      - .offset:         28
        .size:           4
        .value_kind:     by_value
      - .offset:         32
        .size:           4
        .value_kind:     by_value
      - .offset:         40
        .size:           4
        .value_kind:     hidden_block_count_x
      - .offset:         44
        .size:           4
        .value_kind:     hidden_block_count_y
      - .offset:         48
        .size:           4
        .value_kind:     hidden_block_count_z
      - .offset:         52
        .size:           2
        .value_kind:     hidden_group_size_x
      - .offset:         54
        .size:           2
        .value_kind:     hidden_group_size_y
      - .offset:         56
        .size:           2
        .value_kind:     hidden_group_size_z
      - .offset:         58
        .size:           2
        .value_kind:     hidden_remainder_x
      - .offset:         60
        .size:           2
        .value_kind:     hidden_remainder_y
      - .offset:         62
        .size:           2
        .value_kind:     hidden_remainder_z
      - .offset:         80
        .size:           8
        .value_kind:     hidden_global_offset_x
      - .offset:         88
        .size:           8
        .value_kind:     hidden_global_offset_y
      - .offset:         96
        .size:           8
        .value_kind:     hidden_global_offset_z
      - .offset:         104
        .size:           2
        .value_kind:     hidden_grid_dims
    .group_segment_fixed_size: 0
    .kernarg_segment_align: 8
    .kernarg_segment_size: 296
    .language:       OpenCL C
    .language_version:
      - 2
      - 0
    .max_flat_workgroup_size: 1024
    .name:           _ZL13mul_mat_vec_qIN3c108BFloat16ELi256ELi16E10block_q3_KLi1EXadL_ZL17vec_dot_q3_K_q8_1PKvPK10block_q8_1RKiEEEvS4_S4_PT_iii
    .private_segment_fixed_size: 0
    .sgpr_count:     13
    .sgpr_spill_count: 0
    .symbol:         _ZL13mul_mat_vec_qIN3c108BFloat16ELi256ELi16E10block_q3_KLi1EXadL_ZL17vec_dot_q3_K_q8_1PKvPK10block_q8_1RKiEEEvS4_S4_PT_iii.kd
    .uniform_work_group_size: 1
    .uses_dynamic_stack: false
    .vgpr_count:     85
    .vgpr_spill_count: 0
    .wavefront_size: 32
    .workgroup_processor_mode: 1
  - .args:
      - .actual_access:  read_only
        .address_space:  global
        .offset:         0
        .size:           8
        .value_kind:     global_buffer
      - .actual_access:  read_only
        .address_space:  global
        .offset:         8
        .size:           8
        .value_kind:     global_buffer
      - .actual_access:  write_only
        .address_space:  global
        .offset:         16
        .size:           8
        .value_kind:     global_buffer
      - .offset:         24
        .size:           4
        .value_kind:     by_value
      - .offset:         28
        .size:           4
        .value_kind:     by_value
      - .offset:         32
        .size:           4
        .value_kind:     by_value
      - .offset:         40
        .size:           4
        .value_kind:     hidden_block_count_x
      - .offset:         44
        .size:           4
        .value_kind:     hidden_block_count_y
      - .offset:         48
        .size:           4
        .value_kind:     hidden_block_count_z
      - .offset:         52
        .size:           2
        .value_kind:     hidden_group_size_x
      - .offset:         54
        .size:           2
        .value_kind:     hidden_group_size_y
      - .offset:         56
        .size:           2
        .value_kind:     hidden_group_size_z
      - .offset:         58
        .size:           2
        .value_kind:     hidden_remainder_x
      - .offset:         60
        .size:           2
        .value_kind:     hidden_remainder_y
      - .offset:         62
        .size:           2
        .value_kind:     hidden_remainder_z
      - .offset:         80
        .size:           8
        .value_kind:     hidden_global_offset_x
      - .offset:         88
        .size:           8
        .value_kind:     hidden_global_offset_y
      - .offset:         96
        .size:           8
        .value_kind:     hidden_global_offset_z
      - .offset:         104
        .size:           2
        .value_kind:     hidden_grid_dims
    .group_segment_fixed_size: 0
    .kernarg_segment_align: 8
    .kernarg_segment_size: 296
    .language:       OpenCL C
    .language_version:
      - 2
      - 0
    .max_flat_workgroup_size: 1024
    .name:           _ZL13mul_mat_vec_qIN3c108BFloat16ELi256ELi32E10block_q4_KLi2EXadL_ZL17vec_dot_q4_K_q8_1PKvPK10block_q8_1RKiEEEvS4_S4_PT_iii
    .private_segment_fixed_size: 0
    .sgpr_count:     14
    .sgpr_spill_count: 0
    .symbol:         _ZL13mul_mat_vec_qIN3c108BFloat16ELi256ELi32E10block_q4_KLi2EXadL_ZL17vec_dot_q4_K_q8_1PKvPK10block_q8_1RKiEEEvS4_S4_PT_iii.kd
    .uniform_work_group_size: 1
    .uses_dynamic_stack: false
    .vgpr_count:     52
    .vgpr_spill_count: 0
    .wavefront_size: 32
    .workgroup_processor_mode: 1
  - .args:
      - .actual_access:  read_only
        .address_space:  global
        .offset:         0
        .size:           8
        .value_kind:     global_buffer
      - .actual_access:  read_only
        .address_space:  global
        .offset:         8
        .size:           8
        .value_kind:     global_buffer
      - .actual_access:  write_only
        .address_space:  global
        .offset:         16
        .size:           8
        .value_kind:     global_buffer
      - .offset:         24
        .size:           4
        .value_kind:     by_value
      - .offset:         28
        .size:           4
        .value_kind:     by_value
      - .offset:         32
        .size:           4
        .value_kind:     by_value
      - .offset:         40
        .size:           4
        .value_kind:     hidden_block_count_x
      - .offset:         44
        .size:           4
        .value_kind:     hidden_block_count_y
      - .offset:         48
        .size:           4
        .value_kind:     hidden_block_count_z
      - .offset:         52
        .size:           2
        .value_kind:     hidden_group_size_x
      - .offset:         54
        .size:           2
        .value_kind:     hidden_group_size_y
      - .offset:         56
        .size:           2
        .value_kind:     hidden_group_size_z
      - .offset:         58
        .size:           2
        .value_kind:     hidden_remainder_x
      - .offset:         60
        .size:           2
        .value_kind:     hidden_remainder_y
      - .offset:         62
        .size:           2
        .value_kind:     hidden_remainder_z
      - .offset:         80
        .size:           8
        .value_kind:     hidden_global_offset_x
      - .offset:         88
        .size:           8
        .value_kind:     hidden_global_offset_y
      - .offset:         96
        .size:           8
        .value_kind:     hidden_global_offset_z
      - .offset:         104
        .size:           2
        .value_kind:     hidden_grid_dims
    .group_segment_fixed_size: 0
    .kernarg_segment_align: 8
    .kernarg_segment_size: 296
    .language:       OpenCL C
    .language_version:
      - 2
      - 0
    .max_flat_workgroup_size: 1024
    .name:           _ZL13mul_mat_vec_qIN3c108BFloat16ELi256ELi32E10block_q5_KLi2EXadL_ZL17vec_dot_q5_K_q8_1PKvPK10block_q8_1RKiEEEvS4_S4_PT_iii
    .private_segment_fixed_size: 0
    .sgpr_count:     14
    .sgpr_spill_count: 0
    .symbol:         _ZL13mul_mat_vec_qIN3c108BFloat16ELi256ELi32E10block_q5_KLi2EXadL_ZL17vec_dot_q5_K_q8_1PKvPK10block_q8_1RKiEEEvS4_S4_PT_iii.kd
    .uniform_work_group_size: 1
    .uses_dynamic_stack: false
    .vgpr_count:     53
    .vgpr_spill_count: 0
    .wavefront_size: 32
    .workgroup_processor_mode: 1
  - .args:
      - .actual_access:  read_only
        .address_space:  global
        .offset:         0
        .size:           8
        .value_kind:     global_buffer
      - .actual_access:  read_only
        .address_space:  global
        .offset:         8
        .size:           8
        .value_kind:     global_buffer
      - .actual_access:  write_only
        .address_space:  global
        .offset:         16
        .size:           8
        .value_kind:     global_buffer
      - .offset:         24
        .size:           4
        .value_kind:     by_value
      - .offset:         28
        .size:           4
        .value_kind:     by_value
      - .offset:         32
        .size:           4
        .value_kind:     by_value
      - .offset:         40
        .size:           4
        .value_kind:     hidden_block_count_x
      - .offset:         44
        .size:           4
        .value_kind:     hidden_block_count_y
      - .offset:         48
        .size:           4
        .value_kind:     hidden_block_count_z
      - .offset:         52
        .size:           2
        .value_kind:     hidden_group_size_x
      - .offset:         54
        .size:           2
        .value_kind:     hidden_group_size_y
      - .offset:         56
        .size:           2
        .value_kind:     hidden_group_size_z
      - .offset:         58
        .size:           2
        .value_kind:     hidden_remainder_x
      - .offset:         60
        .size:           2
        .value_kind:     hidden_remainder_y
      - .offset:         62
        .size:           2
        .value_kind:     hidden_remainder_z
      - .offset:         80
        .size:           8
        .value_kind:     hidden_global_offset_x
      - .offset:         88
        .size:           8
        .value_kind:     hidden_global_offset_y
      - .offset:         96
        .size:           8
        .value_kind:     hidden_global_offset_z
      - .offset:         104
        .size:           2
        .value_kind:     hidden_grid_dims
    .group_segment_fixed_size: 0
    .kernarg_segment_align: 8
    .kernarg_segment_size: 296
    .language:       OpenCL C
    .language_version:
      - 2
      - 0
    .max_flat_workgroup_size: 1024
    .name:           _ZL13mul_mat_vec_qIN3c108BFloat16ELi256ELi32E10block_q6_KLi1EXadL_ZL17vec_dot_q6_K_q8_1PKvPK10block_q8_1RKiEEEvS4_S4_PT_iii
    .private_segment_fixed_size: 0
    .sgpr_count:     13
    .sgpr_spill_count: 0
    .symbol:         _ZL13mul_mat_vec_qIN3c108BFloat16ELi256ELi32E10block_q6_KLi1EXadL_ZL17vec_dot_q6_K_q8_1PKvPK10block_q8_1RKiEEEvS4_S4_PT_iii.kd
    .uniform_work_group_size: 1
    .uses_dynamic_stack: false
    .vgpr_count:     34
    .vgpr_spill_count: 0
    .wavefront_size: 32
    .workgroup_processor_mode: 1
  - .args:
      - .actual_access:  read_only
        .address_space:  global
        .offset:         0
        .size:           8
        .value_kind:     global_buffer
      - .actual_access:  read_only
        .address_space:  global
        .offset:         8
        .size:           8
        .value_kind:     global_buffer
      - .actual_access:  write_only
        .address_space:  global
        .offset:         16
        .size:           8
        .value_kind:     global_buffer
      - .offset:         24
        .size:           4
        .value_kind:     by_value
      - .offset:         28
        .size:           4
        .value_kind:     by_value
      - .offset:         32
        .size:           4
        .value_kind:     by_value
      - .offset:         40
        .size:           4
        .value_kind:     hidden_block_count_x
      - .offset:         44
        .size:           4
        .value_kind:     hidden_block_count_y
      - .offset:         48
        .size:           4
        .value_kind:     hidden_block_count_z
      - .offset:         52
        .size:           2
        .value_kind:     hidden_group_size_x
      - .offset:         54
        .size:           2
        .value_kind:     hidden_group_size_y
      - .offset:         56
        .size:           2
        .value_kind:     hidden_group_size_z
      - .offset:         58
        .size:           2
        .value_kind:     hidden_remainder_x
      - .offset:         60
        .size:           2
        .value_kind:     hidden_remainder_y
      - .offset:         62
        .size:           2
        .value_kind:     hidden_remainder_z
      - .offset:         80
        .size:           8
        .value_kind:     hidden_global_offset_x
      - .offset:         88
        .size:           8
        .value_kind:     hidden_global_offset_y
      - .offset:         96
        .size:           8
        .value_kind:     hidden_global_offset_z
      - .offset:         104
        .size:           2
        .value_kind:     hidden_grid_dims
    .group_segment_fixed_size: 0
    .kernarg_segment_align: 8
    .kernarg_segment_size: 296
    .language:       OpenCL C
    .language_version:
      - 2
      - 0
    .max_flat_workgroup_size: 1024
    .name:           _ZL13mul_mat_vec_qIN3c108BFloat16ELi256ELi8E13block_iq2_xxsLi1EXadL_ZL20vec_dot_iq2_xxs_q8_1PKvPK10block_q8_1RKiEEEvS4_S4_PT_iii
    .private_segment_fixed_size: 0
    .sgpr_count:     23
    .sgpr_spill_count: 0
    .symbol:         _ZL13mul_mat_vec_qIN3c108BFloat16ELi256ELi8E13block_iq2_xxsLi1EXadL_ZL20vec_dot_iq2_xxs_q8_1PKvPK10block_q8_1RKiEEEvS4_S4_PT_iii.kd
    .uniform_work_group_size: 1
    .uses_dynamic_stack: false
    .vgpr_count:     94
    .vgpr_spill_count: 0
    .wavefront_size: 32
    .workgroup_processor_mode: 1
  - .args:
      - .actual_access:  read_only
        .address_space:  global
        .offset:         0
        .size:           8
        .value_kind:     global_buffer
      - .actual_access:  read_only
        .address_space:  global
        .offset:         8
        .size:           8
        .value_kind:     global_buffer
      - .actual_access:  write_only
        .address_space:  global
        .offset:         16
        .size:           8
        .value_kind:     global_buffer
      - .offset:         24
        .size:           4
        .value_kind:     by_value
      - .offset:         28
        .size:           4
        .value_kind:     by_value
      - .offset:         32
        .size:           4
        .value_kind:     by_value
      - .offset:         40
        .size:           4
        .value_kind:     hidden_block_count_x
      - .offset:         44
        .size:           4
        .value_kind:     hidden_block_count_y
      - .offset:         48
        .size:           4
        .value_kind:     hidden_block_count_z
      - .offset:         52
        .size:           2
        .value_kind:     hidden_group_size_x
      - .offset:         54
        .size:           2
        .value_kind:     hidden_group_size_y
      - .offset:         56
        .size:           2
        .value_kind:     hidden_group_size_z
      - .offset:         58
        .size:           2
        .value_kind:     hidden_remainder_x
      - .offset:         60
        .size:           2
        .value_kind:     hidden_remainder_y
      - .offset:         62
        .size:           2
        .value_kind:     hidden_remainder_z
      - .offset:         80
        .size:           8
        .value_kind:     hidden_global_offset_x
      - .offset:         88
        .size:           8
        .value_kind:     hidden_global_offset_y
      - .offset:         96
        .size:           8
        .value_kind:     hidden_global_offset_z
      - .offset:         104
        .size:           2
        .value_kind:     hidden_grid_dims
    .group_segment_fixed_size: 0
    .kernarg_segment_align: 8
    .kernarg_segment_size: 296
    .language:       OpenCL C
    .language_version:
      - 2
      - 0
    .max_flat_workgroup_size: 1024
    .name:           _ZL13mul_mat_vec_qIN3c108BFloat16ELi256ELi8E12block_iq2_xsLi1EXadL_ZL19vec_dot_iq2_xs_q8_1PKvPK10block_q8_1RKiEEEvS4_S4_PT_iii
    .private_segment_fixed_size: 0
    .sgpr_count:     45
    .sgpr_spill_count: 0
    .symbol:         _ZL13mul_mat_vec_qIN3c108BFloat16ELi256ELi8E12block_iq2_xsLi1EXadL_ZL19vec_dot_iq2_xs_q8_1PKvPK10block_q8_1RKiEEEvS4_S4_PT_iii.kd
    .uniform_work_group_size: 1
    .uses_dynamic_stack: false
    .vgpr_count:     94
    .vgpr_spill_count: 0
    .wavefront_size: 32
    .workgroup_processor_mode: 1
  - .args:
      - .actual_access:  read_only
        .address_space:  global
        .offset:         0
        .size:           8
        .value_kind:     global_buffer
      - .actual_access:  read_only
        .address_space:  global
        .offset:         8
        .size:           8
        .value_kind:     global_buffer
      - .actual_access:  write_only
        .address_space:  global
        .offset:         16
        .size:           8
        .value_kind:     global_buffer
      - .offset:         24
        .size:           4
        .value_kind:     by_value
      - .offset:         28
        .size:           4
        .value_kind:     by_value
      - .offset:         32
        .size:           4
        .value_kind:     by_value
      - .offset:         40
        .size:           4
        .value_kind:     hidden_block_count_x
      - .offset:         44
        .size:           4
        .value_kind:     hidden_block_count_y
      - .offset:         48
        .size:           4
        .value_kind:     hidden_block_count_z
      - .offset:         52
        .size:           2
        .value_kind:     hidden_group_size_x
      - .offset:         54
        .size:           2
        .value_kind:     hidden_group_size_y
      - .offset:         56
        .size:           2
        .value_kind:     hidden_group_size_z
      - .offset:         58
        .size:           2
        .value_kind:     hidden_remainder_x
      - .offset:         60
        .size:           2
        .value_kind:     hidden_remainder_y
      - .offset:         62
        .size:           2
        .value_kind:     hidden_remainder_z
      - .offset:         80
        .size:           8
        .value_kind:     hidden_global_offset_x
      - .offset:         88
        .size:           8
        .value_kind:     hidden_global_offset_y
      - .offset:         96
        .size:           8
        .value_kind:     hidden_global_offset_z
      - .offset:         104
        .size:           2
        .value_kind:     hidden_grid_dims
    .group_segment_fixed_size: 0
    .kernarg_segment_align: 8
    .kernarg_segment_size: 296
    .language:       OpenCL C
    .language_version:
      - 2
      - 0
    .max_flat_workgroup_size: 1024
    .name:           _ZL13mul_mat_vec_qIN3c108BFloat16ELi256ELi8E13block_iq3_xxsLi1EXadL_ZL20vec_dot_iq3_xxs_q8_1PKvPK10block_q8_1RKiEEEvS4_S4_PT_iii
    .private_segment_fixed_size: 0
    .sgpr_count:     18
    .sgpr_spill_count: 0
    .symbol:         _ZL13mul_mat_vec_qIN3c108BFloat16ELi256ELi8E13block_iq3_xxsLi1EXadL_ZL20vec_dot_iq3_xxs_q8_1PKvPK10block_q8_1RKiEEEvS4_S4_PT_iii.kd
    .uniform_work_group_size: 1
    .uses_dynamic_stack: false
    .vgpr_count:     40
    .vgpr_spill_count: 0
    .wavefront_size: 32
    .workgroup_processor_mode: 1
  - .args:
      - .actual_access:  read_only
        .address_space:  global
        .offset:         0
        .size:           8
        .value_kind:     global_buffer
      - .actual_access:  read_only
        .address_space:  global
        .offset:         8
        .size:           8
        .value_kind:     global_buffer
      - .actual_access:  write_only
        .address_space:  global
        .offset:         16
        .size:           8
        .value_kind:     global_buffer
      - .offset:         24
        .size:           4
        .value_kind:     by_value
      - .offset:         28
        .size:           4
        .value_kind:     by_value
      - .offset:         32
        .size:           4
        .value_kind:     by_value
      - .offset:         40
        .size:           4
        .value_kind:     hidden_block_count_x
      - .offset:         44
        .size:           4
        .value_kind:     hidden_block_count_y
      - .offset:         48
        .size:           4
        .value_kind:     hidden_block_count_z
      - .offset:         52
        .size:           2
        .value_kind:     hidden_group_size_x
      - .offset:         54
        .size:           2
        .value_kind:     hidden_group_size_y
      - .offset:         56
        .size:           2
        .value_kind:     hidden_group_size_z
      - .offset:         58
        .size:           2
        .value_kind:     hidden_remainder_x
      - .offset:         60
        .size:           2
        .value_kind:     hidden_remainder_y
      - .offset:         62
        .size:           2
        .value_kind:     hidden_remainder_z
      - .offset:         80
        .size:           8
        .value_kind:     hidden_global_offset_x
      - .offset:         88
        .size:           8
        .value_kind:     hidden_global_offset_y
      - .offset:         96
        .size:           8
        .value_kind:     hidden_global_offset_z
      - .offset:         104
        .size:           2
        .value_kind:     hidden_grid_dims
    .group_segment_fixed_size: 0
    .kernarg_segment_align: 8
    .kernarg_segment_size: 296
    .language:       OpenCL C
    .language_version:
      - 2
      - 0
    .max_flat_workgroup_size: 1024
    .name:           _ZL13mul_mat_vec_qIN3c108BFloat16ELi256ELi8E11block_iq1_sLi1EXadL_ZL18vec_dot_iq1_s_q8_1PKvPK10block_q8_1RKiEEEvS4_S4_PT_iii
    .private_segment_fixed_size: 0
    .sgpr_count:     13
    .sgpr_spill_count: 0
    .symbol:         _ZL13mul_mat_vec_qIN3c108BFloat16ELi256ELi8E11block_iq1_sLi1EXadL_ZL18vec_dot_iq1_s_q8_1PKvPK10block_q8_1RKiEEEvS4_S4_PT_iii.kd
    .uniform_work_group_size: 1
    .uses_dynamic_stack: false
    .vgpr_count:     77
    .vgpr_spill_count: 0
    .wavefront_size: 32
    .workgroup_processor_mode: 1
  - .args:
      - .actual_access:  read_only
        .address_space:  global
        .offset:         0
        .size:           8
        .value_kind:     global_buffer
      - .actual_access:  read_only
        .address_space:  global
        .offset:         8
        .size:           8
        .value_kind:     global_buffer
      - .actual_access:  write_only
        .address_space:  global
        .offset:         16
        .size:           8
        .value_kind:     global_buffer
      - .offset:         24
        .size:           4
        .value_kind:     by_value
      - .offset:         28
        .size:           4
        .value_kind:     by_value
      - .offset:         32
        .size:           4
        .value_kind:     by_value
      - .offset:         40
        .size:           4
        .value_kind:     hidden_block_count_x
      - .offset:         44
        .size:           4
        .value_kind:     hidden_block_count_y
      - .offset:         48
        .size:           4
        .value_kind:     hidden_block_count_z
      - .offset:         52
        .size:           2
        .value_kind:     hidden_group_size_x
      - .offset:         54
        .size:           2
        .value_kind:     hidden_group_size_y
      - .offset:         56
        .size:           2
        .value_kind:     hidden_group_size_z
      - .offset:         58
        .size:           2
        .value_kind:     hidden_remainder_x
      - .offset:         60
        .size:           2
        .value_kind:     hidden_remainder_y
      - .offset:         62
        .size:           2
        .value_kind:     hidden_remainder_z
      - .offset:         80
        .size:           8
        .value_kind:     hidden_global_offset_x
      - .offset:         88
        .size:           8
        .value_kind:     hidden_global_offset_y
      - .offset:         96
        .size:           8
        .value_kind:     hidden_global_offset_z
      - .offset:         104
        .size:           2
        .value_kind:     hidden_grid_dims
    .group_segment_fixed_size: 0
    .kernarg_segment_align: 8
    .kernarg_segment_size: 296
    .language:       OpenCL C
    .language_version:
      - 2
      - 0
    .max_flat_workgroup_size: 1024
    .name:           _ZL13mul_mat_vec_qIN3c108BFloat16ELi32ELi4E12block_iq4_nlLi2EXadL_ZL19vec_dot_iq4_nl_q8_1PKvPK10block_q8_1RKiEEEvS4_S4_PT_iii
    .private_segment_fixed_size: 0
    .sgpr_count:     16
    .sgpr_spill_count: 0
    .symbol:         _ZL13mul_mat_vec_qIN3c108BFloat16ELi32ELi4E12block_iq4_nlLi2EXadL_ZL19vec_dot_iq4_nl_q8_1PKvPK10block_q8_1RKiEEEvS4_S4_PT_iii.kd
    .uniform_work_group_size: 1
    .uses_dynamic_stack: false
    .vgpr_count:     33
    .vgpr_spill_count: 0
    .wavefront_size: 32
    .workgroup_processor_mode: 1
  - .args:
      - .actual_access:  read_only
        .address_space:  global
        .offset:         0
        .size:           8
        .value_kind:     global_buffer
      - .actual_access:  read_only
        .address_space:  global
        .offset:         8
        .size:           8
        .value_kind:     global_buffer
      - .actual_access:  write_only
        .address_space:  global
        .offset:         16
        .size:           8
        .value_kind:     global_buffer
      - .offset:         24
        .size:           4
        .value_kind:     by_value
      - .offset:         28
        .size:           4
        .value_kind:     by_value
      - .offset:         32
        .size:           4
        .value_kind:     by_value
      - .offset:         40
        .size:           4
        .value_kind:     hidden_block_count_x
      - .offset:         44
        .size:           4
        .value_kind:     hidden_block_count_y
      - .offset:         48
        .size:           4
        .value_kind:     hidden_block_count_z
      - .offset:         52
        .size:           2
        .value_kind:     hidden_group_size_x
      - .offset:         54
        .size:           2
        .value_kind:     hidden_group_size_y
      - .offset:         56
        .size:           2
        .value_kind:     hidden_group_size_z
      - .offset:         58
        .size:           2
        .value_kind:     hidden_remainder_x
      - .offset:         60
        .size:           2
        .value_kind:     hidden_remainder_y
      - .offset:         62
        .size:           2
        .value_kind:     hidden_remainder_z
      - .offset:         80
        .size:           8
        .value_kind:     hidden_global_offset_x
      - .offset:         88
        .size:           8
        .value_kind:     hidden_global_offset_y
      - .offset:         96
        .size:           8
        .value_kind:     hidden_global_offset_z
      - .offset:         104
        .size:           2
        .value_kind:     hidden_grid_dims
    .group_segment_fixed_size: 0
    .kernarg_segment_align: 8
    .kernarg_segment_size: 296
    .language:       OpenCL C
    .language_version:
      - 2
      - 0
    .max_flat_workgroup_size: 1024
    .name:           _ZL13mul_mat_vec_qIN3c108BFloat16ELi256ELi8E11block_iq3_sLi1EXadL_ZL18vec_dot_iq3_s_q8_1PKvPK10block_q8_1RKiEEEvS4_S4_PT_iii
    .private_segment_fixed_size: 0
    .sgpr_count:     15
    .sgpr_spill_count: 0
    .symbol:         _ZL13mul_mat_vec_qIN3c108BFloat16ELi256ELi8E11block_iq3_sLi1EXadL_ZL18vec_dot_iq3_s_q8_1PKvPK10block_q8_1RKiEEEvS4_S4_PT_iii.kd
    .uniform_work_group_size: 1
    .uses_dynamic_stack: false
    .vgpr_count:     47
    .vgpr_spill_count: 0
    .wavefront_size: 32
    .workgroup_processor_mode: 1
  - .args:
      - .actual_access:  read_only
        .address_space:  global
        .offset:         0
        .size:           8
        .value_kind:     global_buffer
      - .actual_access:  read_only
        .address_space:  global
        .offset:         8
        .size:           8
        .value_kind:     global_buffer
      - .actual_access:  write_only
        .address_space:  global
        .offset:         16
        .size:           8
        .value_kind:     global_buffer
      - .offset:         24
        .size:           4
        .value_kind:     by_value
      - .offset:         28
        .size:           4
        .value_kind:     by_value
      - .offset:         32
        .size:           4
        .value_kind:     by_value
      - .offset:         40
        .size:           4
        .value_kind:     hidden_block_count_x
      - .offset:         44
        .size:           4
        .value_kind:     hidden_block_count_y
      - .offset:         48
        .size:           4
        .value_kind:     hidden_block_count_z
      - .offset:         52
        .size:           2
        .value_kind:     hidden_group_size_x
      - .offset:         54
        .size:           2
        .value_kind:     hidden_group_size_y
      - .offset:         56
        .size:           2
        .value_kind:     hidden_group_size_z
      - .offset:         58
        .size:           2
        .value_kind:     hidden_remainder_x
      - .offset:         60
        .size:           2
        .value_kind:     hidden_remainder_y
      - .offset:         62
        .size:           2
        .value_kind:     hidden_remainder_z
      - .offset:         80
        .size:           8
        .value_kind:     hidden_global_offset_x
      - .offset:         88
        .size:           8
        .value_kind:     hidden_global_offset_y
      - .offset:         96
        .size:           8
        .value_kind:     hidden_global_offset_z
      - .offset:         104
        .size:           2
        .value_kind:     hidden_grid_dims
    .group_segment_fixed_size: 0
    .kernarg_segment_align: 8
    .kernarg_segment_size: 296
    .language:       OpenCL C
    .language_version:
      - 2
      - 0
    .max_flat_workgroup_size: 1024
    .name:           _ZL13mul_mat_vec_qIN3c108BFloat16ELi256ELi8E11block_iq2_sLi1EXadL_ZL18vec_dot_iq2_s_q8_1PKvPK10block_q8_1RKiEEEvS4_S4_PT_iii
    .private_segment_fixed_size: 0
    .sgpr_count:     13
    .sgpr_spill_count: 0
    .symbol:         _ZL13mul_mat_vec_qIN3c108BFloat16ELi256ELi8E11block_iq2_sLi1EXadL_ZL18vec_dot_iq2_s_q8_1PKvPK10block_q8_1RKiEEEvS4_S4_PT_iii.kd
    .uniform_work_group_size: 1
    .uses_dynamic_stack: false
    .vgpr_count:     70
    .vgpr_spill_count: 0
    .wavefront_size: 32
    .workgroup_processor_mode: 1
  - .args:
      - .actual_access:  read_only
        .address_space:  global
        .offset:         0
        .size:           8
        .value_kind:     global_buffer
      - .actual_access:  read_only
        .address_space:  global
        .offset:         8
        .size:           8
        .value_kind:     global_buffer
      - .actual_access:  write_only
        .address_space:  global
        .offset:         16
        .size:           8
        .value_kind:     global_buffer
      - .offset:         24
        .size:           4
        .value_kind:     by_value
      - .offset:         28
        .size:           4
        .value_kind:     by_value
      - .offset:         32
        .size:           4
        .value_kind:     by_value
      - .offset:         40
        .size:           4
        .value_kind:     hidden_block_count_x
      - .offset:         44
        .size:           4
        .value_kind:     hidden_block_count_y
      - .offset:         48
        .size:           4
        .value_kind:     hidden_block_count_z
      - .offset:         52
        .size:           2
        .value_kind:     hidden_group_size_x
      - .offset:         54
        .size:           2
        .value_kind:     hidden_group_size_y
      - .offset:         56
        .size:           2
        .value_kind:     hidden_group_size_z
      - .offset:         58
        .size:           2
        .value_kind:     hidden_remainder_x
      - .offset:         60
        .size:           2
        .value_kind:     hidden_remainder_y
      - .offset:         62
        .size:           2
        .value_kind:     hidden_remainder_z
      - .offset:         80
        .size:           8
        .value_kind:     hidden_global_offset_x
      - .offset:         88
        .size:           8
        .value_kind:     hidden_global_offset_y
      - .offset:         96
        .size:           8
        .value_kind:     hidden_global_offset_z
      - .offset:         104
        .size:           2
        .value_kind:     hidden_grid_dims
    .group_segment_fixed_size: 0
    .kernarg_segment_align: 8
    .kernarg_segment_size: 296
    .language:       OpenCL C
    .language_version:
      - 2
      - 0
    .max_flat_workgroup_size: 1024
    .name:           _ZL13mul_mat_vec_qIN3c108BFloat16ELi256ELi8E12block_iq4_xsLi1EXadL_ZL19vec_dot_iq4_xs_q8_1PKvPK10block_q8_1RKiEEEvS4_S4_PT_iii
    .private_segment_fixed_size: 0
    .sgpr_count:     13
    .sgpr_spill_count: 0
    .symbol:         _ZL13mul_mat_vec_qIN3c108BFloat16ELi256ELi8E12block_iq4_xsLi1EXadL_ZL19vec_dot_iq4_xs_q8_1PKvPK10block_q8_1RKiEEEvS4_S4_PT_iii.kd
    .uniform_work_group_size: 1
    .uses_dynamic_stack: false
    .vgpr_count:     56
    .vgpr_spill_count: 0
    .wavefront_size: 32
    .workgroup_processor_mode: 1
  - .args:
      - .actual_access:  read_only
        .address_space:  global
        .offset:         0
        .size:           8
        .value_kind:     global_buffer
      - .actual_access:  read_only
        .address_space:  global
        .offset:         8
        .size:           8
        .value_kind:     global_buffer
      - .actual_access:  write_only
        .address_space:  global
        .offset:         16
        .size:           8
        .value_kind:     global_buffer
      - .offset:         24
        .size:           4
        .value_kind:     by_value
      - .offset:         28
        .size:           4
        .value_kind:     by_value
      - .offset:         32
        .size:           4
        .value_kind:     by_value
      - .offset:         40
        .size:           4
        .value_kind:     hidden_block_count_x
      - .offset:         44
        .size:           4
        .value_kind:     hidden_block_count_y
      - .offset:         48
        .size:           4
        .value_kind:     hidden_block_count_z
      - .offset:         52
        .size:           2
        .value_kind:     hidden_group_size_x
      - .offset:         54
        .size:           2
        .value_kind:     hidden_group_size_y
      - .offset:         56
        .size:           2
        .value_kind:     hidden_group_size_z
      - .offset:         58
        .size:           2
        .value_kind:     hidden_remainder_x
      - .offset:         60
        .size:           2
        .value_kind:     hidden_remainder_y
      - .offset:         62
        .size:           2
        .value_kind:     hidden_remainder_z
      - .offset:         80
        .size:           8
        .value_kind:     hidden_global_offset_x
      - .offset:         88
        .size:           8
        .value_kind:     hidden_global_offset_y
      - .offset:         96
        .size:           8
        .value_kind:     hidden_global_offset_z
      - .offset:         104
        .size:           2
        .value_kind:     hidden_grid_dims
    .group_segment_fixed_size: 0
    .kernarg_segment_align: 8
    .kernarg_segment_size: 296
    .language:       OpenCL C
    .language_version:
      - 2
      - 0
    .max_flat_workgroup_size: 1024
    .name:           _ZL13mul_mat_vec_qIN3c108BFloat16ELi256ELi8E11block_iq1_mLi1EXadL_ZL18vec_dot_iq1_m_q8_1PKvPK10block_q8_1RKiEEEvS4_S4_PT_iii
    .private_segment_fixed_size: 0
    .sgpr_count:     13
    .sgpr_spill_count: 0
    .symbol:         _ZL13mul_mat_vec_qIN3c108BFloat16ELi256ELi8E11block_iq1_mLi1EXadL_ZL18vec_dot_iq1_m_q8_1PKvPK10block_q8_1RKiEEEvS4_S4_PT_iii.kd
    .uniform_work_group_size: 1
    .uses_dynamic_stack: false
    .vgpr_count:     83
    .vgpr_spill_count: 0
    .wavefront_size: 32
    .workgroup_processor_mode: 1
  - .args:
      - .actual_access:  read_only
        .address_space:  global
        .offset:         0
        .size:           8
        .value_kind:     global_buffer
      - .actual_access:  read_only
        .address_space:  global
        .offset:         8
        .size:           8
        .value_kind:     global_buffer
      - .actual_access:  write_only
        .address_space:  global
        .offset:         16
        .size:           8
        .value_kind:     global_buffer
      - .offset:         24
        .size:           4
        .value_kind:     by_value
      - .offset:         28
        .size:           4
        .value_kind:     by_value
      - .offset:         32
        .size:           4
        .value_kind:     by_value
      - .offset:         36
        .size:           4
        .value_kind:     by_value
      - .offset:         40
        .size:           4
        .value_kind:     by_value
    .group_segment_fixed_size: 30336
    .kernarg_segment_align: 8
    .kernarg_segment_size: 44
    .language:       OpenCL C
    .language_version:
      - 2
      - 0
    .max_flat_workgroup_size: 256
    .name:           _ZL12mul_mat_q4_0IfLb0EEvPKvS1_PT_iiiii
    .private_segment_fixed_size: 104
    .sgpr_count:     19
    .sgpr_spill_count: 0
    .symbol:         _ZL12mul_mat_q4_0IfLb0EEvPKvS1_PT_iiiii.kd
    .uniform_work_group_size: 1
    .uses_dynamic_stack: false
    .vgpr_count:     256
    .vgpr_spill_count: 25
    .wavefront_size: 32
    .workgroup_processor_mode: 1
  - .args:
      - .actual_access:  read_only
        .address_space:  global
        .offset:         0
        .size:           8
        .value_kind:     global_buffer
      - .actual_access:  read_only
        .address_space:  global
        .offset:         8
        .size:           8
        .value_kind:     global_buffer
      - .actual_access:  write_only
        .address_space:  global
        .offset:         16
        .size:           8
        .value_kind:     global_buffer
      - .offset:         24
        .size:           4
        .value_kind:     by_value
      - .offset:         28
        .size:           4
        .value_kind:     by_value
      - .offset:         32
        .size:           4
        .value_kind:     by_value
      - .offset:         36
        .size:           4
        .value_kind:     by_value
      - .offset:         40
        .size:           4
        .value_kind:     by_value
    .group_segment_fixed_size: 30336
    .kernarg_segment_align: 8
    .kernarg_segment_size: 44
    .language:       OpenCL C
    .language_version:
      - 2
      - 0
    .max_flat_workgroup_size: 256
    .name:           _ZL12mul_mat_q4_0IfLb1EEvPKvS1_PT_iiiii
    .private_segment_fixed_size: 232
    .sgpr_count:     19
    .sgpr_spill_count: 0
    .symbol:         _ZL12mul_mat_q4_0IfLb1EEvPKvS1_PT_iiiii.kd
    .uniform_work_group_size: 1
    .uses_dynamic_stack: false
    .vgpr_count:     256
    .vgpr_spill_count: 57
    .wavefront_size: 32
    .workgroup_processor_mode: 1
  - .args:
      - .actual_access:  read_only
        .address_space:  global
        .offset:         0
        .size:           8
        .value_kind:     global_buffer
      - .actual_access:  read_only
        .address_space:  global
        .offset:         8
        .size:           8
        .value_kind:     global_buffer
      - .actual_access:  write_only
        .address_space:  global
        .offset:         16
        .size:           8
        .value_kind:     global_buffer
      - .offset:         24
        .size:           4
        .value_kind:     by_value
      - .offset:         28
        .size:           4
        .value_kind:     by_value
      - .offset:         32
        .size:           4
        .value_kind:     by_value
      - .offset:         36
        .size:           4
        .value_kind:     by_value
      - .offset:         40
        .size:           4
        .value_kind:     by_value
    .group_segment_fixed_size: 30336
    .kernarg_segment_align: 8
    .kernarg_segment_size: 44
    .language:       OpenCL C
    .language_version:
      - 2
      - 0
    .max_flat_workgroup_size: 256
    .name:           _ZL12mul_mat_q4_1IfLb0EEvPKvS1_PT_iiiii
    .private_segment_fixed_size: 508
    .sgpr_count:     19
    .sgpr_spill_count: 0
    .symbol:         _ZL12mul_mat_q4_1IfLb0EEvPKvS1_PT_iiiii.kd
    .uniform_work_group_size: 1
    .uses_dynamic_stack: false
    .vgpr_count:     256
    .vgpr_spill_count: 188
    .wavefront_size: 32
    .workgroup_processor_mode: 1
  - .args:
      - .actual_access:  read_only
        .address_space:  global
        .offset:         0
        .size:           8
        .value_kind:     global_buffer
      - .actual_access:  read_only
        .address_space:  global
        .offset:         8
        .size:           8
        .value_kind:     global_buffer
      - .actual_access:  write_only
        .address_space:  global
        .offset:         16
        .size:           8
        .value_kind:     global_buffer
      - .offset:         24
        .size:           4
        .value_kind:     by_value
      - .offset:         28
        .size:           4
        .value_kind:     by_value
      - .offset:         32
        .size:           4
        .value_kind:     by_value
      - .offset:         36
        .size:           4
        .value_kind:     by_value
      - .offset:         40
        .size:           4
        .value_kind:     by_value
    .group_segment_fixed_size: 30336
    .kernarg_segment_align: 8
    .kernarg_segment_size: 44
    .language:       OpenCL C
    .language_version:
      - 2
      - 0
    .max_flat_workgroup_size: 256
    .name:           _ZL12mul_mat_q4_1IfLb1EEvPKvS1_PT_iiiii
    .private_segment_fixed_size: 596
    .sgpr_count:     19
    .sgpr_spill_count: 0
    .symbol:         _ZL12mul_mat_q4_1IfLb1EEvPKvS1_PT_iiiii.kd
    .uniform_work_group_size: 1
    .uses_dynamic_stack: false
    .vgpr_count:     256
    .vgpr_spill_count: 200
    .wavefront_size: 32
    .workgroup_processor_mode: 1
  - .args:
      - .actual_access:  read_only
        .address_space:  global
        .offset:         0
        .size:           8
        .value_kind:     global_buffer
      - .actual_access:  read_only
        .address_space:  global
        .offset:         8
        .size:           8
        .value_kind:     global_buffer
      - .actual_access:  write_only
        .address_space:  global
        .offset:         16
        .size:           8
        .value_kind:     global_buffer
      - .offset:         24
        .size:           4
        .value_kind:     by_value
      - .offset:         28
        .size:           4
        .value_kind:     by_value
      - .offset:         32
        .size:           4
        .value_kind:     by_value
      - .offset:         36
        .size:           4
        .value_kind:     by_value
      - .offset:         40
        .size:           4
        .value_kind:     by_value
    .group_segment_fixed_size: 46720
    .kernarg_segment_align: 8
    .kernarg_segment_size: 44
    .language:       OpenCL C
    .language_version:
      - 2
      - 0
    .max_flat_workgroup_size: 256
    .name:           _ZL12mul_mat_q5_0IfLb0EEvPKvS1_PT_iiiii
    .private_segment_fixed_size: 80
    .sgpr_count:     19
    .sgpr_spill_count: 0
    .symbol:         _ZL12mul_mat_q5_0IfLb0EEvPKvS1_PT_iiiii.kd
    .uniform_work_group_size: 1
    .uses_dynamic_stack: false
    .vgpr_count:     256
    .vgpr_spill_count: 19
    .wavefront_size: 32
    .workgroup_processor_mode: 1
  - .args:
      - .actual_access:  read_only
        .address_space:  global
        .offset:         0
        .size:           8
        .value_kind:     global_buffer
      - .actual_access:  read_only
        .address_space:  global
        .offset:         8
        .size:           8
        .value_kind:     global_buffer
      - .actual_access:  write_only
        .address_space:  global
        .offset:         16
        .size:           8
        .value_kind:     global_buffer
      - .offset:         24
        .size:           4
        .value_kind:     by_value
      - .offset:         28
        .size:           4
        .value_kind:     by_value
      - .offset:         32
        .size:           4
        .value_kind:     by_value
      - .offset:         36
        .size:           4
        .value_kind:     by_value
      - .offset:         40
        .size:           4
        .value_kind:     by_value
    .group_segment_fixed_size: 46720
    .kernarg_segment_align: 8
    .kernarg_segment_size: 44
    .language:       OpenCL C
    .language_version:
      - 2
      - 0
    .max_flat_workgroup_size: 256
    .name:           _ZL12mul_mat_q5_0IfLb1EEvPKvS1_PT_iiiii
    .private_segment_fixed_size: 132
    .sgpr_count:     19
    .sgpr_spill_count: 0
    .symbol:         _ZL12mul_mat_q5_0IfLb1EEvPKvS1_PT_iiiii.kd
    .uniform_work_group_size: 1
    .uses_dynamic_stack: false
    .vgpr_count:     256
    .vgpr_spill_count: 32
    .wavefront_size: 32
    .workgroup_processor_mode: 1
  - .args:
      - .actual_access:  read_only
        .address_space:  global
        .offset:         0
        .size:           8
        .value_kind:     global_buffer
      - .actual_access:  read_only
        .address_space:  global
        .offset:         8
        .size:           8
        .value_kind:     global_buffer
      - .actual_access:  write_only
        .address_space:  global
        .offset:         16
        .size:           8
        .value_kind:     global_buffer
      - .offset:         24
        .size:           4
        .value_kind:     by_value
      - .offset:         28
        .size:           4
        .value_kind:     by_value
      - .offset:         32
        .size:           4
        .value_kind:     by_value
      - .offset:         36
        .size:           4
        .value_kind:     by_value
      - .offset:         40
        .size:           4
        .value_kind:     by_value
    .group_segment_fixed_size: 46720
    .kernarg_segment_align: 8
    .kernarg_segment_size: 44
    .language:       OpenCL C
    .language_version:
      - 2
      - 0
    .max_flat_workgroup_size: 256
    .name:           _ZL12mul_mat_q5_1IfLb0EEvPKvS1_PT_iiiii
    .private_segment_fixed_size: 80
    .sgpr_count:     19
    .sgpr_spill_count: 0
    .symbol:         _ZL12mul_mat_q5_1IfLb0EEvPKvS1_PT_iiiii.kd
    .uniform_work_group_size: 1
    .uses_dynamic_stack: false
    .vgpr_count:     256
    .vgpr_spill_count: 19
    .wavefront_size: 32
    .workgroup_processor_mode: 1
  - .args:
      - .actual_access:  read_only
        .address_space:  global
        .offset:         0
        .size:           8
        .value_kind:     global_buffer
      - .actual_access:  read_only
        .address_space:  global
        .offset:         8
        .size:           8
        .value_kind:     global_buffer
      - .actual_access:  write_only
        .address_space:  global
        .offset:         16
        .size:           8
        .value_kind:     global_buffer
      - .offset:         24
        .size:           4
        .value_kind:     by_value
      - .offset:         28
        .size:           4
        .value_kind:     by_value
      - .offset:         32
        .size:           4
        .value_kind:     by_value
      - .offset:         36
        .size:           4
        .value_kind:     by_value
      - .offset:         40
        .size:           4
        .value_kind:     by_value
    .group_segment_fixed_size: 46720
    .kernarg_segment_align: 8
    .kernarg_segment_size: 44
    .language:       OpenCL C
    .language_version:
      - 2
      - 0
    .max_flat_workgroup_size: 256
    .name:           _ZL12mul_mat_q5_1IfLb1EEvPKvS1_PT_iiiii
    .private_segment_fixed_size: 124
    .sgpr_count:     19
    .sgpr_spill_count: 0
    .symbol:         _ZL12mul_mat_q5_1IfLb1EEvPKvS1_PT_iiiii.kd
    .uniform_work_group_size: 1
    .uses_dynamic_stack: false
    .vgpr_count:     256
    .vgpr_spill_count: 30
    .wavefront_size: 32
    .workgroup_processor_mode: 1
  - .args:
      - .actual_access:  read_only
        .address_space:  global
        .offset:         0
        .size:           8
        .value_kind:     global_buffer
      - .actual_access:  read_only
        .address_space:  global
        .offset:         8
        .size:           8
        .value_kind:     global_buffer
      - .actual_access:  write_only
        .address_space:  global
        .offset:         16
        .size:           8
        .value_kind:     global_buffer
      - .offset:         24
        .size:           4
        .value_kind:     by_value
      - .offset:         28
        .size:           4
        .value_kind:     by_value
      - .offset:         32
        .size:           4
        .value_kind:     by_value
      - .offset:         36
        .size:           4
        .value_kind:     by_value
      - .offset:         40
        .size:           4
        .value_kind:     by_value
    .group_segment_fixed_size: 28224
    .kernarg_segment_align: 8
    .kernarg_segment_size: 44
    .language:       OpenCL C
    .language_version:
      - 2
      - 0
    .max_flat_workgroup_size: 256
    .name:           _ZL12mul_mat_q8_0IfLb0EEvPKvS1_PT_iiiii
    .private_segment_fixed_size: 0
    .sgpr_count:     23
    .sgpr_spill_count: 0
    .symbol:         _ZL12mul_mat_q8_0IfLb0EEvPKvS1_PT_iiiii.kd
    .uniform_work_group_size: 1
    .uses_dynamic_stack: false
    .vgpr_count:     174
    .vgpr_spill_count: 0
    .wavefront_size: 32
    .workgroup_processor_mode: 1
  - .args:
      - .actual_access:  read_only
        .address_space:  global
        .offset:         0
        .size:           8
        .value_kind:     global_buffer
      - .actual_access:  read_only
        .address_space:  global
        .offset:         8
        .size:           8
        .value_kind:     global_buffer
      - .actual_access:  write_only
        .address_space:  global
        .offset:         16
        .size:           8
        .value_kind:     global_buffer
      - .offset:         24
        .size:           4
        .value_kind:     by_value
      - .offset:         28
        .size:           4
        .value_kind:     by_value
      - .offset:         32
        .size:           4
        .value_kind:     by_value
      - .offset:         36
        .size:           4
        .value_kind:     by_value
      - .offset:         40
        .size:           4
        .value_kind:     by_value
    .group_segment_fixed_size: 28224
    .kernarg_segment_align: 8
    .kernarg_segment_size: 44
    .language:       OpenCL C
    .language_version:
      - 2
      - 0
    .max_flat_workgroup_size: 256
    .name:           _ZL12mul_mat_q8_0IfLb1EEvPKvS1_PT_iiiii
    .private_segment_fixed_size: 0
    .sgpr_count:     20
    .sgpr_spill_count: 0
    .symbol:         _ZL12mul_mat_q8_0IfLb1EEvPKvS1_PT_iiiii.kd
    .uniform_work_group_size: 1
    .uses_dynamic_stack: false
    .vgpr_count:     174
    .vgpr_spill_count: 0
    .wavefront_size: 32
    .workgroup_processor_mode: 1
  - .args:
      - .actual_access:  read_only
        .address_space:  global
        .offset:         0
        .size:           8
        .value_kind:     global_buffer
      - .actual_access:  read_only
        .address_space:  global
        .offset:         8
        .size:           8
        .value_kind:     global_buffer
      - .actual_access:  write_only
        .address_space:  global
        .offset:         16
        .size:           8
        .value_kind:     global_buffer
      - .offset:         24
        .size:           4
        .value_kind:     by_value
      - .offset:         28
        .size:           4
        .value_kind:     by_value
      - .offset:         32
        .size:           4
        .value_kind:     by_value
      - .offset:         36
        .size:           4
        .value_kind:     by_value
      - .offset:         40
        .size:           4
        .value_kind:     by_value
    .group_segment_fixed_size: 31392
    .kernarg_segment_align: 8
    .kernarg_segment_size: 44
    .language:       OpenCL C
    .language_version:
      - 2
      - 0
    .max_flat_workgroup_size: 256
    .name:           _ZL12mul_mat_q2_KIfLb0EEvPKvS1_PT_iiiii
    .private_segment_fixed_size: 356
    .sgpr_count:     24
    .sgpr_spill_count: 0
    .symbol:         _ZL12mul_mat_q2_KIfLb0EEvPKvS1_PT_iiiii.kd
    .uniform_work_group_size: 1
    .uses_dynamic_stack: false
    .vgpr_count:     256
    .vgpr_spill_count: 98
    .wavefront_size: 32
    .workgroup_processor_mode: 1
  - .args:
      - .actual_access:  read_only
        .address_space:  global
        .offset:         0
        .size:           8
        .value_kind:     global_buffer
      - .actual_access:  read_only
        .address_space:  global
        .offset:         8
        .size:           8
        .value_kind:     global_buffer
      - .actual_access:  write_only
        .address_space:  global
        .offset:         16
        .size:           8
        .value_kind:     global_buffer
      - .offset:         24
        .size:           4
        .value_kind:     by_value
      - .offset:         28
        .size:           4
        .value_kind:     by_value
      - .offset:         32
        .size:           4
        .value_kind:     by_value
      - .offset:         36
        .size:           4
        .value_kind:     by_value
      - .offset:         40
        .size:           4
        .value_kind:     by_value
    .group_segment_fixed_size: 31392
    .kernarg_segment_align: 8
    .kernarg_segment_size: 44
    .language:       OpenCL C
    .language_version:
      - 2
      - 0
    .max_flat_workgroup_size: 256
    .name:           _ZL12mul_mat_q2_KIfLb1EEvPKvS1_PT_iiiii
    .private_segment_fixed_size: 492
    .sgpr_count:     24
    .sgpr_spill_count: 0
    .symbol:         _ZL12mul_mat_q2_KIfLb1EEvPKvS1_PT_iiiii.kd
    .uniform_work_group_size: 1
    .uses_dynamic_stack: false
    .vgpr_count:     256
    .vgpr_spill_count: 129
    .wavefront_size: 32
    .workgroup_processor_mode: 1
  - .args:
      - .actual_access:  read_only
        .address_space:  global
        .offset:         0
        .size:           8
        .value_kind:     global_buffer
      - .actual_access:  read_only
        .address_space:  global
        .offset:         8
        .size:           8
        .value_kind:     global_buffer
      - .actual_access:  write_only
        .address_space:  global
        .offset:         16
        .size:           8
        .value_kind:     global_buffer
      - .offset:         24
        .size:           4
        .value_kind:     by_value
      - .offset:         28
        .size:           4
        .value_kind:     by_value
      - .offset:         32
        .size:           4
        .value_kind:     by_value
      - .offset:         36
        .size:           4
        .value_kind:     by_value
      - .offset:         40
        .size:           4
        .value_kind:     by_value
    .group_segment_fixed_size: 39840
    .kernarg_segment_align: 8
    .kernarg_segment_size: 44
    .language:       OpenCL C
    .language_version:
      - 2
      - 0
    .max_flat_workgroup_size: 256
    .name:           _ZL12mul_mat_q3_KIfLb0EEvPKvS1_PT_iiiii
    .private_segment_fixed_size: 256
    .sgpr_count:     27
    .sgpr_spill_count: 0
    .symbol:         _ZL12mul_mat_q3_KIfLb0EEvPKvS1_PT_iiiii.kd
    .uniform_work_group_size: 1
    .uses_dynamic_stack: false
    .vgpr_count:     256
    .vgpr_spill_count: 63
    .wavefront_size: 32
    .workgroup_processor_mode: 1
  - .args:
      - .actual_access:  read_only
        .address_space:  global
        .offset:         0
        .size:           8
        .value_kind:     global_buffer
      - .actual_access:  read_only
        .address_space:  global
        .offset:         8
        .size:           8
        .value_kind:     global_buffer
      - .actual_access:  write_only
        .address_space:  global
        .offset:         16
        .size:           8
        .value_kind:     global_buffer
      - .offset:         24
        .size:           4
        .value_kind:     by_value
      - .offset:         28
        .size:           4
        .value_kind:     by_value
      - .offset:         32
        .size:           4
        .value_kind:     by_value
      - .offset:         36
        .size:           4
        .value_kind:     by_value
      - .offset:         40
        .size:           4
        .value_kind:     by_value
    .group_segment_fixed_size: 39840
    .kernarg_segment_align: 8
    .kernarg_segment_size: 44
    .language:       OpenCL C
    .language_version:
      - 2
      - 0
    .max_flat_workgroup_size: 256
    .name:           _ZL12mul_mat_q3_KIfLb1EEvPKvS1_PT_iiiii
    .private_segment_fixed_size: 384
    .sgpr_count:     27
    .sgpr_spill_count: 0
    .symbol:         _ZL12mul_mat_q3_KIfLb1EEvPKvS1_PT_iiiii.kd
    .uniform_work_group_size: 1
    .uses_dynamic_stack: false
    .vgpr_count:     256
    .vgpr_spill_count: 95
    .wavefront_size: 32
    .workgroup_processor_mode: 1
  - .args:
      - .actual_access:  read_only
        .address_space:  global
        .offset:         0
        .size:           8
        .value_kind:     global_buffer
      - .actual_access:  read_only
        .address_space:  global
        .offset:         8
        .size:           8
        .value_kind:     global_buffer
      - .actual_access:  write_only
        .address_space:  global
        .offset:         16
        .size:           8
        .value_kind:     global_buffer
      - .offset:         24
        .size:           4
        .value_kind:     by_value
      - .offset:         28
        .size:           4
        .value_kind:     by_value
      - .offset:         32
        .size:           4
        .value_kind:     by_value
      - .offset:         36
        .size:           4
        .value_kind:     by_value
      - .offset:         40
        .size:           4
        .value_kind:     by_value
    .group_segment_fixed_size: 28752
    .kernarg_segment_align: 8
    .kernarg_segment_size: 44
    .language:       OpenCL C
    .language_version:
      - 2
      - 0
    .max_flat_workgroup_size: 256
    .name:           _ZL12mul_mat_q4_KIfLb0EEvPKvS1_PT_iiiii
    .private_segment_fixed_size: 1568
    .sgpr_count:     23
    .sgpr_spill_count: 0
    .symbol:         _ZL12mul_mat_q4_KIfLb0EEvPKvS1_PT_iiiii.kd
    .uniform_work_group_size: 1
    .uses_dynamic_stack: false
    .vgpr_count:     256
    .vgpr_spill_count: 731
    .wavefront_size: 32
    .workgroup_processor_mode: 1
  - .args:
      - .actual_access:  read_only
        .address_space:  global
        .offset:         0
        .size:           8
        .value_kind:     global_buffer
      - .actual_access:  read_only
        .address_space:  global
        .offset:         8
        .size:           8
        .value_kind:     global_buffer
      - .actual_access:  write_only
        .address_space:  global
        .offset:         16
        .size:           8
        .value_kind:     global_buffer
      - .offset:         24
        .size:           4
        .value_kind:     by_value
      - .offset:         28
        .size:           4
        .value_kind:     by_value
      - .offset:         32
        .size:           4
        .value_kind:     by_value
      - .offset:         36
        .size:           4
        .value_kind:     by_value
      - .offset:         40
        .size:           4
        .value_kind:     by_value
    .group_segment_fixed_size: 28752
    .kernarg_segment_align: 8
    .kernarg_segment_size: 44
    .language:       OpenCL C
    .language_version:
      - 2
      - 0
    .max_flat_workgroup_size: 256
    .name:           _ZL12mul_mat_q4_KIfLb1EEvPKvS1_PT_iiiii
    .private_segment_fixed_size: 1696
    .sgpr_count:     20
    .sgpr_spill_count: 0
    .symbol:         _ZL12mul_mat_q4_KIfLb1EEvPKvS1_PT_iiiii.kd
    .uniform_work_group_size: 1
    .uses_dynamic_stack: false
    .vgpr_count:     256
    .vgpr_spill_count: 762
    .wavefront_size: 32
    .workgroup_processor_mode: 1
  - .args:
      - .actual_access:  read_only
        .address_space:  global
        .offset:         0
        .size:           8
        .value_kind:     global_buffer
      - .actual_access:  read_only
        .address_space:  global
        .offset:         8
        .size:           8
        .value_kind:     global_buffer
      - .actual_access:  write_only
        .address_space:  global
        .offset:         16
        .size:           8
        .value_kind:     global_buffer
      - .offset:         24
        .size:           4
        .value_kind:     by_value
      - .offset:         28
        .size:           4
        .value_kind:     by_value
      - .offset:         32
        .size:           4
        .value_kind:     by_value
      - .offset:         36
        .size:           4
        .value_kind:     by_value
      - .offset:         40
        .size:           4
        .value_kind:     by_value
    .group_segment_fixed_size: 45136
    .kernarg_segment_align: 8
    .kernarg_segment_size: 44
    .language:       OpenCL C
    .language_version:
      - 2
      - 0
    .max_flat_workgroup_size: 256
    .name:           _ZL12mul_mat_q5_KIfLb0EEvPKvS1_PT_iiiii
    .private_segment_fixed_size: 216
    .sgpr_count:     21
    .sgpr_spill_count: 0
    .symbol:         _ZL12mul_mat_q5_KIfLb0EEvPKvS1_PT_iiiii.kd
    .uniform_work_group_size: 1
    .uses_dynamic_stack: false
    .vgpr_count:     256
    .vgpr_spill_count: 53
    .wavefront_size: 32
    .workgroup_processor_mode: 1
  - .args:
      - .actual_access:  read_only
        .address_space:  global
        .offset:         0
        .size:           8
        .value_kind:     global_buffer
      - .actual_access:  read_only
        .address_space:  global
        .offset:         8
        .size:           8
        .value_kind:     global_buffer
      - .actual_access:  write_only
        .address_space:  global
        .offset:         16
        .size:           8
        .value_kind:     global_buffer
      - .offset:         24
        .size:           4
        .value_kind:     by_value
      - .offset:         28
        .size:           4
        .value_kind:     by_value
      - .offset:         32
        .size:           4
        .value_kind:     by_value
      - .offset:         36
        .size:           4
        .value_kind:     by_value
      - .offset:         40
        .size:           4
        .value_kind:     by_value
    .group_segment_fixed_size: 45136
    .kernarg_segment_align: 8
    .kernarg_segment_size: 44
    .language:       OpenCL C
    .language_version:
      - 2
      - 0
    .max_flat_workgroup_size: 256
    .name:           _ZL12mul_mat_q5_KIfLb1EEvPKvS1_PT_iiiii
    .private_segment_fixed_size: 240
    .sgpr_count:     20
    .sgpr_spill_count: 0
    .symbol:         _ZL12mul_mat_q5_KIfLb1EEvPKvS1_PT_iiiii.kd
    .uniform_work_group_size: 1
    .uses_dynamic_stack: false
    .vgpr_count:     256
    .vgpr_spill_count: 59
    .wavefront_size: 32
    .workgroup_processor_mode: 1
  - .args:
      - .actual_access:  read_only
        .address_space:  global
        .offset:         0
        .size:           8
        .value_kind:     global_buffer
      - .actual_access:  read_only
        .address_space:  global
        .offset:         8
        .size:           8
        .value_kind:     global_buffer
      - .actual_access:  write_only
        .address_space:  global
        .offset:         16
        .size:           8
        .value_kind:     global_buffer
      - .offset:         24
        .size:           4
        .value_kind:     by_value
      - .offset:         28
        .size:           4
        .value_kind:     by_value
      - .offset:         32
        .size:           4
        .value_kind:     by_value
      - .offset:         36
        .size:           4
        .value_kind:     by_value
      - .offset:         40
        .size:           4
        .value_kind:     by_value
    .group_segment_fixed_size: 45136
    .kernarg_segment_align: 8
    .kernarg_segment_size: 44
    .language:       OpenCL C
    .language_version:
      - 2
      - 0
    .max_flat_workgroup_size: 256
    .name:           _ZL12mul_mat_q6_KIfLb0EEvPKvS1_PT_iiiii
    .private_segment_fixed_size: 12
    .sgpr_count:     20
    .sgpr_spill_count: 0
    .symbol:         _ZL12mul_mat_q6_KIfLb0EEvPKvS1_PT_iiiii.kd
    .uniform_work_group_size: 1
    .uses_dynamic_stack: false
    .vgpr_count:     256
    .vgpr_spill_count: 2
    .wavefront_size: 32
    .workgroup_processor_mode: 1
  - .args:
      - .actual_access:  read_only
        .address_space:  global
        .offset:         0
        .size:           8
        .value_kind:     global_buffer
      - .actual_access:  read_only
        .address_space:  global
        .offset:         8
        .size:           8
        .value_kind:     global_buffer
      - .actual_access:  write_only
        .address_space:  global
        .offset:         16
        .size:           8
        .value_kind:     global_buffer
      - .offset:         24
        .size:           4
        .value_kind:     by_value
      - .offset:         28
        .size:           4
        .value_kind:     by_value
      - .offset:         32
        .size:           4
        .value_kind:     by_value
      - .offset:         36
        .size:           4
        .value_kind:     by_value
      - .offset:         40
        .size:           4
        .value_kind:     by_value
    .group_segment_fixed_size: 45136
    .kernarg_segment_align: 8
    .kernarg_segment_size: 44
    .language:       OpenCL C
    .language_version:
      - 2
      - 0
    .max_flat_workgroup_size: 256
    .name:           _ZL12mul_mat_q6_KIfLb1EEvPKvS1_PT_iiiii
    .private_segment_fixed_size: 24
    .sgpr_count:     20
    .sgpr_spill_count: 0
    .symbol:         _ZL12mul_mat_q6_KIfLb1EEvPKvS1_PT_iiiii.kd
    .uniform_work_group_size: 1
    .uses_dynamic_stack: false
    .vgpr_count:     256
    .vgpr_spill_count: 5
    .wavefront_size: 32
    .workgroup_processor_mode: 1
  - .args:
      - .actual_access:  read_only
        .address_space:  global
        .offset:         0
        .size:           8
        .value_kind:     global_buffer
      - .actual_access:  read_only
        .address_space:  global
        .offset:         8
        .size:           8
        .value_kind:     global_buffer
      - .actual_access:  write_only
        .address_space:  global
        .offset:         16
        .size:           8
        .value_kind:     global_buffer
      - .offset:         24
        .size:           4
        .value_kind:     by_value
      - .offset:         28
        .size:           4
        .value_kind:     by_value
      - .offset:         32
        .size:           4
        .value_kind:     by_value
      - .offset:         36
        .size:           4
        .value_kind:     by_value
      - .offset:         40
        .size:           4
        .value_kind:     by_value
    .group_segment_fixed_size: 30336
    .kernarg_segment_align: 8
    .kernarg_segment_size: 44
    .language:       OpenCL C
    .language_version:
      - 2
      - 0
    .max_flat_workgroup_size: 256
    .name:           _ZL12mul_mat_q4_0IN3c104HalfELb0EEvPKvS3_PT_iiiii
    .private_segment_fixed_size: 116
    .sgpr_count:     20
    .sgpr_spill_count: 0
    .symbol:         _ZL12mul_mat_q4_0IN3c104HalfELb0EEvPKvS3_PT_iiiii.kd
    .uniform_work_group_size: 1
    .uses_dynamic_stack: false
    .vgpr_count:     256
    .vgpr_spill_count: 28
    .wavefront_size: 32
    .workgroup_processor_mode: 1
  - .args:
      - .actual_access:  read_only
        .address_space:  global
        .offset:         0
        .size:           8
        .value_kind:     global_buffer
      - .actual_access:  read_only
        .address_space:  global
        .offset:         8
        .size:           8
        .value_kind:     global_buffer
      - .actual_access:  write_only
        .address_space:  global
        .offset:         16
        .size:           8
        .value_kind:     global_buffer
      - .offset:         24
        .size:           4
        .value_kind:     by_value
      - .offset:         28
        .size:           4
        .value_kind:     by_value
      - .offset:         32
        .size:           4
        .value_kind:     by_value
      - .offset:         36
        .size:           4
        .value_kind:     by_value
      - .offset:         40
        .size:           4
        .value_kind:     by_value
    .group_segment_fixed_size: 30336
    .kernarg_segment_align: 8
    .kernarg_segment_size: 44
    .language:       OpenCL C
    .language_version:
      - 2
      - 0
    .max_flat_workgroup_size: 256
    .name:           _ZL12mul_mat_q4_0IN3c104HalfELb1EEvPKvS3_PT_iiiii
    .private_segment_fixed_size: 192
    .sgpr_count:     20
    .sgpr_spill_count: 0
    .symbol:         _ZL12mul_mat_q4_0IN3c104HalfELb1EEvPKvS3_PT_iiiii.kd
    .uniform_work_group_size: 1
    .uses_dynamic_stack: false
    .vgpr_count:     256
    .vgpr_spill_count: 47
    .wavefront_size: 32
    .workgroup_processor_mode: 1
  - .args:
      - .actual_access:  read_only
        .address_space:  global
        .offset:         0
        .size:           8
        .value_kind:     global_buffer
      - .actual_access:  read_only
        .address_space:  global
        .offset:         8
        .size:           8
        .value_kind:     global_buffer
      - .actual_access:  write_only
        .address_space:  global
        .offset:         16
        .size:           8
        .value_kind:     global_buffer
      - .offset:         24
        .size:           4
        .value_kind:     by_value
      - .offset:         28
        .size:           4
        .value_kind:     by_value
      - .offset:         32
        .size:           4
        .value_kind:     by_value
      - .offset:         36
        .size:           4
        .value_kind:     by_value
      - .offset:         40
        .size:           4
        .value_kind:     by_value
    .group_segment_fixed_size: 30336
    .kernarg_segment_align: 8
    .kernarg_segment_size: 44
    .language:       OpenCL C
    .language_version:
      - 2
      - 0
    .max_flat_workgroup_size: 256
    .name:           _ZL12mul_mat_q4_1IN3c104HalfELb0EEvPKvS3_PT_iiiii
    .private_segment_fixed_size: 288
    .sgpr_count:     19
    .sgpr_spill_count: 0
    .symbol:         _ZL12mul_mat_q4_1IN3c104HalfELb0EEvPKvS3_PT_iiiii.kd
    .uniform_work_group_size: 1
    .uses_dynamic_stack: false
    .vgpr_count:     256
    .vgpr_spill_count: 77
    .wavefront_size: 32
    .workgroup_processor_mode: 1
  - .args:
      - .actual_access:  read_only
        .address_space:  global
        .offset:         0
        .size:           8
        .value_kind:     global_buffer
      - .actual_access:  read_only
        .address_space:  global
        .offset:         8
        .size:           8
        .value_kind:     global_buffer
      - .actual_access:  write_only
        .address_space:  global
        .offset:         16
        .size:           8
        .value_kind:     global_buffer
      - .offset:         24
        .size:           4
        .value_kind:     by_value
      - .offset:         28
        .size:           4
        .value_kind:     by_value
      - .offset:         32
        .size:           4
        .value_kind:     by_value
      - .offset:         36
        .size:           4
        .value_kind:     by_value
      - .offset:         40
        .size:           4
        .value_kind:     by_value
    .group_segment_fixed_size: 30336
    .kernarg_segment_align: 8
    .kernarg_segment_size: 44
    .language:       OpenCL C
    .language_version:
      - 2
      - 0
    .max_flat_workgroup_size: 256
    .name:           _ZL12mul_mat_q4_1IN3c104HalfELb1EEvPKvS3_PT_iiiii
    .private_segment_fixed_size: 412
    .sgpr_count:     19
    .sgpr_spill_count: 0
    .symbol:         _ZL12mul_mat_q4_1IN3c104HalfELb1EEvPKvS3_PT_iiiii.kd
    .uniform_work_group_size: 1
    .uses_dynamic_stack: false
    .vgpr_count:     256
    .vgpr_spill_count: 108
    .wavefront_size: 32
    .workgroup_processor_mode: 1
  - .args:
      - .actual_access:  read_only
        .address_space:  global
        .offset:         0
        .size:           8
        .value_kind:     global_buffer
      - .actual_access:  read_only
        .address_space:  global
        .offset:         8
        .size:           8
        .value_kind:     global_buffer
      - .actual_access:  write_only
        .address_space:  global
        .offset:         16
        .size:           8
        .value_kind:     global_buffer
      - .offset:         24
        .size:           4
        .value_kind:     by_value
      - .offset:         28
        .size:           4
        .value_kind:     by_value
      - .offset:         32
        .size:           4
        .value_kind:     by_value
      - .offset:         36
        .size:           4
        .value_kind:     by_value
      - .offset:         40
        .size:           4
        .value_kind:     by_value
    .group_segment_fixed_size: 46720
    .kernarg_segment_align: 8
    .kernarg_segment_size: 44
    .language:       OpenCL C
    .language_version:
      - 2
      - 0
    .max_flat_workgroup_size: 256
    .name:           _ZL12mul_mat_q5_0IN3c104HalfELb0EEvPKvS3_PT_iiiii
    .private_segment_fixed_size: 0
    .sgpr_count:     20
    .sgpr_spill_count: 0
    .symbol:         _ZL12mul_mat_q5_0IN3c104HalfELb0EEvPKvS3_PT_iiiii.kd
    .uniform_work_group_size: 1
    .uses_dynamic_stack: false
    .vgpr_count:     234
    .vgpr_spill_count: 0
    .wavefront_size: 32
    .workgroup_processor_mode: 1
  - .args:
      - .actual_access:  read_only
        .address_space:  global
        .offset:         0
        .size:           8
        .value_kind:     global_buffer
      - .actual_access:  read_only
        .address_space:  global
        .offset:         8
        .size:           8
        .value_kind:     global_buffer
      - .actual_access:  write_only
        .address_space:  global
        .offset:         16
        .size:           8
        .value_kind:     global_buffer
      - .offset:         24
        .size:           4
        .value_kind:     by_value
      - .offset:         28
        .size:           4
        .value_kind:     by_value
      - .offset:         32
        .size:           4
        .value_kind:     by_value
      - .offset:         36
        .size:           4
        .value_kind:     by_value
      - .offset:         40
        .size:           4
        .value_kind:     by_value
    .group_segment_fixed_size: 46720
    .kernarg_segment_align: 8
    .kernarg_segment_size: 44
    .language:       OpenCL C
    .language_version:
      - 2
      - 0
    .max_flat_workgroup_size: 256
    .name:           _ZL12mul_mat_q5_0IN3c104HalfELb1EEvPKvS3_PT_iiiii
    .private_segment_fixed_size: 0
    .sgpr_count:     19
    .sgpr_spill_count: 0
    .symbol:         _ZL12mul_mat_q5_0IN3c104HalfELb1EEvPKvS3_PT_iiiii.kd
    .uniform_work_group_size: 1
    .uses_dynamic_stack: false
    .vgpr_count:     234
    .vgpr_spill_count: 0
    .wavefront_size: 32
    .workgroup_processor_mode: 1
  - .args:
      - .actual_access:  read_only
        .address_space:  global
        .offset:         0
        .size:           8
        .value_kind:     global_buffer
      - .actual_access:  read_only
        .address_space:  global
        .offset:         8
        .size:           8
        .value_kind:     global_buffer
      - .actual_access:  write_only
        .address_space:  global
        .offset:         16
        .size:           8
        .value_kind:     global_buffer
      - .offset:         24
        .size:           4
        .value_kind:     by_value
      - .offset:         28
        .size:           4
        .value_kind:     by_value
      - .offset:         32
        .size:           4
        .value_kind:     by_value
      - .offset:         36
        .size:           4
        .value_kind:     by_value
      - .offset:         40
        .size:           4
        .value_kind:     by_value
    .group_segment_fixed_size: 46720
    .kernarg_segment_align: 8
    .kernarg_segment_size: 44
    .language:       OpenCL C
    .language_version:
      - 2
      - 0
    .max_flat_workgroup_size: 256
    .name:           _ZL12mul_mat_q5_1IN3c104HalfELb0EEvPKvS3_PT_iiiii
    .private_segment_fixed_size: 0
    .sgpr_count:     20
    .sgpr_spill_count: 0
    .symbol:         _ZL12mul_mat_q5_1IN3c104HalfELb0EEvPKvS3_PT_iiiii.kd
    .uniform_work_group_size: 1
    .uses_dynamic_stack: false
    .vgpr_count:     239
    .vgpr_spill_count: 0
    .wavefront_size: 32
    .workgroup_processor_mode: 1
  - .args:
      - .actual_access:  read_only
        .address_space:  global
        .offset:         0
        .size:           8
        .value_kind:     global_buffer
      - .actual_access:  read_only
        .address_space:  global
        .offset:         8
        .size:           8
        .value_kind:     global_buffer
      - .actual_access:  write_only
        .address_space:  global
        .offset:         16
        .size:           8
        .value_kind:     global_buffer
      - .offset:         24
        .size:           4
        .value_kind:     by_value
      - .offset:         28
        .size:           4
        .value_kind:     by_value
      - .offset:         32
        .size:           4
        .value_kind:     by_value
      - .offset:         36
        .size:           4
        .value_kind:     by_value
      - .offset:         40
        .size:           4
        .value_kind:     by_value
    .group_segment_fixed_size: 46720
    .kernarg_segment_align: 8
    .kernarg_segment_size: 44
    .language:       OpenCL C
    .language_version:
      - 2
      - 0
    .max_flat_workgroup_size: 256
    .name:           _ZL12mul_mat_q5_1IN3c104HalfELb1EEvPKvS3_PT_iiiii
    .private_segment_fixed_size: 0
    .sgpr_count:     19
    .sgpr_spill_count: 0
    .symbol:         _ZL12mul_mat_q5_1IN3c104HalfELb1EEvPKvS3_PT_iiiii.kd
    .uniform_work_group_size: 1
    .uses_dynamic_stack: false
    .vgpr_count:     238
    .vgpr_spill_count: 0
    .wavefront_size: 32
    .workgroup_processor_mode: 1
  - .args:
      - .actual_access:  read_only
        .address_space:  global
        .offset:         0
        .size:           8
        .value_kind:     global_buffer
      - .actual_access:  read_only
        .address_space:  global
        .offset:         8
        .size:           8
        .value_kind:     global_buffer
      - .actual_access:  write_only
        .address_space:  global
        .offset:         16
        .size:           8
        .value_kind:     global_buffer
      - .offset:         24
        .size:           4
        .value_kind:     by_value
      - .offset:         28
        .size:           4
        .value_kind:     by_value
      - .offset:         32
        .size:           4
        .value_kind:     by_value
      - .offset:         36
        .size:           4
        .value_kind:     by_value
      - .offset:         40
        .size:           4
        .value_kind:     by_value
    .group_segment_fixed_size: 28224
    .kernarg_segment_align: 8
    .kernarg_segment_size: 44
    .language:       OpenCL C
    .language_version:
      - 2
      - 0
    .max_flat_workgroup_size: 256
    .name:           _ZL12mul_mat_q8_0IN3c104HalfELb0EEvPKvS3_PT_iiiii
    .private_segment_fixed_size: 0
    .sgpr_count:     23
    .sgpr_spill_count: 0
    .symbol:         _ZL12mul_mat_q8_0IN3c104HalfELb0EEvPKvS3_PT_iiiii.kd
    .uniform_work_group_size: 1
    .uses_dynamic_stack: false
    .vgpr_count:     174
    .vgpr_spill_count: 0
    .wavefront_size: 32
    .workgroup_processor_mode: 1
  - .args:
      - .actual_access:  read_only
        .address_space:  global
        .offset:         0
        .size:           8
        .value_kind:     global_buffer
      - .actual_access:  read_only
        .address_space:  global
        .offset:         8
        .size:           8
        .value_kind:     global_buffer
      - .actual_access:  write_only
        .address_space:  global
        .offset:         16
        .size:           8
        .value_kind:     global_buffer
      - .offset:         24
        .size:           4
        .value_kind:     by_value
      - .offset:         28
        .size:           4
        .value_kind:     by_value
      - .offset:         32
        .size:           4
        .value_kind:     by_value
      - .offset:         36
        .size:           4
        .value_kind:     by_value
      - .offset:         40
        .size:           4
        .value_kind:     by_value
    .group_segment_fixed_size: 28224
    .kernarg_segment_align: 8
    .kernarg_segment_size: 44
    .language:       OpenCL C
    .language_version:
      - 2
      - 0
    .max_flat_workgroup_size: 256
    .name:           _ZL12mul_mat_q8_0IN3c104HalfELb1EEvPKvS3_PT_iiiii
    .private_segment_fixed_size: 0
    .sgpr_count:     20
    .sgpr_spill_count: 0
    .symbol:         _ZL12mul_mat_q8_0IN3c104HalfELb1EEvPKvS3_PT_iiiii.kd
    .uniform_work_group_size: 1
    .uses_dynamic_stack: false
    .vgpr_count:     174
    .vgpr_spill_count: 0
    .wavefront_size: 32
    .workgroup_processor_mode: 1
  - .args:
      - .actual_access:  read_only
        .address_space:  global
        .offset:         0
        .size:           8
        .value_kind:     global_buffer
      - .actual_access:  read_only
        .address_space:  global
        .offset:         8
        .size:           8
        .value_kind:     global_buffer
      - .actual_access:  write_only
        .address_space:  global
        .offset:         16
        .size:           8
        .value_kind:     global_buffer
      - .offset:         24
        .size:           4
        .value_kind:     by_value
      - .offset:         28
        .size:           4
        .value_kind:     by_value
      - .offset:         32
        .size:           4
        .value_kind:     by_value
      - .offset:         36
        .size:           4
        .value_kind:     by_value
      - .offset:         40
        .size:           4
        .value_kind:     by_value
    .group_segment_fixed_size: 31392
    .kernarg_segment_align: 8
    .kernarg_segment_size: 44
    .language:       OpenCL C
    .language_version:
      - 2
      - 0
    .max_flat_workgroup_size: 256
    .name:           _ZL12mul_mat_q2_KIN3c104HalfELb0EEvPKvS3_PT_iiiii
    .private_segment_fixed_size: 920
    .sgpr_count:     24
    .sgpr_spill_count: 0
    .symbol:         _ZL12mul_mat_q2_KIN3c104HalfELb0EEvPKvS3_PT_iiiii.kd
    .uniform_work_group_size: 1
    .uses_dynamic_stack: false
    .vgpr_count:     256
    .vgpr_spill_count: 448
    .wavefront_size: 32
    .workgroup_processor_mode: 1
  - .args:
      - .actual_access:  read_only
        .address_space:  global
        .offset:         0
        .size:           8
        .value_kind:     global_buffer
      - .actual_access:  read_only
        .address_space:  global
        .offset:         8
        .size:           8
        .value_kind:     global_buffer
      - .actual_access:  write_only
        .address_space:  global
        .offset:         16
        .size:           8
        .value_kind:     global_buffer
      - .offset:         24
        .size:           4
        .value_kind:     by_value
      - .offset:         28
        .size:           4
        .value_kind:     by_value
      - .offset:         32
        .size:           4
        .value_kind:     by_value
      - .offset:         36
        .size:           4
        .value_kind:     by_value
      - .offset:         40
        .size:           4
        .value_kind:     by_value
    .group_segment_fixed_size: 31392
    .kernarg_segment_align: 8
    .kernarg_segment_size: 44
    .language:       OpenCL C
    .language_version:
      - 2
      - 0
    .max_flat_workgroup_size: 256
    .name:           _ZL12mul_mat_q2_KIN3c104HalfELb1EEvPKvS3_PT_iiiii
    .private_segment_fixed_size: 1056
    .sgpr_count:     24
    .sgpr_spill_count: 0
    .symbol:         _ZL12mul_mat_q2_KIN3c104HalfELb1EEvPKvS3_PT_iiiii.kd
    .uniform_work_group_size: 1
    .uses_dynamic_stack: false
    .vgpr_count:     256
    .vgpr_spill_count: 479
    .wavefront_size: 32
    .workgroup_processor_mode: 1
  - .args:
      - .actual_access:  read_only
        .address_space:  global
        .offset:         0
        .size:           8
        .value_kind:     global_buffer
      - .actual_access:  read_only
        .address_space:  global
        .offset:         8
        .size:           8
        .value_kind:     global_buffer
      - .actual_access:  write_only
        .address_space:  global
        .offset:         16
        .size:           8
        .value_kind:     global_buffer
      - .offset:         24
        .size:           4
        .value_kind:     by_value
      - .offset:         28
        .size:           4
        .value_kind:     by_value
      - .offset:         32
        .size:           4
        .value_kind:     by_value
      - .offset:         36
        .size:           4
        .value_kind:     by_value
      - .offset:         40
        .size:           4
        .value_kind:     by_value
    .group_segment_fixed_size: 39840
    .kernarg_segment_align: 8
    .kernarg_segment_size: 44
    .language:       OpenCL C
    .language_version:
      - 2
      - 0
    .max_flat_workgroup_size: 256
    .name:           _ZL12mul_mat_q3_KIN3c104HalfELb0EEvPKvS3_PT_iiiii
    .private_segment_fixed_size: 108
    .sgpr_count:     27
    .sgpr_spill_count: 0
    .symbol:         _ZL12mul_mat_q3_KIN3c104HalfELb0EEvPKvS3_PT_iiiii.kd
    .uniform_work_group_size: 1
    .uses_dynamic_stack: false
    .vgpr_count:     256
    .vgpr_spill_count: 26
    .wavefront_size: 32
    .workgroup_processor_mode: 1
  - .args:
      - .actual_access:  read_only
        .address_space:  global
        .offset:         0
        .size:           8
        .value_kind:     global_buffer
      - .actual_access:  read_only
        .address_space:  global
        .offset:         8
        .size:           8
        .value_kind:     global_buffer
      - .actual_access:  write_only
        .address_space:  global
        .offset:         16
        .size:           8
        .value_kind:     global_buffer
      - .offset:         24
        .size:           4
        .value_kind:     by_value
      - .offset:         28
        .size:           4
        .value_kind:     by_value
      - .offset:         32
        .size:           4
        .value_kind:     by_value
      - .offset:         36
        .size:           4
        .value_kind:     by_value
      - .offset:         40
        .size:           4
        .value_kind:     by_value
    .group_segment_fixed_size: 39840
    .kernarg_segment_align: 8
    .kernarg_segment_size: 44
    .language:       OpenCL C
    .language_version:
      - 2
      - 0
    .max_flat_workgroup_size: 256
    .name:           _ZL12mul_mat_q3_KIN3c104HalfELb1EEvPKvS3_PT_iiiii
    .private_segment_fixed_size: 232
    .sgpr_count:     27
    .sgpr_spill_count: 0
    .symbol:         _ZL12mul_mat_q3_KIN3c104HalfELb1EEvPKvS3_PT_iiiii.kd
    .uniform_work_group_size: 1
    .uses_dynamic_stack: false
    .vgpr_count:     256
    .vgpr_spill_count: 57
    .wavefront_size: 32
    .workgroup_processor_mode: 1
  - .args:
      - .actual_access:  read_only
        .address_space:  global
        .offset:         0
        .size:           8
        .value_kind:     global_buffer
      - .actual_access:  read_only
        .address_space:  global
        .offset:         8
        .size:           8
        .value_kind:     global_buffer
      - .actual_access:  write_only
        .address_space:  global
        .offset:         16
        .size:           8
        .value_kind:     global_buffer
      - .offset:         24
        .size:           4
        .value_kind:     by_value
      - .offset:         28
        .size:           4
        .value_kind:     by_value
      - .offset:         32
        .size:           4
        .value_kind:     by_value
      - .offset:         36
        .size:           4
        .value_kind:     by_value
      - .offset:         40
        .size:           4
        .value_kind:     by_value
    .group_segment_fixed_size: 28752
    .kernarg_segment_align: 8
    .kernarg_segment_size: 44
    .language:       OpenCL C
    .language_version:
      - 2
      - 0
    .max_flat_workgroup_size: 256
    .name:           _ZL12mul_mat_q4_KIN3c104HalfELb0EEvPKvS3_PT_iiiii
    .private_segment_fixed_size: 1988
    .sgpr_count:     22
    .sgpr_spill_count: 0
    .symbol:         _ZL12mul_mat_q4_KIN3c104HalfELb0EEvPKvS3_PT_iiiii.kd
    .uniform_work_group_size: 1
    .uses_dynamic_stack: false
    .vgpr_count:     256
    .vgpr_spill_count: 972
    .wavefront_size: 32
    .workgroup_processor_mode: 1
  - .args:
      - .actual_access:  read_only
        .address_space:  global
        .offset:         0
        .size:           8
        .value_kind:     global_buffer
      - .actual_access:  read_only
        .address_space:  global
        .offset:         8
        .size:           8
        .value_kind:     global_buffer
      - .actual_access:  write_only
        .address_space:  global
        .offset:         16
        .size:           8
        .value_kind:     global_buffer
      - .offset:         24
        .size:           4
        .value_kind:     by_value
      - .offset:         28
        .size:           4
        .value_kind:     by_value
      - .offset:         32
        .size:           4
        .value_kind:     by_value
      - .offset:         36
        .size:           4
        .value_kind:     by_value
      - .offset:         40
        .size:           4
        .value_kind:     by_value
    .group_segment_fixed_size: 28752
    .kernarg_segment_align: 8
    .kernarg_segment_size: 44
    .language:       OpenCL C
    .language_version:
      - 2
      - 0
    .max_flat_workgroup_size: 256
    .name:           _ZL12mul_mat_q4_KIN3c104HalfELb1EEvPKvS3_PT_iiiii
    .private_segment_fixed_size: 2136
    .sgpr_count:     20
    .sgpr_spill_count: 0
    .symbol:         _ZL12mul_mat_q4_KIN3c104HalfELb1EEvPKvS3_PT_iiiii.kd
    .uniform_work_group_size: 1
    .uses_dynamic_stack: false
    .vgpr_count:     256
    .vgpr_spill_count: 1006
    .wavefront_size: 32
    .workgroup_processor_mode: 1
  - .args:
      - .actual_access:  read_only
        .address_space:  global
        .offset:         0
        .size:           8
        .value_kind:     global_buffer
      - .actual_access:  read_only
        .address_space:  global
        .offset:         8
        .size:           8
        .value_kind:     global_buffer
      - .actual_access:  write_only
        .address_space:  global
        .offset:         16
        .size:           8
        .value_kind:     global_buffer
      - .offset:         24
        .size:           4
        .value_kind:     by_value
      - .offset:         28
        .size:           4
        .value_kind:     by_value
      - .offset:         32
        .size:           4
        .value_kind:     by_value
      - .offset:         36
        .size:           4
        .value_kind:     by_value
      - .offset:         40
        .size:           4
        .value_kind:     by_value
    .group_segment_fixed_size: 45136
    .kernarg_segment_align: 8
    .kernarg_segment_size: 44
    .language:       OpenCL C
    .language_version:
      - 2
      - 0
    .max_flat_workgroup_size: 256
    .name:           _ZL12mul_mat_q5_KIN3c104HalfELb0EEvPKvS3_PT_iiiii
    .private_segment_fixed_size: 420
    .sgpr_count:     21
    .sgpr_spill_count: 0
    .symbol:         _ZL12mul_mat_q5_KIN3c104HalfELb0EEvPKvS3_PT_iiiii.kd
    .uniform_work_group_size: 1
    .uses_dynamic_stack: false
    .vgpr_count:     256
    .vgpr_spill_count: 109
    .wavefront_size: 32
    .workgroup_processor_mode: 1
  - .args:
      - .actual_access:  read_only
        .address_space:  global
        .offset:         0
        .size:           8
        .value_kind:     global_buffer
      - .actual_access:  read_only
        .address_space:  global
        .offset:         8
        .size:           8
        .value_kind:     global_buffer
      - .actual_access:  write_only
        .address_space:  global
        .offset:         16
        .size:           8
        .value_kind:     global_buffer
      - .offset:         24
        .size:           4
        .value_kind:     by_value
      - .offset:         28
        .size:           4
        .value_kind:     by_value
      - .offset:         32
        .size:           4
        .value_kind:     by_value
      - .offset:         36
        .size:           4
        .value_kind:     by_value
      - .offset:         40
        .size:           4
        .value_kind:     by_value
    .group_segment_fixed_size: 45136
    .kernarg_segment_align: 8
    .kernarg_segment_size: 44
    .language:       OpenCL C
    .language_version:
      - 2
      - 0
    .max_flat_workgroup_size: 256
    .name:           _ZL12mul_mat_q5_KIN3c104HalfELb1EEvPKvS3_PT_iiiii
    .private_segment_fixed_size: 528
    .sgpr_count:     20
    .sgpr_spill_count: 0
    .symbol:         _ZL12mul_mat_q5_KIN3c104HalfELb1EEvPKvS3_PT_iiiii.kd
    .uniform_work_group_size: 1
    .uses_dynamic_stack: false
    .vgpr_count:     256
    .vgpr_spill_count: 133
    .wavefront_size: 32
    .workgroup_processor_mode: 1
  - .args:
      - .actual_access:  read_only
        .address_space:  global
        .offset:         0
        .size:           8
        .value_kind:     global_buffer
      - .actual_access:  read_only
        .address_space:  global
        .offset:         8
        .size:           8
        .value_kind:     global_buffer
      - .actual_access:  write_only
        .address_space:  global
        .offset:         16
        .size:           8
        .value_kind:     global_buffer
      - .offset:         24
        .size:           4
        .value_kind:     by_value
      - .offset:         28
        .size:           4
        .value_kind:     by_value
      - .offset:         32
        .size:           4
        .value_kind:     by_value
      - .offset:         36
        .size:           4
        .value_kind:     by_value
      - .offset:         40
        .size:           4
        .value_kind:     by_value
    .group_segment_fixed_size: 45136
    .kernarg_segment_align: 8
    .kernarg_segment_size: 44
    .language:       OpenCL C
    .language_version:
      - 2
      - 0
    .max_flat_workgroup_size: 256
    .name:           _ZL12mul_mat_q6_KIN3c104HalfELb0EEvPKvS3_PT_iiiii
    .private_segment_fixed_size: 12
    .sgpr_count:     20
    .sgpr_spill_count: 0
    .symbol:         _ZL12mul_mat_q6_KIN3c104HalfELb0EEvPKvS3_PT_iiiii.kd
    .uniform_work_group_size: 1
    .uses_dynamic_stack: false
    .vgpr_count:     256
    .vgpr_spill_count: 2
    .wavefront_size: 32
    .workgroup_processor_mode: 1
  - .args:
      - .actual_access:  read_only
        .address_space:  global
        .offset:         0
        .size:           8
        .value_kind:     global_buffer
      - .actual_access:  read_only
        .address_space:  global
        .offset:         8
        .size:           8
        .value_kind:     global_buffer
      - .actual_access:  write_only
        .address_space:  global
        .offset:         16
        .size:           8
        .value_kind:     global_buffer
      - .offset:         24
        .size:           4
        .value_kind:     by_value
      - .offset:         28
        .size:           4
        .value_kind:     by_value
      - .offset:         32
        .size:           4
        .value_kind:     by_value
      - .offset:         36
        .size:           4
        .value_kind:     by_value
      - .offset:         40
        .size:           4
        .value_kind:     by_value
    .group_segment_fixed_size: 45136
    .kernarg_segment_align: 8
    .kernarg_segment_size: 44
    .language:       OpenCL C
    .language_version:
      - 2
      - 0
    .max_flat_workgroup_size: 256
    .name:           _ZL12mul_mat_q6_KIN3c104HalfELb1EEvPKvS3_PT_iiiii
    .private_segment_fixed_size: 28
    .sgpr_count:     20
    .sgpr_spill_count: 0
    .symbol:         _ZL12mul_mat_q6_KIN3c104HalfELb1EEvPKvS3_PT_iiiii.kd
    .uniform_work_group_size: 1
    .uses_dynamic_stack: false
    .vgpr_count:     256
    .vgpr_spill_count: 6
    .wavefront_size: 32
    .workgroup_processor_mode: 1
  - .args:
      - .actual_access:  read_only
        .address_space:  global
        .offset:         0
        .size:           8
        .value_kind:     global_buffer
      - .actual_access:  read_only
        .address_space:  global
        .offset:         8
        .size:           8
        .value_kind:     global_buffer
      - .actual_access:  write_only
        .address_space:  global
        .offset:         16
        .size:           8
        .value_kind:     global_buffer
      - .offset:         24
        .size:           4
        .value_kind:     by_value
      - .offset:         28
        .size:           4
        .value_kind:     by_value
      - .offset:         32
        .size:           4
        .value_kind:     by_value
      - .offset:         36
        .size:           4
        .value_kind:     by_value
      - .offset:         40
        .size:           4
        .value_kind:     by_value
    .group_segment_fixed_size: 30336
    .kernarg_segment_align: 8
    .kernarg_segment_size: 44
    .language:       OpenCL C
    .language_version:
      - 2
      - 0
    .max_flat_workgroup_size: 256
    .name:           _ZL12mul_mat_q4_0IN3c108BFloat16ELb0EEvPKvS3_PT_iiiii
    .private_segment_fixed_size: 104
    .sgpr_count:     19
    .sgpr_spill_count: 0
    .symbol:         _ZL12mul_mat_q4_0IN3c108BFloat16ELb0EEvPKvS3_PT_iiiii.kd
    .uniform_work_group_size: 1
    .uses_dynamic_stack: false
    .vgpr_count:     256
    .vgpr_spill_count: 25
    .wavefront_size: 32
    .workgroup_processor_mode: 1
  - .args:
      - .actual_access:  read_only
        .address_space:  global
        .offset:         0
        .size:           8
        .value_kind:     global_buffer
      - .actual_access:  read_only
        .address_space:  global
        .offset:         8
        .size:           8
        .value_kind:     global_buffer
      - .actual_access:  write_only
        .address_space:  global
        .offset:         16
        .size:           8
        .value_kind:     global_buffer
      - .offset:         24
        .size:           4
        .value_kind:     by_value
      - .offset:         28
        .size:           4
        .value_kind:     by_value
      - .offset:         32
        .size:           4
        .value_kind:     by_value
      - .offset:         36
        .size:           4
        .value_kind:     by_value
      - .offset:         40
        .size:           4
        .value_kind:     by_value
    .group_segment_fixed_size: 30336
    .kernarg_segment_align: 8
    .kernarg_segment_size: 44
    .language:       OpenCL C
    .language_version:
      - 2
      - 0
    .max_flat_workgroup_size: 256
    .name:           _ZL12mul_mat_q4_0IN3c108BFloat16ELb1EEvPKvS3_PT_iiiii
    .private_segment_fixed_size: 232
    .sgpr_count:     19
    .sgpr_spill_count: 0
    .symbol:         _ZL12mul_mat_q4_0IN3c108BFloat16ELb1EEvPKvS3_PT_iiiii.kd
    .uniform_work_group_size: 1
    .uses_dynamic_stack: false
    .vgpr_count:     256
    .vgpr_spill_count: 57
    .wavefront_size: 32
    .workgroup_processor_mode: 1
  - .args:
      - .actual_access:  read_only
        .address_space:  global
        .offset:         0
        .size:           8
        .value_kind:     global_buffer
      - .actual_access:  read_only
        .address_space:  global
        .offset:         8
        .size:           8
        .value_kind:     global_buffer
      - .actual_access:  write_only
        .address_space:  global
        .offset:         16
        .size:           8
        .value_kind:     global_buffer
      - .offset:         24
        .size:           4
        .value_kind:     by_value
      - .offset:         28
        .size:           4
        .value_kind:     by_value
      - .offset:         32
        .size:           4
        .value_kind:     by_value
      - .offset:         36
        .size:           4
        .value_kind:     by_value
      - .offset:         40
        .size:           4
        .value_kind:     by_value
    .group_segment_fixed_size: 30336
    .kernarg_segment_align: 8
    .kernarg_segment_size: 44
    .language:       OpenCL C
    .language_version:
      - 2
      - 0
    .max_flat_workgroup_size: 256
    .name:           _ZL12mul_mat_q4_1IN3c108BFloat16ELb0EEvPKvS3_PT_iiiii
    .private_segment_fixed_size: 508
    .sgpr_count:     19
    .sgpr_spill_count: 0
    .symbol:         _ZL12mul_mat_q4_1IN3c108BFloat16ELb0EEvPKvS3_PT_iiiii.kd
    .uniform_work_group_size: 1
    .uses_dynamic_stack: false
    .vgpr_count:     256
    .vgpr_spill_count: 189
    .wavefront_size: 32
    .workgroup_processor_mode: 1
  - .args:
      - .actual_access:  read_only
        .address_space:  global
        .offset:         0
        .size:           8
        .value_kind:     global_buffer
      - .actual_access:  read_only
        .address_space:  global
        .offset:         8
        .size:           8
        .value_kind:     global_buffer
      - .actual_access:  write_only
        .address_space:  global
        .offset:         16
        .size:           8
        .value_kind:     global_buffer
      - .offset:         24
        .size:           4
        .value_kind:     by_value
      - .offset:         28
        .size:           4
        .value_kind:     by_value
      - .offset:         32
        .size:           4
        .value_kind:     by_value
      - .offset:         36
        .size:           4
        .value_kind:     by_value
      - .offset:         40
        .size:           4
        .value_kind:     by_value
    .group_segment_fixed_size: 30336
    .kernarg_segment_align: 8
    .kernarg_segment_size: 44
    .language:       OpenCL C
    .language_version:
      - 2
      - 0
    .max_flat_workgroup_size: 256
    .name:           _ZL12mul_mat_q4_1IN3c108BFloat16ELb1EEvPKvS3_PT_iiiii
    .private_segment_fixed_size: 596
    .sgpr_count:     19
    .sgpr_spill_count: 0
    .symbol:         _ZL12mul_mat_q4_1IN3c108BFloat16ELb1EEvPKvS3_PT_iiiii.kd
    .uniform_work_group_size: 1
    .uses_dynamic_stack: false
    .vgpr_count:     256
    .vgpr_spill_count: 200
    .wavefront_size: 32
    .workgroup_processor_mode: 1
  - .args:
      - .actual_access:  read_only
        .address_space:  global
        .offset:         0
        .size:           8
        .value_kind:     global_buffer
      - .actual_access:  read_only
        .address_space:  global
        .offset:         8
        .size:           8
        .value_kind:     global_buffer
      - .actual_access:  write_only
        .address_space:  global
        .offset:         16
        .size:           8
        .value_kind:     global_buffer
      - .offset:         24
        .size:           4
        .value_kind:     by_value
      - .offset:         28
        .size:           4
        .value_kind:     by_value
      - .offset:         32
        .size:           4
        .value_kind:     by_value
      - .offset:         36
        .size:           4
        .value_kind:     by_value
      - .offset:         40
        .size:           4
        .value_kind:     by_value
    .group_segment_fixed_size: 46720
    .kernarg_segment_align: 8
    .kernarg_segment_size: 44
    .language:       OpenCL C
    .language_version:
      - 2
      - 0
    .max_flat_workgroup_size: 256
    .name:           _ZL12mul_mat_q5_0IN3c108BFloat16ELb0EEvPKvS3_PT_iiiii
    .private_segment_fixed_size: 80
    .sgpr_count:     19
    .sgpr_spill_count: 0
    .symbol:         _ZL12mul_mat_q5_0IN3c108BFloat16ELb0EEvPKvS3_PT_iiiii.kd
    .uniform_work_group_size: 1
    .uses_dynamic_stack: false
    .vgpr_count:     256
    .vgpr_spill_count: 19
    .wavefront_size: 32
    .workgroup_processor_mode: 1
  - .args:
      - .actual_access:  read_only
        .address_space:  global
        .offset:         0
        .size:           8
        .value_kind:     global_buffer
      - .actual_access:  read_only
        .address_space:  global
        .offset:         8
        .size:           8
        .value_kind:     global_buffer
      - .actual_access:  write_only
        .address_space:  global
        .offset:         16
        .size:           8
        .value_kind:     global_buffer
      - .offset:         24
        .size:           4
        .value_kind:     by_value
      - .offset:         28
        .size:           4
        .value_kind:     by_value
      - .offset:         32
        .size:           4
        .value_kind:     by_value
      - .offset:         36
        .size:           4
        .value_kind:     by_value
      - .offset:         40
        .size:           4
        .value_kind:     by_value
    .group_segment_fixed_size: 46720
    .kernarg_segment_align: 8
    .kernarg_segment_size: 44
    .language:       OpenCL C
    .language_version:
      - 2
      - 0
    .max_flat_workgroup_size: 256
    .name:           _ZL12mul_mat_q5_0IN3c108BFloat16ELb1EEvPKvS3_PT_iiiii
    .private_segment_fixed_size: 132
    .sgpr_count:     19
    .sgpr_spill_count: 0
    .symbol:         _ZL12mul_mat_q5_0IN3c108BFloat16ELb1EEvPKvS3_PT_iiiii.kd
    .uniform_work_group_size: 1
    .uses_dynamic_stack: false
    .vgpr_count:     256
    .vgpr_spill_count: 32
    .wavefront_size: 32
    .workgroup_processor_mode: 1
  - .args:
      - .actual_access:  read_only
        .address_space:  global
        .offset:         0
        .size:           8
        .value_kind:     global_buffer
      - .actual_access:  read_only
        .address_space:  global
        .offset:         8
        .size:           8
        .value_kind:     global_buffer
      - .actual_access:  write_only
        .address_space:  global
        .offset:         16
        .size:           8
        .value_kind:     global_buffer
      - .offset:         24
        .size:           4
        .value_kind:     by_value
      - .offset:         28
        .size:           4
        .value_kind:     by_value
      - .offset:         32
        .size:           4
        .value_kind:     by_value
      - .offset:         36
        .size:           4
        .value_kind:     by_value
      - .offset:         40
        .size:           4
        .value_kind:     by_value
    .group_segment_fixed_size: 46720
    .kernarg_segment_align: 8
    .kernarg_segment_size: 44
    .language:       OpenCL C
    .language_version:
      - 2
      - 0
    .max_flat_workgroup_size: 256
    .name:           _ZL12mul_mat_q5_1IN3c108BFloat16ELb0EEvPKvS3_PT_iiiii
    .private_segment_fixed_size: 80
    .sgpr_count:     19
    .sgpr_spill_count: 0
    .symbol:         _ZL12mul_mat_q5_1IN3c108BFloat16ELb0EEvPKvS3_PT_iiiii.kd
    .uniform_work_group_size: 1
    .uses_dynamic_stack: false
    .vgpr_count:     256
    .vgpr_spill_count: 19
    .wavefront_size: 32
    .workgroup_processor_mode: 1
  - .args:
      - .actual_access:  read_only
        .address_space:  global
        .offset:         0
        .size:           8
        .value_kind:     global_buffer
      - .actual_access:  read_only
        .address_space:  global
        .offset:         8
        .size:           8
        .value_kind:     global_buffer
      - .actual_access:  write_only
        .address_space:  global
        .offset:         16
        .size:           8
        .value_kind:     global_buffer
      - .offset:         24
        .size:           4
        .value_kind:     by_value
      - .offset:         28
        .size:           4
        .value_kind:     by_value
      - .offset:         32
        .size:           4
        .value_kind:     by_value
      - .offset:         36
        .size:           4
        .value_kind:     by_value
      - .offset:         40
        .size:           4
        .value_kind:     by_value
    .group_segment_fixed_size: 46720
    .kernarg_segment_align: 8
    .kernarg_segment_size: 44
    .language:       OpenCL C
    .language_version:
      - 2
      - 0
    .max_flat_workgroup_size: 256
    .name:           _ZL12mul_mat_q5_1IN3c108BFloat16ELb1EEvPKvS3_PT_iiiii
    .private_segment_fixed_size: 124
    .sgpr_count:     19
    .sgpr_spill_count: 0
    .symbol:         _ZL12mul_mat_q5_1IN3c108BFloat16ELb1EEvPKvS3_PT_iiiii.kd
    .uniform_work_group_size: 1
    .uses_dynamic_stack: false
    .vgpr_count:     256
    .vgpr_spill_count: 30
    .wavefront_size: 32
    .workgroup_processor_mode: 1
  - .args:
      - .actual_access:  read_only
        .address_space:  global
        .offset:         0
        .size:           8
        .value_kind:     global_buffer
      - .actual_access:  read_only
        .address_space:  global
        .offset:         8
        .size:           8
        .value_kind:     global_buffer
      - .actual_access:  write_only
        .address_space:  global
        .offset:         16
        .size:           8
        .value_kind:     global_buffer
      - .offset:         24
        .size:           4
        .value_kind:     by_value
      - .offset:         28
        .size:           4
        .value_kind:     by_value
      - .offset:         32
        .size:           4
        .value_kind:     by_value
      - .offset:         36
        .size:           4
        .value_kind:     by_value
      - .offset:         40
        .size:           4
        .value_kind:     by_value
    .group_segment_fixed_size: 28224
    .kernarg_segment_align: 8
    .kernarg_segment_size: 44
    .language:       OpenCL C
    .language_version:
      - 2
      - 0
    .max_flat_workgroup_size: 256
    .name:           _ZL12mul_mat_q8_0IN3c108BFloat16ELb0EEvPKvS3_PT_iiiii
    .private_segment_fixed_size: 0
    .sgpr_count:     23
    .sgpr_spill_count: 0
    .symbol:         _ZL12mul_mat_q8_0IN3c108BFloat16ELb0EEvPKvS3_PT_iiiii.kd
    .uniform_work_group_size: 1
    .uses_dynamic_stack: false
    .vgpr_count:     174
    .vgpr_spill_count: 0
    .wavefront_size: 32
    .workgroup_processor_mode: 1
  - .args:
      - .actual_access:  read_only
        .address_space:  global
        .offset:         0
        .size:           8
        .value_kind:     global_buffer
      - .actual_access:  read_only
        .address_space:  global
        .offset:         8
        .size:           8
        .value_kind:     global_buffer
      - .actual_access:  write_only
        .address_space:  global
        .offset:         16
        .size:           8
        .value_kind:     global_buffer
      - .offset:         24
        .size:           4
        .value_kind:     by_value
      - .offset:         28
        .size:           4
        .value_kind:     by_value
      - .offset:         32
        .size:           4
        .value_kind:     by_value
      - .offset:         36
        .size:           4
        .value_kind:     by_value
      - .offset:         40
        .size:           4
        .value_kind:     by_value
    .group_segment_fixed_size: 28224
    .kernarg_segment_align: 8
    .kernarg_segment_size: 44
    .language:       OpenCL C
    .language_version:
      - 2
      - 0
    .max_flat_workgroup_size: 256
    .name:           _ZL12mul_mat_q8_0IN3c108BFloat16ELb1EEvPKvS3_PT_iiiii
    .private_segment_fixed_size: 0
    .sgpr_count:     20
    .sgpr_spill_count: 0
    .symbol:         _ZL12mul_mat_q8_0IN3c108BFloat16ELb1EEvPKvS3_PT_iiiii.kd
    .uniform_work_group_size: 1
    .uses_dynamic_stack: false
    .vgpr_count:     174
    .vgpr_spill_count: 0
    .wavefront_size: 32
    .workgroup_processor_mode: 1
  - .args:
      - .actual_access:  read_only
        .address_space:  global
        .offset:         0
        .size:           8
        .value_kind:     global_buffer
      - .actual_access:  read_only
        .address_space:  global
        .offset:         8
        .size:           8
        .value_kind:     global_buffer
      - .actual_access:  write_only
        .address_space:  global
        .offset:         16
        .size:           8
        .value_kind:     global_buffer
      - .offset:         24
        .size:           4
        .value_kind:     by_value
      - .offset:         28
        .size:           4
        .value_kind:     by_value
      - .offset:         32
        .size:           4
        .value_kind:     by_value
      - .offset:         36
        .size:           4
        .value_kind:     by_value
      - .offset:         40
        .size:           4
        .value_kind:     by_value
    .group_segment_fixed_size: 31392
    .kernarg_segment_align: 8
    .kernarg_segment_size: 44
    .language:       OpenCL C
    .language_version:
      - 2
      - 0
    .max_flat_workgroup_size: 256
    .name:           _ZL12mul_mat_q2_KIN3c108BFloat16ELb0EEvPKvS3_PT_iiiii
    .private_segment_fixed_size: 360
    .sgpr_count:     24
    .sgpr_spill_count: 0
    .symbol:         _ZL12mul_mat_q2_KIN3c108BFloat16ELb0EEvPKvS3_PT_iiiii.kd
    .uniform_work_group_size: 1
    .uses_dynamic_stack: false
    .vgpr_count:     256
    .vgpr_spill_count: 100
    .wavefront_size: 32
    .workgroup_processor_mode: 1
  - .args:
      - .actual_access:  read_only
        .address_space:  global
        .offset:         0
        .size:           8
        .value_kind:     global_buffer
      - .actual_access:  read_only
        .address_space:  global
        .offset:         8
        .size:           8
        .value_kind:     global_buffer
      - .actual_access:  write_only
        .address_space:  global
        .offset:         16
        .size:           8
        .value_kind:     global_buffer
      - .offset:         24
        .size:           4
        .value_kind:     by_value
      - .offset:         28
        .size:           4
        .value_kind:     by_value
      - .offset:         32
        .size:           4
        .value_kind:     by_value
      - .offset:         36
        .size:           4
        .value_kind:     by_value
      - .offset:         40
        .size:           4
        .value_kind:     by_value
    .group_segment_fixed_size: 31392
    .kernarg_segment_align: 8
    .kernarg_segment_size: 44
    .language:       OpenCL C
    .language_version:
      - 2
      - 0
    .max_flat_workgroup_size: 256
    .name:           _ZL12mul_mat_q2_KIN3c108BFloat16ELb1EEvPKvS3_PT_iiiii
    .private_segment_fixed_size: 492
    .sgpr_count:     24
    .sgpr_spill_count: 0
    .symbol:         _ZL12mul_mat_q2_KIN3c108BFloat16ELb1EEvPKvS3_PT_iiiii.kd
    .uniform_work_group_size: 1
    .uses_dynamic_stack: false
    .vgpr_count:     256
    .vgpr_spill_count: 129
    .wavefront_size: 32
    .workgroup_processor_mode: 1
  - .args:
      - .actual_access:  read_only
        .address_space:  global
        .offset:         0
        .size:           8
        .value_kind:     global_buffer
      - .actual_access:  read_only
        .address_space:  global
        .offset:         8
        .size:           8
        .value_kind:     global_buffer
      - .actual_access:  write_only
        .address_space:  global
        .offset:         16
        .size:           8
        .value_kind:     global_buffer
      - .offset:         24
        .size:           4
        .value_kind:     by_value
      - .offset:         28
        .size:           4
        .value_kind:     by_value
      - .offset:         32
        .size:           4
        .value_kind:     by_value
      - .offset:         36
        .size:           4
        .value_kind:     by_value
      - .offset:         40
        .size:           4
        .value_kind:     by_value
    .group_segment_fixed_size: 39840
    .kernarg_segment_align: 8
    .kernarg_segment_size: 44
    .language:       OpenCL C
    .language_version:
      - 2
      - 0
    .max_flat_workgroup_size: 256
    .name:           _ZL12mul_mat_q3_KIN3c108BFloat16ELb0EEvPKvS3_PT_iiiii
    .private_segment_fixed_size: 256
    .sgpr_count:     27
    .sgpr_spill_count: 0
    .symbol:         _ZL12mul_mat_q3_KIN3c108BFloat16ELb0EEvPKvS3_PT_iiiii.kd
    .uniform_work_group_size: 1
    .uses_dynamic_stack: false
    .vgpr_count:     256
    .vgpr_spill_count: 63
    .wavefront_size: 32
    .workgroup_processor_mode: 1
  - .args:
      - .actual_access:  read_only
        .address_space:  global
        .offset:         0
        .size:           8
        .value_kind:     global_buffer
      - .actual_access:  read_only
        .address_space:  global
        .offset:         8
        .size:           8
        .value_kind:     global_buffer
      - .actual_access:  write_only
        .address_space:  global
        .offset:         16
        .size:           8
        .value_kind:     global_buffer
      - .offset:         24
        .size:           4
        .value_kind:     by_value
      - .offset:         28
        .size:           4
        .value_kind:     by_value
      - .offset:         32
        .size:           4
        .value_kind:     by_value
      - .offset:         36
        .size:           4
        .value_kind:     by_value
      - .offset:         40
        .size:           4
        .value_kind:     by_value
    .group_segment_fixed_size: 39840
    .kernarg_segment_align: 8
    .kernarg_segment_size: 44
    .language:       OpenCL C
    .language_version:
      - 2
      - 0
    .max_flat_workgroup_size: 256
    .name:           _ZL12mul_mat_q3_KIN3c108BFloat16ELb1EEvPKvS3_PT_iiiii
    .private_segment_fixed_size: 384
    .sgpr_count:     27
    .sgpr_spill_count: 0
    .symbol:         _ZL12mul_mat_q3_KIN3c108BFloat16ELb1EEvPKvS3_PT_iiiii.kd
    .uniform_work_group_size: 1
    .uses_dynamic_stack: false
    .vgpr_count:     256
    .vgpr_spill_count: 95
    .wavefront_size: 32
    .workgroup_processor_mode: 1
  - .args:
      - .actual_access:  read_only
        .address_space:  global
        .offset:         0
        .size:           8
        .value_kind:     global_buffer
      - .actual_access:  read_only
        .address_space:  global
        .offset:         8
        .size:           8
        .value_kind:     global_buffer
      - .actual_access:  write_only
        .address_space:  global
        .offset:         16
        .size:           8
        .value_kind:     global_buffer
      - .offset:         24
        .size:           4
        .value_kind:     by_value
      - .offset:         28
        .size:           4
        .value_kind:     by_value
      - .offset:         32
        .size:           4
        .value_kind:     by_value
      - .offset:         36
        .size:           4
        .value_kind:     by_value
      - .offset:         40
        .size:           4
        .value_kind:     by_value
    .group_segment_fixed_size: 28752
    .kernarg_segment_align: 8
    .kernarg_segment_size: 44
    .language:       OpenCL C
    .language_version:
      - 2
      - 0
    .max_flat_workgroup_size: 256
    .name:           _ZL12mul_mat_q4_KIN3c108BFloat16ELb0EEvPKvS3_PT_iiiii
    .private_segment_fixed_size: 1568
    .sgpr_count:     23
    .sgpr_spill_count: 0
    .symbol:         _ZL12mul_mat_q4_KIN3c108BFloat16ELb0EEvPKvS3_PT_iiiii.kd
    .uniform_work_group_size: 1
    .uses_dynamic_stack: false
    .vgpr_count:     256
    .vgpr_spill_count: 731
    .wavefront_size: 32
    .workgroup_processor_mode: 1
  - .args:
      - .actual_access:  read_only
        .address_space:  global
        .offset:         0
        .size:           8
        .value_kind:     global_buffer
      - .actual_access:  read_only
        .address_space:  global
        .offset:         8
        .size:           8
        .value_kind:     global_buffer
      - .actual_access:  write_only
        .address_space:  global
        .offset:         16
        .size:           8
        .value_kind:     global_buffer
      - .offset:         24
        .size:           4
        .value_kind:     by_value
      - .offset:         28
        .size:           4
        .value_kind:     by_value
      - .offset:         32
        .size:           4
        .value_kind:     by_value
      - .offset:         36
        .size:           4
        .value_kind:     by_value
      - .offset:         40
        .size:           4
        .value_kind:     by_value
    .group_segment_fixed_size: 28752
    .kernarg_segment_align: 8
    .kernarg_segment_size: 44
    .language:       OpenCL C
    .language_version:
      - 2
      - 0
    .max_flat_workgroup_size: 256
    .name:           _ZL12mul_mat_q4_KIN3c108BFloat16ELb1EEvPKvS3_PT_iiiii
    .private_segment_fixed_size: 1696
    .sgpr_count:     20
    .sgpr_spill_count: 0
    .symbol:         _ZL12mul_mat_q4_KIN3c108BFloat16ELb1EEvPKvS3_PT_iiiii.kd
    .uniform_work_group_size: 1
    .uses_dynamic_stack: false
    .vgpr_count:     256
    .vgpr_spill_count: 762
    .wavefront_size: 32
    .workgroup_processor_mode: 1
  - .args:
      - .actual_access:  read_only
        .address_space:  global
        .offset:         0
        .size:           8
        .value_kind:     global_buffer
      - .actual_access:  read_only
        .address_space:  global
        .offset:         8
        .size:           8
        .value_kind:     global_buffer
      - .actual_access:  write_only
        .address_space:  global
        .offset:         16
        .size:           8
        .value_kind:     global_buffer
      - .offset:         24
        .size:           4
        .value_kind:     by_value
      - .offset:         28
        .size:           4
        .value_kind:     by_value
      - .offset:         32
        .size:           4
        .value_kind:     by_value
      - .offset:         36
        .size:           4
        .value_kind:     by_value
      - .offset:         40
        .size:           4
        .value_kind:     by_value
    .group_segment_fixed_size: 45136
    .kernarg_segment_align: 8
    .kernarg_segment_size: 44
    .language:       OpenCL C
    .language_version:
      - 2
      - 0
    .max_flat_workgroup_size: 256
    .name:           _ZL12mul_mat_q5_KIN3c108BFloat16ELb0EEvPKvS3_PT_iiiii
    .private_segment_fixed_size: 216
    .sgpr_count:     21
    .sgpr_spill_count: 0
    .symbol:         _ZL12mul_mat_q5_KIN3c108BFloat16ELb0EEvPKvS3_PT_iiiii.kd
    .uniform_work_group_size: 1
    .uses_dynamic_stack: false
    .vgpr_count:     256
    .vgpr_spill_count: 53
    .wavefront_size: 32
    .workgroup_processor_mode: 1
  - .args:
      - .actual_access:  read_only
        .address_space:  global
        .offset:         0
        .size:           8
        .value_kind:     global_buffer
      - .actual_access:  read_only
        .address_space:  global
        .offset:         8
        .size:           8
        .value_kind:     global_buffer
      - .actual_access:  write_only
        .address_space:  global
        .offset:         16
        .size:           8
        .value_kind:     global_buffer
      - .offset:         24
        .size:           4
        .value_kind:     by_value
      - .offset:         28
        .size:           4
        .value_kind:     by_value
      - .offset:         32
        .size:           4
        .value_kind:     by_value
      - .offset:         36
        .size:           4
        .value_kind:     by_value
      - .offset:         40
        .size:           4
        .value_kind:     by_value
    .group_segment_fixed_size: 45136
    .kernarg_segment_align: 8
    .kernarg_segment_size: 44
    .language:       OpenCL C
    .language_version:
      - 2
      - 0
    .max_flat_workgroup_size: 256
    .name:           _ZL12mul_mat_q5_KIN3c108BFloat16ELb1EEvPKvS3_PT_iiiii
    .private_segment_fixed_size: 240
    .sgpr_count:     20
    .sgpr_spill_count: 0
    .symbol:         _ZL12mul_mat_q5_KIN3c108BFloat16ELb1EEvPKvS3_PT_iiiii.kd
    .uniform_work_group_size: 1
    .uses_dynamic_stack: false
    .vgpr_count:     256
    .vgpr_spill_count: 59
    .wavefront_size: 32
    .workgroup_processor_mode: 1
  - .args:
      - .actual_access:  read_only
        .address_space:  global
        .offset:         0
        .size:           8
        .value_kind:     global_buffer
      - .actual_access:  read_only
        .address_space:  global
        .offset:         8
        .size:           8
        .value_kind:     global_buffer
      - .actual_access:  write_only
        .address_space:  global
        .offset:         16
        .size:           8
        .value_kind:     global_buffer
      - .offset:         24
        .size:           4
        .value_kind:     by_value
      - .offset:         28
        .size:           4
        .value_kind:     by_value
      - .offset:         32
        .size:           4
        .value_kind:     by_value
      - .offset:         36
        .size:           4
        .value_kind:     by_value
      - .offset:         40
        .size:           4
        .value_kind:     by_value
    .group_segment_fixed_size: 45136
    .kernarg_segment_align: 8
    .kernarg_segment_size: 44
    .language:       OpenCL C
    .language_version:
      - 2
      - 0
    .max_flat_workgroup_size: 256
    .name:           _ZL12mul_mat_q6_KIN3c108BFloat16ELb0EEvPKvS3_PT_iiiii
    .private_segment_fixed_size: 12
    .sgpr_count:     20
    .sgpr_spill_count: 0
    .symbol:         _ZL12mul_mat_q6_KIN3c108BFloat16ELb0EEvPKvS3_PT_iiiii.kd
    .uniform_work_group_size: 1
    .uses_dynamic_stack: false
    .vgpr_count:     256
    .vgpr_spill_count: 2
    .wavefront_size: 32
    .workgroup_processor_mode: 1
  - .args:
      - .actual_access:  read_only
        .address_space:  global
        .offset:         0
        .size:           8
        .value_kind:     global_buffer
      - .actual_access:  read_only
        .address_space:  global
        .offset:         8
        .size:           8
        .value_kind:     global_buffer
      - .actual_access:  write_only
        .address_space:  global
        .offset:         16
        .size:           8
        .value_kind:     global_buffer
      - .offset:         24
        .size:           4
        .value_kind:     by_value
      - .offset:         28
        .size:           4
        .value_kind:     by_value
      - .offset:         32
        .size:           4
        .value_kind:     by_value
      - .offset:         36
        .size:           4
        .value_kind:     by_value
      - .offset:         40
        .size:           4
        .value_kind:     by_value
    .group_segment_fixed_size: 45136
    .kernarg_segment_align: 8
    .kernarg_segment_size: 44
    .language:       OpenCL C
    .language_version:
      - 2
      - 0
    .max_flat_workgroup_size: 256
    .name:           _ZL12mul_mat_q6_KIN3c108BFloat16ELb1EEvPKvS3_PT_iiiii
    .private_segment_fixed_size: 24
    .sgpr_count:     20
    .sgpr_spill_count: 0
    .symbol:         _ZL12mul_mat_q6_KIN3c108BFloat16ELb1EEvPKvS3_PT_iiiii.kd
    .uniform_work_group_size: 1
    .uses_dynamic_stack: false
    .vgpr_count:     256
    .vgpr_spill_count: 5
    .wavefront_size: 32
    .workgroup_processor_mode: 1
  - .args:
      - .actual_access:  read_only
        .address_space:  global
        .offset:         0
        .size:           8
        .value_kind:     global_buffer
      - .actual_access:  read_only
        .address_space:  global
        .offset:         8
        .size:           8
        .value_kind:     global_buffer
      - .actual_access:  write_only
        .address_space:  global
        .offset:         16
        .size:           8
        .value_kind:     global_buffer
      - .address_space:  global
        .offset:         24
        .size:           8
        .value_kind:     global_buffer
      - .address_space:  global
        .offset:         32
        .size:           8
        .value_kind:     global_buffer
      - .address_space:  global
        .offset:         40
        .size:           8
        .value_kind:     global_buffer
      - .offset:         48
        .size:           4
        .value_kind:     by_value
      - .offset:         52
        .size:           4
        .value_kind:     by_value
      - .offset:         56
        .size:           4
        .value_kind:     by_value
      - .offset:         60
        .size:           4
        .value_kind:     by_value
      - .offset:         64
        .size:           4
        .value_kind:     by_value
      - .offset:         68
        .size:           4
        .value_kind:     by_value
      - .offset:         72
        .size:           4
        .value_kind:     by_value
    .group_segment_fixed_size: 22272
    .kernarg_segment_align: 8
    .kernarg_segment_size: 76
    .language:       OpenCL C
    .language_version:
      - 2
      - 0
    .max_flat_workgroup_size: 256
    .name:           _ZL8moe_q4_0IfLb0EEvPKvS1_PT_PKiS5_S5_iiiiiii
    .private_segment_fixed_size: 0
    .sgpr_count:     24
    .sgpr_spill_count: 0
    .symbol:         _ZL8moe_q4_0IfLb0EEvPKvS1_PT_PKiS5_S5_iiiiiii.kd
    .uniform_work_group_size: 1
    .uses_dynamic_stack: false
    .vgpr_count:     238
    .vgpr_spill_count: 0
    .wavefront_size: 32
    .workgroup_processor_mode: 1
  - .args:
      - .actual_access:  read_only
        .address_space:  global
        .offset:         0
        .size:           8
        .value_kind:     global_buffer
      - .actual_access:  read_only
        .address_space:  global
        .offset:         8
        .size:           8
        .value_kind:     global_buffer
      - .actual_access:  write_only
        .address_space:  global
        .offset:         16
        .size:           8
        .value_kind:     global_buffer
      - .address_space:  global
        .offset:         24
        .size:           8
        .value_kind:     global_buffer
      - .address_space:  global
        .offset:         32
        .size:           8
        .value_kind:     global_buffer
      - .address_space:  global
        .offset:         40
        .size:           8
        .value_kind:     global_buffer
      - .offset:         48
        .size:           4
        .value_kind:     by_value
      - .offset:         52
        .size:           4
        .value_kind:     by_value
      - .offset:         56
        .size:           4
        .value_kind:     by_value
      - .offset:         60
        .size:           4
        .value_kind:     by_value
      - .offset:         64
        .size:           4
        .value_kind:     by_value
      - .offset:         68
        .size:           4
        .value_kind:     by_value
      - .offset:         72
        .size:           4
        .value_kind:     by_value
    .group_segment_fixed_size: 22272
    .kernarg_segment_align: 8
    .kernarg_segment_size: 76
    .language:       OpenCL C
    .language_version:
      - 2
      - 0
    .max_flat_workgroup_size: 256
    .name:           _ZL8moe_q4_0IfLb1EEvPKvS1_PT_PKiS5_S5_iiiiiii
    .private_segment_fixed_size: 0
    .sgpr_count:     23
    .sgpr_spill_count: 0
    .symbol:         _ZL8moe_q4_0IfLb1EEvPKvS1_PT_PKiS5_S5_iiiiiii.kd
    .uniform_work_group_size: 1
    .uses_dynamic_stack: false
    .vgpr_count:     243
    .vgpr_spill_count: 0
    .wavefront_size: 32
    .workgroup_processor_mode: 1
  - .args:
      - .actual_access:  read_only
        .address_space:  global
        .offset:         0
        .size:           8
        .value_kind:     global_buffer
      - .actual_access:  read_only
        .address_space:  global
        .offset:         8
        .size:           8
        .value_kind:     global_buffer
      - .actual_access:  write_only
        .address_space:  global
        .offset:         16
        .size:           8
        .value_kind:     global_buffer
      - .address_space:  global
        .offset:         24
        .size:           8
        .value_kind:     global_buffer
      - .address_space:  global
        .offset:         32
        .size:           8
        .value_kind:     global_buffer
      - .address_space:  global
        .offset:         40
        .size:           8
        .value_kind:     global_buffer
      - .offset:         48
        .size:           4
        .value_kind:     by_value
      - .offset:         52
        .size:           4
        .value_kind:     by_value
      - .offset:         56
        .size:           4
        .value_kind:     by_value
      - .offset:         60
        .size:           4
        .value_kind:     by_value
      - .offset:         64
        .size:           4
        .value_kind:     by_value
      - .offset:         68
        .size:           4
        .value_kind:     by_value
      - .offset:         72
        .size:           4
        .value_kind:     by_value
    .group_segment_fixed_size: 22272
    .kernarg_segment_align: 8
    .kernarg_segment_size: 76
    .language:       OpenCL C
    .language_version:
      - 2
      - 0
    .max_flat_workgroup_size: 256
    .name:           _ZL8moe_q4_1IfLb0EEvPKvS1_PT_PKiS5_S5_iiiiiii
    .private_segment_fixed_size: 0
    .sgpr_count:     24
    .sgpr_spill_count: 0
    .symbol:         _ZL8moe_q4_1IfLb0EEvPKvS1_PT_PKiS5_S5_iiiiiii.kd
    .uniform_work_group_size: 1
    .uses_dynamic_stack: false
    .vgpr_count:     238
    .vgpr_spill_count: 0
    .wavefront_size: 32
    .workgroup_processor_mode: 1
  - .args:
      - .actual_access:  read_only
        .address_space:  global
        .offset:         0
        .size:           8
        .value_kind:     global_buffer
      - .actual_access:  read_only
        .address_space:  global
        .offset:         8
        .size:           8
        .value_kind:     global_buffer
      - .actual_access:  write_only
        .address_space:  global
        .offset:         16
        .size:           8
        .value_kind:     global_buffer
      - .address_space:  global
        .offset:         24
        .size:           8
        .value_kind:     global_buffer
      - .address_space:  global
        .offset:         32
        .size:           8
        .value_kind:     global_buffer
      - .address_space:  global
        .offset:         40
        .size:           8
        .value_kind:     global_buffer
      - .offset:         48
        .size:           4
        .value_kind:     by_value
      - .offset:         52
        .size:           4
        .value_kind:     by_value
      - .offset:         56
        .size:           4
        .value_kind:     by_value
      - .offset:         60
        .size:           4
        .value_kind:     by_value
      - .offset:         64
        .size:           4
        .value_kind:     by_value
      - .offset:         68
        .size:           4
        .value_kind:     by_value
      - .offset:         72
        .size:           4
        .value_kind:     by_value
    .group_segment_fixed_size: 22272
    .kernarg_segment_align: 8
    .kernarg_segment_size: 76
    .language:       OpenCL C
    .language_version:
      - 2
      - 0
    .max_flat_workgroup_size: 256
    .name:           _ZL8moe_q4_1IfLb1EEvPKvS1_PT_PKiS5_S5_iiiiiii
    .private_segment_fixed_size: 0
    .sgpr_count:     23
    .sgpr_spill_count: 0
    .symbol:         _ZL8moe_q4_1IfLb1EEvPKvS1_PT_PKiS5_S5_iiiiiii.kd
    .uniform_work_group_size: 1
    .uses_dynamic_stack: false
    .vgpr_count:     238
    .vgpr_spill_count: 0
    .wavefront_size: 32
    .workgroup_processor_mode: 1
  - .args:
      - .actual_access:  read_only
        .address_space:  global
        .offset:         0
        .size:           8
        .value_kind:     global_buffer
      - .actual_access:  read_only
        .address_space:  global
        .offset:         8
        .size:           8
        .value_kind:     global_buffer
      - .actual_access:  write_only
        .address_space:  global
        .offset:         16
        .size:           8
        .value_kind:     global_buffer
      - .address_space:  global
        .offset:         24
        .size:           8
        .value_kind:     global_buffer
      - .address_space:  global
        .offset:         32
        .size:           8
        .value_kind:     global_buffer
      - .address_space:  global
        .offset:         40
        .size:           8
        .value_kind:     global_buffer
      - .offset:         48
        .size:           4
        .value_kind:     by_value
      - .offset:         52
        .size:           4
        .value_kind:     by_value
      - .offset:         56
        .size:           4
        .value_kind:     by_value
      - .offset:         60
        .size:           4
        .value_kind:     by_value
      - .offset:         64
        .size:           4
        .value_kind:     by_value
      - .offset:         68
        .size:           4
        .value_kind:     by_value
      - .offset:         72
        .size:           4
        .value_kind:     by_value
    .group_segment_fixed_size: 38656
    .kernarg_segment_align: 8
    .kernarg_segment_size: 76
    .language:       OpenCL C
    .language_version:
      - 2
      - 0
    .max_flat_workgroup_size: 256
    .name:           _ZL8moe_q5_0IfLb0EEvPKvS1_PT_PKiS5_S5_iiiiiii
    .private_segment_fixed_size: 0
    .sgpr_count:     24
    .sgpr_spill_count: 0
    .symbol:         _ZL8moe_q5_0IfLb0EEvPKvS1_PT_PKiS5_S5_iiiiiii.kd
    .uniform_work_group_size: 1
    .uses_dynamic_stack: false
    .vgpr_count:     158
    .vgpr_spill_count: 0
    .wavefront_size: 32
    .workgroup_processor_mode: 1
  - .args:
      - .actual_access:  read_only
        .address_space:  global
        .offset:         0
        .size:           8
        .value_kind:     global_buffer
      - .actual_access:  read_only
        .address_space:  global
        .offset:         8
        .size:           8
        .value_kind:     global_buffer
      - .actual_access:  write_only
        .address_space:  global
        .offset:         16
        .size:           8
        .value_kind:     global_buffer
      - .address_space:  global
        .offset:         24
        .size:           8
        .value_kind:     global_buffer
      - .address_space:  global
        .offset:         32
        .size:           8
        .value_kind:     global_buffer
      - .address_space:  global
        .offset:         40
        .size:           8
        .value_kind:     global_buffer
      - .offset:         48
        .size:           4
        .value_kind:     by_value
      - .offset:         52
        .size:           4
        .value_kind:     by_value
      - .offset:         56
        .size:           4
        .value_kind:     by_value
      - .offset:         60
        .size:           4
        .value_kind:     by_value
      - .offset:         64
        .size:           4
        .value_kind:     by_value
      - .offset:         68
        .size:           4
        .value_kind:     by_value
      - .offset:         72
        .size:           4
        .value_kind:     by_value
    .group_segment_fixed_size: 38656
    .kernarg_segment_align: 8
    .kernarg_segment_size: 76
    .language:       OpenCL C
    .language_version:
      - 2
      - 0
    .max_flat_workgroup_size: 256
    .name:           _ZL8moe_q5_0IfLb1EEvPKvS1_PT_PKiS5_S5_iiiiiii
    .private_segment_fixed_size: 0
    .sgpr_count:     23
    .sgpr_spill_count: 0
    .symbol:         _ZL8moe_q5_0IfLb1EEvPKvS1_PT_PKiS5_S5_iiiiiii.kd
    .uniform_work_group_size: 1
    .uses_dynamic_stack: false
    .vgpr_count:     158
    .vgpr_spill_count: 0
    .wavefront_size: 32
    .workgroup_processor_mode: 1
  - .args:
      - .actual_access:  read_only
        .address_space:  global
        .offset:         0
        .size:           8
        .value_kind:     global_buffer
      - .actual_access:  read_only
        .address_space:  global
        .offset:         8
        .size:           8
        .value_kind:     global_buffer
      - .actual_access:  write_only
        .address_space:  global
        .offset:         16
        .size:           8
        .value_kind:     global_buffer
      - .address_space:  global
        .offset:         24
        .size:           8
        .value_kind:     global_buffer
      - .address_space:  global
        .offset:         32
        .size:           8
        .value_kind:     global_buffer
      - .address_space:  global
        .offset:         40
        .size:           8
        .value_kind:     global_buffer
      - .offset:         48
        .size:           4
        .value_kind:     by_value
      - .offset:         52
        .size:           4
        .value_kind:     by_value
      - .offset:         56
        .size:           4
        .value_kind:     by_value
      - .offset:         60
        .size:           4
        .value_kind:     by_value
      - .offset:         64
        .size:           4
        .value_kind:     by_value
      - .offset:         68
        .size:           4
        .value_kind:     by_value
      - .offset:         72
        .size:           4
        .value_kind:     by_value
    .group_segment_fixed_size: 38656
    .kernarg_segment_align: 8
    .kernarg_segment_size: 76
    .language:       OpenCL C
    .language_version:
      - 2
      - 0
    .max_flat_workgroup_size: 256
    .name:           _ZL8moe_q5_1IfLb0EEvPKvS1_PT_PKiS5_S5_iiiiiii
    .private_segment_fixed_size: 0
    .sgpr_count:     24
    .sgpr_spill_count: 0
    .symbol:         _ZL8moe_q5_1IfLb0EEvPKvS1_PT_PKiS5_S5_iiiiiii.kd
    .uniform_work_group_size: 1
    .uses_dynamic_stack: false
    .vgpr_count:     180
    .vgpr_spill_count: 0
    .wavefront_size: 32
    .workgroup_processor_mode: 1
  - .args:
      - .actual_access:  read_only
        .address_space:  global
        .offset:         0
        .size:           8
        .value_kind:     global_buffer
      - .actual_access:  read_only
        .address_space:  global
        .offset:         8
        .size:           8
        .value_kind:     global_buffer
      - .actual_access:  write_only
        .address_space:  global
        .offset:         16
        .size:           8
        .value_kind:     global_buffer
      - .address_space:  global
        .offset:         24
        .size:           8
        .value_kind:     global_buffer
      - .address_space:  global
        .offset:         32
        .size:           8
        .value_kind:     global_buffer
      - .address_space:  global
        .offset:         40
        .size:           8
        .value_kind:     global_buffer
      - .offset:         48
        .size:           4
        .value_kind:     by_value
      - .offset:         52
        .size:           4
        .value_kind:     by_value
      - .offset:         56
        .size:           4
        .value_kind:     by_value
      - .offset:         60
        .size:           4
        .value_kind:     by_value
      - .offset:         64
        .size:           4
        .value_kind:     by_value
      - .offset:         68
        .size:           4
        .value_kind:     by_value
      - .offset:         72
        .size:           4
        .value_kind:     by_value
    .group_segment_fixed_size: 38656
    .kernarg_segment_align: 8
    .kernarg_segment_size: 76
    .language:       OpenCL C
    .language_version:
      - 2
      - 0
    .max_flat_workgroup_size: 256
    .name:           _ZL8moe_q5_1IfLb1EEvPKvS1_PT_PKiS5_S5_iiiiiii
    .private_segment_fixed_size: 0
    .sgpr_count:     23
    .sgpr_spill_count: 0
    .symbol:         _ZL8moe_q5_1IfLb1EEvPKvS1_PT_PKiS5_S5_iiiiiii.kd
    .uniform_work_group_size: 1
    .uses_dynamic_stack: false
    .vgpr_count:     180
    .vgpr_spill_count: 0
    .wavefront_size: 32
    .workgroup_processor_mode: 1
  - .args:
      - .actual_access:  read_only
        .address_space:  global
        .offset:         0
        .size:           8
        .value_kind:     global_buffer
      - .actual_access:  read_only
        .address_space:  global
        .offset:         8
        .size:           8
        .value_kind:     global_buffer
      - .actual_access:  write_only
        .address_space:  global
        .offset:         16
        .size:           8
        .value_kind:     global_buffer
      - .address_space:  global
        .offset:         24
        .size:           8
        .value_kind:     global_buffer
      - .address_space:  global
        .offset:         32
        .size:           8
        .value_kind:     global_buffer
      - .address_space:  global
        .offset:         40
        .size:           8
        .value_kind:     global_buffer
      - .offset:         48
        .size:           4
        .value_kind:     by_value
      - .offset:         52
        .size:           4
        .value_kind:     by_value
      - .offset:         56
        .size:           4
        .value_kind:     by_value
      - .offset:         60
        .size:           4
        .value_kind:     by_value
      - .offset:         64
        .size:           4
        .value_kind:     by_value
      - .offset:         68
        .size:           4
        .value_kind:     by_value
      - .offset:         72
        .size:           4
        .value_kind:     by_value
    .group_segment_fixed_size: 20160
    .kernarg_segment_align: 8
    .kernarg_segment_size: 76
    .language:       OpenCL C
    .language_version:
      - 2
      - 0
    .max_flat_workgroup_size: 256
    .name:           _ZL8moe_q8_0IfLb0EEvPKvS1_PT_PKiS5_S5_iiiiiii
    .private_segment_fixed_size: 0
    .sgpr_count:     23
    .sgpr_spill_count: 0
    .symbol:         _ZL8moe_q8_0IfLb0EEvPKvS1_PT_PKiS5_S5_iiiiiii.kd
    .uniform_work_group_size: 1
    .uses_dynamic_stack: false
    .vgpr_count:     119
    .vgpr_spill_count: 0
    .wavefront_size: 32
    .workgroup_processor_mode: 1
  - .args:
      - .actual_access:  read_only
        .address_space:  global
        .offset:         0
        .size:           8
        .value_kind:     global_buffer
      - .actual_access:  read_only
        .address_space:  global
        .offset:         8
        .size:           8
        .value_kind:     global_buffer
      - .actual_access:  write_only
        .address_space:  global
        .offset:         16
        .size:           8
        .value_kind:     global_buffer
      - .address_space:  global
        .offset:         24
        .size:           8
        .value_kind:     global_buffer
      - .address_space:  global
        .offset:         32
        .size:           8
        .value_kind:     global_buffer
      - .address_space:  global
        .offset:         40
        .size:           8
        .value_kind:     global_buffer
      - .offset:         48
        .size:           4
        .value_kind:     by_value
      - .offset:         52
        .size:           4
        .value_kind:     by_value
      - .offset:         56
        .size:           4
        .value_kind:     by_value
      - .offset:         60
        .size:           4
        .value_kind:     by_value
      - .offset:         64
        .size:           4
        .value_kind:     by_value
      - .offset:         68
        .size:           4
        .value_kind:     by_value
      - .offset:         72
        .size:           4
        .value_kind:     by_value
    .group_segment_fixed_size: 20160
    .kernarg_segment_align: 8
    .kernarg_segment_size: 76
    .language:       OpenCL C
    .language_version:
      - 2
      - 0
    .max_flat_workgroup_size: 256
    .name:           _ZL8moe_q8_0IfLb1EEvPKvS1_PT_PKiS5_S5_iiiiiii
    .private_segment_fixed_size: 0
    .sgpr_count:     22
    .sgpr_spill_count: 0
    .symbol:         _ZL8moe_q8_0IfLb1EEvPKvS1_PT_PKiS5_S5_iiiiiii.kd
    .uniform_work_group_size: 1
    .uses_dynamic_stack: false
    .vgpr_count:     126
    .vgpr_spill_count: 0
    .wavefront_size: 32
    .workgroup_processor_mode: 1
  - .args:
      - .actual_access:  read_only
        .address_space:  global
        .offset:         0
        .size:           8
        .value_kind:     global_buffer
      - .actual_access:  read_only
        .address_space:  global
        .offset:         8
        .size:           8
        .value_kind:     global_buffer
      - .actual_access:  write_only
        .address_space:  global
        .offset:         16
        .size:           8
        .value_kind:     global_buffer
      - .address_space:  global
        .offset:         24
        .size:           8
        .value_kind:     global_buffer
      - .address_space:  global
        .offset:         32
        .size:           8
        .value_kind:     global_buffer
      - .address_space:  global
        .offset:         40
        .size:           8
        .value_kind:     global_buffer
      - .offset:         48
        .size:           4
        .value_kind:     by_value
      - .offset:         52
        .size:           4
        .value_kind:     by_value
      - .offset:         56
        .size:           4
        .value_kind:     by_value
      - .offset:         60
        .size:           4
        .value_kind:     by_value
      - .offset:         64
        .size:           4
        .value_kind:     by_value
      - .offset:         68
        .size:           4
        .value_kind:     by_value
      - .offset:         72
        .size:           4
        .value_kind:     by_value
    .group_segment_fixed_size: 23328
    .kernarg_segment_align: 8
    .kernarg_segment_size: 76
    .language:       OpenCL C
    .language_version:
      - 2
      - 0
    .max_flat_workgroup_size: 256
    .name:           _ZL8moe_q2_KIfLb0EEvPKvS1_PT_PKiS5_S5_iiiiiii
    .private_segment_fixed_size: 0
    .sgpr_count:     24
    .sgpr_spill_count: 0
    .symbol:         _ZL8moe_q2_KIfLb0EEvPKvS1_PT_PKiS5_S5_iiiiiii.kd
    .uniform_work_group_size: 1
    .uses_dynamic_stack: false
    .vgpr_count:     136
    .vgpr_spill_count: 0
    .wavefront_size: 32
    .workgroup_processor_mode: 1
  - .args:
      - .actual_access:  read_only
        .address_space:  global
        .offset:         0
        .size:           8
        .value_kind:     global_buffer
      - .actual_access:  read_only
        .address_space:  global
        .offset:         8
        .size:           8
        .value_kind:     global_buffer
      - .actual_access:  write_only
        .address_space:  global
        .offset:         16
        .size:           8
        .value_kind:     global_buffer
      - .address_space:  global
        .offset:         24
        .size:           8
        .value_kind:     global_buffer
      - .address_space:  global
        .offset:         32
        .size:           8
        .value_kind:     global_buffer
      - .address_space:  global
        .offset:         40
        .size:           8
        .value_kind:     global_buffer
      - .offset:         48
        .size:           4
        .value_kind:     by_value
      - .offset:         52
        .size:           4
        .value_kind:     by_value
      - .offset:         56
        .size:           4
        .value_kind:     by_value
      - .offset:         60
        .size:           4
        .value_kind:     by_value
      - .offset:         64
        .size:           4
        .value_kind:     by_value
      - .offset:         68
        .size:           4
        .value_kind:     by_value
      - .offset:         72
        .size:           4
        .value_kind:     by_value
    .group_segment_fixed_size: 23328
    .kernarg_segment_align: 8
    .kernarg_segment_size: 76
    .language:       OpenCL C
    .language_version:
      - 2
      - 0
    .max_flat_workgroup_size: 256
    .name:           _ZL8moe_q2_KIfLb1EEvPKvS1_PT_PKiS5_S5_iiiiiii
    .private_segment_fixed_size: 0
    .sgpr_count:     24
    .sgpr_spill_count: 0
    .symbol:         _ZL8moe_q2_KIfLb1EEvPKvS1_PT_PKiS5_S5_iiiiiii.kd
    .uniform_work_group_size: 1
    .uses_dynamic_stack: false
    .vgpr_count:     151
    .vgpr_spill_count: 0
    .wavefront_size: 32
    .workgroup_processor_mode: 1
  - .args:
      - .actual_access:  read_only
        .address_space:  global
        .offset:         0
        .size:           8
        .value_kind:     global_buffer
      - .actual_access:  read_only
        .address_space:  global
        .offset:         8
        .size:           8
        .value_kind:     global_buffer
      - .actual_access:  write_only
        .address_space:  global
        .offset:         16
        .size:           8
        .value_kind:     global_buffer
      - .address_space:  global
        .offset:         24
        .size:           8
        .value_kind:     global_buffer
      - .address_space:  global
        .offset:         32
        .size:           8
        .value_kind:     global_buffer
      - .address_space:  global
        .offset:         40
        .size:           8
        .value_kind:     global_buffer
      - .offset:         48
        .size:           4
        .value_kind:     by_value
      - .offset:         52
        .size:           4
        .value_kind:     by_value
      - .offset:         56
        .size:           4
        .value_kind:     by_value
      - .offset:         60
        .size:           4
        .value_kind:     by_value
      - .offset:         64
        .size:           4
        .value_kind:     by_value
      - .offset:         68
        .size:           4
        .value_kind:     by_value
      - .offset:         72
        .size:           4
        .value_kind:     by_value
    .group_segment_fixed_size: 31776
    .kernarg_segment_align: 8
    .kernarg_segment_size: 76
    .language:       OpenCL C
    .language_version:
      - 2
      - 0
    .max_flat_workgroup_size: 256
    .name:           _ZL8moe_q3_KIfLb0EEvPKvS1_PT_PKiS5_S5_iiiiiii
    .private_segment_fixed_size: 0
    .sgpr_count:     29
    .sgpr_spill_count: 0
    .symbol:         _ZL8moe_q3_KIfLb0EEvPKvS1_PT_PKiS5_S5_iiiiiii.kd
    .uniform_work_group_size: 1
    .uses_dynamic_stack: false
    .vgpr_count:     227
    .vgpr_spill_count: 0
    .wavefront_size: 32
    .workgroup_processor_mode: 1
  - .args:
      - .actual_access:  read_only
        .address_space:  global
        .offset:         0
        .size:           8
        .value_kind:     global_buffer
      - .actual_access:  read_only
        .address_space:  global
        .offset:         8
        .size:           8
        .value_kind:     global_buffer
      - .actual_access:  write_only
        .address_space:  global
        .offset:         16
        .size:           8
        .value_kind:     global_buffer
      - .address_space:  global
        .offset:         24
        .size:           8
        .value_kind:     global_buffer
      - .address_space:  global
        .offset:         32
        .size:           8
        .value_kind:     global_buffer
      - .address_space:  global
        .offset:         40
        .size:           8
        .value_kind:     global_buffer
      - .offset:         48
        .size:           4
        .value_kind:     by_value
      - .offset:         52
        .size:           4
        .value_kind:     by_value
      - .offset:         56
        .size:           4
        .value_kind:     by_value
      - .offset:         60
        .size:           4
        .value_kind:     by_value
      - .offset:         64
        .size:           4
        .value_kind:     by_value
      - .offset:         68
        .size:           4
        .value_kind:     by_value
      - .offset:         72
        .size:           4
        .value_kind:     by_value
    .group_segment_fixed_size: 31776
    .kernarg_segment_align: 8
    .kernarg_segment_size: 76
    .language:       OpenCL C
    .language_version:
      - 2
      - 0
    .max_flat_workgroup_size: 256
    .name:           _ZL8moe_q3_KIfLb1EEvPKvS1_PT_PKiS5_S5_iiiiiii
    .private_segment_fixed_size: 0
    .sgpr_count:     29
    .sgpr_spill_count: 0
    .symbol:         _ZL8moe_q3_KIfLb1EEvPKvS1_PT_PKiS5_S5_iiiiiii.kd
    .uniform_work_group_size: 1
    .uses_dynamic_stack: false
    .vgpr_count:     229
    .vgpr_spill_count: 0
    .wavefront_size: 32
    .workgroup_processor_mode: 1
  - .args:
      - .actual_access:  read_only
        .address_space:  global
        .offset:         0
        .size:           8
        .value_kind:     global_buffer
      - .actual_access:  read_only
        .address_space:  global
        .offset:         8
        .size:           8
        .value_kind:     global_buffer
      - .actual_access:  write_only
        .address_space:  global
        .offset:         16
        .size:           8
        .value_kind:     global_buffer
      - .address_space:  global
        .offset:         24
        .size:           8
        .value_kind:     global_buffer
      - .address_space:  global
        .offset:         32
        .size:           8
        .value_kind:     global_buffer
      - .address_space:  global
        .offset:         40
        .size:           8
        .value_kind:     global_buffer
      - .offset:         48
        .size:           4
        .value_kind:     by_value
      - .offset:         52
        .size:           4
        .value_kind:     by_value
      - .offset:         56
        .size:           4
        .value_kind:     by_value
      - .offset:         60
        .size:           4
        .value_kind:     by_value
      - .offset:         64
        .size:           4
        .value_kind:     by_value
      - .offset:         68
        .size:           4
        .value_kind:     by_value
      - .offset:         72
        .size:           4
        .value_kind:     by_value
    .group_segment_fixed_size: 20688
    .kernarg_segment_align: 8
    .kernarg_segment_size: 76
    .language:       OpenCL C
    .language_version:
      - 2
      - 0
    .max_flat_workgroup_size: 256
    .name:           _ZL8moe_q4_KIfLb0EEvPKvS1_PT_PKiS5_S5_iiiiiii
    .private_segment_fixed_size: 0
    .sgpr_count:     26
    .sgpr_spill_count: 0
    .symbol:         _ZL8moe_q4_KIfLb0EEvPKvS1_PT_PKiS5_S5_iiiiiii.kd
    .uniform_work_group_size: 1
    .uses_dynamic_stack: false
    .vgpr_count:     172
    .vgpr_spill_count: 0
    .wavefront_size: 32
    .workgroup_processor_mode: 1
  - .args:
      - .actual_access:  read_only
        .address_space:  global
        .offset:         0
        .size:           8
        .value_kind:     global_buffer
      - .actual_access:  read_only
        .address_space:  global
        .offset:         8
        .size:           8
        .value_kind:     global_buffer
      - .actual_access:  write_only
        .address_space:  global
        .offset:         16
        .size:           8
        .value_kind:     global_buffer
      - .address_space:  global
        .offset:         24
        .size:           8
        .value_kind:     global_buffer
      - .address_space:  global
        .offset:         32
        .size:           8
        .value_kind:     global_buffer
      - .address_space:  global
        .offset:         40
        .size:           8
        .value_kind:     global_buffer
      - .offset:         48
        .size:           4
        .value_kind:     by_value
      - .offset:         52
        .size:           4
        .value_kind:     by_value
      - .offset:         56
        .size:           4
        .value_kind:     by_value
      - .offset:         60
        .size:           4
        .value_kind:     by_value
      - .offset:         64
        .size:           4
        .value_kind:     by_value
      - .offset:         68
        .size:           4
        .value_kind:     by_value
      - .offset:         72
        .size:           4
        .value_kind:     by_value
    .group_segment_fixed_size: 20688
    .kernarg_segment_align: 8
    .kernarg_segment_size: 76
    .language:       OpenCL C
    .language_version:
      - 2
      - 0
    .max_flat_workgroup_size: 256
    .name:           _ZL8moe_q4_KIfLb1EEvPKvS1_PT_PKiS5_S5_iiiiiii
    .private_segment_fixed_size: 0
    .sgpr_count:     26
    .sgpr_spill_count: 0
    .symbol:         _ZL8moe_q4_KIfLb1EEvPKvS1_PT_PKiS5_S5_iiiiiii.kd
    .uniform_work_group_size: 1
    .uses_dynamic_stack: false
    .vgpr_count:     187
    .vgpr_spill_count: 0
    .wavefront_size: 32
    .workgroup_processor_mode: 1
  - .args:
      - .actual_access:  read_only
        .address_space:  global
        .offset:         0
        .size:           8
        .value_kind:     global_buffer
      - .actual_access:  read_only
        .address_space:  global
        .offset:         8
        .size:           8
        .value_kind:     global_buffer
      - .actual_access:  write_only
        .address_space:  global
        .offset:         16
        .size:           8
        .value_kind:     global_buffer
      - .address_space:  global
        .offset:         24
        .size:           8
        .value_kind:     global_buffer
      - .address_space:  global
        .offset:         32
        .size:           8
        .value_kind:     global_buffer
      - .address_space:  global
        .offset:         40
        .size:           8
        .value_kind:     global_buffer
      - .offset:         48
        .size:           4
        .value_kind:     by_value
      - .offset:         52
        .size:           4
        .value_kind:     by_value
      - .offset:         56
        .size:           4
        .value_kind:     by_value
      - .offset:         60
        .size:           4
        .value_kind:     by_value
      - .offset:         64
        .size:           4
        .value_kind:     by_value
      - .offset:         68
        .size:           4
        .value_kind:     by_value
      - .offset:         72
        .size:           4
        .value_kind:     by_value
    .group_segment_fixed_size: 37072
    .kernarg_segment_align: 8
    .kernarg_segment_size: 76
    .language:       OpenCL C
    .language_version:
      - 2
      - 0
    .max_flat_workgroup_size: 256
    .name:           _ZL8moe_q5_KIfLb0EEvPKvS1_PT_PKiS5_S5_iiiiiii
    .private_segment_fixed_size: 0
    .sgpr_count:     25
    .sgpr_spill_count: 0
    .symbol:         _ZL8moe_q5_KIfLb0EEvPKvS1_PT_PKiS5_S5_iiiiiii.kd
    .uniform_work_group_size: 1
    .uses_dynamic_stack: false
    .vgpr_count:     231
    .vgpr_spill_count: 0
    .wavefront_size: 32
    .workgroup_processor_mode: 1
  - .args:
      - .actual_access:  read_only
        .address_space:  global
        .offset:         0
        .size:           8
        .value_kind:     global_buffer
      - .actual_access:  read_only
        .address_space:  global
        .offset:         8
        .size:           8
        .value_kind:     global_buffer
      - .actual_access:  write_only
        .address_space:  global
        .offset:         16
        .size:           8
        .value_kind:     global_buffer
      - .address_space:  global
        .offset:         24
        .size:           8
        .value_kind:     global_buffer
      - .address_space:  global
        .offset:         32
        .size:           8
        .value_kind:     global_buffer
      - .address_space:  global
        .offset:         40
        .size:           8
        .value_kind:     global_buffer
      - .offset:         48
        .size:           4
        .value_kind:     by_value
      - .offset:         52
        .size:           4
        .value_kind:     by_value
      - .offset:         56
        .size:           4
        .value_kind:     by_value
      - .offset:         60
        .size:           4
        .value_kind:     by_value
      - .offset:         64
        .size:           4
        .value_kind:     by_value
      - .offset:         68
        .size:           4
        .value_kind:     by_value
      - .offset:         72
        .size:           4
        .value_kind:     by_value
    .group_segment_fixed_size: 37072
    .kernarg_segment_align: 8
    .kernarg_segment_size: 76
    .language:       OpenCL C
    .language_version:
      - 2
      - 0
    .max_flat_workgroup_size: 256
    .name:           _ZL8moe_q5_KIfLb1EEvPKvS1_PT_PKiS5_S5_iiiiiii
    .private_segment_fixed_size: 0
    .sgpr_count:     25
    .sgpr_spill_count: 0
    .symbol:         _ZL8moe_q5_KIfLb1EEvPKvS1_PT_PKiS5_S5_iiiiiii.kd
    .uniform_work_group_size: 1
    .uses_dynamic_stack: false
    .vgpr_count:     231
    .vgpr_spill_count: 0
    .wavefront_size: 32
    .workgroup_processor_mode: 1
  - .args:
      - .actual_access:  read_only
        .address_space:  global
        .offset:         0
        .size:           8
        .value_kind:     global_buffer
      - .actual_access:  read_only
        .address_space:  global
        .offset:         8
        .size:           8
        .value_kind:     global_buffer
      - .actual_access:  write_only
        .address_space:  global
        .offset:         16
        .size:           8
        .value_kind:     global_buffer
      - .address_space:  global
        .offset:         24
        .size:           8
        .value_kind:     global_buffer
      - .address_space:  global
        .offset:         32
        .size:           8
        .value_kind:     global_buffer
      - .address_space:  global
        .offset:         40
        .size:           8
        .value_kind:     global_buffer
      - .offset:         48
        .size:           4
        .value_kind:     by_value
      - .offset:         52
        .size:           4
        .value_kind:     by_value
      - .offset:         56
        .size:           4
        .value_kind:     by_value
      - .offset:         60
        .size:           4
        .value_kind:     by_value
      - .offset:         64
        .size:           4
        .value_kind:     by_value
      - .offset:         68
        .size:           4
        .value_kind:     by_value
      - .offset:         72
        .size:           4
        .value_kind:     by_value
    .group_segment_fixed_size: 37072
    .kernarg_segment_align: 8
    .kernarg_segment_size: 76
    .language:       OpenCL C
    .language_version:
      - 2
      - 0
    .max_flat_workgroup_size: 256
    .name:           _ZL8moe_q6_KIfLb0EEvPKvS1_PT_PKiS5_S5_iiiiiii
    .private_segment_fixed_size: 0
    .sgpr_count:     25
    .sgpr_spill_count: 0
    .symbol:         _ZL8moe_q6_KIfLb0EEvPKvS1_PT_PKiS5_S5_iiiiiii.kd
    .uniform_work_group_size: 1
    .uses_dynamic_stack: false
    .vgpr_count:     177
    .vgpr_spill_count: 0
    .wavefront_size: 32
    .workgroup_processor_mode: 1
  - .args:
      - .actual_access:  read_only
        .address_space:  global
        .offset:         0
        .size:           8
        .value_kind:     global_buffer
      - .actual_access:  read_only
        .address_space:  global
        .offset:         8
        .size:           8
        .value_kind:     global_buffer
      - .actual_access:  write_only
        .address_space:  global
        .offset:         16
        .size:           8
        .value_kind:     global_buffer
      - .address_space:  global
        .offset:         24
        .size:           8
        .value_kind:     global_buffer
      - .address_space:  global
        .offset:         32
        .size:           8
        .value_kind:     global_buffer
      - .address_space:  global
        .offset:         40
        .size:           8
        .value_kind:     global_buffer
      - .offset:         48
        .size:           4
        .value_kind:     by_value
      - .offset:         52
        .size:           4
        .value_kind:     by_value
      - .offset:         56
        .size:           4
        .value_kind:     by_value
      - .offset:         60
        .size:           4
        .value_kind:     by_value
      - .offset:         64
        .size:           4
        .value_kind:     by_value
      - .offset:         68
        .size:           4
        .value_kind:     by_value
      - .offset:         72
        .size:           4
        .value_kind:     by_value
    .group_segment_fixed_size: 37072
    .kernarg_segment_align: 8
    .kernarg_segment_size: 76
    .language:       OpenCL C
    .language_version:
      - 2
      - 0
    .max_flat_workgroup_size: 256
    .name:           _ZL8moe_q6_KIfLb1EEvPKvS1_PT_PKiS5_S5_iiiiiii
    .private_segment_fixed_size: 0
    .sgpr_count:     25
    .sgpr_spill_count: 0
    .symbol:         _ZL8moe_q6_KIfLb1EEvPKvS1_PT_PKiS5_S5_iiiiiii.kd
    .uniform_work_group_size: 1
    .uses_dynamic_stack: false
    .vgpr_count:     178
    .vgpr_spill_count: 0
    .wavefront_size: 32
    .workgroup_processor_mode: 1
  - .args:
      - .actual_access:  read_only
        .address_space:  global
        .offset:         0
        .size:           8
        .value_kind:     global_buffer
      - .actual_access:  read_only
        .address_space:  global
        .offset:         8
        .size:           8
        .value_kind:     global_buffer
      - .actual_access:  write_only
        .address_space:  global
        .offset:         16
        .size:           8
        .value_kind:     global_buffer
      - .address_space:  global
        .offset:         24
        .size:           8
        .value_kind:     global_buffer
      - .address_space:  global
        .offset:         32
        .size:           8
        .value_kind:     global_buffer
      - .address_space:  global
        .offset:         40
        .size:           8
        .value_kind:     global_buffer
      - .offset:         48
        .size:           4
        .value_kind:     by_value
      - .offset:         52
        .size:           4
        .value_kind:     by_value
      - .offset:         56
        .size:           4
        .value_kind:     by_value
      - .offset:         60
        .size:           4
        .value_kind:     by_value
      - .offset:         64
        .size:           4
        .value_kind:     by_value
      - .offset:         68
        .size:           4
        .value_kind:     by_value
      - .offset:         72
        .size:           4
        .value_kind:     by_value
    .group_segment_fixed_size: 22272
    .kernarg_segment_align: 8
    .kernarg_segment_size: 76
    .language:       OpenCL C
    .language_version:
      - 2
      - 0
    .max_flat_workgroup_size: 256
    .name:           _ZL8moe_q4_0IN3c104HalfELb0EEvPKvS3_PT_PKiS7_S7_iiiiiii
    .private_segment_fixed_size: 0
    .sgpr_count:     24
    .sgpr_spill_count: 0
    .symbol:         _ZL8moe_q4_0IN3c104HalfELb0EEvPKvS3_PT_PKiS7_S7_iiiiiii.kd
    .uniform_work_group_size: 1
    .uses_dynamic_stack: false
    .vgpr_count:     238
    .vgpr_spill_count: 0
    .wavefront_size: 32
    .workgroup_processor_mode: 1
  - .args:
      - .actual_access:  read_only
        .address_space:  global
        .offset:         0
        .size:           8
        .value_kind:     global_buffer
      - .actual_access:  read_only
        .address_space:  global
        .offset:         8
        .size:           8
        .value_kind:     global_buffer
      - .actual_access:  write_only
        .address_space:  global
        .offset:         16
        .size:           8
        .value_kind:     global_buffer
      - .address_space:  global
        .offset:         24
        .size:           8
        .value_kind:     global_buffer
      - .address_space:  global
        .offset:         32
        .size:           8
        .value_kind:     global_buffer
      - .address_space:  global
        .offset:         40
        .size:           8
        .value_kind:     global_buffer
      - .offset:         48
        .size:           4
        .value_kind:     by_value
      - .offset:         52
        .size:           4
        .value_kind:     by_value
      - .offset:         56
        .size:           4
        .value_kind:     by_value
      - .offset:         60
        .size:           4
        .value_kind:     by_value
      - .offset:         64
        .size:           4
        .value_kind:     by_value
      - .offset:         68
        .size:           4
        .value_kind:     by_value
      - .offset:         72
        .size:           4
        .value_kind:     by_value
    .group_segment_fixed_size: 22272
    .kernarg_segment_align: 8
    .kernarg_segment_size: 76
    .language:       OpenCL C
    .language_version:
      - 2
      - 0
    .max_flat_workgroup_size: 256
    .name:           _ZL8moe_q4_0IN3c104HalfELb1EEvPKvS3_PT_PKiS7_S7_iiiiiii
    .private_segment_fixed_size: 0
    .sgpr_count:     23
    .sgpr_spill_count: 0
    .symbol:         _ZL8moe_q4_0IN3c104HalfELb1EEvPKvS3_PT_PKiS7_S7_iiiiiii.kd
    .uniform_work_group_size: 1
    .uses_dynamic_stack: false
    .vgpr_count:     243
    .vgpr_spill_count: 0
    .wavefront_size: 32
    .workgroup_processor_mode: 1
  - .args:
      - .actual_access:  read_only
        .address_space:  global
        .offset:         0
        .size:           8
        .value_kind:     global_buffer
      - .actual_access:  read_only
        .address_space:  global
        .offset:         8
        .size:           8
        .value_kind:     global_buffer
      - .actual_access:  write_only
        .address_space:  global
        .offset:         16
        .size:           8
        .value_kind:     global_buffer
      - .address_space:  global
        .offset:         24
        .size:           8
        .value_kind:     global_buffer
      - .address_space:  global
        .offset:         32
        .size:           8
        .value_kind:     global_buffer
      - .address_space:  global
        .offset:         40
        .size:           8
        .value_kind:     global_buffer
      - .offset:         48
        .size:           4
        .value_kind:     by_value
      - .offset:         52
        .size:           4
        .value_kind:     by_value
      - .offset:         56
        .size:           4
        .value_kind:     by_value
      - .offset:         60
        .size:           4
        .value_kind:     by_value
      - .offset:         64
        .size:           4
        .value_kind:     by_value
      - .offset:         68
        .size:           4
        .value_kind:     by_value
      - .offset:         72
        .size:           4
        .value_kind:     by_value
    .group_segment_fixed_size: 22272
    .kernarg_segment_align: 8
    .kernarg_segment_size: 76
    .language:       OpenCL C
    .language_version:
      - 2
      - 0
    .max_flat_workgroup_size: 256
    .name:           _ZL8moe_q4_1IN3c104HalfELb0EEvPKvS3_PT_PKiS7_S7_iiiiiii
    .private_segment_fixed_size: 0
    .sgpr_count:     24
    .sgpr_spill_count: 0
    .symbol:         _ZL8moe_q4_1IN3c104HalfELb0EEvPKvS3_PT_PKiS7_S7_iiiiiii.kd
    .uniform_work_group_size: 1
    .uses_dynamic_stack: false
    .vgpr_count:     238
    .vgpr_spill_count: 0
    .wavefront_size: 32
    .workgroup_processor_mode: 1
  - .args:
      - .actual_access:  read_only
        .address_space:  global
        .offset:         0
        .size:           8
        .value_kind:     global_buffer
      - .actual_access:  read_only
        .address_space:  global
        .offset:         8
        .size:           8
        .value_kind:     global_buffer
      - .actual_access:  write_only
        .address_space:  global
        .offset:         16
        .size:           8
        .value_kind:     global_buffer
      - .address_space:  global
        .offset:         24
        .size:           8
        .value_kind:     global_buffer
      - .address_space:  global
        .offset:         32
        .size:           8
        .value_kind:     global_buffer
      - .address_space:  global
        .offset:         40
        .size:           8
        .value_kind:     global_buffer
      - .offset:         48
        .size:           4
        .value_kind:     by_value
      - .offset:         52
        .size:           4
        .value_kind:     by_value
      - .offset:         56
        .size:           4
        .value_kind:     by_value
      - .offset:         60
        .size:           4
        .value_kind:     by_value
      - .offset:         64
        .size:           4
        .value_kind:     by_value
      - .offset:         68
        .size:           4
        .value_kind:     by_value
      - .offset:         72
        .size:           4
        .value_kind:     by_value
    .group_segment_fixed_size: 22272
    .kernarg_segment_align: 8
    .kernarg_segment_size: 76
    .language:       OpenCL C
    .language_version:
      - 2
      - 0
    .max_flat_workgroup_size: 256
    .name:           _ZL8moe_q4_1IN3c104HalfELb1EEvPKvS3_PT_PKiS7_S7_iiiiiii
    .private_segment_fixed_size: 0
    .sgpr_count:     23
    .sgpr_spill_count: 0
    .symbol:         _ZL8moe_q4_1IN3c104HalfELb1EEvPKvS3_PT_PKiS7_S7_iiiiiii.kd
    .uniform_work_group_size: 1
    .uses_dynamic_stack: false
    .vgpr_count:     238
    .vgpr_spill_count: 0
    .wavefront_size: 32
    .workgroup_processor_mode: 1
  - .args:
      - .actual_access:  read_only
        .address_space:  global
        .offset:         0
        .size:           8
        .value_kind:     global_buffer
      - .actual_access:  read_only
        .address_space:  global
        .offset:         8
        .size:           8
        .value_kind:     global_buffer
      - .actual_access:  write_only
        .address_space:  global
        .offset:         16
        .size:           8
        .value_kind:     global_buffer
      - .address_space:  global
        .offset:         24
        .size:           8
        .value_kind:     global_buffer
      - .address_space:  global
        .offset:         32
        .size:           8
        .value_kind:     global_buffer
      - .address_space:  global
        .offset:         40
        .size:           8
        .value_kind:     global_buffer
      - .offset:         48
        .size:           4
        .value_kind:     by_value
      - .offset:         52
        .size:           4
        .value_kind:     by_value
      - .offset:         56
        .size:           4
        .value_kind:     by_value
      - .offset:         60
        .size:           4
        .value_kind:     by_value
      - .offset:         64
        .size:           4
        .value_kind:     by_value
      - .offset:         68
        .size:           4
        .value_kind:     by_value
      - .offset:         72
        .size:           4
        .value_kind:     by_value
    .group_segment_fixed_size: 38656
    .kernarg_segment_align: 8
    .kernarg_segment_size: 76
    .language:       OpenCL C
    .language_version:
      - 2
      - 0
    .max_flat_workgroup_size: 256
    .name:           _ZL8moe_q5_0IN3c104HalfELb0EEvPKvS3_PT_PKiS7_S7_iiiiiii
    .private_segment_fixed_size: 0
    .sgpr_count:     24
    .sgpr_spill_count: 0
    .symbol:         _ZL8moe_q5_0IN3c104HalfELb0EEvPKvS3_PT_PKiS7_S7_iiiiiii.kd
    .uniform_work_group_size: 1
    .uses_dynamic_stack: false
    .vgpr_count:     158
    .vgpr_spill_count: 0
    .wavefront_size: 32
    .workgroup_processor_mode: 1
  - .args:
      - .actual_access:  read_only
        .address_space:  global
        .offset:         0
        .size:           8
        .value_kind:     global_buffer
      - .actual_access:  read_only
        .address_space:  global
        .offset:         8
        .size:           8
        .value_kind:     global_buffer
      - .actual_access:  write_only
        .address_space:  global
        .offset:         16
        .size:           8
        .value_kind:     global_buffer
      - .address_space:  global
        .offset:         24
        .size:           8
        .value_kind:     global_buffer
      - .address_space:  global
        .offset:         32
        .size:           8
        .value_kind:     global_buffer
      - .address_space:  global
        .offset:         40
        .size:           8
        .value_kind:     global_buffer
      - .offset:         48
        .size:           4
        .value_kind:     by_value
      - .offset:         52
        .size:           4
        .value_kind:     by_value
      - .offset:         56
        .size:           4
        .value_kind:     by_value
      - .offset:         60
        .size:           4
        .value_kind:     by_value
      - .offset:         64
        .size:           4
        .value_kind:     by_value
      - .offset:         68
        .size:           4
        .value_kind:     by_value
      - .offset:         72
        .size:           4
        .value_kind:     by_value
    .group_segment_fixed_size: 38656
    .kernarg_segment_align: 8
    .kernarg_segment_size: 76
    .language:       OpenCL C
    .language_version:
      - 2
      - 0
    .max_flat_workgroup_size: 256
    .name:           _ZL8moe_q5_0IN3c104HalfELb1EEvPKvS3_PT_PKiS7_S7_iiiiiii
    .private_segment_fixed_size: 0
    .sgpr_count:     23
    .sgpr_spill_count: 0
    .symbol:         _ZL8moe_q5_0IN3c104HalfELb1EEvPKvS3_PT_PKiS7_S7_iiiiiii.kd
    .uniform_work_group_size: 1
    .uses_dynamic_stack: false
    .vgpr_count:     158
    .vgpr_spill_count: 0
    .wavefront_size: 32
    .workgroup_processor_mode: 1
  - .args:
      - .actual_access:  read_only
        .address_space:  global
        .offset:         0
        .size:           8
        .value_kind:     global_buffer
      - .actual_access:  read_only
        .address_space:  global
        .offset:         8
        .size:           8
        .value_kind:     global_buffer
      - .actual_access:  write_only
        .address_space:  global
        .offset:         16
        .size:           8
        .value_kind:     global_buffer
      - .address_space:  global
        .offset:         24
        .size:           8
        .value_kind:     global_buffer
      - .address_space:  global
        .offset:         32
        .size:           8
        .value_kind:     global_buffer
      - .address_space:  global
        .offset:         40
        .size:           8
        .value_kind:     global_buffer
      - .offset:         48
        .size:           4
        .value_kind:     by_value
      - .offset:         52
        .size:           4
        .value_kind:     by_value
      - .offset:         56
        .size:           4
        .value_kind:     by_value
      - .offset:         60
        .size:           4
        .value_kind:     by_value
      - .offset:         64
        .size:           4
        .value_kind:     by_value
      - .offset:         68
        .size:           4
        .value_kind:     by_value
      - .offset:         72
        .size:           4
        .value_kind:     by_value
    .group_segment_fixed_size: 38656
    .kernarg_segment_align: 8
    .kernarg_segment_size: 76
    .language:       OpenCL C
    .language_version:
      - 2
      - 0
    .max_flat_workgroup_size: 256
    .name:           _ZL8moe_q5_1IN3c104HalfELb0EEvPKvS3_PT_PKiS7_S7_iiiiiii
    .private_segment_fixed_size: 0
    .sgpr_count:     24
    .sgpr_spill_count: 0
    .symbol:         _ZL8moe_q5_1IN3c104HalfELb0EEvPKvS3_PT_PKiS7_S7_iiiiiii.kd
    .uniform_work_group_size: 1
    .uses_dynamic_stack: false
    .vgpr_count:     180
    .vgpr_spill_count: 0
    .wavefront_size: 32
    .workgroup_processor_mode: 1
  - .args:
      - .actual_access:  read_only
        .address_space:  global
        .offset:         0
        .size:           8
        .value_kind:     global_buffer
      - .actual_access:  read_only
        .address_space:  global
        .offset:         8
        .size:           8
        .value_kind:     global_buffer
      - .actual_access:  write_only
        .address_space:  global
        .offset:         16
        .size:           8
        .value_kind:     global_buffer
      - .address_space:  global
        .offset:         24
        .size:           8
        .value_kind:     global_buffer
      - .address_space:  global
        .offset:         32
        .size:           8
        .value_kind:     global_buffer
      - .address_space:  global
        .offset:         40
        .size:           8
        .value_kind:     global_buffer
      - .offset:         48
        .size:           4
        .value_kind:     by_value
      - .offset:         52
        .size:           4
        .value_kind:     by_value
      - .offset:         56
        .size:           4
        .value_kind:     by_value
      - .offset:         60
        .size:           4
        .value_kind:     by_value
      - .offset:         64
        .size:           4
        .value_kind:     by_value
      - .offset:         68
        .size:           4
        .value_kind:     by_value
      - .offset:         72
        .size:           4
        .value_kind:     by_value
    .group_segment_fixed_size: 38656
    .kernarg_segment_align: 8
    .kernarg_segment_size: 76
    .language:       OpenCL C
    .language_version:
      - 2
      - 0
    .max_flat_workgroup_size: 256
    .name:           _ZL8moe_q5_1IN3c104HalfELb1EEvPKvS3_PT_PKiS7_S7_iiiiiii
    .private_segment_fixed_size: 0
    .sgpr_count:     23
    .sgpr_spill_count: 0
    .symbol:         _ZL8moe_q5_1IN3c104HalfELb1EEvPKvS3_PT_PKiS7_S7_iiiiiii.kd
    .uniform_work_group_size: 1
    .uses_dynamic_stack: false
    .vgpr_count:     180
    .vgpr_spill_count: 0
    .wavefront_size: 32
    .workgroup_processor_mode: 1
  - .args:
      - .actual_access:  read_only
        .address_space:  global
        .offset:         0
        .size:           8
        .value_kind:     global_buffer
      - .actual_access:  read_only
        .address_space:  global
        .offset:         8
        .size:           8
        .value_kind:     global_buffer
      - .actual_access:  write_only
        .address_space:  global
        .offset:         16
        .size:           8
        .value_kind:     global_buffer
      - .address_space:  global
        .offset:         24
        .size:           8
        .value_kind:     global_buffer
      - .address_space:  global
        .offset:         32
        .size:           8
        .value_kind:     global_buffer
      - .address_space:  global
        .offset:         40
        .size:           8
        .value_kind:     global_buffer
      - .offset:         48
        .size:           4
        .value_kind:     by_value
      - .offset:         52
        .size:           4
        .value_kind:     by_value
      - .offset:         56
        .size:           4
        .value_kind:     by_value
      - .offset:         60
        .size:           4
        .value_kind:     by_value
      - .offset:         64
        .size:           4
        .value_kind:     by_value
      - .offset:         68
        .size:           4
        .value_kind:     by_value
      - .offset:         72
        .size:           4
        .value_kind:     by_value
    .group_segment_fixed_size: 20160
    .kernarg_segment_align: 8
    .kernarg_segment_size: 76
    .language:       OpenCL C
    .language_version:
      - 2
      - 0
    .max_flat_workgroup_size: 256
    .name:           _ZL8moe_q8_0IN3c104HalfELb0EEvPKvS3_PT_PKiS7_S7_iiiiiii
    .private_segment_fixed_size: 0
    .sgpr_count:     23
    .sgpr_spill_count: 0
    .symbol:         _ZL8moe_q8_0IN3c104HalfELb0EEvPKvS3_PT_PKiS7_S7_iiiiiii.kd
    .uniform_work_group_size: 1
    .uses_dynamic_stack: false
    .vgpr_count:     119
    .vgpr_spill_count: 0
    .wavefront_size: 32
    .workgroup_processor_mode: 1
  - .args:
      - .actual_access:  read_only
        .address_space:  global
        .offset:         0
        .size:           8
        .value_kind:     global_buffer
      - .actual_access:  read_only
        .address_space:  global
        .offset:         8
        .size:           8
        .value_kind:     global_buffer
      - .actual_access:  write_only
        .address_space:  global
        .offset:         16
        .size:           8
        .value_kind:     global_buffer
      - .address_space:  global
        .offset:         24
        .size:           8
        .value_kind:     global_buffer
      - .address_space:  global
        .offset:         32
        .size:           8
        .value_kind:     global_buffer
      - .address_space:  global
        .offset:         40
        .size:           8
        .value_kind:     global_buffer
      - .offset:         48
        .size:           4
        .value_kind:     by_value
      - .offset:         52
        .size:           4
        .value_kind:     by_value
      - .offset:         56
        .size:           4
        .value_kind:     by_value
      - .offset:         60
        .size:           4
        .value_kind:     by_value
      - .offset:         64
        .size:           4
        .value_kind:     by_value
      - .offset:         68
        .size:           4
        .value_kind:     by_value
      - .offset:         72
        .size:           4
        .value_kind:     by_value
    .group_segment_fixed_size: 20160
    .kernarg_segment_align: 8
    .kernarg_segment_size: 76
    .language:       OpenCL C
    .language_version:
      - 2
      - 0
    .max_flat_workgroup_size: 256
    .name:           _ZL8moe_q8_0IN3c104HalfELb1EEvPKvS3_PT_PKiS7_S7_iiiiiii
    .private_segment_fixed_size: 0
    .sgpr_count:     22
    .sgpr_spill_count: 0
    .symbol:         _ZL8moe_q8_0IN3c104HalfELb1EEvPKvS3_PT_PKiS7_S7_iiiiiii.kd
    .uniform_work_group_size: 1
    .uses_dynamic_stack: false
    .vgpr_count:     126
    .vgpr_spill_count: 0
    .wavefront_size: 32
    .workgroup_processor_mode: 1
  - .args:
      - .actual_access:  read_only
        .address_space:  global
        .offset:         0
        .size:           8
        .value_kind:     global_buffer
      - .actual_access:  read_only
        .address_space:  global
        .offset:         8
        .size:           8
        .value_kind:     global_buffer
      - .actual_access:  write_only
        .address_space:  global
        .offset:         16
        .size:           8
        .value_kind:     global_buffer
      - .address_space:  global
        .offset:         24
        .size:           8
        .value_kind:     global_buffer
      - .address_space:  global
        .offset:         32
        .size:           8
        .value_kind:     global_buffer
      - .address_space:  global
        .offset:         40
        .size:           8
        .value_kind:     global_buffer
      - .offset:         48
        .size:           4
        .value_kind:     by_value
      - .offset:         52
        .size:           4
        .value_kind:     by_value
      - .offset:         56
        .size:           4
        .value_kind:     by_value
      - .offset:         60
        .size:           4
        .value_kind:     by_value
      - .offset:         64
        .size:           4
        .value_kind:     by_value
      - .offset:         68
        .size:           4
        .value_kind:     by_value
      - .offset:         72
        .size:           4
        .value_kind:     by_value
    .group_segment_fixed_size: 23328
    .kernarg_segment_align: 8
    .kernarg_segment_size: 76
    .language:       OpenCL C
    .language_version:
      - 2
      - 0
    .max_flat_workgroup_size: 256
    .name:           _ZL8moe_q2_KIN3c104HalfELb0EEvPKvS3_PT_PKiS7_S7_iiiiiii
    .private_segment_fixed_size: 0
    .sgpr_count:     24
    .sgpr_spill_count: 0
    .symbol:         _ZL8moe_q2_KIN3c104HalfELb0EEvPKvS3_PT_PKiS7_S7_iiiiiii.kd
    .uniform_work_group_size: 1
    .uses_dynamic_stack: false
    .vgpr_count:     136
    .vgpr_spill_count: 0
    .wavefront_size: 32
    .workgroup_processor_mode: 1
  - .args:
      - .actual_access:  read_only
        .address_space:  global
        .offset:         0
        .size:           8
        .value_kind:     global_buffer
      - .actual_access:  read_only
        .address_space:  global
        .offset:         8
        .size:           8
        .value_kind:     global_buffer
      - .actual_access:  write_only
        .address_space:  global
        .offset:         16
        .size:           8
        .value_kind:     global_buffer
      - .address_space:  global
        .offset:         24
        .size:           8
        .value_kind:     global_buffer
      - .address_space:  global
        .offset:         32
        .size:           8
        .value_kind:     global_buffer
      - .address_space:  global
        .offset:         40
        .size:           8
        .value_kind:     global_buffer
      - .offset:         48
        .size:           4
        .value_kind:     by_value
      - .offset:         52
        .size:           4
        .value_kind:     by_value
      - .offset:         56
        .size:           4
        .value_kind:     by_value
      - .offset:         60
        .size:           4
        .value_kind:     by_value
      - .offset:         64
        .size:           4
        .value_kind:     by_value
      - .offset:         68
        .size:           4
        .value_kind:     by_value
      - .offset:         72
        .size:           4
        .value_kind:     by_value
    .group_segment_fixed_size: 23328
    .kernarg_segment_align: 8
    .kernarg_segment_size: 76
    .language:       OpenCL C
    .language_version:
      - 2
      - 0
    .max_flat_workgroup_size: 256
    .name:           _ZL8moe_q2_KIN3c104HalfELb1EEvPKvS3_PT_PKiS7_S7_iiiiiii
    .private_segment_fixed_size: 0
    .sgpr_count:     24
    .sgpr_spill_count: 0
    .symbol:         _ZL8moe_q2_KIN3c104HalfELb1EEvPKvS3_PT_PKiS7_S7_iiiiiii.kd
    .uniform_work_group_size: 1
    .uses_dynamic_stack: false
    .vgpr_count:     151
    .vgpr_spill_count: 0
    .wavefront_size: 32
    .workgroup_processor_mode: 1
  - .args:
      - .actual_access:  read_only
        .address_space:  global
        .offset:         0
        .size:           8
        .value_kind:     global_buffer
      - .actual_access:  read_only
        .address_space:  global
        .offset:         8
        .size:           8
        .value_kind:     global_buffer
      - .actual_access:  write_only
        .address_space:  global
        .offset:         16
        .size:           8
        .value_kind:     global_buffer
      - .address_space:  global
        .offset:         24
        .size:           8
        .value_kind:     global_buffer
      - .address_space:  global
        .offset:         32
        .size:           8
        .value_kind:     global_buffer
      - .address_space:  global
        .offset:         40
        .size:           8
        .value_kind:     global_buffer
      - .offset:         48
        .size:           4
        .value_kind:     by_value
      - .offset:         52
        .size:           4
        .value_kind:     by_value
      - .offset:         56
        .size:           4
        .value_kind:     by_value
      - .offset:         60
        .size:           4
        .value_kind:     by_value
      - .offset:         64
        .size:           4
        .value_kind:     by_value
      - .offset:         68
        .size:           4
        .value_kind:     by_value
      - .offset:         72
        .size:           4
        .value_kind:     by_value
    .group_segment_fixed_size: 31776
    .kernarg_segment_align: 8
    .kernarg_segment_size: 76
    .language:       OpenCL C
    .language_version:
      - 2
      - 0
    .max_flat_workgroup_size: 256
    .name:           _ZL8moe_q3_KIN3c104HalfELb0EEvPKvS3_PT_PKiS7_S7_iiiiiii
    .private_segment_fixed_size: 0
    .sgpr_count:     29
    .sgpr_spill_count: 0
    .symbol:         _ZL8moe_q3_KIN3c104HalfELb0EEvPKvS3_PT_PKiS7_S7_iiiiiii.kd
    .uniform_work_group_size: 1
    .uses_dynamic_stack: false
    .vgpr_count:     227
    .vgpr_spill_count: 0
    .wavefront_size: 32
    .workgroup_processor_mode: 1
  - .args:
      - .actual_access:  read_only
        .address_space:  global
        .offset:         0
        .size:           8
        .value_kind:     global_buffer
      - .actual_access:  read_only
        .address_space:  global
        .offset:         8
        .size:           8
        .value_kind:     global_buffer
      - .actual_access:  write_only
        .address_space:  global
        .offset:         16
        .size:           8
        .value_kind:     global_buffer
      - .address_space:  global
        .offset:         24
        .size:           8
        .value_kind:     global_buffer
      - .address_space:  global
        .offset:         32
        .size:           8
        .value_kind:     global_buffer
      - .address_space:  global
        .offset:         40
        .size:           8
        .value_kind:     global_buffer
      - .offset:         48
        .size:           4
        .value_kind:     by_value
      - .offset:         52
        .size:           4
        .value_kind:     by_value
      - .offset:         56
        .size:           4
        .value_kind:     by_value
      - .offset:         60
        .size:           4
        .value_kind:     by_value
      - .offset:         64
        .size:           4
        .value_kind:     by_value
      - .offset:         68
        .size:           4
        .value_kind:     by_value
      - .offset:         72
        .size:           4
        .value_kind:     by_value
    .group_segment_fixed_size: 31776
    .kernarg_segment_align: 8
    .kernarg_segment_size: 76
    .language:       OpenCL C
    .language_version:
      - 2
      - 0
    .max_flat_workgroup_size: 256
    .name:           _ZL8moe_q3_KIN3c104HalfELb1EEvPKvS3_PT_PKiS7_S7_iiiiiii
    .private_segment_fixed_size: 0
    .sgpr_count:     29
    .sgpr_spill_count: 0
    .symbol:         _ZL8moe_q3_KIN3c104HalfELb1EEvPKvS3_PT_PKiS7_S7_iiiiiii.kd
    .uniform_work_group_size: 1
    .uses_dynamic_stack: false
    .vgpr_count:     229
    .vgpr_spill_count: 0
    .wavefront_size: 32
    .workgroup_processor_mode: 1
  - .args:
      - .actual_access:  read_only
        .address_space:  global
        .offset:         0
        .size:           8
        .value_kind:     global_buffer
      - .actual_access:  read_only
        .address_space:  global
        .offset:         8
        .size:           8
        .value_kind:     global_buffer
      - .actual_access:  write_only
        .address_space:  global
        .offset:         16
        .size:           8
        .value_kind:     global_buffer
      - .address_space:  global
        .offset:         24
        .size:           8
        .value_kind:     global_buffer
      - .address_space:  global
        .offset:         32
        .size:           8
        .value_kind:     global_buffer
      - .address_space:  global
        .offset:         40
        .size:           8
        .value_kind:     global_buffer
      - .offset:         48
        .size:           4
        .value_kind:     by_value
      - .offset:         52
        .size:           4
        .value_kind:     by_value
      - .offset:         56
        .size:           4
        .value_kind:     by_value
      - .offset:         60
        .size:           4
        .value_kind:     by_value
      - .offset:         64
        .size:           4
        .value_kind:     by_value
      - .offset:         68
        .size:           4
        .value_kind:     by_value
      - .offset:         72
        .size:           4
        .value_kind:     by_value
    .group_segment_fixed_size: 20688
    .kernarg_segment_align: 8
    .kernarg_segment_size: 76
    .language:       OpenCL C
    .language_version:
      - 2
      - 0
    .max_flat_workgroup_size: 256
    .name:           _ZL8moe_q4_KIN3c104HalfELb0EEvPKvS3_PT_PKiS7_S7_iiiiiii
    .private_segment_fixed_size: 0
    .sgpr_count:     26
    .sgpr_spill_count: 0
    .symbol:         _ZL8moe_q4_KIN3c104HalfELb0EEvPKvS3_PT_PKiS7_S7_iiiiiii.kd
    .uniform_work_group_size: 1
    .uses_dynamic_stack: false
    .vgpr_count:     172
    .vgpr_spill_count: 0
    .wavefront_size: 32
    .workgroup_processor_mode: 1
  - .args:
      - .actual_access:  read_only
        .address_space:  global
        .offset:         0
        .size:           8
        .value_kind:     global_buffer
      - .actual_access:  read_only
        .address_space:  global
        .offset:         8
        .size:           8
        .value_kind:     global_buffer
      - .actual_access:  write_only
        .address_space:  global
        .offset:         16
        .size:           8
        .value_kind:     global_buffer
      - .address_space:  global
        .offset:         24
        .size:           8
        .value_kind:     global_buffer
      - .address_space:  global
        .offset:         32
        .size:           8
        .value_kind:     global_buffer
      - .address_space:  global
        .offset:         40
        .size:           8
        .value_kind:     global_buffer
      - .offset:         48
        .size:           4
        .value_kind:     by_value
      - .offset:         52
        .size:           4
        .value_kind:     by_value
      - .offset:         56
        .size:           4
        .value_kind:     by_value
      - .offset:         60
        .size:           4
        .value_kind:     by_value
      - .offset:         64
        .size:           4
        .value_kind:     by_value
      - .offset:         68
        .size:           4
        .value_kind:     by_value
      - .offset:         72
        .size:           4
        .value_kind:     by_value
    .group_segment_fixed_size: 20688
    .kernarg_segment_align: 8
    .kernarg_segment_size: 76
    .language:       OpenCL C
    .language_version:
      - 2
      - 0
    .max_flat_workgroup_size: 256
    .name:           _ZL8moe_q4_KIN3c104HalfELb1EEvPKvS3_PT_PKiS7_S7_iiiiiii
    .private_segment_fixed_size: 0
    .sgpr_count:     26
    .sgpr_spill_count: 0
    .symbol:         _ZL8moe_q4_KIN3c104HalfELb1EEvPKvS3_PT_PKiS7_S7_iiiiiii.kd
    .uniform_work_group_size: 1
    .uses_dynamic_stack: false
    .vgpr_count:     187
    .vgpr_spill_count: 0
    .wavefront_size: 32
    .workgroup_processor_mode: 1
  - .args:
      - .actual_access:  read_only
        .address_space:  global
        .offset:         0
        .size:           8
        .value_kind:     global_buffer
      - .actual_access:  read_only
        .address_space:  global
        .offset:         8
        .size:           8
        .value_kind:     global_buffer
      - .actual_access:  write_only
        .address_space:  global
        .offset:         16
        .size:           8
        .value_kind:     global_buffer
      - .address_space:  global
        .offset:         24
        .size:           8
        .value_kind:     global_buffer
      - .address_space:  global
        .offset:         32
        .size:           8
        .value_kind:     global_buffer
      - .address_space:  global
        .offset:         40
        .size:           8
        .value_kind:     global_buffer
      - .offset:         48
        .size:           4
        .value_kind:     by_value
      - .offset:         52
        .size:           4
        .value_kind:     by_value
      - .offset:         56
        .size:           4
        .value_kind:     by_value
      - .offset:         60
        .size:           4
        .value_kind:     by_value
      - .offset:         64
        .size:           4
        .value_kind:     by_value
      - .offset:         68
        .size:           4
        .value_kind:     by_value
      - .offset:         72
        .size:           4
        .value_kind:     by_value
    .group_segment_fixed_size: 37072
    .kernarg_segment_align: 8
    .kernarg_segment_size: 76
    .language:       OpenCL C
    .language_version:
      - 2
      - 0
    .max_flat_workgroup_size: 256
    .name:           _ZL8moe_q5_KIN3c104HalfELb0EEvPKvS3_PT_PKiS7_S7_iiiiiii
    .private_segment_fixed_size: 0
    .sgpr_count:     25
    .sgpr_spill_count: 0
    .symbol:         _ZL8moe_q5_KIN3c104HalfELb0EEvPKvS3_PT_PKiS7_S7_iiiiiii.kd
    .uniform_work_group_size: 1
    .uses_dynamic_stack: false
    .vgpr_count:     231
    .vgpr_spill_count: 0
    .wavefront_size: 32
    .workgroup_processor_mode: 1
  - .args:
      - .actual_access:  read_only
        .address_space:  global
        .offset:         0
        .size:           8
        .value_kind:     global_buffer
      - .actual_access:  read_only
        .address_space:  global
        .offset:         8
        .size:           8
        .value_kind:     global_buffer
      - .actual_access:  write_only
        .address_space:  global
        .offset:         16
        .size:           8
        .value_kind:     global_buffer
      - .address_space:  global
        .offset:         24
        .size:           8
        .value_kind:     global_buffer
      - .address_space:  global
        .offset:         32
        .size:           8
        .value_kind:     global_buffer
      - .address_space:  global
        .offset:         40
        .size:           8
        .value_kind:     global_buffer
      - .offset:         48
        .size:           4
        .value_kind:     by_value
      - .offset:         52
        .size:           4
        .value_kind:     by_value
      - .offset:         56
        .size:           4
        .value_kind:     by_value
      - .offset:         60
        .size:           4
        .value_kind:     by_value
      - .offset:         64
        .size:           4
        .value_kind:     by_value
      - .offset:         68
        .size:           4
        .value_kind:     by_value
      - .offset:         72
        .size:           4
        .value_kind:     by_value
    .group_segment_fixed_size: 37072
    .kernarg_segment_align: 8
    .kernarg_segment_size: 76
    .language:       OpenCL C
    .language_version:
      - 2
      - 0
    .max_flat_workgroup_size: 256
    .name:           _ZL8moe_q5_KIN3c104HalfELb1EEvPKvS3_PT_PKiS7_S7_iiiiiii
    .private_segment_fixed_size: 0
    .sgpr_count:     25
    .sgpr_spill_count: 0
    .symbol:         _ZL8moe_q5_KIN3c104HalfELb1EEvPKvS3_PT_PKiS7_S7_iiiiiii.kd
    .uniform_work_group_size: 1
    .uses_dynamic_stack: false
    .vgpr_count:     231
    .vgpr_spill_count: 0
    .wavefront_size: 32
    .workgroup_processor_mode: 1
  - .args:
      - .actual_access:  read_only
        .address_space:  global
        .offset:         0
        .size:           8
        .value_kind:     global_buffer
      - .actual_access:  read_only
        .address_space:  global
        .offset:         8
        .size:           8
        .value_kind:     global_buffer
      - .actual_access:  write_only
        .address_space:  global
        .offset:         16
        .size:           8
        .value_kind:     global_buffer
      - .address_space:  global
        .offset:         24
        .size:           8
        .value_kind:     global_buffer
      - .address_space:  global
        .offset:         32
        .size:           8
        .value_kind:     global_buffer
      - .address_space:  global
        .offset:         40
        .size:           8
        .value_kind:     global_buffer
      - .offset:         48
        .size:           4
        .value_kind:     by_value
      - .offset:         52
        .size:           4
        .value_kind:     by_value
      - .offset:         56
        .size:           4
        .value_kind:     by_value
      - .offset:         60
        .size:           4
        .value_kind:     by_value
      - .offset:         64
        .size:           4
        .value_kind:     by_value
      - .offset:         68
        .size:           4
        .value_kind:     by_value
      - .offset:         72
        .size:           4
        .value_kind:     by_value
    .group_segment_fixed_size: 37072
    .kernarg_segment_align: 8
    .kernarg_segment_size: 76
    .language:       OpenCL C
    .language_version:
      - 2
      - 0
    .max_flat_workgroup_size: 256
    .name:           _ZL8moe_q6_KIN3c104HalfELb0EEvPKvS3_PT_PKiS7_S7_iiiiiii
    .private_segment_fixed_size: 0
    .sgpr_count:     25
    .sgpr_spill_count: 0
    .symbol:         _ZL8moe_q6_KIN3c104HalfELb0EEvPKvS3_PT_PKiS7_S7_iiiiiii.kd
    .uniform_work_group_size: 1
    .uses_dynamic_stack: false
    .vgpr_count:     177
    .vgpr_spill_count: 0
    .wavefront_size: 32
    .workgroup_processor_mode: 1
  - .args:
      - .actual_access:  read_only
        .address_space:  global
        .offset:         0
        .size:           8
        .value_kind:     global_buffer
      - .actual_access:  read_only
        .address_space:  global
        .offset:         8
        .size:           8
        .value_kind:     global_buffer
      - .actual_access:  write_only
        .address_space:  global
        .offset:         16
        .size:           8
        .value_kind:     global_buffer
      - .address_space:  global
        .offset:         24
        .size:           8
        .value_kind:     global_buffer
      - .address_space:  global
        .offset:         32
        .size:           8
        .value_kind:     global_buffer
      - .address_space:  global
        .offset:         40
        .size:           8
        .value_kind:     global_buffer
      - .offset:         48
        .size:           4
        .value_kind:     by_value
      - .offset:         52
        .size:           4
        .value_kind:     by_value
      - .offset:         56
        .size:           4
        .value_kind:     by_value
      - .offset:         60
        .size:           4
        .value_kind:     by_value
      - .offset:         64
        .size:           4
        .value_kind:     by_value
      - .offset:         68
        .size:           4
        .value_kind:     by_value
      - .offset:         72
        .size:           4
        .value_kind:     by_value
    .group_segment_fixed_size: 37072
    .kernarg_segment_align: 8
    .kernarg_segment_size: 76
    .language:       OpenCL C
    .language_version:
      - 2
      - 0
    .max_flat_workgroup_size: 256
    .name:           _ZL8moe_q6_KIN3c104HalfELb1EEvPKvS3_PT_PKiS7_S7_iiiiiii
    .private_segment_fixed_size: 0
    .sgpr_count:     25
    .sgpr_spill_count: 0
    .symbol:         _ZL8moe_q6_KIN3c104HalfELb1EEvPKvS3_PT_PKiS7_S7_iiiiiii.kd
    .uniform_work_group_size: 1
    .uses_dynamic_stack: false
    .vgpr_count:     178
    .vgpr_spill_count: 0
    .wavefront_size: 32
    .workgroup_processor_mode: 1
  - .args:
      - .actual_access:  read_only
        .address_space:  global
        .offset:         0
        .size:           8
        .value_kind:     global_buffer
      - .actual_access:  read_only
        .address_space:  global
        .offset:         8
        .size:           8
        .value_kind:     global_buffer
      - .actual_access:  write_only
        .address_space:  global
        .offset:         16
        .size:           8
        .value_kind:     global_buffer
      - .address_space:  global
        .offset:         24
        .size:           8
        .value_kind:     global_buffer
      - .address_space:  global
        .offset:         32
        .size:           8
        .value_kind:     global_buffer
      - .address_space:  global
        .offset:         40
        .size:           8
        .value_kind:     global_buffer
      - .offset:         48
        .size:           4
        .value_kind:     by_value
      - .offset:         52
        .size:           4
        .value_kind:     by_value
      - .offset:         56
        .size:           4
        .value_kind:     by_value
      - .offset:         60
        .size:           4
        .value_kind:     by_value
      - .offset:         64
        .size:           4
        .value_kind:     by_value
      - .offset:         68
        .size:           4
        .value_kind:     by_value
      - .offset:         72
        .size:           4
        .value_kind:     by_value
    .group_segment_fixed_size: 22272
    .kernarg_segment_align: 8
    .kernarg_segment_size: 76
    .language:       OpenCL C
    .language_version:
      - 2
      - 0
    .max_flat_workgroup_size: 256
    .name:           _ZL8moe_q4_0IN3c108BFloat16ELb0EEvPKvS3_PT_PKiS7_S7_iiiiiii
    .private_segment_fixed_size: 0
    .sgpr_count:     24
    .sgpr_spill_count: 0
    .symbol:         _ZL8moe_q4_0IN3c108BFloat16ELb0EEvPKvS3_PT_PKiS7_S7_iiiiiii.kd
    .uniform_work_group_size: 1
    .uses_dynamic_stack: false
    .vgpr_count:     238
    .vgpr_spill_count: 0
    .wavefront_size: 32
    .workgroup_processor_mode: 1
  - .args:
      - .actual_access:  read_only
        .address_space:  global
        .offset:         0
        .size:           8
        .value_kind:     global_buffer
      - .actual_access:  read_only
        .address_space:  global
        .offset:         8
        .size:           8
        .value_kind:     global_buffer
      - .actual_access:  write_only
        .address_space:  global
        .offset:         16
        .size:           8
        .value_kind:     global_buffer
      - .address_space:  global
        .offset:         24
        .size:           8
        .value_kind:     global_buffer
      - .address_space:  global
        .offset:         32
        .size:           8
        .value_kind:     global_buffer
      - .address_space:  global
        .offset:         40
        .size:           8
        .value_kind:     global_buffer
      - .offset:         48
        .size:           4
        .value_kind:     by_value
      - .offset:         52
        .size:           4
        .value_kind:     by_value
      - .offset:         56
        .size:           4
        .value_kind:     by_value
      - .offset:         60
        .size:           4
        .value_kind:     by_value
      - .offset:         64
        .size:           4
        .value_kind:     by_value
      - .offset:         68
        .size:           4
        .value_kind:     by_value
      - .offset:         72
        .size:           4
        .value_kind:     by_value
    .group_segment_fixed_size: 22272
    .kernarg_segment_align: 8
    .kernarg_segment_size: 76
    .language:       OpenCL C
    .language_version:
      - 2
      - 0
    .max_flat_workgroup_size: 256
    .name:           _ZL8moe_q4_0IN3c108BFloat16ELb1EEvPKvS3_PT_PKiS7_S7_iiiiiii
    .private_segment_fixed_size: 0
    .sgpr_count:     23
    .sgpr_spill_count: 0
    .symbol:         _ZL8moe_q4_0IN3c108BFloat16ELb1EEvPKvS3_PT_PKiS7_S7_iiiiiii.kd
    .uniform_work_group_size: 1
    .uses_dynamic_stack: false
    .vgpr_count:     243
    .vgpr_spill_count: 0
    .wavefront_size: 32
    .workgroup_processor_mode: 1
  - .args:
      - .actual_access:  read_only
        .address_space:  global
        .offset:         0
        .size:           8
        .value_kind:     global_buffer
      - .actual_access:  read_only
        .address_space:  global
        .offset:         8
        .size:           8
        .value_kind:     global_buffer
      - .actual_access:  write_only
        .address_space:  global
        .offset:         16
        .size:           8
        .value_kind:     global_buffer
      - .address_space:  global
        .offset:         24
        .size:           8
        .value_kind:     global_buffer
      - .address_space:  global
        .offset:         32
        .size:           8
        .value_kind:     global_buffer
      - .address_space:  global
        .offset:         40
        .size:           8
        .value_kind:     global_buffer
      - .offset:         48
        .size:           4
        .value_kind:     by_value
      - .offset:         52
        .size:           4
        .value_kind:     by_value
      - .offset:         56
        .size:           4
        .value_kind:     by_value
      - .offset:         60
        .size:           4
        .value_kind:     by_value
      - .offset:         64
        .size:           4
        .value_kind:     by_value
      - .offset:         68
        .size:           4
        .value_kind:     by_value
      - .offset:         72
        .size:           4
        .value_kind:     by_value
    .group_segment_fixed_size: 22272
    .kernarg_segment_align: 8
    .kernarg_segment_size: 76
    .language:       OpenCL C
    .language_version:
      - 2
      - 0
    .max_flat_workgroup_size: 256
    .name:           _ZL8moe_q4_1IN3c108BFloat16ELb0EEvPKvS3_PT_PKiS7_S7_iiiiiii
    .private_segment_fixed_size: 0
    .sgpr_count:     24
    .sgpr_spill_count: 0
    .symbol:         _ZL8moe_q4_1IN3c108BFloat16ELb0EEvPKvS3_PT_PKiS7_S7_iiiiiii.kd
    .uniform_work_group_size: 1
    .uses_dynamic_stack: false
    .vgpr_count:     238
    .vgpr_spill_count: 0
    .wavefront_size: 32
    .workgroup_processor_mode: 1
  - .args:
      - .actual_access:  read_only
        .address_space:  global
        .offset:         0
        .size:           8
        .value_kind:     global_buffer
      - .actual_access:  read_only
        .address_space:  global
        .offset:         8
        .size:           8
        .value_kind:     global_buffer
      - .actual_access:  write_only
        .address_space:  global
        .offset:         16
        .size:           8
        .value_kind:     global_buffer
      - .address_space:  global
        .offset:         24
        .size:           8
        .value_kind:     global_buffer
      - .address_space:  global
        .offset:         32
        .size:           8
        .value_kind:     global_buffer
      - .address_space:  global
        .offset:         40
        .size:           8
        .value_kind:     global_buffer
      - .offset:         48
        .size:           4
        .value_kind:     by_value
      - .offset:         52
        .size:           4
        .value_kind:     by_value
      - .offset:         56
        .size:           4
        .value_kind:     by_value
      - .offset:         60
        .size:           4
        .value_kind:     by_value
      - .offset:         64
        .size:           4
        .value_kind:     by_value
      - .offset:         68
        .size:           4
        .value_kind:     by_value
      - .offset:         72
        .size:           4
        .value_kind:     by_value
    .group_segment_fixed_size: 22272
    .kernarg_segment_align: 8
    .kernarg_segment_size: 76
    .language:       OpenCL C
    .language_version:
      - 2
      - 0
    .max_flat_workgroup_size: 256
    .name:           _ZL8moe_q4_1IN3c108BFloat16ELb1EEvPKvS3_PT_PKiS7_S7_iiiiiii
    .private_segment_fixed_size: 0
    .sgpr_count:     23
    .sgpr_spill_count: 0
    .symbol:         _ZL8moe_q4_1IN3c108BFloat16ELb1EEvPKvS3_PT_PKiS7_S7_iiiiiii.kd
    .uniform_work_group_size: 1
    .uses_dynamic_stack: false
    .vgpr_count:     238
    .vgpr_spill_count: 0
    .wavefront_size: 32
    .workgroup_processor_mode: 1
  - .args:
      - .actual_access:  read_only
        .address_space:  global
        .offset:         0
        .size:           8
        .value_kind:     global_buffer
      - .actual_access:  read_only
        .address_space:  global
        .offset:         8
        .size:           8
        .value_kind:     global_buffer
      - .actual_access:  write_only
        .address_space:  global
        .offset:         16
        .size:           8
        .value_kind:     global_buffer
      - .address_space:  global
        .offset:         24
        .size:           8
        .value_kind:     global_buffer
      - .address_space:  global
        .offset:         32
        .size:           8
        .value_kind:     global_buffer
      - .address_space:  global
        .offset:         40
        .size:           8
        .value_kind:     global_buffer
      - .offset:         48
        .size:           4
        .value_kind:     by_value
      - .offset:         52
        .size:           4
        .value_kind:     by_value
      - .offset:         56
        .size:           4
        .value_kind:     by_value
      - .offset:         60
        .size:           4
        .value_kind:     by_value
      - .offset:         64
        .size:           4
        .value_kind:     by_value
      - .offset:         68
        .size:           4
        .value_kind:     by_value
      - .offset:         72
        .size:           4
        .value_kind:     by_value
    .group_segment_fixed_size: 38656
    .kernarg_segment_align: 8
    .kernarg_segment_size: 76
    .language:       OpenCL C
    .language_version:
      - 2
      - 0
    .max_flat_workgroup_size: 256
    .name:           _ZL8moe_q5_0IN3c108BFloat16ELb0EEvPKvS3_PT_PKiS7_S7_iiiiiii
    .private_segment_fixed_size: 0
    .sgpr_count:     24
    .sgpr_spill_count: 0
    .symbol:         _ZL8moe_q5_0IN3c108BFloat16ELb0EEvPKvS3_PT_PKiS7_S7_iiiiiii.kd
    .uniform_work_group_size: 1
    .uses_dynamic_stack: false
    .vgpr_count:     158
    .vgpr_spill_count: 0
    .wavefront_size: 32
    .workgroup_processor_mode: 1
  - .args:
      - .actual_access:  read_only
        .address_space:  global
        .offset:         0
        .size:           8
        .value_kind:     global_buffer
      - .actual_access:  read_only
        .address_space:  global
        .offset:         8
        .size:           8
        .value_kind:     global_buffer
      - .actual_access:  write_only
        .address_space:  global
        .offset:         16
        .size:           8
        .value_kind:     global_buffer
      - .address_space:  global
        .offset:         24
        .size:           8
        .value_kind:     global_buffer
      - .address_space:  global
        .offset:         32
        .size:           8
        .value_kind:     global_buffer
      - .address_space:  global
        .offset:         40
        .size:           8
        .value_kind:     global_buffer
      - .offset:         48
        .size:           4
        .value_kind:     by_value
      - .offset:         52
        .size:           4
        .value_kind:     by_value
      - .offset:         56
        .size:           4
        .value_kind:     by_value
      - .offset:         60
        .size:           4
        .value_kind:     by_value
      - .offset:         64
        .size:           4
        .value_kind:     by_value
      - .offset:         68
        .size:           4
        .value_kind:     by_value
      - .offset:         72
        .size:           4
        .value_kind:     by_value
    .group_segment_fixed_size: 38656
    .kernarg_segment_align: 8
    .kernarg_segment_size: 76
    .language:       OpenCL C
    .language_version:
      - 2
      - 0
    .max_flat_workgroup_size: 256
    .name:           _ZL8moe_q5_0IN3c108BFloat16ELb1EEvPKvS3_PT_PKiS7_S7_iiiiiii
    .private_segment_fixed_size: 0
    .sgpr_count:     23
    .sgpr_spill_count: 0
    .symbol:         _ZL8moe_q5_0IN3c108BFloat16ELb1EEvPKvS3_PT_PKiS7_S7_iiiiiii.kd
    .uniform_work_group_size: 1
    .uses_dynamic_stack: false
    .vgpr_count:     158
    .vgpr_spill_count: 0
    .wavefront_size: 32
    .workgroup_processor_mode: 1
  - .args:
      - .actual_access:  read_only
        .address_space:  global
        .offset:         0
        .size:           8
        .value_kind:     global_buffer
      - .actual_access:  read_only
        .address_space:  global
        .offset:         8
        .size:           8
        .value_kind:     global_buffer
      - .actual_access:  write_only
        .address_space:  global
        .offset:         16
        .size:           8
        .value_kind:     global_buffer
      - .address_space:  global
        .offset:         24
        .size:           8
        .value_kind:     global_buffer
      - .address_space:  global
        .offset:         32
        .size:           8
        .value_kind:     global_buffer
      - .address_space:  global
        .offset:         40
        .size:           8
        .value_kind:     global_buffer
      - .offset:         48
        .size:           4
        .value_kind:     by_value
      - .offset:         52
        .size:           4
        .value_kind:     by_value
      - .offset:         56
        .size:           4
        .value_kind:     by_value
      - .offset:         60
        .size:           4
        .value_kind:     by_value
      - .offset:         64
        .size:           4
        .value_kind:     by_value
      - .offset:         68
        .size:           4
        .value_kind:     by_value
      - .offset:         72
        .size:           4
        .value_kind:     by_value
    .group_segment_fixed_size: 38656
    .kernarg_segment_align: 8
    .kernarg_segment_size: 76
    .language:       OpenCL C
    .language_version:
      - 2
      - 0
    .max_flat_workgroup_size: 256
    .name:           _ZL8moe_q5_1IN3c108BFloat16ELb0EEvPKvS3_PT_PKiS7_S7_iiiiiii
    .private_segment_fixed_size: 0
    .sgpr_count:     24
    .sgpr_spill_count: 0
    .symbol:         _ZL8moe_q5_1IN3c108BFloat16ELb0EEvPKvS3_PT_PKiS7_S7_iiiiiii.kd
    .uniform_work_group_size: 1
    .uses_dynamic_stack: false
    .vgpr_count:     180
    .vgpr_spill_count: 0
    .wavefront_size: 32
    .workgroup_processor_mode: 1
  - .args:
      - .actual_access:  read_only
        .address_space:  global
        .offset:         0
        .size:           8
        .value_kind:     global_buffer
      - .actual_access:  read_only
        .address_space:  global
        .offset:         8
        .size:           8
        .value_kind:     global_buffer
      - .actual_access:  write_only
        .address_space:  global
        .offset:         16
        .size:           8
        .value_kind:     global_buffer
      - .address_space:  global
        .offset:         24
        .size:           8
        .value_kind:     global_buffer
      - .address_space:  global
        .offset:         32
        .size:           8
        .value_kind:     global_buffer
      - .address_space:  global
        .offset:         40
        .size:           8
        .value_kind:     global_buffer
      - .offset:         48
        .size:           4
        .value_kind:     by_value
      - .offset:         52
        .size:           4
        .value_kind:     by_value
      - .offset:         56
        .size:           4
        .value_kind:     by_value
      - .offset:         60
        .size:           4
        .value_kind:     by_value
      - .offset:         64
        .size:           4
        .value_kind:     by_value
      - .offset:         68
        .size:           4
        .value_kind:     by_value
      - .offset:         72
        .size:           4
        .value_kind:     by_value
    .group_segment_fixed_size: 38656
    .kernarg_segment_align: 8
    .kernarg_segment_size: 76
    .language:       OpenCL C
    .language_version:
      - 2
      - 0
    .max_flat_workgroup_size: 256
    .name:           _ZL8moe_q5_1IN3c108BFloat16ELb1EEvPKvS3_PT_PKiS7_S7_iiiiiii
    .private_segment_fixed_size: 0
    .sgpr_count:     23
    .sgpr_spill_count: 0
    .symbol:         _ZL8moe_q5_1IN3c108BFloat16ELb1EEvPKvS3_PT_PKiS7_S7_iiiiiii.kd
    .uniform_work_group_size: 1
    .uses_dynamic_stack: false
    .vgpr_count:     180
    .vgpr_spill_count: 0
    .wavefront_size: 32
    .workgroup_processor_mode: 1
  - .args:
      - .actual_access:  read_only
        .address_space:  global
        .offset:         0
        .size:           8
        .value_kind:     global_buffer
      - .actual_access:  read_only
        .address_space:  global
        .offset:         8
        .size:           8
        .value_kind:     global_buffer
      - .actual_access:  write_only
        .address_space:  global
        .offset:         16
        .size:           8
        .value_kind:     global_buffer
      - .address_space:  global
        .offset:         24
        .size:           8
        .value_kind:     global_buffer
      - .address_space:  global
        .offset:         32
        .size:           8
        .value_kind:     global_buffer
      - .address_space:  global
        .offset:         40
        .size:           8
        .value_kind:     global_buffer
      - .offset:         48
        .size:           4
        .value_kind:     by_value
      - .offset:         52
        .size:           4
        .value_kind:     by_value
      - .offset:         56
        .size:           4
        .value_kind:     by_value
      - .offset:         60
        .size:           4
        .value_kind:     by_value
      - .offset:         64
        .size:           4
        .value_kind:     by_value
      - .offset:         68
        .size:           4
        .value_kind:     by_value
      - .offset:         72
        .size:           4
        .value_kind:     by_value
    .group_segment_fixed_size: 20160
    .kernarg_segment_align: 8
    .kernarg_segment_size: 76
    .language:       OpenCL C
    .language_version:
      - 2
      - 0
    .max_flat_workgroup_size: 256
    .name:           _ZL8moe_q8_0IN3c108BFloat16ELb0EEvPKvS3_PT_PKiS7_S7_iiiiiii
    .private_segment_fixed_size: 0
    .sgpr_count:     23
    .sgpr_spill_count: 0
    .symbol:         _ZL8moe_q8_0IN3c108BFloat16ELb0EEvPKvS3_PT_PKiS7_S7_iiiiiii.kd
    .uniform_work_group_size: 1
    .uses_dynamic_stack: false
    .vgpr_count:     119
    .vgpr_spill_count: 0
    .wavefront_size: 32
    .workgroup_processor_mode: 1
  - .args:
      - .actual_access:  read_only
        .address_space:  global
        .offset:         0
        .size:           8
        .value_kind:     global_buffer
      - .actual_access:  read_only
        .address_space:  global
        .offset:         8
        .size:           8
        .value_kind:     global_buffer
      - .actual_access:  write_only
        .address_space:  global
        .offset:         16
        .size:           8
        .value_kind:     global_buffer
      - .address_space:  global
        .offset:         24
        .size:           8
        .value_kind:     global_buffer
      - .address_space:  global
        .offset:         32
        .size:           8
        .value_kind:     global_buffer
      - .address_space:  global
        .offset:         40
        .size:           8
        .value_kind:     global_buffer
      - .offset:         48
        .size:           4
        .value_kind:     by_value
      - .offset:         52
        .size:           4
        .value_kind:     by_value
      - .offset:         56
        .size:           4
        .value_kind:     by_value
      - .offset:         60
        .size:           4
        .value_kind:     by_value
      - .offset:         64
        .size:           4
        .value_kind:     by_value
      - .offset:         68
        .size:           4
        .value_kind:     by_value
      - .offset:         72
        .size:           4
        .value_kind:     by_value
    .group_segment_fixed_size: 20160
    .kernarg_segment_align: 8
    .kernarg_segment_size: 76
    .language:       OpenCL C
    .language_version:
      - 2
      - 0
    .max_flat_workgroup_size: 256
    .name:           _ZL8moe_q8_0IN3c108BFloat16ELb1EEvPKvS3_PT_PKiS7_S7_iiiiiii
    .private_segment_fixed_size: 0
    .sgpr_count:     22
    .sgpr_spill_count: 0
    .symbol:         _ZL8moe_q8_0IN3c108BFloat16ELb1EEvPKvS3_PT_PKiS7_S7_iiiiiii.kd
    .uniform_work_group_size: 1
    .uses_dynamic_stack: false
    .vgpr_count:     126
    .vgpr_spill_count: 0
    .wavefront_size: 32
    .workgroup_processor_mode: 1
  - .args:
      - .actual_access:  read_only
        .address_space:  global
        .offset:         0
        .size:           8
        .value_kind:     global_buffer
      - .actual_access:  read_only
        .address_space:  global
        .offset:         8
        .size:           8
        .value_kind:     global_buffer
      - .actual_access:  write_only
        .address_space:  global
        .offset:         16
        .size:           8
        .value_kind:     global_buffer
      - .address_space:  global
        .offset:         24
        .size:           8
        .value_kind:     global_buffer
      - .address_space:  global
        .offset:         32
        .size:           8
        .value_kind:     global_buffer
      - .address_space:  global
        .offset:         40
        .size:           8
        .value_kind:     global_buffer
      - .offset:         48
        .size:           4
        .value_kind:     by_value
      - .offset:         52
        .size:           4
        .value_kind:     by_value
      - .offset:         56
        .size:           4
        .value_kind:     by_value
      - .offset:         60
        .size:           4
        .value_kind:     by_value
      - .offset:         64
        .size:           4
        .value_kind:     by_value
      - .offset:         68
        .size:           4
        .value_kind:     by_value
      - .offset:         72
        .size:           4
        .value_kind:     by_value
    .group_segment_fixed_size: 23328
    .kernarg_segment_align: 8
    .kernarg_segment_size: 76
    .language:       OpenCL C
    .language_version:
      - 2
      - 0
    .max_flat_workgroup_size: 256
    .name:           _ZL8moe_q2_KIN3c108BFloat16ELb0EEvPKvS3_PT_PKiS7_S7_iiiiiii
    .private_segment_fixed_size: 0
    .sgpr_count:     24
    .sgpr_spill_count: 0
    .symbol:         _ZL8moe_q2_KIN3c108BFloat16ELb0EEvPKvS3_PT_PKiS7_S7_iiiiiii.kd
    .uniform_work_group_size: 1
    .uses_dynamic_stack: false
    .vgpr_count:     136
    .vgpr_spill_count: 0
    .wavefront_size: 32
    .workgroup_processor_mode: 1
  - .args:
      - .actual_access:  read_only
        .address_space:  global
        .offset:         0
        .size:           8
        .value_kind:     global_buffer
      - .actual_access:  read_only
        .address_space:  global
        .offset:         8
        .size:           8
        .value_kind:     global_buffer
      - .actual_access:  write_only
        .address_space:  global
        .offset:         16
        .size:           8
        .value_kind:     global_buffer
      - .address_space:  global
        .offset:         24
        .size:           8
        .value_kind:     global_buffer
      - .address_space:  global
        .offset:         32
        .size:           8
        .value_kind:     global_buffer
      - .address_space:  global
        .offset:         40
        .size:           8
        .value_kind:     global_buffer
      - .offset:         48
        .size:           4
        .value_kind:     by_value
      - .offset:         52
        .size:           4
        .value_kind:     by_value
      - .offset:         56
        .size:           4
        .value_kind:     by_value
      - .offset:         60
        .size:           4
        .value_kind:     by_value
      - .offset:         64
        .size:           4
        .value_kind:     by_value
      - .offset:         68
        .size:           4
        .value_kind:     by_value
      - .offset:         72
        .size:           4
        .value_kind:     by_value
    .group_segment_fixed_size: 23328
    .kernarg_segment_align: 8
    .kernarg_segment_size: 76
    .language:       OpenCL C
    .language_version:
      - 2
      - 0
    .max_flat_workgroup_size: 256
    .name:           _ZL8moe_q2_KIN3c108BFloat16ELb1EEvPKvS3_PT_PKiS7_S7_iiiiiii
    .private_segment_fixed_size: 0
    .sgpr_count:     24
    .sgpr_spill_count: 0
    .symbol:         _ZL8moe_q2_KIN3c108BFloat16ELb1EEvPKvS3_PT_PKiS7_S7_iiiiiii.kd
    .uniform_work_group_size: 1
    .uses_dynamic_stack: false
    .vgpr_count:     151
    .vgpr_spill_count: 0
    .wavefront_size: 32
    .workgroup_processor_mode: 1
  - .args:
      - .actual_access:  read_only
        .address_space:  global
        .offset:         0
        .size:           8
        .value_kind:     global_buffer
      - .actual_access:  read_only
        .address_space:  global
        .offset:         8
        .size:           8
        .value_kind:     global_buffer
      - .actual_access:  write_only
        .address_space:  global
        .offset:         16
        .size:           8
        .value_kind:     global_buffer
      - .address_space:  global
        .offset:         24
        .size:           8
        .value_kind:     global_buffer
      - .address_space:  global
        .offset:         32
        .size:           8
        .value_kind:     global_buffer
      - .address_space:  global
        .offset:         40
        .size:           8
        .value_kind:     global_buffer
      - .offset:         48
        .size:           4
        .value_kind:     by_value
      - .offset:         52
        .size:           4
        .value_kind:     by_value
      - .offset:         56
        .size:           4
        .value_kind:     by_value
      - .offset:         60
        .size:           4
        .value_kind:     by_value
      - .offset:         64
        .size:           4
        .value_kind:     by_value
      - .offset:         68
        .size:           4
        .value_kind:     by_value
      - .offset:         72
        .size:           4
        .value_kind:     by_value
    .group_segment_fixed_size: 31776
    .kernarg_segment_align: 8
    .kernarg_segment_size: 76
    .language:       OpenCL C
    .language_version:
      - 2
      - 0
    .max_flat_workgroup_size: 256
    .name:           _ZL8moe_q3_KIN3c108BFloat16ELb0EEvPKvS3_PT_PKiS7_S7_iiiiiii
    .private_segment_fixed_size: 0
    .sgpr_count:     29
    .sgpr_spill_count: 0
    .symbol:         _ZL8moe_q3_KIN3c108BFloat16ELb0EEvPKvS3_PT_PKiS7_S7_iiiiiii.kd
    .uniform_work_group_size: 1
    .uses_dynamic_stack: false
    .vgpr_count:     227
    .vgpr_spill_count: 0
    .wavefront_size: 32
    .workgroup_processor_mode: 1
  - .args:
      - .actual_access:  read_only
        .address_space:  global
        .offset:         0
        .size:           8
        .value_kind:     global_buffer
      - .actual_access:  read_only
        .address_space:  global
        .offset:         8
        .size:           8
        .value_kind:     global_buffer
      - .actual_access:  write_only
        .address_space:  global
        .offset:         16
        .size:           8
        .value_kind:     global_buffer
      - .address_space:  global
        .offset:         24
        .size:           8
        .value_kind:     global_buffer
      - .address_space:  global
        .offset:         32
        .size:           8
        .value_kind:     global_buffer
      - .address_space:  global
        .offset:         40
        .size:           8
        .value_kind:     global_buffer
      - .offset:         48
        .size:           4
        .value_kind:     by_value
      - .offset:         52
        .size:           4
        .value_kind:     by_value
      - .offset:         56
        .size:           4
        .value_kind:     by_value
      - .offset:         60
        .size:           4
        .value_kind:     by_value
      - .offset:         64
        .size:           4
        .value_kind:     by_value
      - .offset:         68
        .size:           4
        .value_kind:     by_value
      - .offset:         72
        .size:           4
        .value_kind:     by_value
    .group_segment_fixed_size: 31776
    .kernarg_segment_align: 8
    .kernarg_segment_size: 76
    .language:       OpenCL C
    .language_version:
      - 2
      - 0
    .max_flat_workgroup_size: 256
    .name:           _ZL8moe_q3_KIN3c108BFloat16ELb1EEvPKvS3_PT_PKiS7_S7_iiiiiii
    .private_segment_fixed_size: 0
    .sgpr_count:     29
    .sgpr_spill_count: 0
    .symbol:         _ZL8moe_q3_KIN3c108BFloat16ELb1EEvPKvS3_PT_PKiS7_S7_iiiiiii.kd
    .uniform_work_group_size: 1
    .uses_dynamic_stack: false
    .vgpr_count:     229
    .vgpr_spill_count: 0
    .wavefront_size: 32
    .workgroup_processor_mode: 1
  - .args:
      - .actual_access:  read_only
        .address_space:  global
        .offset:         0
        .size:           8
        .value_kind:     global_buffer
      - .actual_access:  read_only
        .address_space:  global
        .offset:         8
        .size:           8
        .value_kind:     global_buffer
      - .actual_access:  write_only
        .address_space:  global
        .offset:         16
        .size:           8
        .value_kind:     global_buffer
      - .address_space:  global
        .offset:         24
        .size:           8
        .value_kind:     global_buffer
      - .address_space:  global
        .offset:         32
        .size:           8
        .value_kind:     global_buffer
      - .address_space:  global
        .offset:         40
        .size:           8
        .value_kind:     global_buffer
      - .offset:         48
        .size:           4
        .value_kind:     by_value
      - .offset:         52
        .size:           4
        .value_kind:     by_value
      - .offset:         56
        .size:           4
        .value_kind:     by_value
      - .offset:         60
        .size:           4
        .value_kind:     by_value
      - .offset:         64
        .size:           4
        .value_kind:     by_value
      - .offset:         68
        .size:           4
        .value_kind:     by_value
      - .offset:         72
        .size:           4
        .value_kind:     by_value
    .group_segment_fixed_size: 20688
    .kernarg_segment_align: 8
    .kernarg_segment_size: 76
    .language:       OpenCL C
    .language_version:
      - 2
      - 0
    .max_flat_workgroup_size: 256
    .name:           _ZL8moe_q4_KIN3c108BFloat16ELb0EEvPKvS3_PT_PKiS7_S7_iiiiiii
    .private_segment_fixed_size: 0
    .sgpr_count:     26
    .sgpr_spill_count: 0
    .symbol:         _ZL8moe_q4_KIN3c108BFloat16ELb0EEvPKvS3_PT_PKiS7_S7_iiiiiii.kd
    .uniform_work_group_size: 1
    .uses_dynamic_stack: false
    .vgpr_count:     172
    .vgpr_spill_count: 0
    .wavefront_size: 32
    .workgroup_processor_mode: 1
  - .args:
      - .actual_access:  read_only
        .address_space:  global
        .offset:         0
        .size:           8
        .value_kind:     global_buffer
      - .actual_access:  read_only
        .address_space:  global
        .offset:         8
        .size:           8
        .value_kind:     global_buffer
      - .actual_access:  write_only
        .address_space:  global
        .offset:         16
        .size:           8
        .value_kind:     global_buffer
      - .address_space:  global
        .offset:         24
        .size:           8
        .value_kind:     global_buffer
      - .address_space:  global
        .offset:         32
        .size:           8
        .value_kind:     global_buffer
      - .address_space:  global
        .offset:         40
        .size:           8
        .value_kind:     global_buffer
      - .offset:         48
        .size:           4
        .value_kind:     by_value
      - .offset:         52
        .size:           4
        .value_kind:     by_value
      - .offset:         56
        .size:           4
        .value_kind:     by_value
      - .offset:         60
        .size:           4
        .value_kind:     by_value
      - .offset:         64
        .size:           4
        .value_kind:     by_value
      - .offset:         68
        .size:           4
        .value_kind:     by_value
      - .offset:         72
        .size:           4
        .value_kind:     by_value
    .group_segment_fixed_size: 20688
    .kernarg_segment_align: 8
    .kernarg_segment_size: 76
    .language:       OpenCL C
    .language_version:
      - 2
      - 0
    .max_flat_workgroup_size: 256
    .name:           _ZL8moe_q4_KIN3c108BFloat16ELb1EEvPKvS3_PT_PKiS7_S7_iiiiiii
    .private_segment_fixed_size: 0
    .sgpr_count:     26
    .sgpr_spill_count: 0
    .symbol:         _ZL8moe_q4_KIN3c108BFloat16ELb1EEvPKvS3_PT_PKiS7_S7_iiiiiii.kd
    .uniform_work_group_size: 1
    .uses_dynamic_stack: false
    .vgpr_count:     187
    .vgpr_spill_count: 0
    .wavefront_size: 32
    .workgroup_processor_mode: 1
  - .args:
      - .actual_access:  read_only
        .address_space:  global
        .offset:         0
        .size:           8
        .value_kind:     global_buffer
      - .actual_access:  read_only
        .address_space:  global
        .offset:         8
        .size:           8
        .value_kind:     global_buffer
      - .actual_access:  write_only
        .address_space:  global
        .offset:         16
        .size:           8
        .value_kind:     global_buffer
      - .address_space:  global
        .offset:         24
        .size:           8
        .value_kind:     global_buffer
      - .address_space:  global
        .offset:         32
        .size:           8
        .value_kind:     global_buffer
      - .address_space:  global
        .offset:         40
        .size:           8
        .value_kind:     global_buffer
      - .offset:         48
        .size:           4
        .value_kind:     by_value
      - .offset:         52
        .size:           4
        .value_kind:     by_value
      - .offset:         56
        .size:           4
        .value_kind:     by_value
      - .offset:         60
        .size:           4
        .value_kind:     by_value
      - .offset:         64
        .size:           4
        .value_kind:     by_value
      - .offset:         68
        .size:           4
        .value_kind:     by_value
      - .offset:         72
        .size:           4
        .value_kind:     by_value
    .group_segment_fixed_size: 37072
    .kernarg_segment_align: 8
    .kernarg_segment_size: 76
    .language:       OpenCL C
    .language_version:
      - 2
      - 0
    .max_flat_workgroup_size: 256
    .name:           _ZL8moe_q5_KIN3c108BFloat16ELb0EEvPKvS3_PT_PKiS7_S7_iiiiiii
    .private_segment_fixed_size: 0
    .sgpr_count:     25
    .sgpr_spill_count: 0
    .symbol:         _ZL8moe_q5_KIN3c108BFloat16ELb0EEvPKvS3_PT_PKiS7_S7_iiiiiii.kd
    .uniform_work_group_size: 1
    .uses_dynamic_stack: false
    .vgpr_count:     231
    .vgpr_spill_count: 0
    .wavefront_size: 32
    .workgroup_processor_mode: 1
  - .args:
      - .actual_access:  read_only
        .address_space:  global
        .offset:         0
        .size:           8
        .value_kind:     global_buffer
      - .actual_access:  read_only
        .address_space:  global
        .offset:         8
        .size:           8
        .value_kind:     global_buffer
      - .actual_access:  write_only
        .address_space:  global
        .offset:         16
        .size:           8
        .value_kind:     global_buffer
      - .address_space:  global
        .offset:         24
        .size:           8
        .value_kind:     global_buffer
      - .address_space:  global
        .offset:         32
        .size:           8
        .value_kind:     global_buffer
      - .address_space:  global
        .offset:         40
        .size:           8
        .value_kind:     global_buffer
      - .offset:         48
        .size:           4
        .value_kind:     by_value
      - .offset:         52
        .size:           4
        .value_kind:     by_value
      - .offset:         56
        .size:           4
        .value_kind:     by_value
      - .offset:         60
        .size:           4
        .value_kind:     by_value
      - .offset:         64
        .size:           4
        .value_kind:     by_value
      - .offset:         68
        .size:           4
        .value_kind:     by_value
      - .offset:         72
        .size:           4
        .value_kind:     by_value
    .group_segment_fixed_size: 37072
    .kernarg_segment_align: 8
    .kernarg_segment_size: 76
    .language:       OpenCL C
    .language_version:
      - 2
      - 0
    .max_flat_workgroup_size: 256
    .name:           _ZL8moe_q5_KIN3c108BFloat16ELb1EEvPKvS3_PT_PKiS7_S7_iiiiiii
    .private_segment_fixed_size: 0
    .sgpr_count:     25
    .sgpr_spill_count: 0
    .symbol:         _ZL8moe_q5_KIN3c108BFloat16ELb1EEvPKvS3_PT_PKiS7_S7_iiiiiii.kd
    .uniform_work_group_size: 1
    .uses_dynamic_stack: false
    .vgpr_count:     231
    .vgpr_spill_count: 0
    .wavefront_size: 32
    .workgroup_processor_mode: 1
  - .args:
      - .actual_access:  read_only
        .address_space:  global
        .offset:         0
        .size:           8
        .value_kind:     global_buffer
      - .actual_access:  read_only
        .address_space:  global
        .offset:         8
        .size:           8
        .value_kind:     global_buffer
      - .actual_access:  write_only
        .address_space:  global
        .offset:         16
        .size:           8
        .value_kind:     global_buffer
      - .address_space:  global
        .offset:         24
        .size:           8
        .value_kind:     global_buffer
      - .address_space:  global
        .offset:         32
        .size:           8
        .value_kind:     global_buffer
      - .address_space:  global
        .offset:         40
        .size:           8
        .value_kind:     global_buffer
      - .offset:         48
        .size:           4
        .value_kind:     by_value
      - .offset:         52
        .size:           4
        .value_kind:     by_value
      - .offset:         56
        .size:           4
        .value_kind:     by_value
      - .offset:         60
        .size:           4
        .value_kind:     by_value
      - .offset:         64
        .size:           4
        .value_kind:     by_value
      - .offset:         68
        .size:           4
        .value_kind:     by_value
      - .offset:         72
        .size:           4
        .value_kind:     by_value
    .group_segment_fixed_size: 37072
    .kernarg_segment_align: 8
    .kernarg_segment_size: 76
    .language:       OpenCL C
    .language_version:
      - 2
      - 0
    .max_flat_workgroup_size: 256
    .name:           _ZL8moe_q6_KIN3c108BFloat16ELb0EEvPKvS3_PT_PKiS7_S7_iiiiiii
    .private_segment_fixed_size: 0
    .sgpr_count:     25
    .sgpr_spill_count: 0
    .symbol:         _ZL8moe_q6_KIN3c108BFloat16ELb0EEvPKvS3_PT_PKiS7_S7_iiiiiii.kd
    .uniform_work_group_size: 1
    .uses_dynamic_stack: false
    .vgpr_count:     177
    .vgpr_spill_count: 0
    .wavefront_size: 32
    .workgroup_processor_mode: 1
  - .args:
      - .actual_access:  read_only
        .address_space:  global
        .offset:         0
        .size:           8
        .value_kind:     global_buffer
      - .actual_access:  read_only
        .address_space:  global
        .offset:         8
        .size:           8
        .value_kind:     global_buffer
      - .actual_access:  write_only
        .address_space:  global
        .offset:         16
        .size:           8
        .value_kind:     global_buffer
      - .address_space:  global
        .offset:         24
        .size:           8
        .value_kind:     global_buffer
      - .address_space:  global
        .offset:         32
        .size:           8
        .value_kind:     global_buffer
      - .address_space:  global
        .offset:         40
        .size:           8
        .value_kind:     global_buffer
      - .offset:         48
        .size:           4
        .value_kind:     by_value
      - .offset:         52
        .size:           4
        .value_kind:     by_value
      - .offset:         56
        .size:           4
        .value_kind:     by_value
      - .offset:         60
        .size:           4
        .value_kind:     by_value
      - .offset:         64
        .size:           4
        .value_kind:     by_value
      - .offset:         68
        .size:           4
        .value_kind:     by_value
      - .offset:         72
        .size:           4
        .value_kind:     by_value
    .group_segment_fixed_size: 37072
    .kernarg_segment_align: 8
    .kernarg_segment_size: 76
    .language:       OpenCL C
    .language_version:
      - 2
      - 0
    .max_flat_workgroup_size: 256
    .name:           _ZL8moe_q6_KIN3c108BFloat16ELb1EEvPKvS3_PT_PKiS7_S7_iiiiiii
    .private_segment_fixed_size: 0
    .sgpr_count:     25
    .sgpr_spill_count: 0
    .symbol:         _ZL8moe_q6_KIN3c108BFloat16ELb1EEvPKvS3_PT_PKiS7_S7_iiiiiii.kd
    .uniform_work_group_size: 1
    .uses_dynamic_stack: false
    .vgpr_count:     178
    .vgpr_spill_count: 0
    .wavefront_size: 32
    .workgroup_processor_mode: 1
  - .args:
      - .actual_access:  read_only
        .address_space:  global
        .offset:         0
        .size:           8
        .value_kind:     global_buffer
      - .actual_access:  read_only
        .address_space:  global
        .offset:         8
        .size:           8
        .value_kind:     global_buffer
      - .actual_access:  write_only
        .address_space:  global
        .offset:         16
        .size:           8
        .value_kind:     global_buffer
      - .address_space:  global
        .offset:         24
        .size:           8
        .value_kind:     global_buffer
      - .offset:         32
        .size:           4
        .value_kind:     by_value
      - .offset:         36
        .size:           4
        .value_kind:     by_value
      - .offset:         40
        .size:           4
        .value_kind:     by_value
      - .offset:         44
        .size:           4
        .value_kind:     by_value
      - .offset:         48
        .size:           4
        .value_kind:     hidden_block_count_x
      - .offset:         52
        .size:           4
        .value_kind:     hidden_block_count_y
      - .offset:         56
        .size:           4
        .value_kind:     hidden_block_count_z
      - .offset:         60
        .size:           2
        .value_kind:     hidden_group_size_x
      - .offset:         62
        .size:           2
        .value_kind:     hidden_group_size_y
      - .offset:         64
        .size:           2
        .value_kind:     hidden_group_size_z
      - .offset:         66
        .size:           2
        .value_kind:     hidden_remainder_x
      - .offset:         68
        .size:           2
        .value_kind:     hidden_remainder_y
      - .offset:         70
        .size:           2
        .value_kind:     hidden_remainder_z
      - .offset:         88
        .size:           8
        .value_kind:     hidden_global_offset_x
      - .offset:         96
        .size:           8
        .value_kind:     hidden_global_offset_y
      - .offset:         104
        .size:           8
        .value_kind:     hidden_global_offset_z
      - .offset:         112
        .size:           2
        .value_kind:     hidden_grid_dims
    .group_segment_fixed_size: 0
    .kernarg_segment_align: 8
    .kernarg_segment_size: 304
    .language:       OpenCL C
    .language_version:
      - 2
      - 0
    .max_flat_workgroup_size: 1024
    .name:           _ZL9moe_vec_qIfLi32ELi4E10block_q4_0Li2EXadL_ZL17vec_dot_q4_0_q8_1PKvPK10block_q8_1RKiEEEvS2_S2_PT_PS6_iiii
    .private_segment_fixed_size: 0
    .sgpr_count:     21
    .sgpr_spill_count: 0
    .symbol:         _ZL9moe_vec_qIfLi32ELi4E10block_q4_0Li2EXadL_ZL17vec_dot_q4_0_q8_1PKvPK10block_q8_1RKiEEEvS2_S2_PT_PS6_iiii.kd
    .uniform_work_group_size: 1
    .uses_dynamic_stack: false
    .vgpr_count:     40
    .vgpr_spill_count: 0
    .wavefront_size: 32
    .workgroup_processor_mode: 1
  - .args:
      - .actual_access:  read_only
        .address_space:  global
        .offset:         0
        .size:           8
        .value_kind:     global_buffer
      - .actual_access:  read_only
        .address_space:  global
        .offset:         8
        .size:           8
        .value_kind:     global_buffer
      - .actual_access:  write_only
        .address_space:  global
        .offset:         16
        .size:           8
        .value_kind:     global_buffer
      - .address_space:  global
        .offset:         24
        .size:           8
        .value_kind:     global_buffer
      - .offset:         32
        .size:           4
        .value_kind:     by_value
      - .offset:         36
        .size:           4
        .value_kind:     by_value
      - .offset:         40
        .size:           4
        .value_kind:     by_value
      - .offset:         44
        .size:           4
        .value_kind:     by_value
      - .offset:         48
        .size:           4
        .value_kind:     hidden_block_count_x
      - .offset:         52
        .size:           4
        .value_kind:     hidden_block_count_y
      - .offset:         56
        .size:           4
        .value_kind:     hidden_block_count_z
      - .offset:         60
        .size:           2
        .value_kind:     hidden_group_size_x
      - .offset:         62
        .size:           2
        .value_kind:     hidden_group_size_y
      - .offset:         64
        .size:           2
        .value_kind:     hidden_group_size_z
      - .offset:         66
        .size:           2
        .value_kind:     hidden_remainder_x
      - .offset:         68
        .size:           2
        .value_kind:     hidden_remainder_y
      - .offset:         70
        .size:           2
        .value_kind:     hidden_remainder_z
      - .offset:         88
        .size:           8
        .value_kind:     hidden_global_offset_x
      - .offset:         96
        .size:           8
        .value_kind:     hidden_global_offset_y
      - .offset:         104
        .size:           8
        .value_kind:     hidden_global_offset_z
      - .offset:         112
        .size:           2
        .value_kind:     hidden_grid_dims
    .group_segment_fixed_size: 0
    .kernarg_segment_align: 8
    .kernarg_segment_size: 304
    .language:       OpenCL C
    .language_version:
      - 2
      - 0
    .max_flat_workgroup_size: 1024
    .name:           _ZL9moe_vec_qIfLi32ELi4E10block_q4_1Li2EXadL_ZL17vec_dot_q4_1_q8_1PKvPK10block_q8_1RKiEEEvS2_S2_PT_PS6_iiii
    .private_segment_fixed_size: 0
    .sgpr_count:     21
    .sgpr_spill_count: 0
    .symbol:         _ZL9moe_vec_qIfLi32ELi4E10block_q4_1Li2EXadL_ZL17vec_dot_q4_1_q8_1PKvPK10block_q8_1RKiEEEvS2_S2_PT_PS6_iiii.kd
    .uniform_work_group_size: 1
    .uses_dynamic_stack: false
    .vgpr_count:     39
    .vgpr_spill_count: 0
    .wavefront_size: 32
    .workgroup_processor_mode: 1
  - .args:
      - .actual_access:  read_only
        .address_space:  global
        .offset:         0
        .size:           8
        .value_kind:     global_buffer
      - .actual_access:  read_only
        .address_space:  global
        .offset:         8
        .size:           8
        .value_kind:     global_buffer
      - .actual_access:  write_only
        .address_space:  global
        .offset:         16
        .size:           8
        .value_kind:     global_buffer
      - .address_space:  global
        .offset:         24
        .size:           8
        .value_kind:     global_buffer
      - .offset:         32
        .size:           4
        .value_kind:     by_value
      - .offset:         36
        .size:           4
        .value_kind:     by_value
      - .offset:         40
        .size:           4
        .value_kind:     by_value
      - .offset:         44
        .size:           4
        .value_kind:     by_value
      - .offset:         48
        .size:           4
        .value_kind:     hidden_block_count_x
      - .offset:         52
        .size:           4
        .value_kind:     hidden_block_count_y
      - .offset:         56
        .size:           4
        .value_kind:     hidden_block_count_z
      - .offset:         60
        .size:           2
        .value_kind:     hidden_group_size_x
      - .offset:         62
        .size:           2
        .value_kind:     hidden_group_size_y
      - .offset:         64
        .size:           2
        .value_kind:     hidden_group_size_z
      - .offset:         66
        .size:           2
        .value_kind:     hidden_remainder_x
      - .offset:         68
        .size:           2
        .value_kind:     hidden_remainder_y
      - .offset:         70
        .size:           2
        .value_kind:     hidden_remainder_z
      - .offset:         88
        .size:           8
        .value_kind:     hidden_global_offset_x
      - .offset:         96
        .size:           8
        .value_kind:     hidden_global_offset_y
      - .offset:         104
        .size:           8
        .value_kind:     hidden_global_offset_z
      - .offset:         112
        .size:           2
        .value_kind:     hidden_grid_dims
    .group_segment_fixed_size: 0
    .kernarg_segment_align: 8
    .kernarg_segment_size: 304
    .language:       OpenCL C
    .language_version:
      - 2
      - 0
    .max_flat_workgroup_size: 1024
    .name:           _ZL9moe_vec_qIfLi32ELi4E10block_q5_0Li2EXadL_ZL17vec_dot_q5_0_q8_1PKvPK10block_q8_1RKiEEEvS2_S2_PT_PS6_iiii
    .private_segment_fixed_size: 0
    .sgpr_count:     21
    .sgpr_spill_count: 0
    .symbol:         _ZL9moe_vec_qIfLi32ELi4E10block_q5_0Li2EXadL_ZL17vec_dot_q5_0_q8_1PKvPK10block_q8_1RKiEEEvS2_S2_PT_PS6_iiii.kd
    .uniform_work_group_size: 1
    .uses_dynamic_stack: false
    .vgpr_count:     45
    .vgpr_spill_count: 0
    .wavefront_size: 32
    .workgroup_processor_mode: 1
  - .args:
      - .actual_access:  read_only
        .address_space:  global
        .offset:         0
        .size:           8
        .value_kind:     global_buffer
      - .actual_access:  read_only
        .address_space:  global
        .offset:         8
        .size:           8
        .value_kind:     global_buffer
      - .actual_access:  write_only
        .address_space:  global
        .offset:         16
        .size:           8
        .value_kind:     global_buffer
      - .address_space:  global
        .offset:         24
        .size:           8
        .value_kind:     global_buffer
      - .offset:         32
        .size:           4
        .value_kind:     by_value
      - .offset:         36
        .size:           4
        .value_kind:     by_value
      - .offset:         40
        .size:           4
        .value_kind:     by_value
      - .offset:         44
        .size:           4
        .value_kind:     by_value
      - .offset:         48
        .size:           4
        .value_kind:     hidden_block_count_x
      - .offset:         52
        .size:           4
        .value_kind:     hidden_block_count_y
      - .offset:         56
        .size:           4
        .value_kind:     hidden_block_count_z
      - .offset:         60
        .size:           2
        .value_kind:     hidden_group_size_x
      - .offset:         62
        .size:           2
        .value_kind:     hidden_group_size_y
      - .offset:         64
        .size:           2
        .value_kind:     hidden_group_size_z
      - .offset:         66
        .size:           2
        .value_kind:     hidden_remainder_x
      - .offset:         68
        .size:           2
        .value_kind:     hidden_remainder_y
      - .offset:         70
        .size:           2
        .value_kind:     hidden_remainder_z
      - .offset:         88
        .size:           8
        .value_kind:     hidden_global_offset_x
      - .offset:         96
        .size:           8
        .value_kind:     hidden_global_offset_y
      - .offset:         104
        .size:           8
        .value_kind:     hidden_global_offset_z
      - .offset:         112
        .size:           2
        .value_kind:     hidden_grid_dims
    .group_segment_fixed_size: 0
    .kernarg_segment_align: 8
    .kernarg_segment_size: 304
    .language:       OpenCL C
    .language_version:
      - 2
      - 0
    .max_flat_workgroup_size: 1024
    .name:           _ZL9moe_vec_qIfLi32ELi4E10block_q5_1Li2EXadL_ZL17vec_dot_q5_1_q8_1PKvPK10block_q8_1RKiEEEvS2_S2_PT_PS6_iiii
    .private_segment_fixed_size: 0
    .sgpr_count:     21
    .sgpr_spill_count: 0
    .symbol:         _ZL9moe_vec_qIfLi32ELi4E10block_q5_1Li2EXadL_ZL17vec_dot_q5_1_q8_1PKvPK10block_q8_1RKiEEEvS2_S2_PT_PS6_iiii.kd
    .uniform_work_group_size: 1
    .uses_dynamic_stack: false
    .vgpr_count:     44
    .vgpr_spill_count: 0
    .wavefront_size: 32
    .workgroup_processor_mode: 1
  - .args:
      - .actual_access:  read_only
        .address_space:  global
        .offset:         0
        .size:           8
        .value_kind:     global_buffer
      - .actual_access:  read_only
        .address_space:  global
        .offset:         8
        .size:           8
        .value_kind:     global_buffer
      - .actual_access:  write_only
        .address_space:  global
        .offset:         16
        .size:           8
        .value_kind:     global_buffer
      - .address_space:  global
        .offset:         24
        .size:           8
        .value_kind:     global_buffer
      - .offset:         32
        .size:           4
        .value_kind:     by_value
      - .offset:         36
        .size:           4
        .value_kind:     by_value
      - .offset:         40
        .size:           4
        .value_kind:     by_value
      - .offset:         44
        .size:           4
        .value_kind:     by_value
      - .offset:         48
        .size:           4
        .value_kind:     hidden_block_count_x
      - .offset:         52
        .size:           4
        .value_kind:     hidden_block_count_y
      - .offset:         56
        .size:           4
        .value_kind:     hidden_block_count_z
      - .offset:         60
        .size:           2
        .value_kind:     hidden_group_size_x
      - .offset:         62
        .size:           2
        .value_kind:     hidden_group_size_y
      - .offset:         64
        .size:           2
        .value_kind:     hidden_group_size_z
      - .offset:         66
        .size:           2
        .value_kind:     hidden_remainder_x
      - .offset:         68
        .size:           2
        .value_kind:     hidden_remainder_y
      - .offset:         70
        .size:           2
        .value_kind:     hidden_remainder_z
      - .offset:         88
        .size:           8
        .value_kind:     hidden_global_offset_x
      - .offset:         96
        .size:           8
        .value_kind:     hidden_global_offset_y
      - .offset:         104
        .size:           8
        .value_kind:     hidden_global_offset_z
      - .offset:         112
        .size:           2
        .value_kind:     hidden_grid_dims
    .group_segment_fixed_size: 0
    .kernarg_segment_align: 8
    .kernarg_segment_size: 304
    .language:       OpenCL C
    .language_version:
      - 2
      - 0
    .max_flat_workgroup_size: 1024
    .name:           _ZL9moe_vec_qIfLi32ELi8E10block_q8_0Li2EXadL_ZL17vec_dot_q8_0_q8_1PKvPK10block_q8_1RKiEEEvS2_S2_PT_PS6_iiii
    .private_segment_fixed_size: 0
    .sgpr_count:     21
    .sgpr_spill_count: 0
    .symbol:         _ZL9moe_vec_qIfLi32ELi8E10block_q8_0Li2EXadL_ZL17vec_dot_q8_0_q8_1PKvPK10block_q8_1RKiEEEvS2_S2_PT_PS6_iiii.kd
    .uniform_work_group_size: 1
    .uses_dynamic_stack: false
    .vgpr_count:     24
    .vgpr_spill_count: 0
    .wavefront_size: 32
    .workgroup_processor_mode: 1
  - .args:
      - .actual_access:  read_only
        .address_space:  global
        .offset:         0
        .size:           8
        .value_kind:     global_buffer
      - .actual_access:  read_only
        .address_space:  global
        .offset:         8
        .size:           8
        .value_kind:     global_buffer
      - .actual_access:  write_only
        .address_space:  global
        .offset:         16
        .size:           8
        .value_kind:     global_buffer
      - .address_space:  global
        .offset:         24
        .size:           8
        .value_kind:     global_buffer
      - .offset:         32
        .size:           4
        .value_kind:     by_value
      - .offset:         36
        .size:           4
        .value_kind:     by_value
      - .offset:         40
        .size:           4
        .value_kind:     by_value
      - .offset:         44
        .size:           4
        .value_kind:     by_value
      - .offset:         48
        .size:           4
        .value_kind:     hidden_block_count_x
      - .offset:         52
        .size:           4
        .value_kind:     hidden_block_count_y
      - .offset:         56
        .size:           4
        .value_kind:     hidden_block_count_z
      - .offset:         60
        .size:           2
        .value_kind:     hidden_group_size_x
      - .offset:         62
        .size:           2
        .value_kind:     hidden_group_size_y
      - .offset:         64
        .size:           2
        .value_kind:     hidden_group_size_z
      - .offset:         66
        .size:           2
        .value_kind:     hidden_remainder_x
      - .offset:         68
        .size:           2
        .value_kind:     hidden_remainder_y
      - .offset:         70
        .size:           2
        .value_kind:     hidden_remainder_z
      - .offset:         88
        .size:           8
        .value_kind:     hidden_global_offset_x
      - .offset:         96
        .size:           8
        .value_kind:     hidden_global_offset_y
      - .offset:         104
        .size:           8
        .value_kind:     hidden_global_offset_z
      - .offset:         112
        .size:           2
        .value_kind:     hidden_grid_dims
    .group_segment_fixed_size: 0
    .kernarg_segment_align: 8
    .kernarg_segment_size: 304
    .language:       OpenCL C
    .language_version:
      - 2
      - 0
    .max_flat_workgroup_size: 1024
    .name:           _ZL9moe_vec_qIfLi256ELi16E10block_q2_KLi1EXadL_ZL17vec_dot_q2_K_q8_1PKvPK10block_q8_1RKiEEEvS2_S2_PT_PS6_iiii
    .private_segment_fixed_size: 0
    .sgpr_count:     21
    .sgpr_spill_count: 0
    .symbol:         _ZL9moe_vec_qIfLi256ELi16E10block_q2_KLi1EXadL_ZL17vec_dot_q2_K_q8_1PKvPK10block_q8_1RKiEEEvS2_S2_PT_PS6_iiii.kd
    .uniform_work_group_size: 1
    .uses_dynamic_stack: false
    .vgpr_count:     62
    .vgpr_spill_count: 0
    .wavefront_size: 32
    .workgroup_processor_mode: 1
  - .args:
      - .actual_access:  read_only
        .address_space:  global
        .offset:         0
        .size:           8
        .value_kind:     global_buffer
      - .actual_access:  read_only
        .address_space:  global
        .offset:         8
        .size:           8
        .value_kind:     global_buffer
      - .actual_access:  write_only
        .address_space:  global
        .offset:         16
        .size:           8
        .value_kind:     global_buffer
      - .address_space:  global
        .offset:         24
        .size:           8
        .value_kind:     global_buffer
      - .offset:         32
        .size:           4
        .value_kind:     by_value
      - .offset:         36
        .size:           4
        .value_kind:     by_value
      - .offset:         40
        .size:           4
        .value_kind:     by_value
      - .offset:         44
        .size:           4
        .value_kind:     by_value
      - .offset:         48
        .size:           4
        .value_kind:     hidden_block_count_x
      - .offset:         52
        .size:           4
        .value_kind:     hidden_block_count_y
      - .offset:         56
        .size:           4
        .value_kind:     hidden_block_count_z
      - .offset:         60
        .size:           2
        .value_kind:     hidden_group_size_x
      - .offset:         62
        .size:           2
        .value_kind:     hidden_group_size_y
      - .offset:         64
        .size:           2
        .value_kind:     hidden_group_size_z
      - .offset:         66
        .size:           2
        .value_kind:     hidden_remainder_x
      - .offset:         68
        .size:           2
        .value_kind:     hidden_remainder_y
      - .offset:         70
        .size:           2
        .value_kind:     hidden_remainder_z
      - .offset:         88
        .size:           8
        .value_kind:     hidden_global_offset_x
      - .offset:         96
        .size:           8
        .value_kind:     hidden_global_offset_y
      - .offset:         104
        .size:           8
        .value_kind:     hidden_global_offset_z
      - .offset:         112
        .size:           2
        .value_kind:     hidden_grid_dims
    .group_segment_fixed_size: 0
    .kernarg_segment_align: 8
    .kernarg_segment_size: 304
    .language:       OpenCL C
    .language_version:
      - 2
      - 0
    .max_flat_workgroup_size: 1024
    .name:           _ZL9moe_vec_qIfLi256ELi16E10block_q3_KLi1EXadL_ZL17vec_dot_q3_K_q8_1PKvPK10block_q8_1RKiEEEvS2_S2_PT_PS6_iiii
    .private_segment_fixed_size: 0
    .sgpr_count:     21
    .sgpr_spill_count: 0
    .symbol:         _ZL9moe_vec_qIfLi256ELi16E10block_q3_KLi1EXadL_ZL17vec_dot_q3_K_q8_1PKvPK10block_q8_1RKiEEEvS2_S2_PT_PS6_iiii.kd
    .uniform_work_group_size: 1
    .uses_dynamic_stack: false
    .vgpr_count:     85
    .vgpr_spill_count: 0
    .wavefront_size: 32
    .workgroup_processor_mode: 1
  - .args:
      - .actual_access:  read_only
        .address_space:  global
        .offset:         0
        .size:           8
        .value_kind:     global_buffer
      - .actual_access:  read_only
        .address_space:  global
        .offset:         8
        .size:           8
        .value_kind:     global_buffer
      - .actual_access:  write_only
        .address_space:  global
        .offset:         16
        .size:           8
        .value_kind:     global_buffer
      - .address_space:  global
        .offset:         24
        .size:           8
        .value_kind:     global_buffer
      - .offset:         32
        .size:           4
        .value_kind:     by_value
      - .offset:         36
        .size:           4
        .value_kind:     by_value
      - .offset:         40
        .size:           4
        .value_kind:     by_value
      - .offset:         44
        .size:           4
        .value_kind:     by_value
      - .offset:         48
        .size:           4
        .value_kind:     hidden_block_count_x
      - .offset:         52
        .size:           4
        .value_kind:     hidden_block_count_y
      - .offset:         56
        .size:           4
        .value_kind:     hidden_block_count_z
      - .offset:         60
        .size:           2
        .value_kind:     hidden_group_size_x
      - .offset:         62
        .size:           2
        .value_kind:     hidden_group_size_y
      - .offset:         64
        .size:           2
        .value_kind:     hidden_group_size_z
      - .offset:         66
        .size:           2
        .value_kind:     hidden_remainder_x
      - .offset:         68
        .size:           2
        .value_kind:     hidden_remainder_y
      - .offset:         70
        .size:           2
        .value_kind:     hidden_remainder_z
      - .offset:         88
        .size:           8
        .value_kind:     hidden_global_offset_x
      - .offset:         96
        .size:           8
        .value_kind:     hidden_global_offset_y
      - .offset:         104
        .size:           8
        .value_kind:     hidden_global_offset_z
      - .offset:         112
        .size:           2
        .value_kind:     hidden_grid_dims
    .group_segment_fixed_size: 0
    .kernarg_segment_align: 8
    .kernarg_segment_size: 304
    .language:       OpenCL C
    .language_version:
      - 2
      - 0
    .max_flat_workgroup_size: 1024
    .name:           _ZL9moe_vec_qIfLi256ELi32E10block_q4_KLi2EXadL_ZL17vec_dot_q4_K_q8_1PKvPK10block_q8_1RKiEEEvS2_S2_PT_PS6_iiii
    .private_segment_fixed_size: 0
    .sgpr_count:     21
    .sgpr_spill_count: 0
    .symbol:         _ZL9moe_vec_qIfLi256ELi32E10block_q4_KLi2EXadL_ZL17vec_dot_q4_K_q8_1PKvPK10block_q8_1RKiEEEvS2_S2_PT_PS6_iiii.kd
    .uniform_work_group_size: 1
    .uses_dynamic_stack: false
    .vgpr_count:     52
    .vgpr_spill_count: 0
    .wavefront_size: 32
    .workgroup_processor_mode: 1
  - .args:
      - .actual_access:  read_only
        .address_space:  global
        .offset:         0
        .size:           8
        .value_kind:     global_buffer
      - .actual_access:  read_only
        .address_space:  global
        .offset:         8
        .size:           8
        .value_kind:     global_buffer
      - .actual_access:  write_only
        .address_space:  global
        .offset:         16
        .size:           8
        .value_kind:     global_buffer
      - .address_space:  global
        .offset:         24
        .size:           8
        .value_kind:     global_buffer
      - .offset:         32
        .size:           4
        .value_kind:     by_value
      - .offset:         36
        .size:           4
        .value_kind:     by_value
      - .offset:         40
        .size:           4
        .value_kind:     by_value
      - .offset:         44
        .size:           4
        .value_kind:     by_value
      - .offset:         48
        .size:           4
        .value_kind:     hidden_block_count_x
      - .offset:         52
        .size:           4
        .value_kind:     hidden_block_count_y
      - .offset:         56
        .size:           4
        .value_kind:     hidden_block_count_z
      - .offset:         60
        .size:           2
        .value_kind:     hidden_group_size_x
      - .offset:         62
        .size:           2
        .value_kind:     hidden_group_size_y
      - .offset:         64
        .size:           2
        .value_kind:     hidden_group_size_z
      - .offset:         66
        .size:           2
        .value_kind:     hidden_remainder_x
      - .offset:         68
        .size:           2
        .value_kind:     hidden_remainder_y
      - .offset:         70
        .size:           2
        .value_kind:     hidden_remainder_z
      - .offset:         88
        .size:           8
        .value_kind:     hidden_global_offset_x
      - .offset:         96
        .size:           8
        .value_kind:     hidden_global_offset_y
      - .offset:         104
        .size:           8
        .value_kind:     hidden_global_offset_z
      - .offset:         112
        .size:           2
        .value_kind:     hidden_grid_dims
    .group_segment_fixed_size: 0
    .kernarg_segment_align: 8
    .kernarg_segment_size: 304
    .language:       OpenCL C
    .language_version:
      - 2
      - 0
    .max_flat_workgroup_size: 1024
    .name:           _ZL9moe_vec_qIfLi256ELi32E10block_q5_KLi2EXadL_ZL17vec_dot_q5_K_q8_1PKvPK10block_q8_1RKiEEEvS2_S2_PT_PS6_iiii
    .private_segment_fixed_size: 0
    .sgpr_count:     21
    .sgpr_spill_count: 0
    .symbol:         _ZL9moe_vec_qIfLi256ELi32E10block_q5_KLi2EXadL_ZL17vec_dot_q5_K_q8_1PKvPK10block_q8_1RKiEEEvS2_S2_PT_PS6_iiii.kd
    .uniform_work_group_size: 1
    .uses_dynamic_stack: false
    .vgpr_count:     53
    .vgpr_spill_count: 0
    .wavefront_size: 32
    .workgroup_processor_mode: 1
  - .args:
      - .actual_access:  read_only
        .address_space:  global
        .offset:         0
        .size:           8
        .value_kind:     global_buffer
      - .actual_access:  read_only
        .address_space:  global
        .offset:         8
        .size:           8
        .value_kind:     global_buffer
      - .actual_access:  write_only
        .address_space:  global
        .offset:         16
        .size:           8
        .value_kind:     global_buffer
      - .address_space:  global
        .offset:         24
        .size:           8
        .value_kind:     global_buffer
      - .offset:         32
        .size:           4
        .value_kind:     by_value
      - .offset:         36
        .size:           4
        .value_kind:     by_value
      - .offset:         40
        .size:           4
        .value_kind:     by_value
      - .offset:         44
        .size:           4
        .value_kind:     by_value
      - .offset:         48
        .size:           4
        .value_kind:     hidden_block_count_x
      - .offset:         52
        .size:           4
        .value_kind:     hidden_block_count_y
      - .offset:         56
        .size:           4
        .value_kind:     hidden_block_count_z
      - .offset:         60
        .size:           2
        .value_kind:     hidden_group_size_x
      - .offset:         62
        .size:           2
        .value_kind:     hidden_group_size_y
      - .offset:         64
        .size:           2
        .value_kind:     hidden_group_size_z
      - .offset:         66
        .size:           2
        .value_kind:     hidden_remainder_x
      - .offset:         68
        .size:           2
        .value_kind:     hidden_remainder_y
      - .offset:         70
        .size:           2
        .value_kind:     hidden_remainder_z
      - .offset:         88
        .size:           8
        .value_kind:     hidden_global_offset_x
      - .offset:         96
        .size:           8
        .value_kind:     hidden_global_offset_y
      - .offset:         104
        .size:           8
        .value_kind:     hidden_global_offset_z
      - .offset:         112
        .size:           2
        .value_kind:     hidden_grid_dims
    .group_segment_fixed_size: 0
    .kernarg_segment_align: 8
    .kernarg_segment_size: 304
    .language:       OpenCL C
    .language_version:
      - 2
      - 0
    .max_flat_workgroup_size: 1024
    .name:           _ZL9moe_vec_qIfLi256ELi32E10block_q6_KLi1EXadL_ZL17vec_dot_q6_K_q8_1PKvPK10block_q8_1RKiEEEvS2_S2_PT_PS6_iiii
    .private_segment_fixed_size: 0
    .sgpr_count:     22
    .sgpr_spill_count: 0
    .symbol:         _ZL9moe_vec_qIfLi256ELi32E10block_q6_KLi1EXadL_ZL17vec_dot_q6_K_q8_1PKvPK10block_q8_1RKiEEEvS2_S2_PT_PS6_iiii.kd
    .uniform_work_group_size: 1
    .uses_dynamic_stack: false
    .vgpr_count:     34
    .vgpr_spill_count: 0
    .wavefront_size: 32
    .workgroup_processor_mode: 1
  - .args:
      - .actual_access:  read_only
        .address_space:  global
        .offset:         0
        .size:           8
        .value_kind:     global_buffer
      - .actual_access:  read_only
        .address_space:  global
        .offset:         8
        .size:           8
        .value_kind:     global_buffer
      - .actual_access:  write_only
        .address_space:  global
        .offset:         16
        .size:           8
        .value_kind:     global_buffer
      - .address_space:  global
        .offset:         24
        .size:           8
        .value_kind:     global_buffer
      - .offset:         32
        .size:           4
        .value_kind:     by_value
      - .offset:         36
        .size:           4
        .value_kind:     by_value
      - .offset:         40
        .size:           4
        .value_kind:     by_value
      - .offset:         44
        .size:           4
        .value_kind:     by_value
      - .offset:         48
        .size:           4
        .value_kind:     hidden_block_count_x
      - .offset:         52
        .size:           4
        .value_kind:     hidden_block_count_y
      - .offset:         56
        .size:           4
        .value_kind:     hidden_block_count_z
      - .offset:         60
        .size:           2
        .value_kind:     hidden_group_size_x
      - .offset:         62
        .size:           2
        .value_kind:     hidden_group_size_y
      - .offset:         64
        .size:           2
        .value_kind:     hidden_group_size_z
      - .offset:         66
        .size:           2
        .value_kind:     hidden_remainder_x
      - .offset:         68
        .size:           2
        .value_kind:     hidden_remainder_y
      - .offset:         70
        .size:           2
        .value_kind:     hidden_remainder_z
      - .offset:         88
        .size:           8
        .value_kind:     hidden_global_offset_x
      - .offset:         96
        .size:           8
        .value_kind:     hidden_global_offset_y
      - .offset:         104
        .size:           8
        .value_kind:     hidden_global_offset_z
      - .offset:         112
        .size:           2
        .value_kind:     hidden_grid_dims
    .group_segment_fixed_size: 0
    .kernarg_segment_align: 8
    .kernarg_segment_size: 304
    .language:       OpenCL C
    .language_version:
      - 2
      - 0
    .max_flat_workgroup_size: 1024
    .name:           _ZL9moe_vec_qIfLi256ELi8E13block_iq2_xxsLi1EXadL_ZL20vec_dot_iq2_xxs_q8_1PKvPK10block_q8_1RKiEEEvS2_S2_PT_PS6_iiii
    .private_segment_fixed_size: 0
    .sgpr_count:     23
    .sgpr_spill_count: 0
    .symbol:         _ZL9moe_vec_qIfLi256ELi8E13block_iq2_xxsLi1EXadL_ZL20vec_dot_iq2_xxs_q8_1PKvPK10block_q8_1RKiEEEvS2_S2_PT_PS6_iiii.kd
    .uniform_work_group_size: 1
    .uses_dynamic_stack: false
    .vgpr_count:     94
    .vgpr_spill_count: 0
    .wavefront_size: 32
    .workgroup_processor_mode: 1
  - .args:
      - .actual_access:  read_only
        .address_space:  global
        .offset:         0
        .size:           8
        .value_kind:     global_buffer
      - .actual_access:  read_only
        .address_space:  global
        .offset:         8
        .size:           8
        .value_kind:     global_buffer
      - .actual_access:  write_only
        .address_space:  global
        .offset:         16
        .size:           8
        .value_kind:     global_buffer
      - .address_space:  global
        .offset:         24
        .size:           8
        .value_kind:     global_buffer
      - .offset:         32
        .size:           4
        .value_kind:     by_value
      - .offset:         36
        .size:           4
        .value_kind:     by_value
      - .offset:         40
        .size:           4
        .value_kind:     by_value
      - .offset:         44
        .size:           4
        .value_kind:     by_value
      - .offset:         48
        .size:           4
        .value_kind:     hidden_block_count_x
      - .offset:         52
        .size:           4
        .value_kind:     hidden_block_count_y
      - .offset:         56
        .size:           4
        .value_kind:     hidden_block_count_z
      - .offset:         60
        .size:           2
        .value_kind:     hidden_group_size_x
      - .offset:         62
        .size:           2
        .value_kind:     hidden_group_size_y
      - .offset:         64
        .size:           2
        .value_kind:     hidden_group_size_z
      - .offset:         66
        .size:           2
        .value_kind:     hidden_remainder_x
      - .offset:         68
        .size:           2
        .value_kind:     hidden_remainder_y
      - .offset:         70
        .size:           2
        .value_kind:     hidden_remainder_z
      - .offset:         88
        .size:           8
        .value_kind:     hidden_global_offset_x
      - .offset:         96
        .size:           8
        .value_kind:     hidden_global_offset_y
      - .offset:         104
        .size:           8
        .value_kind:     hidden_global_offset_z
      - .offset:         112
        .size:           2
        .value_kind:     hidden_grid_dims
    .group_segment_fixed_size: 0
    .kernarg_segment_align: 8
    .kernarg_segment_size: 304
    .language:       OpenCL C
    .language_version:
      - 2
      - 0
    .max_flat_workgroup_size: 1024
    .name:           _ZL9moe_vec_qIfLi256ELi8E12block_iq2_xsLi1EXadL_ZL19vec_dot_iq2_xs_q8_1PKvPK10block_q8_1RKiEEEvS2_S2_PT_PS6_iiii
    .private_segment_fixed_size: 0
    .sgpr_count:     44
    .sgpr_spill_count: 0
    .symbol:         _ZL9moe_vec_qIfLi256ELi8E12block_iq2_xsLi1EXadL_ZL19vec_dot_iq2_xs_q8_1PKvPK10block_q8_1RKiEEEvS2_S2_PT_PS6_iiii.kd
    .uniform_work_group_size: 1
    .uses_dynamic_stack: false
    .vgpr_count:     94
    .vgpr_spill_count: 0
    .wavefront_size: 32
    .workgroup_processor_mode: 1
  - .args:
      - .actual_access:  read_only
        .address_space:  global
        .offset:         0
        .size:           8
        .value_kind:     global_buffer
      - .actual_access:  read_only
        .address_space:  global
        .offset:         8
        .size:           8
        .value_kind:     global_buffer
      - .actual_access:  write_only
        .address_space:  global
        .offset:         16
        .size:           8
        .value_kind:     global_buffer
      - .address_space:  global
        .offset:         24
        .size:           8
        .value_kind:     global_buffer
      - .offset:         32
        .size:           4
        .value_kind:     by_value
      - .offset:         36
        .size:           4
        .value_kind:     by_value
      - .offset:         40
        .size:           4
        .value_kind:     by_value
      - .offset:         44
        .size:           4
        .value_kind:     by_value
      - .offset:         48
        .size:           4
        .value_kind:     hidden_block_count_x
      - .offset:         52
        .size:           4
        .value_kind:     hidden_block_count_y
      - .offset:         56
        .size:           4
        .value_kind:     hidden_block_count_z
      - .offset:         60
        .size:           2
        .value_kind:     hidden_group_size_x
      - .offset:         62
        .size:           2
        .value_kind:     hidden_group_size_y
      - .offset:         64
        .size:           2
        .value_kind:     hidden_group_size_z
      - .offset:         66
        .size:           2
        .value_kind:     hidden_remainder_x
      - .offset:         68
        .size:           2
        .value_kind:     hidden_remainder_y
      - .offset:         70
        .size:           2
        .value_kind:     hidden_remainder_z
      - .offset:         88
        .size:           8
        .value_kind:     hidden_global_offset_x
      - .offset:         96
        .size:           8
        .value_kind:     hidden_global_offset_y
      - .offset:         104
        .size:           8
        .value_kind:     hidden_global_offset_z
      - .offset:         112
        .size:           2
        .value_kind:     hidden_grid_dims
    .group_segment_fixed_size: 0
    .kernarg_segment_align: 8
    .kernarg_segment_size: 304
    .language:       OpenCL C
    .language_version:
      - 2
      - 0
    .max_flat_workgroup_size: 1024
    .name:           _ZL9moe_vec_qIfLi256ELi8E13block_iq3_xxsLi1EXadL_ZL20vec_dot_iq3_xxs_q8_1PKvPK10block_q8_1RKiEEEvS2_S2_PT_PS6_iiii
    .private_segment_fixed_size: 0
    .sgpr_count:     21
    .sgpr_spill_count: 0
    .symbol:         _ZL9moe_vec_qIfLi256ELi8E13block_iq3_xxsLi1EXadL_ZL20vec_dot_iq3_xxs_q8_1PKvPK10block_q8_1RKiEEEvS2_S2_PT_PS6_iiii.kd
    .uniform_work_group_size: 1
    .uses_dynamic_stack: false
    .vgpr_count:     40
    .vgpr_spill_count: 0
    .wavefront_size: 32
    .workgroup_processor_mode: 1
  - .args:
      - .actual_access:  read_only
        .address_space:  global
        .offset:         0
        .size:           8
        .value_kind:     global_buffer
      - .actual_access:  read_only
        .address_space:  global
        .offset:         8
        .size:           8
        .value_kind:     global_buffer
      - .actual_access:  write_only
        .address_space:  global
        .offset:         16
        .size:           8
        .value_kind:     global_buffer
      - .address_space:  global
        .offset:         24
        .size:           8
        .value_kind:     global_buffer
      - .offset:         32
        .size:           4
        .value_kind:     by_value
      - .offset:         36
        .size:           4
        .value_kind:     by_value
      - .offset:         40
        .size:           4
        .value_kind:     by_value
      - .offset:         44
        .size:           4
        .value_kind:     by_value
      - .offset:         48
        .size:           4
        .value_kind:     hidden_block_count_x
      - .offset:         52
        .size:           4
        .value_kind:     hidden_block_count_y
      - .offset:         56
        .size:           4
        .value_kind:     hidden_block_count_z
      - .offset:         60
        .size:           2
        .value_kind:     hidden_group_size_x
      - .offset:         62
        .size:           2
        .value_kind:     hidden_group_size_y
      - .offset:         64
        .size:           2
        .value_kind:     hidden_group_size_z
      - .offset:         66
        .size:           2
        .value_kind:     hidden_remainder_x
      - .offset:         68
        .size:           2
        .value_kind:     hidden_remainder_y
      - .offset:         70
        .size:           2
        .value_kind:     hidden_remainder_z
      - .offset:         88
        .size:           8
        .value_kind:     hidden_global_offset_x
      - .offset:         96
        .size:           8
        .value_kind:     hidden_global_offset_y
      - .offset:         104
        .size:           8
        .value_kind:     hidden_global_offset_z
      - .offset:         112
        .size:           2
        .value_kind:     hidden_grid_dims
    .group_segment_fixed_size: 0
    .kernarg_segment_align: 8
    .kernarg_segment_size: 304
    .language:       OpenCL C
    .language_version:
      - 2
      - 0
    .max_flat_workgroup_size: 1024
    .name:           _ZL9moe_vec_qIfLi256ELi8E11block_iq1_sLi1EXadL_ZL18vec_dot_iq1_s_q8_1PKvPK10block_q8_1RKiEEEvS2_S2_PT_PS6_iiii
    .private_segment_fixed_size: 0
    .sgpr_count:     22
    .sgpr_spill_count: 0
    .symbol:         _ZL9moe_vec_qIfLi256ELi8E11block_iq1_sLi1EXadL_ZL18vec_dot_iq1_s_q8_1PKvPK10block_q8_1RKiEEEvS2_S2_PT_PS6_iiii.kd
    .uniform_work_group_size: 1
    .uses_dynamic_stack: false
    .vgpr_count:     77
    .vgpr_spill_count: 0
    .wavefront_size: 32
    .workgroup_processor_mode: 1
  - .args:
      - .actual_access:  read_only
        .address_space:  global
        .offset:         0
        .size:           8
        .value_kind:     global_buffer
      - .actual_access:  read_only
        .address_space:  global
        .offset:         8
        .size:           8
        .value_kind:     global_buffer
      - .actual_access:  write_only
        .address_space:  global
        .offset:         16
        .size:           8
        .value_kind:     global_buffer
      - .address_space:  global
        .offset:         24
        .size:           8
        .value_kind:     global_buffer
      - .offset:         32
        .size:           4
        .value_kind:     by_value
      - .offset:         36
        .size:           4
        .value_kind:     by_value
      - .offset:         40
        .size:           4
        .value_kind:     by_value
      - .offset:         44
        .size:           4
        .value_kind:     by_value
      - .offset:         48
        .size:           4
        .value_kind:     hidden_block_count_x
      - .offset:         52
        .size:           4
        .value_kind:     hidden_block_count_y
      - .offset:         56
        .size:           4
        .value_kind:     hidden_block_count_z
      - .offset:         60
        .size:           2
        .value_kind:     hidden_group_size_x
      - .offset:         62
        .size:           2
        .value_kind:     hidden_group_size_y
      - .offset:         64
        .size:           2
        .value_kind:     hidden_group_size_z
      - .offset:         66
        .size:           2
        .value_kind:     hidden_remainder_x
      - .offset:         68
        .size:           2
        .value_kind:     hidden_remainder_y
      - .offset:         70
        .size:           2
        .value_kind:     hidden_remainder_z
      - .offset:         88
        .size:           8
        .value_kind:     hidden_global_offset_x
      - .offset:         96
        .size:           8
        .value_kind:     hidden_global_offset_y
      - .offset:         104
        .size:           8
        .value_kind:     hidden_global_offset_z
      - .offset:         112
        .size:           2
        .value_kind:     hidden_grid_dims
    .group_segment_fixed_size: 0
    .kernarg_segment_align: 8
    .kernarg_segment_size: 304
    .language:       OpenCL C
    .language_version:
      - 2
      - 0
    .max_flat_workgroup_size: 1024
    .name:           _ZL9moe_vec_qIfLi32ELi4E12block_iq4_nlLi2EXadL_ZL19vec_dot_iq4_nl_q8_1PKvPK10block_q8_1RKiEEEvS2_S2_PT_PS6_iiii
    .private_segment_fixed_size: 0
    .sgpr_count:     21
    .sgpr_spill_count: 0
    .symbol:         _ZL9moe_vec_qIfLi32ELi4E12block_iq4_nlLi2EXadL_ZL19vec_dot_iq4_nl_q8_1PKvPK10block_q8_1RKiEEEvS2_S2_PT_PS6_iiii.kd
    .uniform_work_group_size: 1
    .uses_dynamic_stack: false
    .vgpr_count:     33
    .vgpr_spill_count: 0
    .wavefront_size: 32
    .workgroup_processor_mode: 1
  - .args:
      - .actual_access:  read_only
        .address_space:  global
        .offset:         0
        .size:           8
        .value_kind:     global_buffer
      - .actual_access:  read_only
        .address_space:  global
        .offset:         8
        .size:           8
        .value_kind:     global_buffer
      - .actual_access:  write_only
        .address_space:  global
        .offset:         16
        .size:           8
        .value_kind:     global_buffer
      - .address_space:  global
        .offset:         24
        .size:           8
        .value_kind:     global_buffer
      - .offset:         32
        .size:           4
        .value_kind:     by_value
      - .offset:         36
        .size:           4
        .value_kind:     by_value
      - .offset:         40
        .size:           4
        .value_kind:     by_value
      - .offset:         44
        .size:           4
        .value_kind:     by_value
      - .offset:         48
        .size:           4
        .value_kind:     hidden_block_count_x
      - .offset:         52
        .size:           4
        .value_kind:     hidden_block_count_y
      - .offset:         56
        .size:           4
        .value_kind:     hidden_block_count_z
      - .offset:         60
        .size:           2
        .value_kind:     hidden_group_size_x
      - .offset:         62
        .size:           2
        .value_kind:     hidden_group_size_y
      - .offset:         64
        .size:           2
        .value_kind:     hidden_group_size_z
      - .offset:         66
        .size:           2
        .value_kind:     hidden_remainder_x
      - .offset:         68
        .size:           2
        .value_kind:     hidden_remainder_y
      - .offset:         70
        .size:           2
        .value_kind:     hidden_remainder_z
      - .offset:         88
        .size:           8
        .value_kind:     hidden_global_offset_x
      - .offset:         96
        .size:           8
        .value_kind:     hidden_global_offset_y
      - .offset:         104
        .size:           8
        .value_kind:     hidden_global_offset_z
      - .offset:         112
        .size:           2
        .value_kind:     hidden_grid_dims
    .group_segment_fixed_size: 0
    .kernarg_segment_align: 8
    .kernarg_segment_size: 304
    .language:       OpenCL C
    .language_version:
      - 2
      - 0
    .max_flat_workgroup_size: 1024
    .name:           _ZL9moe_vec_qIfLi256ELi8E11block_iq3_sLi1EXadL_ZL18vec_dot_iq3_s_q8_1PKvPK10block_q8_1RKiEEEvS2_S2_PT_PS6_iiii
    .private_segment_fixed_size: 0
    .sgpr_count:     22
    .sgpr_spill_count: 0
    .symbol:         _ZL9moe_vec_qIfLi256ELi8E11block_iq3_sLi1EXadL_ZL18vec_dot_iq3_s_q8_1PKvPK10block_q8_1RKiEEEvS2_S2_PT_PS6_iiii.kd
    .uniform_work_group_size: 1
    .uses_dynamic_stack: false
    .vgpr_count:     47
    .vgpr_spill_count: 0
    .wavefront_size: 32
    .workgroup_processor_mode: 1
  - .args:
      - .actual_access:  read_only
        .address_space:  global
        .offset:         0
        .size:           8
        .value_kind:     global_buffer
      - .actual_access:  read_only
        .address_space:  global
        .offset:         8
        .size:           8
        .value_kind:     global_buffer
      - .actual_access:  write_only
        .address_space:  global
        .offset:         16
        .size:           8
        .value_kind:     global_buffer
      - .address_space:  global
        .offset:         24
        .size:           8
        .value_kind:     global_buffer
      - .offset:         32
        .size:           4
        .value_kind:     by_value
      - .offset:         36
        .size:           4
        .value_kind:     by_value
      - .offset:         40
        .size:           4
        .value_kind:     by_value
      - .offset:         44
        .size:           4
        .value_kind:     by_value
      - .offset:         48
        .size:           4
        .value_kind:     hidden_block_count_x
      - .offset:         52
        .size:           4
        .value_kind:     hidden_block_count_y
      - .offset:         56
        .size:           4
        .value_kind:     hidden_block_count_z
      - .offset:         60
        .size:           2
        .value_kind:     hidden_group_size_x
      - .offset:         62
        .size:           2
        .value_kind:     hidden_group_size_y
      - .offset:         64
        .size:           2
        .value_kind:     hidden_group_size_z
      - .offset:         66
        .size:           2
        .value_kind:     hidden_remainder_x
      - .offset:         68
        .size:           2
        .value_kind:     hidden_remainder_y
      - .offset:         70
        .size:           2
        .value_kind:     hidden_remainder_z
      - .offset:         88
        .size:           8
        .value_kind:     hidden_global_offset_x
      - .offset:         96
        .size:           8
        .value_kind:     hidden_global_offset_y
      - .offset:         104
        .size:           8
        .value_kind:     hidden_global_offset_z
      - .offset:         112
        .size:           2
        .value_kind:     hidden_grid_dims
    .group_segment_fixed_size: 0
    .kernarg_segment_align: 8
    .kernarg_segment_size: 304
    .language:       OpenCL C
    .language_version:
      - 2
      - 0
    .max_flat_workgroup_size: 1024
    .name:           _ZL9moe_vec_qIfLi256ELi8E11block_iq2_sLi1EXadL_ZL18vec_dot_iq2_s_q8_1PKvPK10block_q8_1RKiEEEvS2_S2_PT_PS6_iiii
    .private_segment_fixed_size: 0
    .sgpr_count:     22
    .sgpr_spill_count: 0
    .symbol:         _ZL9moe_vec_qIfLi256ELi8E11block_iq2_sLi1EXadL_ZL18vec_dot_iq2_s_q8_1PKvPK10block_q8_1RKiEEEvS2_S2_PT_PS6_iiii.kd
    .uniform_work_group_size: 1
    .uses_dynamic_stack: false
    .vgpr_count:     70
    .vgpr_spill_count: 0
    .wavefront_size: 32
    .workgroup_processor_mode: 1
  - .args:
      - .actual_access:  read_only
        .address_space:  global
        .offset:         0
        .size:           8
        .value_kind:     global_buffer
      - .actual_access:  read_only
        .address_space:  global
        .offset:         8
        .size:           8
        .value_kind:     global_buffer
      - .actual_access:  write_only
        .address_space:  global
        .offset:         16
        .size:           8
        .value_kind:     global_buffer
      - .address_space:  global
        .offset:         24
        .size:           8
        .value_kind:     global_buffer
      - .offset:         32
        .size:           4
        .value_kind:     by_value
      - .offset:         36
        .size:           4
        .value_kind:     by_value
      - .offset:         40
        .size:           4
        .value_kind:     by_value
      - .offset:         44
        .size:           4
        .value_kind:     by_value
      - .offset:         48
        .size:           4
        .value_kind:     hidden_block_count_x
      - .offset:         52
        .size:           4
        .value_kind:     hidden_block_count_y
      - .offset:         56
        .size:           4
        .value_kind:     hidden_block_count_z
      - .offset:         60
        .size:           2
        .value_kind:     hidden_group_size_x
      - .offset:         62
        .size:           2
        .value_kind:     hidden_group_size_y
      - .offset:         64
        .size:           2
        .value_kind:     hidden_group_size_z
      - .offset:         66
        .size:           2
        .value_kind:     hidden_remainder_x
      - .offset:         68
        .size:           2
        .value_kind:     hidden_remainder_y
      - .offset:         70
        .size:           2
        .value_kind:     hidden_remainder_z
      - .offset:         88
        .size:           8
        .value_kind:     hidden_global_offset_x
      - .offset:         96
        .size:           8
        .value_kind:     hidden_global_offset_y
      - .offset:         104
        .size:           8
        .value_kind:     hidden_global_offset_z
      - .offset:         112
        .size:           2
        .value_kind:     hidden_grid_dims
    .group_segment_fixed_size: 0
    .kernarg_segment_align: 8
    .kernarg_segment_size: 304
    .language:       OpenCL C
    .language_version:
      - 2
      - 0
    .max_flat_workgroup_size: 1024
    .name:           _ZL9moe_vec_qIfLi256ELi8E12block_iq4_xsLi1EXadL_ZL19vec_dot_iq4_xs_q8_1PKvPK10block_q8_1RKiEEEvS2_S2_PT_PS6_iiii
    .private_segment_fixed_size: 0
    .sgpr_count:     21
    .sgpr_spill_count: 0
    .symbol:         _ZL9moe_vec_qIfLi256ELi8E12block_iq4_xsLi1EXadL_ZL19vec_dot_iq4_xs_q8_1PKvPK10block_q8_1RKiEEEvS2_S2_PT_PS6_iiii.kd
    .uniform_work_group_size: 1
    .uses_dynamic_stack: false
    .vgpr_count:     56
    .vgpr_spill_count: 0
    .wavefront_size: 32
    .workgroup_processor_mode: 1
  - .args:
      - .actual_access:  read_only
        .address_space:  global
        .offset:         0
        .size:           8
        .value_kind:     global_buffer
      - .actual_access:  read_only
        .address_space:  global
        .offset:         8
        .size:           8
        .value_kind:     global_buffer
      - .actual_access:  write_only
        .address_space:  global
        .offset:         16
        .size:           8
        .value_kind:     global_buffer
      - .address_space:  global
        .offset:         24
        .size:           8
        .value_kind:     global_buffer
      - .offset:         32
        .size:           4
        .value_kind:     by_value
      - .offset:         36
        .size:           4
        .value_kind:     by_value
      - .offset:         40
        .size:           4
        .value_kind:     by_value
      - .offset:         44
        .size:           4
        .value_kind:     by_value
      - .offset:         48
        .size:           4
        .value_kind:     hidden_block_count_x
      - .offset:         52
        .size:           4
        .value_kind:     hidden_block_count_y
      - .offset:         56
        .size:           4
        .value_kind:     hidden_block_count_z
      - .offset:         60
        .size:           2
        .value_kind:     hidden_group_size_x
      - .offset:         62
        .size:           2
        .value_kind:     hidden_group_size_y
      - .offset:         64
        .size:           2
        .value_kind:     hidden_group_size_z
      - .offset:         66
        .size:           2
        .value_kind:     hidden_remainder_x
      - .offset:         68
        .size:           2
        .value_kind:     hidden_remainder_y
      - .offset:         70
        .size:           2
        .value_kind:     hidden_remainder_z
      - .offset:         88
        .size:           8
        .value_kind:     hidden_global_offset_x
      - .offset:         96
        .size:           8
        .value_kind:     hidden_global_offset_y
      - .offset:         104
        .size:           8
        .value_kind:     hidden_global_offset_z
      - .offset:         112
        .size:           2
        .value_kind:     hidden_grid_dims
    .group_segment_fixed_size: 0
    .kernarg_segment_align: 8
    .kernarg_segment_size: 304
    .language:       OpenCL C
    .language_version:
      - 2
      - 0
    .max_flat_workgroup_size: 1024
    .name:           _ZL9moe_vec_qIfLi256ELi8E11block_iq1_mLi1EXadL_ZL18vec_dot_iq1_m_q8_1PKvPK10block_q8_1RKiEEEvS2_S2_PT_PS6_iiii
    .private_segment_fixed_size: 0
    .sgpr_count:     21
    .sgpr_spill_count: 0
    .symbol:         _ZL9moe_vec_qIfLi256ELi8E11block_iq1_mLi1EXadL_ZL18vec_dot_iq1_m_q8_1PKvPK10block_q8_1RKiEEEvS2_S2_PT_PS6_iiii.kd
    .uniform_work_group_size: 1
    .uses_dynamic_stack: false
    .vgpr_count:     83
    .vgpr_spill_count: 0
    .wavefront_size: 32
    .workgroup_processor_mode: 1
  - .args:
      - .actual_access:  read_only
        .address_space:  global
        .offset:         0
        .size:           8
        .value_kind:     global_buffer
      - .actual_access:  read_only
        .address_space:  global
        .offset:         8
        .size:           8
        .value_kind:     global_buffer
      - .actual_access:  write_only
        .address_space:  global
        .offset:         16
        .size:           8
        .value_kind:     global_buffer
      - .address_space:  global
        .offset:         24
        .size:           8
        .value_kind:     global_buffer
      - .offset:         32
        .size:           4
        .value_kind:     by_value
      - .offset:         36
        .size:           4
        .value_kind:     by_value
      - .offset:         40
        .size:           4
        .value_kind:     by_value
      - .offset:         44
        .size:           4
        .value_kind:     by_value
      - .offset:         48
        .size:           4
        .value_kind:     hidden_block_count_x
      - .offset:         52
        .size:           4
        .value_kind:     hidden_block_count_y
      - .offset:         56
        .size:           4
        .value_kind:     hidden_block_count_z
      - .offset:         60
        .size:           2
        .value_kind:     hidden_group_size_x
      - .offset:         62
        .size:           2
        .value_kind:     hidden_group_size_y
      - .offset:         64
        .size:           2
        .value_kind:     hidden_group_size_z
      - .offset:         66
        .size:           2
        .value_kind:     hidden_remainder_x
      - .offset:         68
        .size:           2
        .value_kind:     hidden_remainder_y
      - .offset:         70
        .size:           2
        .value_kind:     hidden_remainder_z
      - .offset:         88
        .size:           8
        .value_kind:     hidden_global_offset_x
      - .offset:         96
        .size:           8
        .value_kind:     hidden_global_offset_y
      - .offset:         104
        .size:           8
        .value_kind:     hidden_global_offset_z
      - .offset:         112
        .size:           2
        .value_kind:     hidden_grid_dims
    .group_segment_fixed_size: 0
    .kernarg_segment_align: 8
    .kernarg_segment_size: 304
    .language:       OpenCL C
    .language_version:
      - 2
      - 0
    .max_flat_workgroup_size: 1024
    .name:           _ZL9moe_vec_qIN3c104HalfELi32ELi4E10block_q4_0Li2EXadL_ZL17vec_dot_q4_0_q8_1PKvPK10block_q8_1RKiEEEvS4_S4_PT_PS8_iiii
    .private_segment_fixed_size: 0
    .sgpr_count:     21
    .sgpr_spill_count: 0
    .symbol:         _ZL9moe_vec_qIN3c104HalfELi32ELi4E10block_q4_0Li2EXadL_ZL17vec_dot_q4_0_q8_1PKvPK10block_q8_1RKiEEEvS4_S4_PT_PS8_iiii.kd
    .uniform_work_group_size: 1
    .uses_dynamic_stack: false
    .vgpr_count:     40
    .vgpr_spill_count: 0
    .wavefront_size: 32
    .workgroup_processor_mode: 1
  - .args:
      - .actual_access:  read_only
        .address_space:  global
        .offset:         0
        .size:           8
        .value_kind:     global_buffer
      - .actual_access:  read_only
        .address_space:  global
        .offset:         8
        .size:           8
        .value_kind:     global_buffer
      - .actual_access:  write_only
        .address_space:  global
        .offset:         16
        .size:           8
        .value_kind:     global_buffer
      - .address_space:  global
        .offset:         24
        .size:           8
        .value_kind:     global_buffer
      - .offset:         32
        .size:           4
        .value_kind:     by_value
      - .offset:         36
        .size:           4
        .value_kind:     by_value
      - .offset:         40
        .size:           4
        .value_kind:     by_value
      - .offset:         44
        .size:           4
        .value_kind:     by_value
      - .offset:         48
        .size:           4
        .value_kind:     hidden_block_count_x
      - .offset:         52
        .size:           4
        .value_kind:     hidden_block_count_y
      - .offset:         56
        .size:           4
        .value_kind:     hidden_block_count_z
      - .offset:         60
        .size:           2
        .value_kind:     hidden_group_size_x
      - .offset:         62
        .size:           2
        .value_kind:     hidden_group_size_y
      - .offset:         64
        .size:           2
        .value_kind:     hidden_group_size_z
      - .offset:         66
        .size:           2
        .value_kind:     hidden_remainder_x
      - .offset:         68
        .size:           2
        .value_kind:     hidden_remainder_y
      - .offset:         70
        .size:           2
        .value_kind:     hidden_remainder_z
      - .offset:         88
        .size:           8
        .value_kind:     hidden_global_offset_x
      - .offset:         96
        .size:           8
        .value_kind:     hidden_global_offset_y
      - .offset:         104
        .size:           8
        .value_kind:     hidden_global_offset_z
      - .offset:         112
        .size:           2
        .value_kind:     hidden_grid_dims
    .group_segment_fixed_size: 0
    .kernarg_segment_align: 8
    .kernarg_segment_size: 304
    .language:       OpenCL C
    .language_version:
      - 2
      - 0
    .max_flat_workgroup_size: 1024
    .name:           _ZL9moe_vec_qIN3c104HalfELi32ELi4E10block_q4_1Li2EXadL_ZL17vec_dot_q4_1_q8_1PKvPK10block_q8_1RKiEEEvS4_S4_PT_PS8_iiii
    .private_segment_fixed_size: 0
    .sgpr_count:     21
    .sgpr_spill_count: 0
    .symbol:         _ZL9moe_vec_qIN3c104HalfELi32ELi4E10block_q4_1Li2EXadL_ZL17vec_dot_q4_1_q8_1PKvPK10block_q8_1RKiEEEvS4_S4_PT_PS8_iiii.kd
    .uniform_work_group_size: 1
    .uses_dynamic_stack: false
    .vgpr_count:     39
    .vgpr_spill_count: 0
    .wavefront_size: 32
    .workgroup_processor_mode: 1
  - .args:
      - .actual_access:  read_only
        .address_space:  global
        .offset:         0
        .size:           8
        .value_kind:     global_buffer
      - .actual_access:  read_only
        .address_space:  global
        .offset:         8
        .size:           8
        .value_kind:     global_buffer
      - .actual_access:  write_only
        .address_space:  global
        .offset:         16
        .size:           8
        .value_kind:     global_buffer
      - .address_space:  global
        .offset:         24
        .size:           8
        .value_kind:     global_buffer
      - .offset:         32
        .size:           4
        .value_kind:     by_value
      - .offset:         36
        .size:           4
        .value_kind:     by_value
      - .offset:         40
        .size:           4
        .value_kind:     by_value
      - .offset:         44
        .size:           4
        .value_kind:     by_value
      - .offset:         48
        .size:           4
        .value_kind:     hidden_block_count_x
      - .offset:         52
        .size:           4
        .value_kind:     hidden_block_count_y
      - .offset:         56
        .size:           4
        .value_kind:     hidden_block_count_z
      - .offset:         60
        .size:           2
        .value_kind:     hidden_group_size_x
      - .offset:         62
        .size:           2
        .value_kind:     hidden_group_size_y
      - .offset:         64
        .size:           2
        .value_kind:     hidden_group_size_z
      - .offset:         66
        .size:           2
        .value_kind:     hidden_remainder_x
      - .offset:         68
        .size:           2
        .value_kind:     hidden_remainder_y
      - .offset:         70
        .size:           2
        .value_kind:     hidden_remainder_z
      - .offset:         88
        .size:           8
        .value_kind:     hidden_global_offset_x
      - .offset:         96
        .size:           8
        .value_kind:     hidden_global_offset_y
      - .offset:         104
        .size:           8
        .value_kind:     hidden_global_offset_z
      - .offset:         112
        .size:           2
        .value_kind:     hidden_grid_dims
    .group_segment_fixed_size: 0
    .kernarg_segment_align: 8
    .kernarg_segment_size: 304
    .language:       OpenCL C
    .language_version:
      - 2
      - 0
    .max_flat_workgroup_size: 1024
    .name:           _ZL9moe_vec_qIN3c104HalfELi32ELi4E10block_q5_0Li2EXadL_ZL17vec_dot_q5_0_q8_1PKvPK10block_q8_1RKiEEEvS4_S4_PT_PS8_iiii
    .private_segment_fixed_size: 0
    .sgpr_count:     21
    .sgpr_spill_count: 0
    .symbol:         _ZL9moe_vec_qIN3c104HalfELi32ELi4E10block_q5_0Li2EXadL_ZL17vec_dot_q5_0_q8_1PKvPK10block_q8_1RKiEEEvS4_S4_PT_PS8_iiii.kd
    .uniform_work_group_size: 1
    .uses_dynamic_stack: false
    .vgpr_count:     45
    .vgpr_spill_count: 0
    .wavefront_size: 32
    .workgroup_processor_mode: 1
  - .args:
      - .actual_access:  read_only
        .address_space:  global
        .offset:         0
        .size:           8
        .value_kind:     global_buffer
      - .actual_access:  read_only
        .address_space:  global
        .offset:         8
        .size:           8
        .value_kind:     global_buffer
      - .actual_access:  write_only
        .address_space:  global
        .offset:         16
        .size:           8
        .value_kind:     global_buffer
      - .address_space:  global
        .offset:         24
        .size:           8
        .value_kind:     global_buffer
      - .offset:         32
        .size:           4
        .value_kind:     by_value
      - .offset:         36
        .size:           4
        .value_kind:     by_value
      - .offset:         40
        .size:           4
        .value_kind:     by_value
      - .offset:         44
        .size:           4
        .value_kind:     by_value
      - .offset:         48
        .size:           4
        .value_kind:     hidden_block_count_x
      - .offset:         52
        .size:           4
        .value_kind:     hidden_block_count_y
      - .offset:         56
        .size:           4
        .value_kind:     hidden_block_count_z
      - .offset:         60
        .size:           2
        .value_kind:     hidden_group_size_x
      - .offset:         62
        .size:           2
        .value_kind:     hidden_group_size_y
      - .offset:         64
        .size:           2
        .value_kind:     hidden_group_size_z
      - .offset:         66
        .size:           2
        .value_kind:     hidden_remainder_x
      - .offset:         68
        .size:           2
        .value_kind:     hidden_remainder_y
      - .offset:         70
        .size:           2
        .value_kind:     hidden_remainder_z
      - .offset:         88
        .size:           8
        .value_kind:     hidden_global_offset_x
      - .offset:         96
        .size:           8
        .value_kind:     hidden_global_offset_y
      - .offset:         104
        .size:           8
        .value_kind:     hidden_global_offset_z
      - .offset:         112
        .size:           2
        .value_kind:     hidden_grid_dims
    .group_segment_fixed_size: 0
    .kernarg_segment_align: 8
    .kernarg_segment_size: 304
    .language:       OpenCL C
    .language_version:
      - 2
      - 0
    .max_flat_workgroup_size: 1024
    .name:           _ZL9moe_vec_qIN3c104HalfELi32ELi4E10block_q5_1Li2EXadL_ZL17vec_dot_q5_1_q8_1PKvPK10block_q8_1RKiEEEvS4_S4_PT_PS8_iiii
    .private_segment_fixed_size: 0
    .sgpr_count:     21
    .sgpr_spill_count: 0
    .symbol:         _ZL9moe_vec_qIN3c104HalfELi32ELi4E10block_q5_1Li2EXadL_ZL17vec_dot_q5_1_q8_1PKvPK10block_q8_1RKiEEEvS4_S4_PT_PS8_iiii.kd
    .uniform_work_group_size: 1
    .uses_dynamic_stack: false
    .vgpr_count:     44
    .vgpr_spill_count: 0
    .wavefront_size: 32
    .workgroup_processor_mode: 1
  - .args:
      - .actual_access:  read_only
        .address_space:  global
        .offset:         0
        .size:           8
        .value_kind:     global_buffer
      - .actual_access:  read_only
        .address_space:  global
        .offset:         8
        .size:           8
        .value_kind:     global_buffer
      - .actual_access:  write_only
        .address_space:  global
        .offset:         16
        .size:           8
        .value_kind:     global_buffer
      - .address_space:  global
        .offset:         24
        .size:           8
        .value_kind:     global_buffer
      - .offset:         32
        .size:           4
        .value_kind:     by_value
      - .offset:         36
        .size:           4
        .value_kind:     by_value
      - .offset:         40
        .size:           4
        .value_kind:     by_value
      - .offset:         44
        .size:           4
        .value_kind:     by_value
      - .offset:         48
        .size:           4
        .value_kind:     hidden_block_count_x
      - .offset:         52
        .size:           4
        .value_kind:     hidden_block_count_y
      - .offset:         56
        .size:           4
        .value_kind:     hidden_block_count_z
      - .offset:         60
        .size:           2
        .value_kind:     hidden_group_size_x
      - .offset:         62
        .size:           2
        .value_kind:     hidden_group_size_y
      - .offset:         64
        .size:           2
        .value_kind:     hidden_group_size_z
      - .offset:         66
        .size:           2
        .value_kind:     hidden_remainder_x
      - .offset:         68
        .size:           2
        .value_kind:     hidden_remainder_y
      - .offset:         70
        .size:           2
        .value_kind:     hidden_remainder_z
      - .offset:         88
        .size:           8
        .value_kind:     hidden_global_offset_x
      - .offset:         96
        .size:           8
        .value_kind:     hidden_global_offset_y
      - .offset:         104
        .size:           8
        .value_kind:     hidden_global_offset_z
      - .offset:         112
        .size:           2
        .value_kind:     hidden_grid_dims
    .group_segment_fixed_size: 0
    .kernarg_segment_align: 8
    .kernarg_segment_size: 304
    .language:       OpenCL C
    .language_version:
      - 2
      - 0
    .max_flat_workgroup_size: 1024
    .name:           _ZL9moe_vec_qIN3c104HalfELi32ELi8E10block_q8_0Li2EXadL_ZL17vec_dot_q8_0_q8_1PKvPK10block_q8_1RKiEEEvS4_S4_PT_PS8_iiii
    .private_segment_fixed_size: 0
    .sgpr_count:     21
    .sgpr_spill_count: 0
    .symbol:         _ZL9moe_vec_qIN3c104HalfELi32ELi8E10block_q8_0Li2EXadL_ZL17vec_dot_q8_0_q8_1PKvPK10block_q8_1RKiEEEvS4_S4_PT_PS8_iiii.kd
    .uniform_work_group_size: 1
    .uses_dynamic_stack: false
    .vgpr_count:     24
    .vgpr_spill_count: 0
    .wavefront_size: 32
    .workgroup_processor_mode: 1
  - .args:
      - .actual_access:  read_only
        .address_space:  global
        .offset:         0
        .size:           8
        .value_kind:     global_buffer
      - .actual_access:  read_only
        .address_space:  global
        .offset:         8
        .size:           8
        .value_kind:     global_buffer
      - .actual_access:  write_only
        .address_space:  global
        .offset:         16
        .size:           8
        .value_kind:     global_buffer
      - .address_space:  global
        .offset:         24
        .size:           8
        .value_kind:     global_buffer
      - .offset:         32
        .size:           4
        .value_kind:     by_value
      - .offset:         36
        .size:           4
        .value_kind:     by_value
      - .offset:         40
        .size:           4
        .value_kind:     by_value
      - .offset:         44
        .size:           4
        .value_kind:     by_value
      - .offset:         48
        .size:           4
        .value_kind:     hidden_block_count_x
      - .offset:         52
        .size:           4
        .value_kind:     hidden_block_count_y
      - .offset:         56
        .size:           4
        .value_kind:     hidden_block_count_z
      - .offset:         60
        .size:           2
        .value_kind:     hidden_group_size_x
      - .offset:         62
        .size:           2
        .value_kind:     hidden_group_size_y
      - .offset:         64
        .size:           2
        .value_kind:     hidden_group_size_z
      - .offset:         66
        .size:           2
        .value_kind:     hidden_remainder_x
      - .offset:         68
        .size:           2
        .value_kind:     hidden_remainder_y
      - .offset:         70
        .size:           2
        .value_kind:     hidden_remainder_z
      - .offset:         88
        .size:           8
        .value_kind:     hidden_global_offset_x
      - .offset:         96
        .size:           8
        .value_kind:     hidden_global_offset_y
      - .offset:         104
        .size:           8
        .value_kind:     hidden_global_offset_z
      - .offset:         112
        .size:           2
        .value_kind:     hidden_grid_dims
    .group_segment_fixed_size: 0
    .kernarg_segment_align: 8
    .kernarg_segment_size: 304
    .language:       OpenCL C
    .language_version:
      - 2
      - 0
    .max_flat_workgroup_size: 1024
    .name:           _ZL9moe_vec_qIN3c104HalfELi256ELi16E10block_q2_KLi1EXadL_ZL17vec_dot_q2_K_q8_1PKvPK10block_q8_1RKiEEEvS4_S4_PT_PS8_iiii
    .private_segment_fixed_size: 0
    .sgpr_count:     21
    .sgpr_spill_count: 0
    .symbol:         _ZL9moe_vec_qIN3c104HalfELi256ELi16E10block_q2_KLi1EXadL_ZL17vec_dot_q2_K_q8_1PKvPK10block_q8_1RKiEEEvS4_S4_PT_PS8_iiii.kd
    .uniform_work_group_size: 1
    .uses_dynamic_stack: false
    .vgpr_count:     62
    .vgpr_spill_count: 0
    .wavefront_size: 32
    .workgroup_processor_mode: 1
  - .args:
      - .actual_access:  read_only
        .address_space:  global
        .offset:         0
        .size:           8
        .value_kind:     global_buffer
      - .actual_access:  read_only
        .address_space:  global
        .offset:         8
        .size:           8
        .value_kind:     global_buffer
      - .actual_access:  write_only
        .address_space:  global
        .offset:         16
        .size:           8
        .value_kind:     global_buffer
      - .address_space:  global
        .offset:         24
        .size:           8
        .value_kind:     global_buffer
      - .offset:         32
        .size:           4
        .value_kind:     by_value
      - .offset:         36
        .size:           4
        .value_kind:     by_value
      - .offset:         40
        .size:           4
        .value_kind:     by_value
      - .offset:         44
        .size:           4
        .value_kind:     by_value
      - .offset:         48
        .size:           4
        .value_kind:     hidden_block_count_x
      - .offset:         52
        .size:           4
        .value_kind:     hidden_block_count_y
      - .offset:         56
        .size:           4
        .value_kind:     hidden_block_count_z
      - .offset:         60
        .size:           2
        .value_kind:     hidden_group_size_x
      - .offset:         62
        .size:           2
        .value_kind:     hidden_group_size_y
      - .offset:         64
        .size:           2
        .value_kind:     hidden_group_size_z
      - .offset:         66
        .size:           2
        .value_kind:     hidden_remainder_x
      - .offset:         68
        .size:           2
        .value_kind:     hidden_remainder_y
      - .offset:         70
        .size:           2
        .value_kind:     hidden_remainder_z
      - .offset:         88
        .size:           8
        .value_kind:     hidden_global_offset_x
      - .offset:         96
        .size:           8
        .value_kind:     hidden_global_offset_y
      - .offset:         104
        .size:           8
        .value_kind:     hidden_global_offset_z
      - .offset:         112
        .size:           2
        .value_kind:     hidden_grid_dims
    .group_segment_fixed_size: 0
    .kernarg_segment_align: 8
    .kernarg_segment_size: 304
    .language:       OpenCL C
    .language_version:
      - 2
      - 0
    .max_flat_workgroup_size: 1024
    .name:           _ZL9moe_vec_qIN3c104HalfELi256ELi16E10block_q3_KLi1EXadL_ZL17vec_dot_q3_K_q8_1PKvPK10block_q8_1RKiEEEvS4_S4_PT_PS8_iiii
    .private_segment_fixed_size: 0
    .sgpr_count:     21
    .sgpr_spill_count: 0
    .symbol:         _ZL9moe_vec_qIN3c104HalfELi256ELi16E10block_q3_KLi1EXadL_ZL17vec_dot_q3_K_q8_1PKvPK10block_q8_1RKiEEEvS4_S4_PT_PS8_iiii.kd
    .uniform_work_group_size: 1
    .uses_dynamic_stack: false
    .vgpr_count:     85
    .vgpr_spill_count: 0
    .wavefront_size: 32
    .workgroup_processor_mode: 1
  - .args:
      - .actual_access:  read_only
        .address_space:  global
        .offset:         0
        .size:           8
        .value_kind:     global_buffer
      - .actual_access:  read_only
        .address_space:  global
        .offset:         8
        .size:           8
        .value_kind:     global_buffer
      - .actual_access:  write_only
        .address_space:  global
        .offset:         16
        .size:           8
        .value_kind:     global_buffer
      - .address_space:  global
        .offset:         24
        .size:           8
        .value_kind:     global_buffer
      - .offset:         32
        .size:           4
        .value_kind:     by_value
      - .offset:         36
        .size:           4
        .value_kind:     by_value
      - .offset:         40
        .size:           4
        .value_kind:     by_value
      - .offset:         44
        .size:           4
        .value_kind:     by_value
      - .offset:         48
        .size:           4
        .value_kind:     hidden_block_count_x
      - .offset:         52
        .size:           4
        .value_kind:     hidden_block_count_y
      - .offset:         56
        .size:           4
        .value_kind:     hidden_block_count_z
      - .offset:         60
        .size:           2
        .value_kind:     hidden_group_size_x
      - .offset:         62
        .size:           2
        .value_kind:     hidden_group_size_y
      - .offset:         64
        .size:           2
        .value_kind:     hidden_group_size_z
      - .offset:         66
        .size:           2
        .value_kind:     hidden_remainder_x
      - .offset:         68
        .size:           2
        .value_kind:     hidden_remainder_y
      - .offset:         70
        .size:           2
        .value_kind:     hidden_remainder_z
      - .offset:         88
        .size:           8
        .value_kind:     hidden_global_offset_x
      - .offset:         96
        .size:           8
        .value_kind:     hidden_global_offset_y
      - .offset:         104
        .size:           8
        .value_kind:     hidden_global_offset_z
      - .offset:         112
        .size:           2
        .value_kind:     hidden_grid_dims
    .group_segment_fixed_size: 0
    .kernarg_segment_align: 8
    .kernarg_segment_size: 304
    .language:       OpenCL C
    .language_version:
      - 2
      - 0
    .max_flat_workgroup_size: 1024
    .name:           _ZL9moe_vec_qIN3c104HalfELi256ELi32E10block_q4_KLi2EXadL_ZL17vec_dot_q4_K_q8_1PKvPK10block_q8_1RKiEEEvS4_S4_PT_PS8_iiii
    .private_segment_fixed_size: 0
    .sgpr_count:     21
    .sgpr_spill_count: 0
    .symbol:         _ZL9moe_vec_qIN3c104HalfELi256ELi32E10block_q4_KLi2EXadL_ZL17vec_dot_q4_K_q8_1PKvPK10block_q8_1RKiEEEvS4_S4_PT_PS8_iiii.kd
    .uniform_work_group_size: 1
    .uses_dynamic_stack: false
    .vgpr_count:     52
    .vgpr_spill_count: 0
    .wavefront_size: 32
    .workgroup_processor_mode: 1
  - .args:
      - .actual_access:  read_only
        .address_space:  global
        .offset:         0
        .size:           8
        .value_kind:     global_buffer
      - .actual_access:  read_only
        .address_space:  global
        .offset:         8
        .size:           8
        .value_kind:     global_buffer
      - .actual_access:  write_only
        .address_space:  global
        .offset:         16
        .size:           8
        .value_kind:     global_buffer
      - .address_space:  global
        .offset:         24
        .size:           8
        .value_kind:     global_buffer
      - .offset:         32
        .size:           4
        .value_kind:     by_value
      - .offset:         36
        .size:           4
        .value_kind:     by_value
      - .offset:         40
        .size:           4
        .value_kind:     by_value
      - .offset:         44
        .size:           4
        .value_kind:     by_value
      - .offset:         48
        .size:           4
        .value_kind:     hidden_block_count_x
      - .offset:         52
        .size:           4
        .value_kind:     hidden_block_count_y
      - .offset:         56
        .size:           4
        .value_kind:     hidden_block_count_z
      - .offset:         60
        .size:           2
        .value_kind:     hidden_group_size_x
      - .offset:         62
        .size:           2
        .value_kind:     hidden_group_size_y
      - .offset:         64
        .size:           2
        .value_kind:     hidden_group_size_z
      - .offset:         66
        .size:           2
        .value_kind:     hidden_remainder_x
      - .offset:         68
        .size:           2
        .value_kind:     hidden_remainder_y
      - .offset:         70
        .size:           2
        .value_kind:     hidden_remainder_z
      - .offset:         88
        .size:           8
        .value_kind:     hidden_global_offset_x
      - .offset:         96
        .size:           8
        .value_kind:     hidden_global_offset_y
      - .offset:         104
        .size:           8
        .value_kind:     hidden_global_offset_z
      - .offset:         112
        .size:           2
        .value_kind:     hidden_grid_dims
    .group_segment_fixed_size: 0
    .kernarg_segment_align: 8
    .kernarg_segment_size: 304
    .language:       OpenCL C
    .language_version:
      - 2
      - 0
    .max_flat_workgroup_size: 1024
    .name:           _ZL9moe_vec_qIN3c104HalfELi256ELi32E10block_q5_KLi2EXadL_ZL17vec_dot_q5_K_q8_1PKvPK10block_q8_1RKiEEEvS4_S4_PT_PS8_iiii
    .private_segment_fixed_size: 0
    .sgpr_count:     21
    .sgpr_spill_count: 0
    .symbol:         _ZL9moe_vec_qIN3c104HalfELi256ELi32E10block_q5_KLi2EXadL_ZL17vec_dot_q5_K_q8_1PKvPK10block_q8_1RKiEEEvS4_S4_PT_PS8_iiii.kd
    .uniform_work_group_size: 1
    .uses_dynamic_stack: false
    .vgpr_count:     53
    .vgpr_spill_count: 0
    .wavefront_size: 32
    .workgroup_processor_mode: 1
  - .args:
      - .actual_access:  read_only
        .address_space:  global
        .offset:         0
        .size:           8
        .value_kind:     global_buffer
      - .actual_access:  read_only
        .address_space:  global
        .offset:         8
        .size:           8
        .value_kind:     global_buffer
      - .actual_access:  write_only
        .address_space:  global
        .offset:         16
        .size:           8
        .value_kind:     global_buffer
      - .address_space:  global
        .offset:         24
        .size:           8
        .value_kind:     global_buffer
      - .offset:         32
        .size:           4
        .value_kind:     by_value
      - .offset:         36
        .size:           4
        .value_kind:     by_value
      - .offset:         40
        .size:           4
        .value_kind:     by_value
      - .offset:         44
        .size:           4
        .value_kind:     by_value
      - .offset:         48
        .size:           4
        .value_kind:     hidden_block_count_x
      - .offset:         52
        .size:           4
        .value_kind:     hidden_block_count_y
      - .offset:         56
        .size:           4
        .value_kind:     hidden_block_count_z
      - .offset:         60
        .size:           2
        .value_kind:     hidden_group_size_x
      - .offset:         62
        .size:           2
        .value_kind:     hidden_group_size_y
      - .offset:         64
        .size:           2
        .value_kind:     hidden_group_size_z
      - .offset:         66
        .size:           2
        .value_kind:     hidden_remainder_x
      - .offset:         68
        .size:           2
        .value_kind:     hidden_remainder_y
      - .offset:         70
        .size:           2
        .value_kind:     hidden_remainder_z
      - .offset:         88
        .size:           8
        .value_kind:     hidden_global_offset_x
      - .offset:         96
        .size:           8
        .value_kind:     hidden_global_offset_y
      - .offset:         104
        .size:           8
        .value_kind:     hidden_global_offset_z
      - .offset:         112
        .size:           2
        .value_kind:     hidden_grid_dims
    .group_segment_fixed_size: 0
    .kernarg_segment_align: 8
    .kernarg_segment_size: 304
    .language:       OpenCL C
    .language_version:
      - 2
      - 0
    .max_flat_workgroup_size: 1024
    .name:           _ZL9moe_vec_qIN3c104HalfELi256ELi32E10block_q6_KLi1EXadL_ZL17vec_dot_q6_K_q8_1PKvPK10block_q8_1RKiEEEvS4_S4_PT_PS8_iiii
    .private_segment_fixed_size: 0
    .sgpr_count:     22
    .sgpr_spill_count: 0
    .symbol:         _ZL9moe_vec_qIN3c104HalfELi256ELi32E10block_q6_KLi1EXadL_ZL17vec_dot_q6_K_q8_1PKvPK10block_q8_1RKiEEEvS4_S4_PT_PS8_iiii.kd
    .uniform_work_group_size: 1
    .uses_dynamic_stack: false
    .vgpr_count:     34
    .vgpr_spill_count: 0
    .wavefront_size: 32
    .workgroup_processor_mode: 1
  - .args:
      - .actual_access:  read_only
        .address_space:  global
        .offset:         0
        .size:           8
        .value_kind:     global_buffer
      - .actual_access:  read_only
        .address_space:  global
        .offset:         8
        .size:           8
        .value_kind:     global_buffer
      - .actual_access:  write_only
        .address_space:  global
        .offset:         16
        .size:           8
        .value_kind:     global_buffer
      - .address_space:  global
        .offset:         24
        .size:           8
        .value_kind:     global_buffer
      - .offset:         32
        .size:           4
        .value_kind:     by_value
      - .offset:         36
        .size:           4
        .value_kind:     by_value
      - .offset:         40
        .size:           4
        .value_kind:     by_value
      - .offset:         44
        .size:           4
        .value_kind:     by_value
      - .offset:         48
        .size:           4
        .value_kind:     hidden_block_count_x
      - .offset:         52
        .size:           4
        .value_kind:     hidden_block_count_y
      - .offset:         56
        .size:           4
        .value_kind:     hidden_block_count_z
      - .offset:         60
        .size:           2
        .value_kind:     hidden_group_size_x
      - .offset:         62
        .size:           2
        .value_kind:     hidden_group_size_y
      - .offset:         64
        .size:           2
        .value_kind:     hidden_group_size_z
      - .offset:         66
        .size:           2
        .value_kind:     hidden_remainder_x
      - .offset:         68
        .size:           2
        .value_kind:     hidden_remainder_y
      - .offset:         70
        .size:           2
        .value_kind:     hidden_remainder_z
      - .offset:         88
        .size:           8
        .value_kind:     hidden_global_offset_x
      - .offset:         96
        .size:           8
        .value_kind:     hidden_global_offset_y
      - .offset:         104
        .size:           8
        .value_kind:     hidden_global_offset_z
      - .offset:         112
        .size:           2
        .value_kind:     hidden_grid_dims
    .group_segment_fixed_size: 0
    .kernarg_segment_align: 8
    .kernarg_segment_size: 304
    .language:       OpenCL C
    .language_version:
      - 2
      - 0
    .max_flat_workgroup_size: 1024
    .name:           _ZL9moe_vec_qIN3c104HalfELi256ELi8E13block_iq2_xxsLi1EXadL_ZL20vec_dot_iq2_xxs_q8_1PKvPK10block_q8_1RKiEEEvS4_S4_PT_PS8_iiii
    .private_segment_fixed_size: 0
    .sgpr_count:     23
    .sgpr_spill_count: 0
    .symbol:         _ZL9moe_vec_qIN3c104HalfELi256ELi8E13block_iq2_xxsLi1EXadL_ZL20vec_dot_iq2_xxs_q8_1PKvPK10block_q8_1RKiEEEvS4_S4_PT_PS8_iiii.kd
    .uniform_work_group_size: 1
    .uses_dynamic_stack: false
    .vgpr_count:     94
    .vgpr_spill_count: 0
    .wavefront_size: 32
    .workgroup_processor_mode: 1
  - .args:
      - .actual_access:  read_only
        .address_space:  global
        .offset:         0
        .size:           8
        .value_kind:     global_buffer
      - .actual_access:  read_only
        .address_space:  global
        .offset:         8
        .size:           8
        .value_kind:     global_buffer
      - .actual_access:  write_only
        .address_space:  global
        .offset:         16
        .size:           8
        .value_kind:     global_buffer
      - .address_space:  global
        .offset:         24
        .size:           8
        .value_kind:     global_buffer
      - .offset:         32
        .size:           4
        .value_kind:     by_value
      - .offset:         36
        .size:           4
        .value_kind:     by_value
      - .offset:         40
        .size:           4
        .value_kind:     by_value
      - .offset:         44
        .size:           4
        .value_kind:     by_value
      - .offset:         48
        .size:           4
        .value_kind:     hidden_block_count_x
      - .offset:         52
        .size:           4
        .value_kind:     hidden_block_count_y
      - .offset:         56
        .size:           4
        .value_kind:     hidden_block_count_z
      - .offset:         60
        .size:           2
        .value_kind:     hidden_group_size_x
      - .offset:         62
        .size:           2
        .value_kind:     hidden_group_size_y
      - .offset:         64
        .size:           2
        .value_kind:     hidden_group_size_z
      - .offset:         66
        .size:           2
        .value_kind:     hidden_remainder_x
      - .offset:         68
        .size:           2
        .value_kind:     hidden_remainder_y
      - .offset:         70
        .size:           2
        .value_kind:     hidden_remainder_z
      - .offset:         88
        .size:           8
        .value_kind:     hidden_global_offset_x
      - .offset:         96
        .size:           8
        .value_kind:     hidden_global_offset_y
      - .offset:         104
        .size:           8
        .value_kind:     hidden_global_offset_z
      - .offset:         112
        .size:           2
        .value_kind:     hidden_grid_dims
    .group_segment_fixed_size: 0
    .kernarg_segment_align: 8
    .kernarg_segment_size: 304
    .language:       OpenCL C
    .language_version:
      - 2
      - 0
    .max_flat_workgroup_size: 1024
    .name:           _ZL9moe_vec_qIN3c104HalfELi256ELi8E12block_iq2_xsLi1EXadL_ZL19vec_dot_iq2_xs_q8_1PKvPK10block_q8_1RKiEEEvS4_S4_PT_PS8_iiii
    .private_segment_fixed_size: 0
    .sgpr_count:     44
    .sgpr_spill_count: 0
    .symbol:         _ZL9moe_vec_qIN3c104HalfELi256ELi8E12block_iq2_xsLi1EXadL_ZL19vec_dot_iq2_xs_q8_1PKvPK10block_q8_1RKiEEEvS4_S4_PT_PS8_iiii.kd
    .uniform_work_group_size: 1
    .uses_dynamic_stack: false
    .vgpr_count:     94
    .vgpr_spill_count: 0
    .wavefront_size: 32
    .workgroup_processor_mode: 1
  - .args:
      - .actual_access:  read_only
        .address_space:  global
        .offset:         0
        .size:           8
        .value_kind:     global_buffer
      - .actual_access:  read_only
        .address_space:  global
        .offset:         8
        .size:           8
        .value_kind:     global_buffer
      - .actual_access:  write_only
        .address_space:  global
        .offset:         16
        .size:           8
        .value_kind:     global_buffer
      - .address_space:  global
        .offset:         24
        .size:           8
        .value_kind:     global_buffer
      - .offset:         32
        .size:           4
        .value_kind:     by_value
      - .offset:         36
        .size:           4
        .value_kind:     by_value
      - .offset:         40
        .size:           4
        .value_kind:     by_value
      - .offset:         44
        .size:           4
        .value_kind:     by_value
      - .offset:         48
        .size:           4
        .value_kind:     hidden_block_count_x
      - .offset:         52
        .size:           4
        .value_kind:     hidden_block_count_y
      - .offset:         56
        .size:           4
        .value_kind:     hidden_block_count_z
      - .offset:         60
        .size:           2
        .value_kind:     hidden_group_size_x
      - .offset:         62
        .size:           2
        .value_kind:     hidden_group_size_y
      - .offset:         64
        .size:           2
        .value_kind:     hidden_group_size_z
      - .offset:         66
        .size:           2
        .value_kind:     hidden_remainder_x
      - .offset:         68
        .size:           2
        .value_kind:     hidden_remainder_y
      - .offset:         70
        .size:           2
        .value_kind:     hidden_remainder_z
      - .offset:         88
        .size:           8
        .value_kind:     hidden_global_offset_x
      - .offset:         96
        .size:           8
        .value_kind:     hidden_global_offset_y
      - .offset:         104
        .size:           8
        .value_kind:     hidden_global_offset_z
      - .offset:         112
        .size:           2
        .value_kind:     hidden_grid_dims
    .group_segment_fixed_size: 0
    .kernarg_segment_align: 8
    .kernarg_segment_size: 304
    .language:       OpenCL C
    .language_version:
      - 2
      - 0
    .max_flat_workgroup_size: 1024
    .name:           _ZL9moe_vec_qIN3c104HalfELi256ELi8E13block_iq3_xxsLi1EXadL_ZL20vec_dot_iq3_xxs_q8_1PKvPK10block_q8_1RKiEEEvS4_S4_PT_PS8_iiii
    .private_segment_fixed_size: 0
    .sgpr_count:     21
    .sgpr_spill_count: 0
    .symbol:         _ZL9moe_vec_qIN3c104HalfELi256ELi8E13block_iq3_xxsLi1EXadL_ZL20vec_dot_iq3_xxs_q8_1PKvPK10block_q8_1RKiEEEvS4_S4_PT_PS8_iiii.kd
    .uniform_work_group_size: 1
    .uses_dynamic_stack: false
    .vgpr_count:     40
    .vgpr_spill_count: 0
    .wavefront_size: 32
    .workgroup_processor_mode: 1
  - .args:
      - .actual_access:  read_only
        .address_space:  global
        .offset:         0
        .size:           8
        .value_kind:     global_buffer
      - .actual_access:  read_only
        .address_space:  global
        .offset:         8
        .size:           8
        .value_kind:     global_buffer
      - .actual_access:  write_only
        .address_space:  global
        .offset:         16
        .size:           8
        .value_kind:     global_buffer
      - .address_space:  global
        .offset:         24
        .size:           8
        .value_kind:     global_buffer
      - .offset:         32
        .size:           4
        .value_kind:     by_value
      - .offset:         36
        .size:           4
        .value_kind:     by_value
      - .offset:         40
        .size:           4
        .value_kind:     by_value
      - .offset:         44
        .size:           4
        .value_kind:     by_value
      - .offset:         48
        .size:           4
        .value_kind:     hidden_block_count_x
      - .offset:         52
        .size:           4
        .value_kind:     hidden_block_count_y
      - .offset:         56
        .size:           4
        .value_kind:     hidden_block_count_z
      - .offset:         60
        .size:           2
        .value_kind:     hidden_group_size_x
      - .offset:         62
        .size:           2
        .value_kind:     hidden_group_size_y
      - .offset:         64
        .size:           2
        .value_kind:     hidden_group_size_z
      - .offset:         66
        .size:           2
        .value_kind:     hidden_remainder_x
      - .offset:         68
        .size:           2
        .value_kind:     hidden_remainder_y
      - .offset:         70
        .size:           2
        .value_kind:     hidden_remainder_z
      - .offset:         88
        .size:           8
        .value_kind:     hidden_global_offset_x
      - .offset:         96
        .size:           8
        .value_kind:     hidden_global_offset_y
      - .offset:         104
        .size:           8
        .value_kind:     hidden_global_offset_z
      - .offset:         112
        .size:           2
        .value_kind:     hidden_grid_dims
    .group_segment_fixed_size: 0
    .kernarg_segment_align: 8
    .kernarg_segment_size: 304
    .language:       OpenCL C
    .language_version:
      - 2
      - 0
    .max_flat_workgroup_size: 1024
    .name:           _ZL9moe_vec_qIN3c104HalfELi256ELi8E11block_iq1_sLi1EXadL_ZL18vec_dot_iq1_s_q8_1PKvPK10block_q8_1RKiEEEvS4_S4_PT_PS8_iiii
    .private_segment_fixed_size: 0
    .sgpr_count:     22
    .sgpr_spill_count: 0
    .symbol:         _ZL9moe_vec_qIN3c104HalfELi256ELi8E11block_iq1_sLi1EXadL_ZL18vec_dot_iq1_s_q8_1PKvPK10block_q8_1RKiEEEvS4_S4_PT_PS8_iiii.kd
    .uniform_work_group_size: 1
    .uses_dynamic_stack: false
    .vgpr_count:     77
    .vgpr_spill_count: 0
    .wavefront_size: 32
    .workgroup_processor_mode: 1
  - .args:
      - .actual_access:  read_only
        .address_space:  global
        .offset:         0
        .size:           8
        .value_kind:     global_buffer
      - .actual_access:  read_only
        .address_space:  global
        .offset:         8
        .size:           8
        .value_kind:     global_buffer
      - .actual_access:  write_only
        .address_space:  global
        .offset:         16
        .size:           8
        .value_kind:     global_buffer
      - .address_space:  global
        .offset:         24
        .size:           8
        .value_kind:     global_buffer
      - .offset:         32
        .size:           4
        .value_kind:     by_value
      - .offset:         36
        .size:           4
        .value_kind:     by_value
      - .offset:         40
        .size:           4
        .value_kind:     by_value
      - .offset:         44
        .size:           4
        .value_kind:     by_value
      - .offset:         48
        .size:           4
        .value_kind:     hidden_block_count_x
      - .offset:         52
        .size:           4
        .value_kind:     hidden_block_count_y
      - .offset:         56
        .size:           4
        .value_kind:     hidden_block_count_z
      - .offset:         60
        .size:           2
        .value_kind:     hidden_group_size_x
      - .offset:         62
        .size:           2
        .value_kind:     hidden_group_size_y
      - .offset:         64
        .size:           2
        .value_kind:     hidden_group_size_z
      - .offset:         66
        .size:           2
        .value_kind:     hidden_remainder_x
      - .offset:         68
        .size:           2
        .value_kind:     hidden_remainder_y
      - .offset:         70
        .size:           2
        .value_kind:     hidden_remainder_z
      - .offset:         88
        .size:           8
        .value_kind:     hidden_global_offset_x
      - .offset:         96
        .size:           8
        .value_kind:     hidden_global_offset_y
      - .offset:         104
        .size:           8
        .value_kind:     hidden_global_offset_z
      - .offset:         112
        .size:           2
        .value_kind:     hidden_grid_dims
    .group_segment_fixed_size: 0
    .kernarg_segment_align: 8
    .kernarg_segment_size: 304
    .language:       OpenCL C
    .language_version:
      - 2
      - 0
    .max_flat_workgroup_size: 1024
    .name:           _ZL9moe_vec_qIN3c104HalfELi32ELi4E12block_iq4_nlLi2EXadL_ZL19vec_dot_iq4_nl_q8_1PKvPK10block_q8_1RKiEEEvS4_S4_PT_PS8_iiii
    .private_segment_fixed_size: 0
    .sgpr_count:     21
    .sgpr_spill_count: 0
    .symbol:         _ZL9moe_vec_qIN3c104HalfELi32ELi4E12block_iq4_nlLi2EXadL_ZL19vec_dot_iq4_nl_q8_1PKvPK10block_q8_1RKiEEEvS4_S4_PT_PS8_iiii.kd
    .uniform_work_group_size: 1
    .uses_dynamic_stack: false
    .vgpr_count:     33
    .vgpr_spill_count: 0
    .wavefront_size: 32
    .workgroup_processor_mode: 1
  - .args:
      - .actual_access:  read_only
        .address_space:  global
        .offset:         0
        .size:           8
        .value_kind:     global_buffer
      - .actual_access:  read_only
        .address_space:  global
        .offset:         8
        .size:           8
        .value_kind:     global_buffer
      - .actual_access:  write_only
        .address_space:  global
        .offset:         16
        .size:           8
        .value_kind:     global_buffer
      - .address_space:  global
        .offset:         24
        .size:           8
        .value_kind:     global_buffer
      - .offset:         32
        .size:           4
        .value_kind:     by_value
      - .offset:         36
        .size:           4
        .value_kind:     by_value
      - .offset:         40
        .size:           4
        .value_kind:     by_value
      - .offset:         44
        .size:           4
        .value_kind:     by_value
      - .offset:         48
        .size:           4
        .value_kind:     hidden_block_count_x
      - .offset:         52
        .size:           4
        .value_kind:     hidden_block_count_y
      - .offset:         56
        .size:           4
        .value_kind:     hidden_block_count_z
      - .offset:         60
        .size:           2
        .value_kind:     hidden_group_size_x
      - .offset:         62
        .size:           2
        .value_kind:     hidden_group_size_y
      - .offset:         64
        .size:           2
        .value_kind:     hidden_group_size_z
      - .offset:         66
        .size:           2
        .value_kind:     hidden_remainder_x
      - .offset:         68
        .size:           2
        .value_kind:     hidden_remainder_y
      - .offset:         70
        .size:           2
        .value_kind:     hidden_remainder_z
      - .offset:         88
        .size:           8
        .value_kind:     hidden_global_offset_x
      - .offset:         96
        .size:           8
        .value_kind:     hidden_global_offset_y
      - .offset:         104
        .size:           8
        .value_kind:     hidden_global_offset_z
      - .offset:         112
        .size:           2
        .value_kind:     hidden_grid_dims
    .group_segment_fixed_size: 0
    .kernarg_segment_align: 8
    .kernarg_segment_size: 304
    .language:       OpenCL C
    .language_version:
      - 2
      - 0
    .max_flat_workgroup_size: 1024
    .name:           _ZL9moe_vec_qIN3c104HalfELi256ELi8E11block_iq3_sLi1EXadL_ZL18vec_dot_iq3_s_q8_1PKvPK10block_q8_1RKiEEEvS4_S4_PT_PS8_iiii
    .private_segment_fixed_size: 0
    .sgpr_count:     22
    .sgpr_spill_count: 0
    .symbol:         _ZL9moe_vec_qIN3c104HalfELi256ELi8E11block_iq3_sLi1EXadL_ZL18vec_dot_iq3_s_q8_1PKvPK10block_q8_1RKiEEEvS4_S4_PT_PS8_iiii.kd
    .uniform_work_group_size: 1
    .uses_dynamic_stack: false
    .vgpr_count:     47
    .vgpr_spill_count: 0
    .wavefront_size: 32
    .workgroup_processor_mode: 1
  - .args:
      - .actual_access:  read_only
        .address_space:  global
        .offset:         0
        .size:           8
        .value_kind:     global_buffer
      - .actual_access:  read_only
        .address_space:  global
        .offset:         8
        .size:           8
        .value_kind:     global_buffer
      - .actual_access:  write_only
        .address_space:  global
        .offset:         16
        .size:           8
        .value_kind:     global_buffer
      - .address_space:  global
        .offset:         24
        .size:           8
        .value_kind:     global_buffer
      - .offset:         32
        .size:           4
        .value_kind:     by_value
      - .offset:         36
        .size:           4
        .value_kind:     by_value
      - .offset:         40
        .size:           4
        .value_kind:     by_value
      - .offset:         44
        .size:           4
        .value_kind:     by_value
      - .offset:         48
        .size:           4
        .value_kind:     hidden_block_count_x
      - .offset:         52
        .size:           4
        .value_kind:     hidden_block_count_y
      - .offset:         56
        .size:           4
        .value_kind:     hidden_block_count_z
      - .offset:         60
        .size:           2
        .value_kind:     hidden_group_size_x
      - .offset:         62
        .size:           2
        .value_kind:     hidden_group_size_y
      - .offset:         64
        .size:           2
        .value_kind:     hidden_group_size_z
      - .offset:         66
        .size:           2
        .value_kind:     hidden_remainder_x
      - .offset:         68
        .size:           2
        .value_kind:     hidden_remainder_y
      - .offset:         70
        .size:           2
        .value_kind:     hidden_remainder_z
      - .offset:         88
        .size:           8
        .value_kind:     hidden_global_offset_x
      - .offset:         96
        .size:           8
        .value_kind:     hidden_global_offset_y
      - .offset:         104
        .size:           8
        .value_kind:     hidden_global_offset_z
      - .offset:         112
        .size:           2
        .value_kind:     hidden_grid_dims
    .group_segment_fixed_size: 0
    .kernarg_segment_align: 8
    .kernarg_segment_size: 304
    .language:       OpenCL C
    .language_version:
      - 2
      - 0
    .max_flat_workgroup_size: 1024
    .name:           _ZL9moe_vec_qIN3c104HalfELi256ELi8E11block_iq2_sLi1EXadL_ZL18vec_dot_iq2_s_q8_1PKvPK10block_q8_1RKiEEEvS4_S4_PT_PS8_iiii
    .private_segment_fixed_size: 0
    .sgpr_count:     22
    .sgpr_spill_count: 0
    .symbol:         _ZL9moe_vec_qIN3c104HalfELi256ELi8E11block_iq2_sLi1EXadL_ZL18vec_dot_iq2_s_q8_1PKvPK10block_q8_1RKiEEEvS4_S4_PT_PS8_iiii.kd
    .uniform_work_group_size: 1
    .uses_dynamic_stack: false
    .vgpr_count:     70
    .vgpr_spill_count: 0
    .wavefront_size: 32
    .workgroup_processor_mode: 1
  - .args:
      - .actual_access:  read_only
        .address_space:  global
        .offset:         0
        .size:           8
        .value_kind:     global_buffer
      - .actual_access:  read_only
        .address_space:  global
        .offset:         8
        .size:           8
        .value_kind:     global_buffer
      - .actual_access:  write_only
        .address_space:  global
        .offset:         16
        .size:           8
        .value_kind:     global_buffer
      - .address_space:  global
        .offset:         24
        .size:           8
        .value_kind:     global_buffer
      - .offset:         32
        .size:           4
        .value_kind:     by_value
      - .offset:         36
        .size:           4
        .value_kind:     by_value
      - .offset:         40
        .size:           4
        .value_kind:     by_value
      - .offset:         44
        .size:           4
        .value_kind:     by_value
      - .offset:         48
        .size:           4
        .value_kind:     hidden_block_count_x
      - .offset:         52
        .size:           4
        .value_kind:     hidden_block_count_y
      - .offset:         56
        .size:           4
        .value_kind:     hidden_block_count_z
      - .offset:         60
        .size:           2
        .value_kind:     hidden_group_size_x
      - .offset:         62
        .size:           2
        .value_kind:     hidden_group_size_y
      - .offset:         64
        .size:           2
        .value_kind:     hidden_group_size_z
      - .offset:         66
        .size:           2
        .value_kind:     hidden_remainder_x
      - .offset:         68
        .size:           2
        .value_kind:     hidden_remainder_y
      - .offset:         70
        .size:           2
        .value_kind:     hidden_remainder_z
      - .offset:         88
        .size:           8
        .value_kind:     hidden_global_offset_x
      - .offset:         96
        .size:           8
        .value_kind:     hidden_global_offset_y
      - .offset:         104
        .size:           8
        .value_kind:     hidden_global_offset_z
      - .offset:         112
        .size:           2
        .value_kind:     hidden_grid_dims
    .group_segment_fixed_size: 0
    .kernarg_segment_align: 8
    .kernarg_segment_size: 304
    .language:       OpenCL C
    .language_version:
      - 2
      - 0
    .max_flat_workgroup_size: 1024
    .name:           _ZL9moe_vec_qIN3c104HalfELi256ELi8E12block_iq4_xsLi1EXadL_ZL19vec_dot_iq4_xs_q8_1PKvPK10block_q8_1RKiEEEvS4_S4_PT_PS8_iiii
    .private_segment_fixed_size: 0
    .sgpr_count:     21
    .sgpr_spill_count: 0
    .symbol:         _ZL9moe_vec_qIN3c104HalfELi256ELi8E12block_iq4_xsLi1EXadL_ZL19vec_dot_iq4_xs_q8_1PKvPK10block_q8_1RKiEEEvS4_S4_PT_PS8_iiii.kd
    .uniform_work_group_size: 1
    .uses_dynamic_stack: false
    .vgpr_count:     56
    .vgpr_spill_count: 0
    .wavefront_size: 32
    .workgroup_processor_mode: 1
  - .args:
      - .actual_access:  read_only
        .address_space:  global
        .offset:         0
        .size:           8
        .value_kind:     global_buffer
      - .actual_access:  read_only
        .address_space:  global
        .offset:         8
        .size:           8
        .value_kind:     global_buffer
      - .actual_access:  write_only
        .address_space:  global
        .offset:         16
        .size:           8
        .value_kind:     global_buffer
      - .address_space:  global
        .offset:         24
        .size:           8
        .value_kind:     global_buffer
      - .offset:         32
        .size:           4
        .value_kind:     by_value
      - .offset:         36
        .size:           4
        .value_kind:     by_value
      - .offset:         40
        .size:           4
        .value_kind:     by_value
      - .offset:         44
        .size:           4
        .value_kind:     by_value
      - .offset:         48
        .size:           4
        .value_kind:     hidden_block_count_x
      - .offset:         52
        .size:           4
        .value_kind:     hidden_block_count_y
      - .offset:         56
        .size:           4
        .value_kind:     hidden_block_count_z
      - .offset:         60
        .size:           2
        .value_kind:     hidden_group_size_x
      - .offset:         62
        .size:           2
        .value_kind:     hidden_group_size_y
      - .offset:         64
        .size:           2
        .value_kind:     hidden_group_size_z
      - .offset:         66
        .size:           2
        .value_kind:     hidden_remainder_x
      - .offset:         68
        .size:           2
        .value_kind:     hidden_remainder_y
      - .offset:         70
        .size:           2
        .value_kind:     hidden_remainder_z
      - .offset:         88
        .size:           8
        .value_kind:     hidden_global_offset_x
      - .offset:         96
        .size:           8
        .value_kind:     hidden_global_offset_y
      - .offset:         104
        .size:           8
        .value_kind:     hidden_global_offset_z
      - .offset:         112
        .size:           2
        .value_kind:     hidden_grid_dims
    .group_segment_fixed_size: 0
    .kernarg_segment_align: 8
    .kernarg_segment_size: 304
    .language:       OpenCL C
    .language_version:
      - 2
      - 0
    .max_flat_workgroup_size: 1024
    .name:           _ZL9moe_vec_qIN3c104HalfELi256ELi8E11block_iq1_mLi1EXadL_ZL18vec_dot_iq1_m_q8_1PKvPK10block_q8_1RKiEEEvS4_S4_PT_PS8_iiii
    .private_segment_fixed_size: 0
    .sgpr_count:     21
    .sgpr_spill_count: 0
    .symbol:         _ZL9moe_vec_qIN3c104HalfELi256ELi8E11block_iq1_mLi1EXadL_ZL18vec_dot_iq1_m_q8_1PKvPK10block_q8_1RKiEEEvS4_S4_PT_PS8_iiii.kd
    .uniform_work_group_size: 1
    .uses_dynamic_stack: false
    .vgpr_count:     83
    .vgpr_spill_count: 0
    .wavefront_size: 32
    .workgroup_processor_mode: 1
  - .args:
      - .actual_access:  read_only
        .address_space:  global
        .offset:         0
        .size:           8
        .value_kind:     global_buffer
      - .actual_access:  read_only
        .address_space:  global
        .offset:         8
        .size:           8
        .value_kind:     global_buffer
      - .actual_access:  write_only
        .address_space:  global
        .offset:         16
        .size:           8
        .value_kind:     global_buffer
      - .address_space:  global
        .offset:         24
        .size:           8
        .value_kind:     global_buffer
      - .offset:         32
        .size:           4
        .value_kind:     by_value
      - .offset:         36
        .size:           4
        .value_kind:     by_value
      - .offset:         40
        .size:           4
        .value_kind:     by_value
      - .offset:         44
        .size:           4
        .value_kind:     by_value
      - .offset:         48
        .size:           4
        .value_kind:     hidden_block_count_x
      - .offset:         52
        .size:           4
        .value_kind:     hidden_block_count_y
      - .offset:         56
        .size:           4
        .value_kind:     hidden_block_count_z
      - .offset:         60
        .size:           2
        .value_kind:     hidden_group_size_x
      - .offset:         62
        .size:           2
        .value_kind:     hidden_group_size_y
      - .offset:         64
        .size:           2
        .value_kind:     hidden_group_size_z
      - .offset:         66
        .size:           2
        .value_kind:     hidden_remainder_x
      - .offset:         68
        .size:           2
        .value_kind:     hidden_remainder_y
      - .offset:         70
        .size:           2
        .value_kind:     hidden_remainder_z
      - .offset:         88
        .size:           8
        .value_kind:     hidden_global_offset_x
      - .offset:         96
        .size:           8
        .value_kind:     hidden_global_offset_y
      - .offset:         104
        .size:           8
        .value_kind:     hidden_global_offset_z
      - .offset:         112
        .size:           2
        .value_kind:     hidden_grid_dims
    .group_segment_fixed_size: 0
    .kernarg_segment_align: 8
    .kernarg_segment_size: 304
    .language:       OpenCL C
    .language_version:
      - 2
      - 0
    .max_flat_workgroup_size: 1024
    .name:           _ZL9moe_vec_qIN3c108BFloat16ELi32ELi4E10block_q4_0Li2EXadL_ZL17vec_dot_q4_0_q8_1PKvPK10block_q8_1RKiEEEvS4_S4_PT_PS8_iiii
    .private_segment_fixed_size: 0
    .sgpr_count:     21
    .sgpr_spill_count: 0
    .symbol:         _ZL9moe_vec_qIN3c108BFloat16ELi32ELi4E10block_q4_0Li2EXadL_ZL17vec_dot_q4_0_q8_1PKvPK10block_q8_1RKiEEEvS4_S4_PT_PS8_iiii.kd
    .uniform_work_group_size: 1
    .uses_dynamic_stack: false
    .vgpr_count:     40
    .vgpr_spill_count: 0
    .wavefront_size: 32
    .workgroup_processor_mode: 1
  - .args:
      - .actual_access:  read_only
        .address_space:  global
        .offset:         0
        .size:           8
        .value_kind:     global_buffer
      - .actual_access:  read_only
        .address_space:  global
        .offset:         8
        .size:           8
        .value_kind:     global_buffer
      - .actual_access:  write_only
        .address_space:  global
        .offset:         16
        .size:           8
        .value_kind:     global_buffer
      - .address_space:  global
        .offset:         24
        .size:           8
        .value_kind:     global_buffer
      - .offset:         32
        .size:           4
        .value_kind:     by_value
      - .offset:         36
        .size:           4
        .value_kind:     by_value
      - .offset:         40
        .size:           4
        .value_kind:     by_value
      - .offset:         44
        .size:           4
        .value_kind:     by_value
      - .offset:         48
        .size:           4
        .value_kind:     hidden_block_count_x
      - .offset:         52
        .size:           4
        .value_kind:     hidden_block_count_y
      - .offset:         56
        .size:           4
        .value_kind:     hidden_block_count_z
      - .offset:         60
        .size:           2
        .value_kind:     hidden_group_size_x
      - .offset:         62
        .size:           2
        .value_kind:     hidden_group_size_y
      - .offset:         64
        .size:           2
        .value_kind:     hidden_group_size_z
      - .offset:         66
        .size:           2
        .value_kind:     hidden_remainder_x
      - .offset:         68
        .size:           2
        .value_kind:     hidden_remainder_y
      - .offset:         70
        .size:           2
        .value_kind:     hidden_remainder_z
      - .offset:         88
        .size:           8
        .value_kind:     hidden_global_offset_x
      - .offset:         96
        .size:           8
        .value_kind:     hidden_global_offset_y
      - .offset:         104
        .size:           8
        .value_kind:     hidden_global_offset_z
      - .offset:         112
        .size:           2
        .value_kind:     hidden_grid_dims
    .group_segment_fixed_size: 0
    .kernarg_segment_align: 8
    .kernarg_segment_size: 304
    .language:       OpenCL C
    .language_version:
      - 2
      - 0
    .max_flat_workgroup_size: 1024
    .name:           _ZL9moe_vec_qIN3c108BFloat16ELi32ELi4E10block_q4_1Li2EXadL_ZL17vec_dot_q4_1_q8_1PKvPK10block_q8_1RKiEEEvS4_S4_PT_PS8_iiii
    .private_segment_fixed_size: 0
    .sgpr_count:     21
    .sgpr_spill_count: 0
    .symbol:         _ZL9moe_vec_qIN3c108BFloat16ELi32ELi4E10block_q4_1Li2EXadL_ZL17vec_dot_q4_1_q8_1PKvPK10block_q8_1RKiEEEvS4_S4_PT_PS8_iiii.kd
    .uniform_work_group_size: 1
    .uses_dynamic_stack: false
    .vgpr_count:     39
    .vgpr_spill_count: 0
    .wavefront_size: 32
    .workgroup_processor_mode: 1
  - .args:
      - .actual_access:  read_only
        .address_space:  global
        .offset:         0
        .size:           8
        .value_kind:     global_buffer
      - .actual_access:  read_only
        .address_space:  global
        .offset:         8
        .size:           8
        .value_kind:     global_buffer
      - .actual_access:  write_only
        .address_space:  global
        .offset:         16
        .size:           8
        .value_kind:     global_buffer
      - .address_space:  global
        .offset:         24
        .size:           8
        .value_kind:     global_buffer
      - .offset:         32
        .size:           4
        .value_kind:     by_value
      - .offset:         36
        .size:           4
        .value_kind:     by_value
      - .offset:         40
        .size:           4
        .value_kind:     by_value
      - .offset:         44
        .size:           4
        .value_kind:     by_value
      - .offset:         48
        .size:           4
        .value_kind:     hidden_block_count_x
      - .offset:         52
        .size:           4
        .value_kind:     hidden_block_count_y
      - .offset:         56
        .size:           4
        .value_kind:     hidden_block_count_z
      - .offset:         60
        .size:           2
        .value_kind:     hidden_group_size_x
      - .offset:         62
        .size:           2
        .value_kind:     hidden_group_size_y
      - .offset:         64
        .size:           2
        .value_kind:     hidden_group_size_z
      - .offset:         66
        .size:           2
        .value_kind:     hidden_remainder_x
      - .offset:         68
        .size:           2
        .value_kind:     hidden_remainder_y
      - .offset:         70
        .size:           2
        .value_kind:     hidden_remainder_z
      - .offset:         88
        .size:           8
        .value_kind:     hidden_global_offset_x
      - .offset:         96
        .size:           8
        .value_kind:     hidden_global_offset_y
      - .offset:         104
        .size:           8
        .value_kind:     hidden_global_offset_z
      - .offset:         112
        .size:           2
        .value_kind:     hidden_grid_dims
    .group_segment_fixed_size: 0
    .kernarg_segment_align: 8
    .kernarg_segment_size: 304
    .language:       OpenCL C
    .language_version:
      - 2
      - 0
    .max_flat_workgroup_size: 1024
    .name:           _ZL9moe_vec_qIN3c108BFloat16ELi32ELi4E10block_q5_0Li2EXadL_ZL17vec_dot_q5_0_q8_1PKvPK10block_q8_1RKiEEEvS4_S4_PT_PS8_iiii
    .private_segment_fixed_size: 0
    .sgpr_count:     21
    .sgpr_spill_count: 0
    .symbol:         _ZL9moe_vec_qIN3c108BFloat16ELi32ELi4E10block_q5_0Li2EXadL_ZL17vec_dot_q5_0_q8_1PKvPK10block_q8_1RKiEEEvS4_S4_PT_PS8_iiii.kd
    .uniform_work_group_size: 1
    .uses_dynamic_stack: false
    .vgpr_count:     45
    .vgpr_spill_count: 0
    .wavefront_size: 32
    .workgroup_processor_mode: 1
  - .args:
      - .actual_access:  read_only
        .address_space:  global
        .offset:         0
        .size:           8
        .value_kind:     global_buffer
      - .actual_access:  read_only
        .address_space:  global
        .offset:         8
        .size:           8
        .value_kind:     global_buffer
      - .actual_access:  write_only
        .address_space:  global
        .offset:         16
        .size:           8
        .value_kind:     global_buffer
      - .address_space:  global
        .offset:         24
        .size:           8
        .value_kind:     global_buffer
      - .offset:         32
        .size:           4
        .value_kind:     by_value
      - .offset:         36
        .size:           4
        .value_kind:     by_value
      - .offset:         40
        .size:           4
        .value_kind:     by_value
      - .offset:         44
        .size:           4
        .value_kind:     by_value
      - .offset:         48
        .size:           4
        .value_kind:     hidden_block_count_x
      - .offset:         52
        .size:           4
        .value_kind:     hidden_block_count_y
      - .offset:         56
        .size:           4
        .value_kind:     hidden_block_count_z
      - .offset:         60
        .size:           2
        .value_kind:     hidden_group_size_x
      - .offset:         62
        .size:           2
        .value_kind:     hidden_group_size_y
      - .offset:         64
        .size:           2
        .value_kind:     hidden_group_size_z
      - .offset:         66
        .size:           2
        .value_kind:     hidden_remainder_x
      - .offset:         68
        .size:           2
        .value_kind:     hidden_remainder_y
      - .offset:         70
        .size:           2
        .value_kind:     hidden_remainder_z
      - .offset:         88
        .size:           8
        .value_kind:     hidden_global_offset_x
      - .offset:         96
        .size:           8
        .value_kind:     hidden_global_offset_y
      - .offset:         104
        .size:           8
        .value_kind:     hidden_global_offset_z
      - .offset:         112
        .size:           2
        .value_kind:     hidden_grid_dims
    .group_segment_fixed_size: 0
    .kernarg_segment_align: 8
    .kernarg_segment_size: 304
    .language:       OpenCL C
    .language_version:
      - 2
      - 0
    .max_flat_workgroup_size: 1024
    .name:           _ZL9moe_vec_qIN3c108BFloat16ELi32ELi4E10block_q5_1Li2EXadL_ZL17vec_dot_q5_1_q8_1PKvPK10block_q8_1RKiEEEvS4_S4_PT_PS8_iiii
    .private_segment_fixed_size: 0
    .sgpr_count:     21
    .sgpr_spill_count: 0
    .symbol:         _ZL9moe_vec_qIN3c108BFloat16ELi32ELi4E10block_q5_1Li2EXadL_ZL17vec_dot_q5_1_q8_1PKvPK10block_q8_1RKiEEEvS4_S4_PT_PS8_iiii.kd
    .uniform_work_group_size: 1
    .uses_dynamic_stack: false
    .vgpr_count:     44
    .vgpr_spill_count: 0
    .wavefront_size: 32
    .workgroup_processor_mode: 1
  - .args:
      - .actual_access:  read_only
        .address_space:  global
        .offset:         0
        .size:           8
        .value_kind:     global_buffer
      - .actual_access:  read_only
        .address_space:  global
        .offset:         8
        .size:           8
        .value_kind:     global_buffer
      - .actual_access:  write_only
        .address_space:  global
        .offset:         16
        .size:           8
        .value_kind:     global_buffer
      - .address_space:  global
        .offset:         24
        .size:           8
        .value_kind:     global_buffer
      - .offset:         32
        .size:           4
        .value_kind:     by_value
      - .offset:         36
        .size:           4
        .value_kind:     by_value
      - .offset:         40
        .size:           4
        .value_kind:     by_value
      - .offset:         44
        .size:           4
        .value_kind:     by_value
      - .offset:         48
        .size:           4
        .value_kind:     hidden_block_count_x
      - .offset:         52
        .size:           4
        .value_kind:     hidden_block_count_y
      - .offset:         56
        .size:           4
        .value_kind:     hidden_block_count_z
      - .offset:         60
        .size:           2
        .value_kind:     hidden_group_size_x
      - .offset:         62
        .size:           2
        .value_kind:     hidden_group_size_y
      - .offset:         64
        .size:           2
        .value_kind:     hidden_group_size_z
      - .offset:         66
        .size:           2
        .value_kind:     hidden_remainder_x
      - .offset:         68
        .size:           2
        .value_kind:     hidden_remainder_y
      - .offset:         70
        .size:           2
        .value_kind:     hidden_remainder_z
      - .offset:         88
        .size:           8
        .value_kind:     hidden_global_offset_x
      - .offset:         96
        .size:           8
        .value_kind:     hidden_global_offset_y
      - .offset:         104
        .size:           8
        .value_kind:     hidden_global_offset_z
      - .offset:         112
        .size:           2
        .value_kind:     hidden_grid_dims
    .group_segment_fixed_size: 0
    .kernarg_segment_align: 8
    .kernarg_segment_size: 304
    .language:       OpenCL C
    .language_version:
      - 2
      - 0
    .max_flat_workgroup_size: 1024
    .name:           _ZL9moe_vec_qIN3c108BFloat16ELi32ELi8E10block_q8_0Li2EXadL_ZL17vec_dot_q8_0_q8_1PKvPK10block_q8_1RKiEEEvS4_S4_PT_PS8_iiii
    .private_segment_fixed_size: 0
    .sgpr_count:     21
    .sgpr_spill_count: 0
    .symbol:         _ZL9moe_vec_qIN3c108BFloat16ELi32ELi8E10block_q8_0Li2EXadL_ZL17vec_dot_q8_0_q8_1PKvPK10block_q8_1RKiEEEvS4_S4_PT_PS8_iiii.kd
    .uniform_work_group_size: 1
    .uses_dynamic_stack: false
    .vgpr_count:     24
    .vgpr_spill_count: 0
    .wavefront_size: 32
    .workgroup_processor_mode: 1
  - .args:
      - .actual_access:  read_only
        .address_space:  global
        .offset:         0
        .size:           8
        .value_kind:     global_buffer
      - .actual_access:  read_only
        .address_space:  global
        .offset:         8
        .size:           8
        .value_kind:     global_buffer
      - .actual_access:  write_only
        .address_space:  global
        .offset:         16
        .size:           8
        .value_kind:     global_buffer
      - .address_space:  global
        .offset:         24
        .size:           8
        .value_kind:     global_buffer
      - .offset:         32
        .size:           4
        .value_kind:     by_value
      - .offset:         36
        .size:           4
        .value_kind:     by_value
      - .offset:         40
        .size:           4
        .value_kind:     by_value
      - .offset:         44
        .size:           4
        .value_kind:     by_value
      - .offset:         48
        .size:           4
        .value_kind:     hidden_block_count_x
      - .offset:         52
        .size:           4
        .value_kind:     hidden_block_count_y
      - .offset:         56
        .size:           4
        .value_kind:     hidden_block_count_z
      - .offset:         60
        .size:           2
        .value_kind:     hidden_group_size_x
      - .offset:         62
        .size:           2
        .value_kind:     hidden_group_size_y
      - .offset:         64
        .size:           2
        .value_kind:     hidden_group_size_z
      - .offset:         66
        .size:           2
        .value_kind:     hidden_remainder_x
      - .offset:         68
        .size:           2
        .value_kind:     hidden_remainder_y
      - .offset:         70
        .size:           2
        .value_kind:     hidden_remainder_z
      - .offset:         88
        .size:           8
        .value_kind:     hidden_global_offset_x
      - .offset:         96
        .size:           8
        .value_kind:     hidden_global_offset_y
      - .offset:         104
        .size:           8
        .value_kind:     hidden_global_offset_z
      - .offset:         112
        .size:           2
        .value_kind:     hidden_grid_dims
    .group_segment_fixed_size: 0
    .kernarg_segment_align: 8
    .kernarg_segment_size: 304
    .language:       OpenCL C
    .language_version:
      - 2
      - 0
    .max_flat_workgroup_size: 1024
    .name:           _ZL9moe_vec_qIN3c108BFloat16ELi256ELi16E10block_q2_KLi1EXadL_ZL17vec_dot_q2_K_q8_1PKvPK10block_q8_1RKiEEEvS4_S4_PT_PS8_iiii
    .private_segment_fixed_size: 0
    .sgpr_count:     21
    .sgpr_spill_count: 0
    .symbol:         _ZL9moe_vec_qIN3c108BFloat16ELi256ELi16E10block_q2_KLi1EXadL_ZL17vec_dot_q2_K_q8_1PKvPK10block_q8_1RKiEEEvS4_S4_PT_PS8_iiii.kd
    .uniform_work_group_size: 1
    .uses_dynamic_stack: false
    .vgpr_count:     62
    .vgpr_spill_count: 0
    .wavefront_size: 32
    .workgroup_processor_mode: 1
  - .args:
      - .actual_access:  read_only
        .address_space:  global
        .offset:         0
        .size:           8
        .value_kind:     global_buffer
      - .actual_access:  read_only
        .address_space:  global
        .offset:         8
        .size:           8
        .value_kind:     global_buffer
      - .actual_access:  write_only
        .address_space:  global
        .offset:         16
        .size:           8
        .value_kind:     global_buffer
      - .address_space:  global
        .offset:         24
        .size:           8
        .value_kind:     global_buffer
      - .offset:         32
        .size:           4
        .value_kind:     by_value
      - .offset:         36
        .size:           4
        .value_kind:     by_value
      - .offset:         40
        .size:           4
        .value_kind:     by_value
      - .offset:         44
        .size:           4
        .value_kind:     by_value
      - .offset:         48
        .size:           4
        .value_kind:     hidden_block_count_x
      - .offset:         52
        .size:           4
        .value_kind:     hidden_block_count_y
      - .offset:         56
        .size:           4
        .value_kind:     hidden_block_count_z
      - .offset:         60
        .size:           2
        .value_kind:     hidden_group_size_x
      - .offset:         62
        .size:           2
        .value_kind:     hidden_group_size_y
      - .offset:         64
        .size:           2
        .value_kind:     hidden_group_size_z
      - .offset:         66
        .size:           2
        .value_kind:     hidden_remainder_x
      - .offset:         68
        .size:           2
        .value_kind:     hidden_remainder_y
      - .offset:         70
        .size:           2
        .value_kind:     hidden_remainder_z
      - .offset:         88
        .size:           8
        .value_kind:     hidden_global_offset_x
      - .offset:         96
        .size:           8
        .value_kind:     hidden_global_offset_y
      - .offset:         104
        .size:           8
        .value_kind:     hidden_global_offset_z
      - .offset:         112
        .size:           2
        .value_kind:     hidden_grid_dims
    .group_segment_fixed_size: 0
    .kernarg_segment_align: 8
    .kernarg_segment_size: 304
    .language:       OpenCL C
    .language_version:
      - 2
      - 0
    .max_flat_workgroup_size: 1024
    .name:           _ZL9moe_vec_qIN3c108BFloat16ELi256ELi16E10block_q3_KLi1EXadL_ZL17vec_dot_q3_K_q8_1PKvPK10block_q8_1RKiEEEvS4_S4_PT_PS8_iiii
    .private_segment_fixed_size: 0
    .sgpr_count:     21
    .sgpr_spill_count: 0
    .symbol:         _ZL9moe_vec_qIN3c108BFloat16ELi256ELi16E10block_q3_KLi1EXadL_ZL17vec_dot_q3_K_q8_1PKvPK10block_q8_1RKiEEEvS4_S4_PT_PS8_iiii.kd
    .uniform_work_group_size: 1
    .uses_dynamic_stack: false
    .vgpr_count:     85
    .vgpr_spill_count: 0
    .wavefront_size: 32
    .workgroup_processor_mode: 1
  - .args:
      - .actual_access:  read_only
        .address_space:  global
        .offset:         0
        .size:           8
        .value_kind:     global_buffer
      - .actual_access:  read_only
        .address_space:  global
        .offset:         8
        .size:           8
        .value_kind:     global_buffer
      - .actual_access:  write_only
        .address_space:  global
        .offset:         16
        .size:           8
        .value_kind:     global_buffer
      - .address_space:  global
        .offset:         24
        .size:           8
        .value_kind:     global_buffer
      - .offset:         32
        .size:           4
        .value_kind:     by_value
      - .offset:         36
        .size:           4
        .value_kind:     by_value
      - .offset:         40
        .size:           4
        .value_kind:     by_value
      - .offset:         44
        .size:           4
        .value_kind:     by_value
      - .offset:         48
        .size:           4
        .value_kind:     hidden_block_count_x
      - .offset:         52
        .size:           4
        .value_kind:     hidden_block_count_y
      - .offset:         56
        .size:           4
        .value_kind:     hidden_block_count_z
      - .offset:         60
        .size:           2
        .value_kind:     hidden_group_size_x
      - .offset:         62
        .size:           2
        .value_kind:     hidden_group_size_y
      - .offset:         64
        .size:           2
        .value_kind:     hidden_group_size_z
      - .offset:         66
        .size:           2
        .value_kind:     hidden_remainder_x
      - .offset:         68
        .size:           2
        .value_kind:     hidden_remainder_y
      - .offset:         70
        .size:           2
        .value_kind:     hidden_remainder_z
      - .offset:         88
        .size:           8
        .value_kind:     hidden_global_offset_x
      - .offset:         96
        .size:           8
        .value_kind:     hidden_global_offset_y
      - .offset:         104
        .size:           8
        .value_kind:     hidden_global_offset_z
      - .offset:         112
        .size:           2
        .value_kind:     hidden_grid_dims
    .group_segment_fixed_size: 0
    .kernarg_segment_align: 8
    .kernarg_segment_size: 304
    .language:       OpenCL C
    .language_version:
      - 2
      - 0
    .max_flat_workgroup_size: 1024
    .name:           _ZL9moe_vec_qIN3c108BFloat16ELi256ELi32E10block_q4_KLi2EXadL_ZL17vec_dot_q4_K_q8_1PKvPK10block_q8_1RKiEEEvS4_S4_PT_PS8_iiii
    .private_segment_fixed_size: 0
    .sgpr_count:     21
    .sgpr_spill_count: 0
    .symbol:         _ZL9moe_vec_qIN3c108BFloat16ELi256ELi32E10block_q4_KLi2EXadL_ZL17vec_dot_q4_K_q8_1PKvPK10block_q8_1RKiEEEvS4_S4_PT_PS8_iiii.kd
    .uniform_work_group_size: 1
    .uses_dynamic_stack: false
    .vgpr_count:     52
    .vgpr_spill_count: 0
    .wavefront_size: 32
    .workgroup_processor_mode: 1
  - .args:
      - .actual_access:  read_only
        .address_space:  global
        .offset:         0
        .size:           8
        .value_kind:     global_buffer
      - .actual_access:  read_only
        .address_space:  global
        .offset:         8
        .size:           8
        .value_kind:     global_buffer
      - .actual_access:  write_only
        .address_space:  global
        .offset:         16
        .size:           8
        .value_kind:     global_buffer
      - .address_space:  global
        .offset:         24
        .size:           8
        .value_kind:     global_buffer
      - .offset:         32
        .size:           4
        .value_kind:     by_value
      - .offset:         36
        .size:           4
        .value_kind:     by_value
      - .offset:         40
        .size:           4
        .value_kind:     by_value
      - .offset:         44
        .size:           4
        .value_kind:     by_value
      - .offset:         48
        .size:           4
        .value_kind:     hidden_block_count_x
      - .offset:         52
        .size:           4
        .value_kind:     hidden_block_count_y
      - .offset:         56
        .size:           4
        .value_kind:     hidden_block_count_z
      - .offset:         60
        .size:           2
        .value_kind:     hidden_group_size_x
      - .offset:         62
        .size:           2
        .value_kind:     hidden_group_size_y
      - .offset:         64
        .size:           2
        .value_kind:     hidden_group_size_z
      - .offset:         66
        .size:           2
        .value_kind:     hidden_remainder_x
      - .offset:         68
        .size:           2
        .value_kind:     hidden_remainder_y
      - .offset:         70
        .size:           2
        .value_kind:     hidden_remainder_z
      - .offset:         88
        .size:           8
        .value_kind:     hidden_global_offset_x
      - .offset:         96
        .size:           8
        .value_kind:     hidden_global_offset_y
      - .offset:         104
        .size:           8
        .value_kind:     hidden_global_offset_z
      - .offset:         112
        .size:           2
        .value_kind:     hidden_grid_dims
    .group_segment_fixed_size: 0
    .kernarg_segment_align: 8
    .kernarg_segment_size: 304
    .language:       OpenCL C
    .language_version:
      - 2
      - 0
    .max_flat_workgroup_size: 1024
    .name:           _ZL9moe_vec_qIN3c108BFloat16ELi256ELi32E10block_q5_KLi2EXadL_ZL17vec_dot_q5_K_q8_1PKvPK10block_q8_1RKiEEEvS4_S4_PT_PS8_iiii
    .private_segment_fixed_size: 0
    .sgpr_count:     21
    .sgpr_spill_count: 0
    .symbol:         _ZL9moe_vec_qIN3c108BFloat16ELi256ELi32E10block_q5_KLi2EXadL_ZL17vec_dot_q5_K_q8_1PKvPK10block_q8_1RKiEEEvS4_S4_PT_PS8_iiii.kd
    .uniform_work_group_size: 1
    .uses_dynamic_stack: false
    .vgpr_count:     53
    .vgpr_spill_count: 0
    .wavefront_size: 32
    .workgroup_processor_mode: 1
  - .args:
      - .actual_access:  read_only
        .address_space:  global
        .offset:         0
        .size:           8
        .value_kind:     global_buffer
      - .actual_access:  read_only
        .address_space:  global
        .offset:         8
        .size:           8
        .value_kind:     global_buffer
      - .actual_access:  write_only
        .address_space:  global
        .offset:         16
        .size:           8
        .value_kind:     global_buffer
      - .address_space:  global
        .offset:         24
        .size:           8
        .value_kind:     global_buffer
      - .offset:         32
        .size:           4
        .value_kind:     by_value
      - .offset:         36
        .size:           4
        .value_kind:     by_value
      - .offset:         40
        .size:           4
        .value_kind:     by_value
      - .offset:         44
        .size:           4
        .value_kind:     by_value
      - .offset:         48
        .size:           4
        .value_kind:     hidden_block_count_x
      - .offset:         52
        .size:           4
        .value_kind:     hidden_block_count_y
      - .offset:         56
        .size:           4
        .value_kind:     hidden_block_count_z
      - .offset:         60
        .size:           2
        .value_kind:     hidden_group_size_x
      - .offset:         62
        .size:           2
        .value_kind:     hidden_group_size_y
      - .offset:         64
        .size:           2
        .value_kind:     hidden_group_size_z
      - .offset:         66
        .size:           2
        .value_kind:     hidden_remainder_x
      - .offset:         68
        .size:           2
        .value_kind:     hidden_remainder_y
      - .offset:         70
        .size:           2
        .value_kind:     hidden_remainder_z
      - .offset:         88
        .size:           8
        .value_kind:     hidden_global_offset_x
      - .offset:         96
        .size:           8
        .value_kind:     hidden_global_offset_y
      - .offset:         104
        .size:           8
        .value_kind:     hidden_global_offset_z
      - .offset:         112
        .size:           2
        .value_kind:     hidden_grid_dims
    .group_segment_fixed_size: 0
    .kernarg_segment_align: 8
    .kernarg_segment_size: 304
    .language:       OpenCL C
    .language_version:
      - 2
      - 0
    .max_flat_workgroup_size: 1024
    .name:           _ZL9moe_vec_qIN3c108BFloat16ELi256ELi32E10block_q6_KLi1EXadL_ZL17vec_dot_q6_K_q8_1PKvPK10block_q8_1RKiEEEvS4_S4_PT_PS8_iiii
    .private_segment_fixed_size: 0
    .sgpr_count:     22
    .sgpr_spill_count: 0
    .symbol:         _ZL9moe_vec_qIN3c108BFloat16ELi256ELi32E10block_q6_KLi1EXadL_ZL17vec_dot_q6_K_q8_1PKvPK10block_q8_1RKiEEEvS4_S4_PT_PS8_iiii.kd
    .uniform_work_group_size: 1
    .uses_dynamic_stack: false
    .vgpr_count:     34
    .vgpr_spill_count: 0
    .wavefront_size: 32
    .workgroup_processor_mode: 1
  - .args:
      - .actual_access:  read_only
        .address_space:  global
        .offset:         0
        .size:           8
        .value_kind:     global_buffer
      - .actual_access:  read_only
        .address_space:  global
        .offset:         8
        .size:           8
        .value_kind:     global_buffer
      - .actual_access:  write_only
        .address_space:  global
        .offset:         16
        .size:           8
        .value_kind:     global_buffer
      - .address_space:  global
        .offset:         24
        .size:           8
        .value_kind:     global_buffer
      - .offset:         32
        .size:           4
        .value_kind:     by_value
      - .offset:         36
        .size:           4
        .value_kind:     by_value
      - .offset:         40
        .size:           4
        .value_kind:     by_value
      - .offset:         44
        .size:           4
        .value_kind:     by_value
      - .offset:         48
        .size:           4
        .value_kind:     hidden_block_count_x
      - .offset:         52
        .size:           4
        .value_kind:     hidden_block_count_y
      - .offset:         56
        .size:           4
        .value_kind:     hidden_block_count_z
      - .offset:         60
        .size:           2
        .value_kind:     hidden_group_size_x
      - .offset:         62
        .size:           2
        .value_kind:     hidden_group_size_y
      - .offset:         64
        .size:           2
        .value_kind:     hidden_group_size_z
      - .offset:         66
        .size:           2
        .value_kind:     hidden_remainder_x
      - .offset:         68
        .size:           2
        .value_kind:     hidden_remainder_y
      - .offset:         70
        .size:           2
        .value_kind:     hidden_remainder_z
      - .offset:         88
        .size:           8
        .value_kind:     hidden_global_offset_x
      - .offset:         96
        .size:           8
        .value_kind:     hidden_global_offset_y
      - .offset:         104
        .size:           8
        .value_kind:     hidden_global_offset_z
      - .offset:         112
        .size:           2
        .value_kind:     hidden_grid_dims
    .group_segment_fixed_size: 0
    .kernarg_segment_align: 8
    .kernarg_segment_size: 304
    .language:       OpenCL C
    .language_version:
      - 2
      - 0
    .max_flat_workgroup_size: 1024
    .name:           _ZL9moe_vec_qIN3c108BFloat16ELi256ELi8E13block_iq2_xxsLi1EXadL_ZL20vec_dot_iq2_xxs_q8_1PKvPK10block_q8_1RKiEEEvS4_S4_PT_PS8_iiii
    .private_segment_fixed_size: 0
    .sgpr_count:     23
    .sgpr_spill_count: 0
    .symbol:         _ZL9moe_vec_qIN3c108BFloat16ELi256ELi8E13block_iq2_xxsLi1EXadL_ZL20vec_dot_iq2_xxs_q8_1PKvPK10block_q8_1RKiEEEvS4_S4_PT_PS8_iiii.kd
    .uniform_work_group_size: 1
    .uses_dynamic_stack: false
    .vgpr_count:     94
    .vgpr_spill_count: 0
    .wavefront_size: 32
    .workgroup_processor_mode: 1
  - .args:
      - .actual_access:  read_only
        .address_space:  global
        .offset:         0
        .size:           8
        .value_kind:     global_buffer
      - .actual_access:  read_only
        .address_space:  global
        .offset:         8
        .size:           8
        .value_kind:     global_buffer
      - .actual_access:  write_only
        .address_space:  global
        .offset:         16
        .size:           8
        .value_kind:     global_buffer
      - .address_space:  global
        .offset:         24
        .size:           8
        .value_kind:     global_buffer
      - .offset:         32
        .size:           4
        .value_kind:     by_value
      - .offset:         36
        .size:           4
        .value_kind:     by_value
      - .offset:         40
        .size:           4
        .value_kind:     by_value
      - .offset:         44
        .size:           4
        .value_kind:     by_value
      - .offset:         48
        .size:           4
        .value_kind:     hidden_block_count_x
      - .offset:         52
        .size:           4
        .value_kind:     hidden_block_count_y
      - .offset:         56
        .size:           4
        .value_kind:     hidden_block_count_z
      - .offset:         60
        .size:           2
        .value_kind:     hidden_group_size_x
      - .offset:         62
        .size:           2
        .value_kind:     hidden_group_size_y
      - .offset:         64
        .size:           2
        .value_kind:     hidden_group_size_z
      - .offset:         66
        .size:           2
        .value_kind:     hidden_remainder_x
      - .offset:         68
        .size:           2
        .value_kind:     hidden_remainder_y
      - .offset:         70
        .size:           2
        .value_kind:     hidden_remainder_z
      - .offset:         88
        .size:           8
        .value_kind:     hidden_global_offset_x
      - .offset:         96
        .size:           8
        .value_kind:     hidden_global_offset_y
      - .offset:         104
        .size:           8
        .value_kind:     hidden_global_offset_z
      - .offset:         112
        .size:           2
        .value_kind:     hidden_grid_dims
    .group_segment_fixed_size: 0
    .kernarg_segment_align: 8
    .kernarg_segment_size: 304
    .language:       OpenCL C
    .language_version:
      - 2
      - 0
    .max_flat_workgroup_size: 1024
    .name:           _ZL9moe_vec_qIN3c108BFloat16ELi256ELi8E12block_iq2_xsLi1EXadL_ZL19vec_dot_iq2_xs_q8_1PKvPK10block_q8_1RKiEEEvS4_S4_PT_PS8_iiii
    .private_segment_fixed_size: 0
    .sgpr_count:     44
    .sgpr_spill_count: 0
    .symbol:         _ZL9moe_vec_qIN3c108BFloat16ELi256ELi8E12block_iq2_xsLi1EXadL_ZL19vec_dot_iq2_xs_q8_1PKvPK10block_q8_1RKiEEEvS4_S4_PT_PS8_iiii.kd
    .uniform_work_group_size: 1
    .uses_dynamic_stack: false
    .vgpr_count:     94
    .vgpr_spill_count: 0
    .wavefront_size: 32
    .workgroup_processor_mode: 1
  - .args:
      - .actual_access:  read_only
        .address_space:  global
        .offset:         0
        .size:           8
        .value_kind:     global_buffer
      - .actual_access:  read_only
        .address_space:  global
        .offset:         8
        .size:           8
        .value_kind:     global_buffer
      - .actual_access:  write_only
        .address_space:  global
        .offset:         16
        .size:           8
        .value_kind:     global_buffer
      - .address_space:  global
        .offset:         24
        .size:           8
        .value_kind:     global_buffer
      - .offset:         32
        .size:           4
        .value_kind:     by_value
      - .offset:         36
        .size:           4
        .value_kind:     by_value
      - .offset:         40
        .size:           4
        .value_kind:     by_value
      - .offset:         44
        .size:           4
        .value_kind:     by_value
      - .offset:         48
        .size:           4
        .value_kind:     hidden_block_count_x
      - .offset:         52
        .size:           4
        .value_kind:     hidden_block_count_y
      - .offset:         56
        .size:           4
        .value_kind:     hidden_block_count_z
      - .offset:         60
        .size:           2
        .value_kind:     hidden_group_size_x
      - .offset:         62
        .size:           2
        .value_kind:     hidden_group_size_y
      - .offset:         64
        .size:           2
        .value_kind:     hidden_group_size_z
      - .offset:         66
        .size:           2
        .value_kind:     hidden_remainder_x
      - .offset:         68
        .size:           2
        .value_kind:     hidden_remainder_y
      - .offset:         70
        .size:           2
        .value_kind:     hidden_remainder_z
      - .offset:         88
        .size:           8
        .value_kind:     hidden_global_offset_x
      - .offset:         96
        .size:           8
        .value_kind:     hidden_global_offset_y
      - .offset:         104
        .size:           8
        .value_kind:     hidden_global_offset_z
      - .offset:         112
        .size:           2
        .value_kind:     hidden_grid_dims
    .group_segment_fixed_size: 0
    .kernarg_segment_align: 8
    .kernarg_segment_size: 304
    .language:       OpenCL C
    .language_version:
      - 2
      - 0
    .max_flat_workgroup_size: 1024
    .name:           _ZL9moe_vec_qIN3c108BFloat16ELi256ELi8E13block_iq3_xxsLi1EXadL_ZL20vec_dot_iq3_xxs_q8_1PKvPK10block_q8_1RKiEEEvS4_S4_PT_PS8_iiii
    .private_segment_fixed_size: 0
    .sgpr_count:     21
    .sgpr_spill_count: 0
    .symbol:         _ZL9moe_vec_qIN3c108BFloat16ELi256ELi8E13block_iq3_xxsLi1EXadL_ZL20vec_dot_iq3_xxs_q8_1PKvPK10block_q8_1RKiEEEvS4_S4_PT_PS8_iiii.kd
    .uniform_work_group_size: 1
    .uses_dynamic_stack: false
    .vgpr_count:     40
    .vgpr_spill_count: 0
    .wavefront_size: 32
    .workgroup_processor_mode: 1
  - .args:
      - .actual_access:  read_only
        .address_space:  global
        .offset:         0
        .size:           8
        .value_kind:     global_buffer
      - .actual_access:  read_only
        .address_space:  global
        .offset:         8
        .size:           8
        .value_kind:     global_buffer
      - .actual_access:  write_only
        .address_space:  global
        .offset:         16
        .size:           8
        .value_kind:     global_buffer
      - .address_space:  global
        .offset:         24
        .size:           8
        .value_kind:     global_buffer
      - .offset:         32
        .size:           4
        .value_kind:     by_value
      - .offset:         36
        .size:           4
        .value_kind:     by_value
      - .offset:         40
        .size:           4
        .value_kind:     by_value
      - .offset:         44
        .size:           4
        .value_kind:     by_value
      - .offset:         48
        .size:           4
        .value_kind:     hidden_block_count_x
      - .offset:         52
        .size:           4
        .value_kind:     hidden_block_count_y
      - .offset:         56
        .size:           4
        .value_kind:     hidden_block_count_z
      - .offset:         60
        .size:           2
        .value_kind:     hidden_group_size_x
      - .offset:         62
        .size:           2
        .value_kind:     hidden_group_size_y
      - .offset:         64
        .size:           2
        .value_kind:     hidden_group_size_z
      - .offset:         66
        .size:           2
        .value_kind:     hidden_remainder_x
      - .offset:         68
        .size:           2
        .value_kind:     hidden_remainder_y
      - .offset:         70
        .size:           2
        .value_kind:     hidden_remainder_z
      - .offset:         88
        .size:           8
        .value_kind:     hidden_global_offset_x
      - .offset:         96
        .size:           8
        .value_kind:     hidden_global_offset_y
      - .offset:         104
        .size:           8
        .value_kind:     hidden_global_offset_z
      - .offset:         112
        .size:           2
        .value_kind:     hidden_grid_dims
    .group_segment_fixed_size: 0
    .kernarg_segment_align: 8
    .kernarg_segment_size: 304
    .language:       OpenCL C
    .language_version:
      - 2
      - 0
    .max_flat_workgroup_size: 1024
    .name:           _ZL9moe_vec_qIN3c108BFloat16ELi256ELi8E11block_iq1_sLi1EXadL_ZL18vec_dot_iq1_s_q8_1PKvPK10block_q8_1RKiEEEvS4_S4_PT_PS8_iiii
    .private_segment_fixed_size: 0
    .sgpr_count:     22
    .sgpr_spill_count: 0
    .symbol:         _ZL9moe_vec_qIN3c108BFloat16ELi256ELi8E11block_iq1_sLi1EXadL_ZL18vec_dot_iq1_s_q8_1PKvPK10block_q8_1RKiEEEvS4_S4_PT_PS8_iiii.kd
    .uniform_work_group_size: 1
    .uses_dynamic_stack: false
    .vgpr_count:     77
    .vgpr_spill_count: 0
    .wavefront_size: 32
    .workgroup_processor_mode: 1
  - .args:
      - .actual_access:  read_only
        .address_space:  global
        .offset:         0
        .size:           8
        .value_kind:     global_buffer
      - .actual_access:  read_only
        .address_space:  global
        .offset:         8
        .size:           8
        .value_kind:     global_buffer
      - .actual_access:  write_only
        .address_space:  global
        .offset:         16
        .size:           8
        .value_kind:     global_buffer
      - .address_space:  global
        .offset:         24
        .size:           8
        .value_kind:     global_buffer
      - .offset:         32
        .size:           4
        .value_kind:     by_value
      - .offset:         36
        .size:           4
        .value_kind:     by_value
      - .offset:         40
        .size:           4
        .value_kind:     by_value
      - .offset:         44
        .size:           4
        .value_kind:     by_value
      - .offset:         48
        .size:           4
        .value_kind:     hidden_block_count_x
      - .offset:         52
        .size:           4
        .value_kind:     hidden_block_count_y
      - .offset:         56
        .size:           4
        .value_kind:     hidden_block_count_z
      - .offset:         60
        .size:           2
        .value_kind:     hidden_group_size_x
      - .offset:         62
        .size:           2
        .value_kind:     hidden_group_size_y
      - .offset:         64
        .size:           2
        .value_kind:     hidden_group_size_z
      - .offset:         66
        .size:           2
        .value_kind:     hidden_remainder_x
      - .offset:         68
        .size:           2
        .value_kind:     hidden_remainder_y
      - .offset:         70
        .size:           2
        .value_kind:     hidden_remainder_z
      - .offset:         88
        .size:           8
        .value_kind:     hidden_global_offset_x
      - .offset:         96
        .size:           8
        .value_kind:     hidden_global_offset_y
      - .offset:         104
        .size:           8
        .value_kind:     hidden_global_offset_z
      - .offset:         112
        .size:           2
        .value_kind:     hidden_grid_dims
    .group_segment_fixed_size: 0
    .kernarg_segment_align: 8
    .kernarg_segment_size: 304
    .language:       OpenCL C
    .language_version:
      - 2
      - 0
    .max_flat_workgroup_size: 1024
    .name:           _ZL9moe_vec_qIN3c108BFloat16ELi32ELi4E12block_iq4_nlLi2EXadL_ZL19vec_dot_iq4_nl_q8_1PKvPK10block_q8_1RKiEEEvS4_S4_PT_PS8_iiii
    .private_segment_fixed_size: 0
    .sgpr_count:     21
    .sgpr_spill_count: 0
    .symbol:         _ZL9moe_vec_qIN3c108BFloat16ELi32ELi4E12block_iq4_nlLi2EXadL_ZL19vec_dot_iq4_nl_q8_1PKvPK10block_q8_1RKiEEEvS4_S4_PT_PS8_iiii.kd
    .uniform_work_group_size: 1
    .uses_dynamic_stack: false
    .vgpr_count:     33
    .vgpr_spill_count: 0
    .wavefront_size: 32
    .workgroup_processor_mode: 1
  - .args:
      - .actual_access:  read_only
        .address_space:  global
        .offset:         0
        .size:           8
        .value_kind:     global_buffer
      - .actual_access:  read_only
        .address_space:  global
        .offset:         8
        .size:           8
        .value_kind:     global_buffer
      - .actual_access:  write_only
        .address_space:  global
        .offset:         16
        .size:           8
        .value_kind:     global_buffer
      - .address_space:  global
        .offset:         24
        .size:           8
        .value_kind:     global_buffer
      - .offset:         32
        .size:           4
        .value_kind:     by_value
      - .offset:         36
        .size:           4
        .value_kind:     by_value
      - .offset:         40
        .size:           4
        .value_kind:     by_value
      - .offset:         44
        .size:           4
        .value_kind:     by_value
      - .offset:         48
        .size:           4
        .value_kind:     hidden_block_count_x
      - .offset:         52
        .size:           4
        .value_kind:     hidden_block_count_y
      - .offset:         56
        .size:           4
        .value_kind:     hidden_block_count_z
      - .offset:         60
        .size:           2
        .value_kind:     hidden_group_size_x
      - .offset:         62
        .size:           2
        .value_kind:     hidden_group_size_y
      - .offset:         64
        .size:           2
        .value_kind:     hidden_group_size_z
      - .offset:         66
        .size:           2
        .value_kind:     hidden_remainder_x
      - .offset:         68
        .size:           2
        .value_kind:     hidden_remainder_y
      - .offset:         70
        .size:           2
        .value_kind:     hidden_remainder_z
      - .offset:         88
        .size:           8
        .value_kind:     hidden_global_offset_x
      - .offset:         96
        .size:           8
        .value_kind:     hidden_global_offset_y
      - .offset:         104
        .size:           8
        .value_kind:     hidden_global_offset_z
      - .offset:         112
        .size:           2
        .value_kind:     hidden_grid_dims
    .group_segment_fixed_size: 0
    .kernarg_segment_align: 8
    .kernarg_segment_size: 304
    .language:       OpenCL C
    .language_version:
      - 2
      - 0
    .max_flat_workgroup_size: 1024
    .name:           _ZL9moe_vec_qIN3c108BFloat16ELi256ELi8E11block_iq3_sLi1EXadL_ZL18vec_dot_iq3_s_q8_1PKvPK10block_q8_1RKiEEEvS4_S4_PT_PS8_iiii
    .private_segment_fixed_size: 0
    .sgpr_count:     22
    .sgpr_spill_count: 0
    .symbol:         _ZL9moe_vec_qIN3c108BFloat16ELi256ELi8E11block_iq3_sLi1EXadL_ZL18vec_dot_iq3_s_q8_1PKvPK10block_q8_1RKiEEEvS4_S4_PT_PS8_iiii.kd
    .uniform_work_group_size: 1
    .uses_dynamic_stack: false
    .vgpr_count:     47
    .vgpr_spill_count: 0
    .wavefront_size: 32
    .workgroup_processor_mode: 1
  - .args:
      - .actual_access:  read_only
        .address_space:  global
        .offset:         0
        .size:           8
        .value_kind:     global_buffer
      - .actual_access:  read_only
        .address_space:  global
        .offset:         8
        .size:           8
        .value_kind:     global_buffer
      - .actual_access:  write_only
        .address_space:  global
        .offset:         16
        .size:           8
        .value_kind:     global_buffer
      - .address_space:  global
        .offset:         24
        .size:           8
        .value_kind:     global_buffer
      - .offset:         32
        .size:           4
        .value_kind:     by_value
      - .offset:         36
        .size:           4
        .value_kind:     by_value
      - .offset:         40
        .size:           4
        .value_kind:     by_value
      - .offset:         44
        .size:           4
        .value_kind:     by_value
      - .offset:         48
        .size:           4
        .value_kind:     hidden_block_count_x
      - .offset:         52
        .size:           4
        .value_kind:     hidden_block_count_y
      - .offset:         56
        .size:           4
        .value_kind:     hidden_block_count_z
      - .offset:         60
        .size:           2
        .value_kind:     hidden_group_size_x
      - .offset:         62
        .size:           2
        .value_kind:     hidden_group_size_y
      - .offset:         64
        .size:           2
        .value_kind:     hidden_group_size_z
      - .offset:         66
        .size:           2
        .value_kind:     hidden_remainder_x
      - .offset:         68
        .size:           2
        .value_kind:     hidden_remainder_y
      - .offset:         70
        .size:           2
        .value_kind:     hidden_remainder_z
      - .offset:         88
        .size:           8
        .value_kind:     hidden_global_offset_x
      - .offset:         96
        .size:           8
        .value_kind:     hidden_global_offset_y
      - .offset:         104
        .size:           8
        .value_kind:     hidden_global_offset_z
      - .offset:         112
        .size:           2
        .value_kind:     hidden_grid_dims
    .group_segment_fixed_size: 0
    .kernarg_segment_align: 8
    .kernarg_segment_size: 304
    .language:       OpenCL C
    .language_version:
      - 2
      - 0
    .max_flat_workgroup_size: 1024
    .name:           _ZL9moe_vec_qIN3c108BFloat16ELi256ELi8E11block_iq2_sLi1EXadL_ZL18vec_dot_iq2_s_q8_1PKvPK10block_q8_1RKiEEEvS4_S4_PT_PS8_iiii
    .private_segment_fixed_size: 0
    .sgpr_count:     22
    .sgpr_spill_count: 0
    .symbol:         _ZL9moe_vec_qIN3c108BFloat16ELi256ELi8E11block_iq2_sLi1EXadL_ZL18vec_dot_iq2_s_q8_1PKvPK10block_q8_1RKiEEEvS4_S4_PT_PS8_iiii.kd
    .uniform_work_group_size: 1
    .uses_dynamic_stack: false
    .vgpr_count:     70
    .vgpr_spill_count: 0
    .wavefront_size: 32
    .workgroup_processor_mode: 1
  - .args:
      - .actual_access:  read_only
        .address_space:  global
        .offset:         0
        .size:           8
        .value_kind:     global_buffer
      - .actual_access:  read_only
        .address_space:  global
        .offset:         8
        .size:           8
        .value_kind:     global_buffer
      - .actual_access:  write_only
        .address_space:  global
        .offset:         16
        .size:           8
        .value_kind:     global_buffer
      - .address_space:  global
        .offset:         24
        .size:           8
        .value_kind:     global_buffer
      - .offset:         32
        .size:           4
        .value_kind:     by_value
      - .offset:         36
        .size:           4
        .value_kind:     by_value
      - .offset:         40
        .size:           4
        .value_kind:     by_value
      - .offset:         44
        .size:           4
        .value_kind:     by_value
      - .offset:         48
        .size:           4
        .value_kind:     hidden_block_count_x
      - .offset:         52
        .size:           4
        .value_kind:     hidden_block_count_y
      - .offset:         56
        .size:           4
        .value_kind:     hidden_block_count_z
      - .offset:         60
        .size:           2
        .value_kind:     hidden_group_size_x
      - .offset:         62
        .size:           2
        .value_kind:     hidden_group_size_y
      - .offset:         64
        .size:           2
        .value_kind:     hidden_group_size_z
      - .offset:         66
        .size:           2
        .value_kind:     hidden_remainder_x
      - .offset:         68
        .size:           2
        .value_kind:     hidden_remainder_y
      - .offset:         70
        .size:           2
        .value_kind:     hidden_remainder_z
      - .offset:         88
        .size:           8
        .value_kind:     hidden_global_offset_x
      - .offset:         96
        .size:           8
        .value_kind:     hidden_global_offset_y
      - .offset:         104
        .size:           8
        .value_kind:     hidden_global_offset_z
      - .offset:         112
        .size:           2
        .value_kind:     hidden_grid_dims
    .group_segment_fixed_size: 0
    .kernarg_segment_align: 8
    .kernarg_segment_size: 304
    .language:       OpenCL C
    .language_version:
      - 2
      - 0
    .max_flat_workgroup_size: 1024
    .name:           _ZL9moe_vec_qIN3c108BFloat16ELi256ELi8E12block_iq4_xsLi1EXadL_ZL19vec_dot_iq4_xs_q8_1PKvPK10block_q8_1RKiEEEvS4_S4_PT_PS8_iiii
    .private_segment_fixed_size: 0
    .sgpr_count:     21
    .sgpr_spill_count: 0
    .symbol:         _ZL9moe_vec_qIN3c108BFloat16ELi256ELi8E12block_iq4_xsLi1EXadL_ZL19vec_dot_iq4_xs_q8_1PKvPK10block_q8_1RKiEEEvS4_S4_PT_PS8_iiii.kd
    .uniform_work_group_size: 1
    .uses_dynamic_stack: false
    .vgpr_count:     56
    .vgpr_spill_count: 0
    .wavefront_size: 32
    .workgroup_processor_mode: 1
  - .args:
      - .actual_access:  read_only
        .address_space:  global
        .offset:         0
        .size:           8
        .value_kind:     global_buffer
      - .actual_access:  read_only
        .address_space:  global
        .offset:         8
        .size:           8
        .value_kind:     global_buffer
      - .actual_access:  write_only
        .address_space:  global
        .offset:         16
        .size:           8
        .value_kind:     global_buffer
      - .address_space:  global
        .offset:         24
        .size:           8
        .value_kind:     global_buffer
      - .offset:         32
        .size:           4
        .value_kind:     by_value
      - .offset:         36
        .size:           4
        .value_kind:     by_value
      - .offset:         40
        .size:           4
        .value_kind:     by_value
      - .offset:         44
        .size:           4
        .value_kind:     by_value
      - .offset:         48
        .size:           4
        .value_kind:     hidden_block_count_x
      - .offset:         52
        .size:           4
        .value_kind:     hidden_block_count_y
      - .offset:         56
        .size:           4
        .value_kind:     hidden_block_count_z
      - .offset:         60
        .size:           2
        .value_kind:     hidden_group_size_x
      - .offset:         62
        .size:           2
        .value_kind:     hidden_group_size_y
      - .offset:         64
        .size:           2
        .value_kind:     hidden_group_size_z
      - .offset:         66
        .size:           2
        .value_kind:     hidden_remainder_x
      - .offset:         68
        .size:           2
        .value_kind:     hidden_remainder_y
      - .offset:         70
        .size:           2
        .value_kind:     hidden_remainder_z
      - .offset:         88
        .size:           8
        .value_kind:     hidden_global_offset_x
      - .offset:         96
        .size:           8
        .value_kind:     hidden_global_offset_y
      - .offset:         104
        .size:           8
        .value_kind:     hidden_global_offset_z
      - .offset:         112
        .size:           2
        .value_kind:     hidden_grid_dims
    .group_segment_fixed_size: 0
    .kernarg_segment_align: 8
    .kernarg_segment_size: 304
    .language:       OpenCL C
    .language_version:
      - 2
      - 0
    .max_flat_workgroup_size: 1024
    .name:           _ZL9moe_vec_qIN3c108BFloat16ELi256ELi8E11block_iq1_mLi1EXadL_ZL18vec_dot_iq1_m_q8_1PKvPK10block_q8_1RKiEEEvS4_S4_PT_PS8_iiii
    .private_segment_fixed_size: 0
    .sgpr_count:     21
    .sgpr_spill_count: 0
    .symbol:         _ZL9moe_vec_qIN3c108BFloat16ELi256ELi8E11block_iq1_mLi1EXadL_ZL18vec_dot_iq1_m_q8_1PKvPK10block_q8_1RKiEEEvS4_S4_PT_PS8_iiii.kd
    .uniform_work_group_size: 1
    .uses_dynamic_stack: false
    .vgpr_count:     83
    .vgpr_spill_count: 0
    .wavefront_size: 32
    .workgroup_processor_mode: 1
amdhsa.target:   amdgcn-amd-amdhsa--gfx1201
amdhsa.version:
  - 1
  - 2
...

	.end_amdgpu_metadata
